;; amdgpu-corpus repo=ROCm/rocThrust kind=compiled arch=gfx1100 opt=O3
	.text
	.amdgcn_target "amdgcn-amd-amdhsa--gfx1100"
	.amdhsa_code_object_version 6
	.protected	_Z10CopyKerneliPiS_     ; -- Begin function _Z10CopyKerneliPiS_
	.globl	_Z10CopyKerneliPiS_
	.p2align	8
	.type	_Z10CopyKerneliPiS_,@function
_Z10CopyKerneliPiS_:                    ; @_Z10CopyKerneliPiS_
; %bb.0:
	s_mov_b32 s2, exec_lo
	v_cmpx_eq_u32_e32 0, v0
	s_cbranch_execz .LBB0_4
; %bb.1:
	s_load_b32 s2, s[0:1], 0x0
	s_waitcnt lgkmcnt(0)
	s_ashr_i32 s3, s2, 31
	s_delay_alu instid0(SALU_CYCLE_1) | instskip(NEXT) | instid1(SALU_CYCLE_1)
	s_lshl_b64 s[2:3], s[2:3], 2
	s_sub_u32 s2, 0, s2
	s_subb_u32 s3, 0, s3
	s_delay_alu instid0(SALU_CYCLE_1) | instskip(NEXT) | instid1(SALU_CYCLE_1)
	s_ashr_i64 s[4:5], s[2:3], 2
	v_cmp_gt_i64_e64 s2, s[4:5], -1
	s_delay_alu instid0(VALU_DEP_1)
	s_and_b32 vcc_lo, exec_lo, s2
	s_cbranch_vccnz .LBB0_4
; %bb.2:
	s_load_b128 s[0:3], s[0:1], 0x8
	v_mov_b32_e32 v0, 0
	s_sub_u32 s4, 1, s4
	s_subb_u32 s5, 0, s5
.LBB0_3:                                ; =>This Inner Loop Header: Depth=1
	s_waitcnt lgkmcnt(0)
	global_load_b32 v1, v0, s[0:1]
	s_add_u32 s0, s0, 4
	s_addc_u32 s1, s1, 0
	s_waitcnt vmcnt(0)
	global_store_b32 v0, v1, s[2:3]
	s_add_u32 s2, s2, 4
	s_addc_u32 s3, s3, 0
	s_add_u32 s4, s4, -1
	s_addc_u32 s5, s5, -1
	s_delay_alu instid0(SALU_CYCLE_1) | instskip(NEXT) | instid1(VALU_DEP_1)
	v_cmp_gt_u64_e64 s6, s[4:5], 1
	s_and_b32 vcc_lo, exec_lo, s6
	s_cbranch_vccnz .LBB0_3
.LBB0_4:
	s_nop 0
	s_sendmsg sendmsg(MSG_DEALLOC_VGPRS)
	s_endpgm
	.section	.rodata,"a",@progbits
	.p2align	6, 0x0
	.amdhsa_kernel _Z10CopyKerneliPiS_
		.amdhsa_group_segment_fixed_size 0
		.amdhsa_private_segment_fixed_size 0
		.amdhsa_kernarg_size 24
		.amdhsa_user_sgpr_count 15
		.amdhsa_user_sgpr_dispatch_ptr 0
		.amdhsa_user_sgpr_queue_ptr 0
		.amdhsa_user_sgpr_kernarg_segment_ptr 1
		.amdhsa_user_sgpr_dispatch_id 0
		.amdhsa_user_sgpr_private_segment_size 0
		.amdhsa_wavefront_size32 1
		.amdhsa_uses_dynamic_stack 0
		.amdhsa_enable_private_segment 0
		.amdhsa_system_sgpr_workgroup_id_x 1
		.amdhsa_system_sgpr_workgroup_id_y 0
		.amdhsa_system_sgpr_workgroup_id_z 0
		.amdhsa_system_sgpr_workgroup_info 0
		.amdhsa_system_vgpr_workitem_id 0
		.amdhsa_next_free_vgpr 2
		.amdhsa_next_free_sgpr 7
		.amdhsa_reserve_vcc 1
		.amdhsa_float_round_mode_32 0
		.amdhsa_float_round_mode_16_64 0
		.amdhsa_float_denorm_mode_32 3
		.amdhsa_float_denorm_mode_16_64 3
		.amdhsa_dx10_clamp 1
		.amdhsa_ieee_mode 1
		.amdhsa_fp16_overflow 0
		.amdhsa_workgroup_processor_mode 1
		.amdhsa_memory_ordered 1
		.amdhsa_forward_progress 0
		.amdhsa_shared_vgpr_count 0
		.amdhsa_exception_fp_ieee_invalid_op 0
		.amdhsa_exception_fp_denorm_src 0
		.amdhsa_exception_fp_ieee_div_zero 0
		.amdhsa_exception_fp_ieee_overflow 0
		.amdhsa_exception_fp_ieee_underflow 0
		.amdhsa_exception_fp_ieee_inexact 0
		.amdhsa_exception_int_div_zero 0
	.end_amdhsa_kernel
	.text
.Lfunc_end0:
	.size	_Z10CopyKerneliPiS_, .Lfunc_end0-_Z10CopyKerneliPiS_
                                        ; -- End function
	.section	.AMDGPU.csdata,"",@progbits
; Kernel info:
; codeLenInByte = 172
; NumSgprs: 9
; NumVgprs: 2
; ScratchSize: 0
; MemoryBound: 0
; FloatMode: 240
; IeeeMode: 1
; LDSByteSize: 0 bytes/workgroup (compile time only)
; SGPRBlocks: 1
; VGPRBlocks: 0
; NumSGPRsForWavesPerEU: 9
; NumVGPRsForWavesPerEU: 2
; Occupancy: 16
; WaveLimiterHint : 0
; COMPUTE_PGM_RSRC2:SCRATCH_EN: 0
; COMPUTE_PGM_RSRC2:USER_SGPR: 15
; COMPUTE_PGM_RSRC2:TRAP_HANDLER: 0
; COMPUTE_PGM_RSRC2:TGID_X_EN: 1
; COMPUTE_PGM_RSRC2:TGID_Y_EN: 0
; COMPUTE_PGM_RSRC2:TGID_Z_EN: 0
; COMPUTE_PGM_RSRC2:TIDIG_COMP_CNT: 0
	.text
	.protected	_Z12CopyIfKerneliPiS_S_ ; -- Begin function _Z12CopyIfKerneliPiS_S_
	.globl	_Z12CopyIfKerneliPiS_S_
	.p2align	8
	.type	_Z12CopyIfKerneliPiS_S_,@function
_Z12CopyIfKerneliPiS_S_:                ; @_Z12CopyIfKerneliPiS_S_
; %bb.0:
	s_mov_b32 s2, exec_lo
	v_cmpx_eq_u32_e32 0, v0
	s_cbranch_execz .LBB1_8
; %bb.1:
	s_clause 0x2
	s_load_b32 s2, s[0:1], 0x0
	s_load_b128 s[4:7], s[0:1], 0x8
	s_load_b64 s[0:1], s[0:1], 0x18
	s_waitcnt lgkmcnt(0)
	s_ashr_i32 s3, s2, 31
	s_delay_alu instid0(SALU_CYCLE_1) | instskip(NEXT) | instid1(SALU_CYCLE_1)
	s_lshl_b64 s[8:9], s[2:3], 2
	s_cmp_eq_u64 s[8:9], 0
	s_cbranch_scc1 .LBB1_6
; %bb.2:
	v_mov_b32_e32 v0, 0
	s_mov_b64 s[2:3], s[6:7]
	s_branch .LBB1_4
	.p2align	6
.LBB1_3:                                ;   in Loop: Header=BB1_4 Depth=1
	s_add_u32 s4, s4, 4
	s_addc_u32 s5, s5, 0
	s_add_u32 s8, s8, -4
	s_addc_u32 s9, s9, -1
	s_delay_alu instid0(SALU_CYCLE_1)
	s_cmp_lg_u64 s[8:9], 0
	s_cbranch_scc0 .LBB1_7
.LBB1_4:                                ; =>This Inner Loop Header: Depth=1
	global_load_b32 v1, v0, s[4:5]
	s_waitcnt vmcnt(0)
	v_and_b32_e32 v2, 1, v1
	s_delay_alu instid0(VALU_DEP_1)
	v_cmp_eq_u32_e32 vcc_lo, 1, v2
	s_cbranch_vccnz .LBB1_3
; %bb.5:                                ;   in Loop: Header=BB1_4 Depth=1
	s_add_u32 s10, s2, 4
	s_addc_u32 s11, s3, 0
	global_store_b32 v0, v1, s[2:3]
	s_mov_b64 s[2:3], s[10:11]
	s_branch .LBB1_3
.LBB1_6:
	s_mov_b64 s[2:3], s[6:7]
.LBB1_7:
	s_delay_alu instid0(SALU_CYCLE_1)
	s_sub_u32 s2, s2, s6
	s_subb_u32 s3, s3, s7
	v_mov_b32_e32 v0, 0
	v_alignbit_b32 v1, s3, s2, 2
	global_store_b32 v0, v1, s[0:1]
.LBB1_8:
	s_nop 0
	s_sendmsg sendmsg(MSG_DEALLOC_VGPRS)
	s_endpgm
	.section	.rodata,"a",@progbits
	.p2align	6, 0x0
	.amdhsa_kernel _Z12CopyIfKerneliPiS_S_
		.amdhsa_group_segment_fixed_size 0
		.amdhsa_private_segment_fixed_size 0
		.amdhsa_kernarg_size 32
		.amdhsa_user_sgpr_count 15
		.amdhsa_user_sgpr_dispatch_ptr 0
		.amdhsa_user_sgpr_queue_ptr 0
		.amdhsa_user_sgpr_kernarg_segment_ptr 1
		.amdhsa_user_sgpr_dispatch_id 0
		.amdhsa_user_sgpr_private_segment_size 0
		.amdhsa_wavefront_size32 1
		.amdhsa_uses_dynamic_stack 0
		.amdhsa_enable_private_segment 0
		.amdhsa_system_sgpr_workgroup_id_x 1
		.amdhsa_system_sgpr_workgroup_id_y 0
		.amdhsa_system_sgpr_workgroup_id_z 0
		.amdhsa_system_sgpr_workgroup_info 0
		.amdhsa_system_vgpr_workitem_id 0
		.amdhsa_next_free_vgpr 3
		.amdhsa_next_free_sgpr 12
		.amdhsa_reserve_vcc 1
		.amdhsa_float_round_mode_32 0
		.amdhsa_float_round_mode_16_64 0
		.amdhsa_float_denorm_mode_32 3
		.amdhsa_float_denorm_mode_16_64 3
		.amdhsa_dx10_clamp 1
		.amdhsa_ieee_mode 1
		.amdhsa_fp16_overflow 0
		.amdhsa_workgroup_processor_mode 1
		.amdhsa_memory_ordered 1
		.amdhsa_forward_progress 0
		.amdhsa_shared_vgpr_count 0
		.amdhsa_exception_fp_ieee_invalid_op 0
		.amdhsa_exception_fp_denorm_src 0
		.amdhsa_exception_fp_ieee_div_zero 0
		.amdhsa_exception_fp_ieee_overflow 0
		.amdhsa_exception_fp_ieee_underflow 0
		.amdhsa_exception_fp_ieee_inexact 0
		.amdhsa_exception_int_div_zero 0
	.end_amdhsa_kernel
	.text
.Lfunc_end1:
	.size	_Z12CopyIfKerneliPiS_S_, .Lfunc_end1-_Z12CopyIfKerneliPiS_S_
                                        ; -- End function
	.section	.AMDGPU.csdata,"",@progbits
; Kernel info:
; codeLenInByte = 204
; NumSgprs: 14
; NumVgprs: 3
; ScratchSize: 0
; MemoryBound: 0
; FloatMode: 240
; IeeeMode: 1
; LDSByteSize: 0 bytes/workgroup (compile time only)
; SGPRBlocks: 1
; VGPRBlocks: 0
; NumSGPRsForWavesPerEU: 14
; NumVGPRsForWavesPerEU: 3
; Occupancy: 16
; WaveLimiterHint : 0
; COMPUTE_PGM_RSRC2:SCRATCH_EN: 0
; COMPUTE_PGM_RSRC2:USER_SGPR: 15
; COMPUTE_PGM_RSRC2:TRAP_HANDLER: 0
; COMPUTE_PGM_RSRC2:TGID_X_EN: 1
; COMPUTE_PGM_RSRC2:TGID_Y_EN: 0
; COMPUTE_PGM_RSRC2:TGID_Z_EN: 0
; COMPUTE_PGM_RSRC2:TIDIG_COMP_CNT: 0
	.section	.text._ZN6thrust23THRUST_200600_302600_NS11hip_rocprim14__parallel_for6kernelILj256ENS1_20__uninitialized_fill7functorINS0_10device_ptrIiEEiEEmLj1EEEvT0_T1_SA_,"axG",@progbits,_ZN6thrust23THRUST_200600_302600_NS11hip_rocprim14__parallel_for6kernelILj256ENS1_20__uninitialized_fill7functorINS0_10device_ptrIiEEiEEmLj1EEEvT0_T1_SA_,comdat
	.protected	_ZN6thrust23THRUST_200600_302600_NS11hip_rocprim14__parallel_for6kernelILj256ENS1_20__uninitialized_fill7functorINS0_10device_ptrIiEEiEEmLj1EEEvT0_T1_SA_ ; -- Begin function _ZN6thrust23THRUST_200600_302600_NS11hip_rocprim14__parallel_for6kernelILj256ENS1_20__uninitialized_fill7functorINS0_10device_ptrIiEEiEEmLj1EEEvT0_T1_SA_
	.globl	_ZN6thrust23THRUST_200600_302600_NS11hip_rocprim14__parallel_for6kernelILj256ENS1_20__uninitialized_fill7functorINS0_10device_ptrIiEEiEEmLj1EEEvT0_T1_SA_
	.p2align	8
	.type	_ZN6thrust23THRUST_200600_302600_NS11hip_rocprim14__parallel_for6kernelILj256ENS1_20__uninitialized_fill7functorINS0_10device_ptrIiEEiEEmLj1EEEvT0_T1_SA_,@function
_ZN6thrust23THRUST_200600_302600_NS11hip_rocprim14__parallel_for6kernelILj256ENS1_20__uninitialized_fill7functorINS0_10device_ptrIiEEiEEmLj1EEEvT0_T1_SA_: ; @_ZN6thrust23THRUST_200600_302600_NS11hip_rocprim14__parallel_for6kernelILj256ENS1_20__uninitialized_fill7functorINS0_10device_ptrIiEEiEEmLj1EEEvT0_T1_SA_
; %bb.0:
	s_load_b128 s[4:7], s[0:1], 0x10
	s_lshl_b32 s2, s15, 8
	s_waitcnt lgkmcnt(0)
	s_add_u32 s2, s2, s6
	s_addc_u32 s3, 0, s7
	s_sub_u32 s4, s4, s2
	s_subb_u32 s5, s5, s3
	s_delay_alu instid0(SALU_CYCLE_1) | instskip(NEXT) | instid1(VALU_DEP_1)
	v_cmp_gt_u64_e64 s5, 0x100, s[4:5]
	s_and_b32 vcc_lo, exec_lo, s5
	s_mov_b32 s5, 0
	s_cbranch_vccz .LBB2_2
; %bb.1:
	v_cmp_gt_u32_e32 vcc_lo, s4, v0
	s_and_b32 s5, vcc_lo, exec_lo
	s_cbranch_execz .LBB2_3
	s_branch .LBB2_4
.LBB2_2:
.LBB2_3:
	s_or_b32 s5, s5, exec_lo
.LBB2_4:
	s_delay_alu instid0(SALU_CYCLE_1)
	s_and_saveexec_b32 s4, s5
	s_cbranch_execnz .LBB2_6
; %bb.5:
	s_endpgm
.LBB2_6:
	s_clause 0x1
	s_load_b64 s[4:5], s[0:1], 0x0
	s_load_b32 s6, s[0:1], 0x8
	v_mov_b32_e32 v1, 0
	s_lshl_b64 s[0:1], s[2:3], 2
	s_waitcnt lgkmcnt(0)
	s_add_u32 s0, s4, s0
	v_mov_b32_e32 v2, s6
	v_lshlrev_b64 v[0:1], 2, v[0:1]
	s_addc_u32 s1, s5, s1
	s_delay_alu instid0(VALU_DEP_1) | instskip(NEXT) | instid1(VALU_DEP_2)
	v_add_co_u32 v0, vcc_lo, s0, v0
	v_add_co_ci_u32_e32 v1, vcc_lo, s1, v1, vcc_lo
	flat_store_b32 v[0:1], v2
	s_endpgm
	.section	.rodata,"a",@progbits
	.p2align	6, 0x0
	.amdhsa_kernel _ZN6thrust23THRUST_200600_302600_NS11hip_rocprim14__parallel_for6kernelILj256ENS1_20__uninitialized_fill7functorINS0_10device_ptrIiEEiEEmLj1EEEvT0_T1_SA_
		.amdhsa_group_segment_fixed_size 0
		.amdhsa_private_segment_fixed_size 0
		.amdhsa_kernarg_size 32
		.amdhsa_user_sgpr_count 15
		.amdhsa_user_sgpr_dispatch_ptr 0
		.amdhsa_user_sgpr_queue_ptr 0
		.amdhsa_user_sgpr_kernarg_segment_ptr 1
		.amdhsa_user_sgpr_dispatch_id 0
		.amdhsa_user_sgpr_private_segment_size 0
		.amdhsa_wavefront_size32 1
		.amdhsa_uses_dynamic_stack 0
		.amdhsa_enable_private_segment 0
		.amdhsa_system_sgpr_workgroup_id_x 1
		.amdhsa_system_sgpr_workgroup_id_y 0
		.amdhsa_system_sgpr_workgroup_id_z 0
		.amdhsa_system_sgpr_workgroup_info 0
		.amdhsa_system_vgpr_workitem_id 0
		.amdhsa_next_free_vgpr 3
		.amdhsa_next_free_sgpr 16
		.amdhsa_reserve_vcc 1
		.amdhsa_float_round_mode_32 0
		.amdhsa_float_round_mode_16_64 0
		.amdhsa_float_denorm_mode_32 3
		.amdhsa_float_denorm_mode_16_64 3
		.amdhsa_dx10_clamp 1
		.amdhsa_ieee_mode 1
		.amdhsa_fp16_overflow 0
		.amdhsa_workgroup_processor_mode 1
		.amdhsa_memory_ordered 1
		.amdhsa_forward_progress 0
		.amdhsa_shared_vgpr_count 0
		.amdhsa_exception_fp_ieee_invalid_op 0
		.amdhsa_exception_fp_denorm_src 0
		.amdhsa_exception_fp_ieee_div_zero 0
		.amdhsa_exception_fp_ieee_overflow 0
		.amdhsa_exception_fp_ieee_underflow 0
		.amdhsa_exception_fp_ieee_inexact 0
		.amdhsa_exception_int_div_zero 0
	.end_amdhsa_kernel
	.section	.text._ZN6thrust23THRUST_200600_302600_NS11hip_rocprim14__parallel_for6kernelILj256ENS1_20__uninitialized_fill7functorINS0_10device_ptrIiEEiEEmLj1EEEvT0_T1_SA_,"axG",@progbits,_ZN6thrust23THRUST_200600_302600_NS11hip_rocprim14__parallel_for6kernelILj256ENS1_20__uninitialized_fill7functorINS0_10device_ptrIiEEiEEmLj1EEEvT0_T1_SA_,comdat
.Lfunc_end2:
	.size	_ZN6thrust23THRUST_200600_302600_NS11hip_rocprim14__parallel_for6kernelILj256ENS1_20__uninitialized_fill7functorINS0_10device_ptrIiEEiEEmLj1EEEvT0_T1_SA_, .Lfunc_end2-_ZN6thrust23THRUST_200600_302600_NS11hip_rocprim14__parallel_for6kernelILj256ENS1_20__uninitialized_fill7functorINS0_10device_ptrIiEEiEEmLj1EEEvT0_T1_SA_
                                        ; -- End function
	.section	.AMDGPU.csdata,"",@progbits
; Kernel info:
; codeLenInByte = 176
; NumSgprs: 18
; NumVgprs: 3
; ScratchSize: 0
; MemoryBound: 0
; FloatMode: 240
; IeeeMode: 1
; LDSByteSize: 0 bytes/workgroup (compile time only)
; SGPRBlocks: 2
; VGPRBlocks: 0
; NumSGPRsForWavesPerEU: 18
; NumVGPRsForWavesPerEU: 3
; Occupancy: 16
; WaveLimiterHint : 0
; COMPUTE_PGM_RSRC2:SCRATCH_EN: 0
; COMPUTE_PGM_RSRC2:USER_SGPR: 15
; COMPUTE_PGM_RSRC2:TRAP_HANDLER: 0
; COMPUTE_PGM_RSRC2:TGID_X_EN: 1
; COMPUTE_PGM_RSRC2:TGID_Y_EN: 0
; COMPUTE_PGM_RSRC2:TGID_Z_EN: 0
; COMPUTE_PGM_RSRC2:TIDIG_COMP_CNT: 0
	.section	.text._ZN6thrust23THRUST_200600_302600_NS11hip_rocprim14__parallel_for6kernelILj256ENS1_11__transform17unary_transform_fINS0_6detail15normal_iteratorINS0_10device_ptrIiEEEENS0_16discard_iteratorINS0_11use_defaultEEENS4_14no_stencil_tagENS0_8identityIiEENS4_21always_true_predicateEEElLj1EEEvT0_T1_SK_,"axG",@progbits,_ZN6thrust23THRUST_200600_302600_NS11hip_rocprim14__parallel_for6kernelILj256ENS1_11__transform17unary_transform_fINS0_6detail15normal_iteratorINS0_10device_ptrIiEEEENS0_16discard_iteratorINS0_11use_defaultEEENS4_14no_stencil_tagENS0_8identityIiEENS4_21always_true_predicateEEElLj1EEEvT0_T1_SK_,comdat
	.protected	_ZN6thrust23THRUST_200600_302600_NS11hip_rocprim14__parallel_for6kernelILj256ENS1_11__transform17unary_transform_fINS0_6detail15normal_iteratorINS0_10device_ptrIiEEEENS0_16discard_iteratorINS0_11use_defaultEEENS4_14no_stencil_tagENS0_8identityIiEENS4_21always_true_predicateEEElLj1EEEvT0_T1_SK_ ; -- Begin function _ZN6thrust23THRUST_200600_302600_NS11hip_rocprim14__parallel_for6kernelILj256ENS1_11__transform17unary_transform_fINS0_6detail15normal_iteratorINS0_10device_ptrIiEEEENS0_16discard_iteratorINS0_11use_defaultEEENS4_14no_stencil_tagENS0_8identityIiEENS4_21always_true_predicateEEElLj1EEEvT0_T1_SK_
	.globl	_ZN6thrust23THRUST_200600_302600_NS11hip_rocprim14__parallel_for6kernelILj256ENS1_11__transform17unary_transform_fINS0_6detail15normal_iteratorINS0_10device_ptrIiEEEENS0_16discard_iteratorINS0_11use_defaultEEENS4_14no_stencil_tagENS0_8identityIiEENS4_21always_true_predicateEEElLj1EEEvT0_T1_SK_
	.p2align	8
	.type	_ZN6thrust23THRUST_200600_302600_NS11hip_rocprim14__parallel_for6kernelILj256ENS1_11__transform17unary_transform_fINS0_6detail15normal_iteratorINS0_10device_ptrIiEEEENS0_16discard_iteratorINS0_11use_defaultEEENS4_14no_stencil_tagENS0_8identityIiEENS4_21always_true_predicateEEElLj1EEEvT0_T1_SK_,@function
_ZN6thrust23THRUST_200600_302600_NS11hip_rocprim14__parallel_for6kernelILj256ENS1_11__transform17unary_transform_fINS0_6detail15normal_iteratorINS0_10device_ptrIiEEEENS0_16discard_iteratorINS0_11use_defaultEEENS4_14no_stencil_tagENS0_8identityIiEENS4_21always_true_predicateEEElLj1EEEvT0_T1_SK_: ; @_ZN6thrust23THRUST_200600_302600_NS11hip_rocprim14__parallel_for6kernelILj256ENS1_11__transform17unary_transform_fINS0_6detail15normal_iteratorINS0_10device_ptrIiEEEENS0_16discard_iteratorINS0_11use_defaultEEENS4_14no_stencil_tagENS0_8identityIiEENS4_21always_true_predicateEEElLj1EEEvT0_T1_SK_
; %bb.0:
	s_endpgm
	.section	.rodata,"a",@progbits
	.p2align	6, 0x0
	.amdhsa_kernel _ZN6thrust23THRUST_200600_302600_NS11hip_rocprim14__parallel_for6kernelILj256ENS1_11__transform17unary_transform_fINS0_6detail15normal_iteratorINS0_10device_ptrIiEEEENS0_16discard_iteratorINS0_11use_defaultEEENS4_14no_stencil_tagENS0_8identityIiEENS4_21always_true_predicateEEElLj1EEEvT0_T1_SK_
		.amdhsa_group_segment_fixed_size 0
		.amdhsa_private_segment_fixed_size 0
		.amdhsa_kernarg_size 48
		.amdhsa_user_sgpr_count 15
		.amdhsa_user_sgpr_dispatch_ptr 0
		.amdhsa_user_sgpr_queue_ptr 0
		.amdhsa_user_sgpr_kernarg_segment_ptr 1
		.amdhsa_user_sgpr_dispatch_id 0
		.amdhsa_user_sgpr_private_segment_size 0
		.amdhsa_wavefront_size32 1
		.amdhsa_uses_dynamic_stack 0
		.amdhsa_enable_private_segment 0
		.amdhsa_system_sgpr_workgroup_id_x 1
		.amdhsa_system_sgpr_workgroup_id_y 0
		.amdhsa_system_sgpr_workgroup_id_z 0
		.amdhsa_system_sgpr_workgroup_info 0
		.amdhsa_system_vgpr_workitem_id 0
		.amdhsa_next_free_vgpr 1
		.amdhsa_next_free_sgpr 1
		.amdhsa_reserve_vcc 0
		.amdhsa_float_round_mode_32 0
		.amdhsa_float_round_mode_16_64 0
		.amdhsa_float_denorm_mode_32 3
		.amdhsa_float_denorm_mode_16_64 3
		.amdhsa_dx10_clamp 1
		.amdhsa_ieee_mode 1
		.amdhsa_fp16_overflow 0
		.amdhsa_workgroup_processor_mode 1
		.amdhsa_memory_ordered 1
		.amdhsa_forward_progress 0
		.amdhsa_shared_vgpr_count 0
		.amdhsa_exception_fp_ieee_invalid_op 0
		.amdhsa_exception_fp_denorm_src 0
		.amdhsa_exception_fp_ieee_div_zero 0
		.amdhsa_exception_fp_ieee_overflow 0
		.amdhsa_exception_fp_ieee_underflow 0
		.amdhsa_exception_fp_ieee_inexact 0
		.amdhsa_exception_int_div_zero 0
	.end_amdhsa_kernel
	.section	.text._ZN6thrust23THRUST_200600_302600_NS11hip_rocprim14__parallel_for6kernelILj256ENS1_11__transform17unary_transform_fINS0_6detail15normal_iteratorINS0_10device_ptrIiEEEENS0_16discard_iteratorINS0_11use_defaultEEENS4_14no_stencil_tagENS0_8identityIiEENS4_21always_true_predicateEEElLj1EEEvT0_T1_SK_,"axG",@progbits,_ZN6thrust23THRUST_200600_302600_NS11hip_rocprim14__parallel_for6kernelILj256ENS1_11__transform17unary_transform_fINS0_6detail15normal_iteratorINS0_10device_ptrIiEEEENS0_16discard_iteratorINS0_11use_defaultEEENS4_14no_stencil_tagENS0_8identityIiEENS4_21always_true_predicateEEElLj1EEEvT0_T1_SK_,comdat
.Lfunc_end3:
	.size	_ZN6thrust23THRUST_200600_302600_NS11hip_rocprim14__parallel_for6kernelILj256ENS1_11__transform17unary_transform_fINS0_6detail15normal_iteratorINS0_10device_ptrIiEEEENS0_16discard_iteratorINS0_11use_defaultEEENS4_14no_stencil_tagENS0_8identityIiEENS4_21always_true_predicateEEElLj1EEEvT0_T1_SK_, .Lfunc_end3-_ZN6thrust23THRUST_200600_302600_NS11hip_rocprim14__parallel_for6kernelILj256ENS1_11__transform17unary_transform_fINS0_6detail15normal_iteratorINS0_10device_ptrIiEEEENS0_16discard_iteratorINS0_11use_defaultEEENS4_14no_stencil_tagENS0_8identityIiEENS4_21always_true_predicateEEElLj1EEEvT0_T1_SK_
                                        ; -- End function
	.section	.AMDGPU.csdata,"",@progbits
; Kernel info:
; codeLenInByte = 4
; NumSgprs: 0
; NumVgprs: 0
; ScratchSize: 0
; MemoryBound: 0
; FloatMode: 240
; IeeeMode: 1
; LDSByteSize: 0 bytes/workgroup (compile time only)
; SGPRBlocks: 0
; VGPRBlocks: 0
; NumSGPRsForWavesPerEU: 1
; NumVGPRsForWavesPerEU: 1
; Occupancy: 16
; WaveLimiterHint : 0
; COMPUTE_PGM_RSRC2:SCRATCH_EN: 0
; COMPUTE_PGM_RSRC2:USER_SGPR: 15
; COMPUTE_PGM_RSRC2:TRAP_HANDLER: 0
; COMPUTE_PGM_RSRC2:TGID_X_EN: 1
; COMPUTE_PGM_RSRC2:TGID_Y_EN: 0
; COMPUTE_PGM_RSRC2:TGID_Z_EN: 0
; COMPUTE_PGM_RSRC2:TIDIG_COMP_CNT: 0
	.section	.text._ZN6thrust23THRUST_200600_302600_NS11hip_rocprim14__parallel_for6kernelILj256ENS1_11__transform17unary_transform_fINS0_12zip_iteratorINS0_5tupleINS0_6detail15normal_iteratorINS0_10device_ptrIiEEEESC_NS0_9null_typeESD_SD_SD_SD_SD_SD_SD_EEEENS6_INS7_INS0_16discard_iteratorINS0_11use_defaultEEESC_SD_SD_SD_SD_SD_SD_SD_SD_EEEENS4_14no_stencil_tagENS0_8identityINS7_IiiSD_SD_SD_SD_SD_SD_SD_SD_EEEENS4_21always_true_predicateEEElLj1EEEvT0_T1_SS_,"axG",@progbits,_ZN6thrust23THRUST_200600_302600_NS11hip_rocprim14__parallel_for6kernelILj256ENS1_11__transform17unary_transform_fINS0_12zip_iteratorINS0_5tupleINS0_6detail15normal_iteratorINS0_10device_ptrIiEEEESC_NS0_9null_typeESD_SD_SD_SD_SD_SD_SD_EEEENS6_INS7_INS0_16discard_iteratorINS0_11use_defaultEEESC_SD_SD_SD_SD_SD_SD_SD_SD_EEEENS4_14no_stencil_tagENS0_8identityINS7_IiiSD_SD_SD_SD_SD_SD_SD_SD_EEEENS4_21always_true_predicateEEElLj1EEEvT0_T1_SS_,comdat
	.protected	_ZN6thrust23THRUST_200600_302600_NS11hip_rocprim14__parallel_for6kernelILj256ENS1_11__transform17unary_transform_fINS0_12zip_iteratorINS0_5tupleINS0_6detail15normal_iteratorINS0_10device_ptrIiEEEESC_NS0_9null_typeESD_SD_SD_SD_SD_SD_SD_EEEENS6_INS7_INS0_16discard_iteratorINS0_11use_defaultEEESC_SD_SD_SD_SD_SD_SD_SD_SD_EEEENS4_14no_stencil_tagENS0_8identityINS7_IiiSD_SD_SD_SD_SD_SD_SD_SD_EEEENS4_21always_true_predicateEEElLj1EEEvT0_T1_SS_ ; -- Begin function _ZN6thrust23THRUST_200600_302600_NS11hip_rocprim14__parallel_for6kernelILj256ENS1_11__transform17unary_transform_fINS0_12zip_iteratorINS0_5tupleINS0_6detail15normal_iteratorINS0_10device_ptrIiEEEESC_NS0_9null_typeESD_SD_SD_SD_SD_SD_SD_EEEENS6_INS7_INS0_16discard_iteratorINS0_11use_defaultEEESC_SD_SD_SD_SD_SD_SD_SD_SD_EEEENS4_14no_stencil_tagENS0_8identityINS7_IiiSD_SD_SD_SD_SD_SD_SD_SD_EEEENS4_21always_true_predicateEEElLj1EEEvT0_T1_SS_
	.globl	_ZN6thrust23THRUST_200600_302600_NS11hip_rocprim14__parallel_for6kernelILj256ENS1_11__transform17unary_transform_fINS0_12zip_iteratorINS0_5tupleINS0_6detail15normal_iteratorINS0_10device_ptrIiEEEESC_NS0_9null_typeESD_SD_SD_SD_SD_SD_SD_EEEENS6_INS7_INS0_16discard_iteratorINS0_11use_defaultEEESC_SD_SD_SD_SD_SD_SD_SD_SD_EEEENS4_14no_stencil_tagENS0_8identityINS7_IiiSD_SD_SD_SD_SD_SD_SD_SD_EEEENS4_21always_true_predicateEEElLj1EEEvT0_T1_SS_
	.p2align	8
	.type	_ZN6thrust23THRUST_200600_302600_NS11hip_rocprim14__parallel_for6kernelILj256ENS1_11__transform17unary_transform_fINS0_12zip_iteratorINS0_5tupleINS0_6detail15normal_iteratorINS0_10device_ptrIiEEEESC_NS0_9null_typeESD_SD_SD_SD_SD_SD_SD_EEEENS6_INS7_INS0_16discard_iteratorINS0_11use_defaultEEESC_SD_SD_SD_SD_SD_SD_SD_SD_EEEENS4_14no_stencil_tagENS0_8identityINS7_IiiSD_SD_SD_SD_SD_SD_SD_SD_EEEENS4_21always_true_predicateEEElLj1EEEvT0_T1_SS_,@function
_ZN6thrust23THRUST_200600_302600_NS11hip_rocprim14__parallel_for6kernelILj256ENS1_11__transform17unary_transform_fINS0_12zip_iteratorINS0_5tupleINS0_6detail15normal_iteratorINS0_10device_ptrIiEEEESC_NS0_9null_typeESD_SD_SD_SD_SD_SD_SD_EEEENS6_INS7_INS0_16discard_iteratorINS0_11use_defaultEEESC_SD_SD_SD_SD_SD_SD_SD_SD_EEEENS4_14no_stencil_tagENS0_8identityINS7_IiiSD_SD_SD_SD_SD_SD_SD_SD_EEEENS4_21always_true_predicateEEElLj1EEEvT0_T1_SS_: ; @_ZN6thrust23THRUST_200600_302600_NS11hip_rocprim14__parallel_for6kernelILj256ENS1_11__transform17unary_transform_fINS0_12zip_iteratorINS0_5tupleINS0_6detail15normal_iteratorINS0_10device_ptrIiEEEESC_NS0_9null_typeESD_SD_SD_SD_SD_SD_SD_EEEENS6_INS7_INS0_16discard_iteratorINS0_11use_defaultEEESC_SD_SD_SD_SD_SD_SD_SD_SD_EEEENS4_14no_stencil_tagENS0_8identityINS7_IiiSD_SD_SD_SD_SD_SD_SD_SD_EEEENS4_21always_true_predicateEEElLj1EEEvT0_T1_SS_
; %bb.0:
	s_clause 0x2
	s_load_b128 s[8:11], s[0:1], 0x30
	s_load_b64 s[2:3], s[0:1], 0x8
	s_load_b64 s[0:1], s[0:1], 0x20
	s_lshl_b32 s4, s15, 8
	s_waitcnt lgkmcnt(0)
	s_add_u32 s4, s4, s10
	s_addc_u32 s5, 0, s11
	s_sub_u32 s6, s8, s4
	s_subb_u32 s7, s9, s5
	s_delay_alu instid0(SALU_CYCLE_1) | instskip(NEXT) | instid1(VALU_DEP_1)
	v_cmp_gt_i64_e64 s7, 0x100, s[6:7]
	s_and_b32 s7, s7, exec_lo
	s_cselect_b32 s7, s6, 0x100
	s_mov_b32 s6, -1
	s_cmpk_lg_i32 s7, 0x100
	s_cbranch_scc1 .LBB4_3
; %bb.1:
	s_and_not1_b32 vcc_lo, exec_lo, s6
	s_cbranch_vccz .LBB4_6
.LBB4_2:
	s_nop 0
	s_sendmsg sendmsg(MSG_DEALLOC_VGPRS)
	s_endpgm
.LBB4_3:
	s_mov_b32 s6, exec_lo
	v_cmpx_gt_u32_e64 s7, v0
	s_cbranch_execz .LBB4_5
; %bb.4:
	v_add_co_u32 v1, s7, s4, v0
	s_delay_alu instid0(VALU_DEP_1) | instskip(NEXT) | instid1(VALU_DEP_1)
	v_add_co_ci_u32_e64 v2, null, s5, 0, s7
	v_lshlrev_b64 v[1:2], 2, v[1:2]
	s_delay_alu instid0(VALU_DEP_1) | instskip(NEXT) | instid1(VALU_DEP_2)
	v_add_co_u32 v3, vcc_lo, s2, v1
	v_add_co_ci_u32_e32 v4, vcc_lo, s3, v2, vcc_lo
	v_add_co_u32 v1, vcc_lo, s0, v1
	v_add_co_ci_u32_e32 v2, vcc_lo, s1, v2, vcc_lo
	global_load_b32 v3, v[3:4], off
	s_waitcnt vmcnt(0)
	global_store_b32 v[1:2], v3, off
.LBB4_5:
	s_or_b32 exec_lo, exec_lo, s6
	s_cbranch_execnz .LBB4_2
.LBB4_6:
	v_add_co_u32 v0, s4, s4, v0
	s_delay_alu instid0(VALU_DEP_1) | instskip(NEXT) | instid1(VALU_DEP_1)
	v_add_co_ci_u32_e64 v1, null, s5, 0, s4
	v_lshlrev_b64 v[0:1], 2, v[0:1]
	s_delay_alu instid0(VALU_DEP_1) | instskip(NEXT) | instid1(VALU_DEP_2)
	v_add_co_u32 v2, vcc_lo, s2, v0
	v_add_co_ci_u32_e32 v3, vcc_lo, s3, v1, vcc_lo
	v_add_co_u32 v0, vcc_lo, s0, v0
	v_add_co_ci_u32_e32 v1, vcc_lo, s1, v1, vcc_lo
	global_load_b32 v2, v[2:3], off
	s_waitcnt vmcnt(0)
	global_store_b32 v[0:1], v2, off
	s_nop 0
	s_sendmsg sendmsg(MSG_DEALLOC_VGPRS)
	s_endpgm
	.section	.rodata,"a",@progbits
	.p2align	6, 0x0
	.amdhsa_kernel _ZN6thrust23THRUST_200600_302600_NS11hip_rocprim14__parallel_for6kernelILj256ENS1_11__transform17unary_transform_fINS0_12zip_iteratorINS0_5tupleINS0_6detail15normal_iteratorINS0_10device_ptrIiEEEESC_NS0_9null_typeESD_SD_SD_SD_SD_SD_SD_EEEENS6_INS7_INS0_16discard_iteratorINS0_11use_defaultEEESC_SD_SD_SD_SD_SD_SD_SD_SD_EEEENS4_14no_stencil_tagENS0_8identityINS7_IiiSD_SD_SD_SD_SD_SD_SD_SD_EEEENS4_21always_true_predicateEEElLj1EEEvT0_T1_SS_
		.amdhsa_group_segment_fixed_size 0
		.amdhsa_private_segment_fixed_size 0
		.amdhsa_kernarg_size 64
		.amdhsa_user_sgpr_count 15
		.amdhsa_user_sgpr_dispatch_ptr 0
		.amdhsa_user_sgpr_queue_ptr 0
		.amdhsa_user_sgpr_kernarg_segment_ptr 1
		.amdhsa_user_sgpr_dispatch_id 0
		.amdhsa_user_sgpr_private_segment_size 0
		.amdhsa_wavefront_size32 1
		.amdhsa_uses_dynamic_stack 0
		.amdhsa_enable_private_segment 0
		.amdhsa_system_sgpr_workgroup_id_x 1
		.amdhsa_system_sgpr_workgroup_id_y 0
		.amdhsa_system_sgpr_workgroup_id_z 0
		.amdhsa_system_sgpr_workgroup_info 0
		.amdhsa_system_vgpr_workitem_id 0
		.amdhsa_next_free_vgpr 5
		.amdhsa_next_free_sgpr 16
		.amdhsa_reserve_vcc 1
		.amdhsa_float_round_mode_32 0
		.amdhsa_float_round_mode_16_64 0
		.amdhsa_float_denorm_mode_32 3
		.amdhsa_float_denorm_mode_16_64 3
		.amdhsa_dx10_clamp 1
		.amdhsa_ieee_mode 1
		.amdhsa_fp16_overflow 0
		.amdhsa_workgroup_processor_mode 1
		.amdhsa_memory_ordered 1
		.amdhsa_forward_progress 0
		.amdhsa_shared_vgpr_count 0
		.amdhsa_exception_fp_ieee_invalid_op 0
		.amdhsa_exception_fp_denorm_src 0
		.amdhsa_exception_fp_ieee_div_zero 0
		.amdhsa_exception_fp_ieee_overflow 0
		.amdhsa_exception_fp_ieee_underflow 0
		.amdhsa_exception_fp_ieee_inexact 0
		.amdhsa_exception_int_div_zero 0
	.end_amdhsa_kernel
	.section	.text._ZN6thrust23THRUST_200600_302600_NS11hip_rocprim14__parallel_for6kernelILj256ENS1_11__transform17unary_transform_fINS0_12zip_iteratorINS0_5tupleINS0_6detail15normal_iteratorINS0_10device_ptrIiEEEESC_NS0_9null_typeESD_SD_SD_SD_SD_SD_SD_EEEENS6_INS7_INS0_16discard_iteratorINS0_11use_defaultEEESC_SD_SD_SD_SD_SD_SD_SD_SD_EEEENS4_14no_stencil_tagENS0_8identityINS7_IiiSD_SD_SD_SD_SD_SD_SD_SD_EEEENS4_21always_true_predicateEEElLj1EEEvT0_T1_SS_,"axG",@progbits,_ZN6thrust23THRUST_200600_302600_NS11hip_rocprim14__parallel_for6kernelILj256ENS1_11__transform17unary_transform_fINS0_12zip_iteratorINS0_5tupleINS0_6detail15normal_iteratorINS0_10device_ptrIiEEEESC_NS0_9null_typeESD_SD_SD_SD_SD_SD_SD_EEEENS6_INS7_INS0_16discard_iteratorINS0_11use_defaultEEESC_SD_SD_SD_SD_SD_SD_SD_SD_EEEENS4_14no_stencil_tagENS0_8identityINS7_IiiSD_SD_SD_SD_SD_SD_SD_SD_EEEENS4_21always_true_predicateEEElLj1EEEvT0_T1_SS_,comdat
.Lfunc_end4:
	.size	_ZN6thrust23THRUST_200600_302600_NS11hip_rocprim14__parallel_for6kernelILj256ENS1_11__transform17unary_transform_fINS0_12zip_iteratorINS0_5tupleINS0_6detail15normal_iteratorINS0_10device_ptrIiEEEESC_NS0_9null_typeESD_SD_SD_SD_SD_SD_SD_EEEENS6_INS7_INS0_16discard_iteratorINS0_11use_defaultEEESC_SD_SD_SD_SD_SD_SD_SD_SD_EEEENS4_14no_stencil_tagENS0_8identityINS7_IiiSD_SD_SD_SD_SD_SD_SD_SD_EEEENS4_21always_true_predicateEEElLj1EEEvT0_T1_SS_, .Lfunc_end4-_ZN6thrust23THRUST_200600_302600_NS11hip_rocprim14__parallel_for6kernelILj256ENS1_11__transform17unary_transform_fINS0_12zip_iteratorINS0_5tupleINS0_6detail15normal_iteratorINS0_10device_ptrIiEEEESC_NS0_9null_typeESD_SD_SD_SD_SD_SD_SD_EEEENS6_INS7_INS0_16discard_iteratorINS0_11use_defaultEEESC_SD_SD_SD_SD_SD_SD_SD_SD_EEEENS4_14no_stencil_tagENS0_8identityINS7_IiiSD_SD_SD_SD_SD_SD_SD_SD_EEEENS4_21always_true_predicateEEElLj1EEEvT0_T1_SS_
                                        ; -- End function
	.section	.AMDGPU.csdata,"",@progbits
; Kernel info:
; codeLenInByte = 300
; NumSgprs: 18
; NumVgprs: 5
; ScratchSize: 0
; MemoryBound: 0
; FloatMode: 240
; IeeeMode: 1
; LDSByteSize: 0 bytes/workgroup (compile time only)
; SGPRBlocks: 2
; VGPRBlocks: 0
; NumSGPRsForWavesPerEU: 18
; NumVGPRsForWavesPerEU: 5
; Occupancy: 16
; WaveLimiterHint : 0
; COMPUTE_PGM_RSRC2:SCRATCH_EN: 0
; COMPUTE_PGM_RSRC2:USER_SGPR: 15
; COMPUTE_PGM_RSRC2:TRAP_HANDLER: 0
; COMPUTE_PGM_RSRC2:TGID_X_EN: 1
; COMPUTE_PGM_RSRC2:TGID_Y_EN: 0
; COMPUTE_PGM_RSRC2:TGID_Z_EN: 0
; COMPUTE_PGM_RSRC2:TIDIG_COMP_CNT: 0
	.section	.text._ZN7rocprim17ROCPRIM_400000_NS6detail17trampoline_kernelINS0_14default_configENS1_22reduce_config_selectorIN6thrust23THRUST_200600_302600_NS5tupleIblNS6_9null_typeES8_S8_S8_S8_S8_S8_S8_EEEEZNS1_11reduce_implILb1ES3_PS9_SC_S9_NS6_11hip_rocprim9__find_if7functorIS9_EEEE10hipError_tPvRmT1_T2_T3_mT4_P12ihipStream_tbEUlT_E0_NS1_11comp_targetILNS1_3genE0ELNS1_11target_archE4294967295ELNS1_3gpuE0ELNS1_3repE0EEENS1_30default_config_static_selectorELNS0_4arch9wavefront6targetE0EEEvSK_,"axG",@progbits,_ZN7rocprim17ROCPRIM_400000_NS6detail17trampoline_kernelINS0_14default_configENS1_22reduce_config_selectorIN6thrust23THRUST_200600_302600_NS5tupleIblNS6_9null_typeES8_S8_S8_S8_S8_S8_S8_EEEEZNS1_11reduce_implILb1ES3_PS9_SC_S9_NS6_11hip_rocprim9__find_if7functorIS9_EEEE10hipError_tPvRmT1_T2_T3_mT4_P12ihipStream_tbEUlT_E0_NS1_11comp_targetILNS1_3genE0ELNS1_11target_archE4294967295ELNS1_3gpuE0ELNS1_3repE0EEENS1_30default_config_static_selectorELNS0_4arch9wavefront6targetE0EEEvSK_,comdat
	.protected	_ZN7rocprim17ROCPRIM_400000_NS6detail17trampoline_kernelINS0_14default_configENS1_22reduce_config_selectorIN6thrust23THRUST_200600_302600_NS5tupleIblNS6_9null_typeES8_S8_S8_S8_S8_S8_S8_EEEEZNS1_11reduce_implILb1ES3_PS9_SC_S9_NS6_11hip_rocprim9__find_if7functorIS9_EEEE10hipError_tPvRmT1_T2_T3_mT4_P12ihipStream_tbEUlT_E0_NS1_11comp_targetILNS1_3genE0ELNS1_11target_archE4294967295ELNS1_3gpuE0ELNS1_3repE0EEENS1_30default_config_static_selectorELNS0_4arch9wavefront6targetE0EEEvSK_ ; -- Begin function _ZN7rocprim17ROCPRIM_400000_NS6detail17trampoline_kernelINS0_14default_configENS1_22reduce_config_selectorIN6thrust23THRUST_200600_302600_NS5tupleIblNS6_9null_typeES8_S8_S8_S8_S8_S8_S8_EEEEZNS1_11reduce_implILb1ES3_PS9_SC_S9_NS6_11hip_rocprim9__find_if7functorIS9_EEEE10hipError_tPvRmT1_T2_T3_mT4_P12ihipStream_tbEUlT_E0_NS1_11comp_targetILNS1_3genE0ELNS1_11target_archE4294967295ELNS1_3gpuE0ELNS1_3repE0EEENS1_30default_config_static_selectorELNS0_4arch9wavefront6targetE0EEEvSK_
	.globl	_ZN7rocprim17ROCPRIM_400000_NS6detail17trampoline_kernelINS0_14default_configENS1_22reduce_config_selectorIN6thrust23THRUST_200600_302600_NS5tupleIblNS6_9null_typeES8_S8_S8_S8_S8_S8_S8_EEEEZNS1_11reduce_implILb1ES3_PS9_SC_S9_NS6_11hip_rocprim9__find_if7functorIS9_EEEE10hipError_tPvRmT1_T2_T3_mT4_P12ihipStream_tbEUlT_E0_NS1_11comp_targetILNS1_3genE0ELNS1_11target_archE4294967295ELNS1_3gpuE0ELNS1_3repE0EEENS1_30default_config_static_selectorELNS0_4arch9wavefront6targetE0EEEvSK_
	.p2align	8
	.type	_ZN7rocprim17ROCPRIM_400000_NS6detail17trampoline_kernelINS0_14default_configENS1_22reduce_config_selectorIN6thrust23THRUST_200600_302600_NS5tupleIblNS6_9null_typeES8_S8_S8_S8_S8_S8_S8_EEEEZNS1_11reduce_implILb1ES3_PS9_SC_S9_NS6_11hip_rocprim9__find_if7functorIS9_EEEE10hipError_tPvRmT1_T2_T3_mT4_P12ihipStream_tbEUlT_E0_NS1_11comp_targetILNS1_3genE0ELNS1_11target_archE4294967295ELNS1_3gpuE0ELNS1_3repE0EEENS1_30default_config_static_selectorELNS0_4arch9wavefront6targetE0EEEvSK_,@function
_ZN7rocprim17ROCPRIM_400000_NS6detail17trampoline_kernelINS0_14default_configENS1_22reduce_config_selectorIN6thrust23THRUST_200600_302600_NS5tupleIblNS6_9null_typeES8_S8_S8_S8_S8_S8_S8_EEEEZNS1_11reduce_implILb1ES3_PS9_SC_S9_NS6_11hip_rocprim9__find_if7functorIS9_EEEE10hipError_tPvRmT1_T2_T3_mT4_P12ihipStream_tbEUlT_E0_NS1_11comp_targetILNS1_3genE0ELNS1_11target_archE4294967295ELNS1_3gpuE0ELNS1_3repE0EEENS1_30default_config_static_selectorELNS0_4arch9wavefront6targetE0EEEvSK_: ; @_ZN7rocprim17ROCPRIM_400000_NS6detail17trampoline_kernelINS0_14default_configENS1_22reduce_config_selectorIN6thrust23THRUST_200600_302600_NS5tupleIblNS6_9null_typeES8_S8_S8_S8_S8_S8_S8_EEEEZNS1_11reduce_implILb1ES3_PS9_SC_S9_NS6_11hip_rocprim9__find_if7functorIS9_EEEE10hipError_tPvRmT1_T2_T3_mT4_P12ihipStream_tbEUlT_E0_NS1_11comp_targetILNS1_3genE0ELNS1_11target_archE4294967295ELNS1_3gpuE0ELNS1_3repE0EEENS1_30default_config_static_selectorELNS0_4arch9wavefront6targetE0EEEvSK_
; %bb.0:
	.section	.rodata,"a",@progbits
	.p2align	6, 0x0
	.amdhsa_kernel _ZN7rocprim17ROCPRIM_400000_NS6detail17trampoline_kernelINS0_14default_configENS1_22reduce_config_selectorIN6thrust23THRUST_200600_302600_NS5tupleIblNS6_9null_typeES8_S8_S8_S8_S8_S8_S8_EEEEZNS1_11reduce_implILb1ES3_PS9_SC_S9_NS6_11hip_rocprim9__find_if7functorIS9_EEEE10hipError_tPvRmT1_T2_T3_mT4_P12ihipStream_tbEUlT_E0_NS1_11comp_targetILNS1_3genE0ELNS1_11target_archE4294967295ELNS1_3gpuE0ELNS1_3repE0EEENS1_30default_config_static_selectorELNS0_4arch9wavefront6targetE0EEEvSK_
		.amdhsa_group_segment_fixed_size 0
		.amdhsa_private_segment_fixed_size 0
		.amdhsa_kernarg_size 72
		.amdhsa_user_sgpr_count 15
		.amdhsa_user_sgpr_dispatch_ptr 0
		.amdhsa_user_sgpr_queue_ptr 0
		.amdhsa_user_sgpr_kernarg_segment_ptr 1
		.amdhsa_user_sgpr_dispatch_id 0
		.amdhsa_user_sgpr_private_segment_size 0
		.amdhsa_wavefront_size32 1
		.amdhsa_uses_dynamic_stack 0
		.amdhsa_enable_private_segment 0
		.amdhsa_system_sgpr_workgroup_id_x 1
		.amdhsa_system_sgpr_workgroup_id_y 0
		.amdhsa_system_sgpr_workgroup_id_z 0
		.amdhsa_system_sgpr_workgroup_info 0
		.amdhsa_system_vgpr_workitem_id 0
		.amdhsa_next_free_vgpr 1
		.amdhsa_next_free_sgpr 1
		.amdhsa_reserve_vcc 0
		.amdhsa_float_round_mode_32 0
		.amdhsa_float_round_mode_16_64 0
		.amdhsa_float_denorm_mode_32 3
		.amdhsa_float_denorm_mode_16_64 3
		.amdhsa_dx10_clamp 1
		.amdhsa_ieee_mode 1
		.amdhsa_fp16_overflow 0
		.amdhsa_workgroup_processor_mode 1
		.amdhsa_memory_ordered 1
		.amdhsa_forward_progress 0
		.amdhsa_shared_vgpr_count 0
		.amdhsa_exception_fp_ieee_invalid_op 0
		.amdhsa_exception_fp_denorm_src 0
		.amdhsa_exception_fp_ieee_div_zero 0
		.amdhsa_exception_fp_ieee_overflow 0
		.amdhsa_exception_fp_ieee_underflow 0
		.amdhsa_exception_fp_ieee_inexact 0
		.amdhsa_exception_int_div_zero 0
	.end_amdhsa_kernel
	.section	.text._ZN7rocprim17ROCPRIM_400000_NS6detail17trampoline_kernelINS0_14default_configENS1_22reduce_config_selectorIN6thrust23THRUST_200600_302600_NS5tupleIblNS6_9null_typeES8_S8_S8_S8_S8_S8_S8_EEEEZNS1_11reduce_implILb1ES3_PS9_SC_S9_NS6_11hip_rocprim9__find_if7functorIS9_EEEE10hipError_tPvRmT1_T2_T3_mT4_P12ihipStream_tbEUlT_E0_NS1_11comp_targetILNS1_3genE0ELNS1_11target_archE4294967295ELNS1_3gpuE0ELNS1_3repE0EEENS1_30default_config_static_selectorELNS0_4arch9wavefront6targetE0EEEvSK_,"axG",@progbits,_ZN7rocprim17ROCPRIM_400000_NS6detail17trampoline_kernelINS0_14default_configENS1_22reduce_config_selectorIN6thrust23THRUST_200600_302600_NS5tupleIblNS6_9null_typeES8_S8_S8_S8_S8_S8_S8_EEEEZNS1_11reduce_implILb1ES3_PS9_SC_S9_NS6_11hip_rocprim9__find_if7functorIS9_EEEE10hipError_tPvRmT1_T2_T3_mT4_P12ihipStream_tbEUlT_E0_NS1_11comp_targetILNS1_3genE0ELNS1_11target_archE4294967295ELNS1_3gpuE0ELNS1_3repE0EEENS1_30default_config_static_selectorELNS0_4arch9wavefront6targetE0EEEvSK_,comdat
.Lfunc_end5:
	.size	_ZN7rocprim17ROCPRIM_400000_NS6detail17trampoline_kernelINS0_14default_configENS1_22reduce_config_selectorIN6thrust23THRUST_200600_302600_NS5tupleIblNS6_9null_typeES8_S8_S8_S8_S8_S8_S8_EEEEZNS1_11reduce_implILb1ES3_PS9_SC_S9_NS6_11hip_rocprim9__find_if7functorIS9_EEEE10hipError_tPvRmT1_T2_T3_mT4_P12ihipStream_tbEUlT_E0_NS1_11comp_targetILNS1_3genE0ELNS1_11target_archE4294967295ELNS1_3gpuE0ELNS1_3repE0EEENS1_30default_config_static_selectorELNS0_4arch9wavefront6targetE0EEEvSK_, .Lfunc_end5-_ZN7rocprim17ROCPRIM_400000_NS6detail17trampoline_kernelINS0_14default_configENS1_22reduce_config_selectorIN6thrust23THRUST_200600_302600_NS5tupleIblNS6_9null_typeES8_S8_S8_S8_S8_S8_S8_EEEEZNS1_11reduce_implILb1ES3_PS9_SC_S9_NS6_11hip_rocprim9__find_if7functorIS9_EEEE10hipError_tPvRmT1_T2_T3_mT4_P12ihipStream_tbEUlT_E0_NS1_11comp_targetILNS1_3genE0ELNS1_11target_archE4294967295ELNS1_3gpuE0ELNS1_3repE0EEENS1_30default_config_static_selectorELNS0_4arch9wavefront6targetE0EEEvSK_
                                        ; -- End function
	.section	.AMDGPU.csdata,"",@progbits
; Kernel info:
; codeLenInByte = 0
; NumSgprs: 0
; NumVgprs: 0
; ScratchSize: 0
; MemoryBound: 0
; FloatMode: 240
; IeeeMode: 1
; LDSByteSize: 0 bytes/workgroup (compile time only)
; SGPRBlocks: 0
; VGPRBlocks: 0
; NumSGPRsForWavesPerEU: 1
; NumVGPRsForWavesPerEU: 1
; Occupancy: 16
; WaveLimiterHint : 0
; COMPUTE_PGM_RSRC2:SCRATCH_EN: 0
; COMPUTE_PGM_RSRC2:USER_SGPR: 15
; COMPUTE_PGM_RSRC2:TRAP_HANDLER: 0
; COMPUTE_PGM_RSRC2:TGID_X_EN: 1
; COMPUTE_PGM_RSRC2:TGID_Y_EN: 0
; COMPUTE_PGM_RSRC2:TGID_Z_EN: 0
; COMPUTE_PGM_RSRC2:TIDIG_COMP_CNT: 0
	.section	.text._ZN7rocprim17ROCPRIM_400000_NS6detail17trampoline_kernelINS0_14default_configENS1_22reduce_config_selectorIN6thrust23THRUST_200600_302600_NS5tupleIblNS6_9null_typeES8_S8_S8_S8_S8_S8_S8_EEEEZNS1_11reduce_implILb1ES3_PS9_SC_S9_NS6_11hip_rocprim9__find_if7functorIS9_EEEE10hipError_tPvRmT1_T2_T3_mT4_P12ihipStream_tbEUlT_E0_NS1_11comp_targetILNS1_3genE5ELNS1_11target_archE942ELNS1_3gpuE9ELNS1_3repE0EEENS1_30default_config_static_selectorELNS0_4arch9wavefront6targetE0EEEvSK_,"axG",@progbits,_ZN7rocprim17ROCPRIM_400000_NS6detail17trampoline_kernelINS0_14default_configENS1_22reduce_config_selectorIN6thrust23THRUST_200600_302600_NS5tupleIblNS6_9null_typeES8_S8_S8_S8_S8_S8_S8_EEEEZNS1_11reduce_implILb1ES3_PS9_SC_S9_NS6_11hip_rocprim9__find_if7functorIS9_EEEE10hipError_tPvRmT1_T2_T3_mT4_P12ihipStream_tbEUlT_E0_NS1_11comp_targetILNS1_3genE5ELNS1_11target_archE942ELNS1_3gpuE9ELNS1_3repE0EEENS1_30default_config_static_selectorELNS0_4arch9wavefront6targetE0EEEvSK_,comdat
	.protected	_ZN7rocprim17ROCPRIM_400000_NS6detail17trampoline_kernelINS0_14default_configENS1_22reduce_config_selectorIN6thrust23THRUST_200600_302600_NS5tupleIblNS6_9null_typeES8_S8_S8_S8_S8_S8_S8_EEEEZNS1_11reduce_implILb1ES3_PS9_SC_S9_NS6_11hip_rocprim9__find_if7functorIS9_EEEE10hipError_tPvRmT1_T2_T3_mT4_P12ihipStream_tbEUlT_E0_NS1_11comp_targetILNS1_3genE5ELNS1_11target_archE942ELNS1_3gpuE9ELNS1_3repE0EEENS1_30default_config_static_selectorELNS0_4arch9wavefront6targetE0EEEvSK_ ; -- Begin function _ZN7rocprim17ROCPRIM_400000_NS6detail17trampoline_kernelINS0_14default_configENS1_22reduce_config_selectorIN6thrust23THRUST_200600_302600_NS5tupleIblNS6_9null_typeES8_S8_S8_S8_S8_S8_S8_EEEEZNS1_11reduce_implILb1ES3_PS9_SC_S9_NS6_11hip_rocprim9__find_if7functorIS9_EEEE10hipError_tPvRmT1_T2_T3_mT4_P12ihipStream_tbEUlT_E0_NS1_11comp_targetILNS1_3genE5ELNS1_11target_archE942ELNS1_3gpuE9ELNS1_3repE0EEENS1_30default_config_static_selectorELNS0_4arch9wavefront6targetE0EEEvSK_
	.globl	_ZN7rocprim17ROCPRIM_400000_NS6detail17trampoline_kernelINS0_14default_configENS1_22reduce_config_selectorIN6thrust23THRUST_200600_302600_NS5tupleIblNS6_9null_typeES8_S8_S8_S8_S8_S8_S8_EEEEZNS1_11reduce_implILb1ES3_PS9_SC_S9_NS6_11hip_rocprim9__find_if7functorIS9_EEEE10hipError_tPvRmT1_T2_T3_mT4_P12ihipStream_tbEUlT_E0_NS1_11comp_targetILNS1_3genE5ELNS1_11target_archE942ELNS1_3gpuE9ELNS1_3repE0EEENS1_30default_config_static_selectorELNS0_4arch9wavefront6targetE0EEEvSK_
	.p2align	8
	.type	_ZN7rocprim17ROCPRIM_400000_NS6detail17trampoline_kernelINS0_14default_configENS1_22reduce_config_selectorIN6thrust23THRUST_200600_302600_NS5tupleIblNS6_9null_typeES8_S8_S8_S8_S8_S8_S8_EEEEZNS1_11reduce_implILb1ES3_PS9_SC_S9_NS6_11hip_rocprim9__find_if7functorIS9_EEEE10hipError_tPvRmT1_T2_T3_mT4_P12ihipStream_tbEUlT_E0_NS1_11comp_targetILNS1_3genE5ELNS1_11target_archE942ELNS1_3gpuE9ELNS1_3repE0EEENS1_30default_config_static_selectorELNS0_4arch9wavefront6targetE0EEEvSK_,@function
_ZN7rocprim17ROCPRIM_400000_NS6detail17trampoline_kernelINS0_14default_configENS1_22reduce_config_selectorIN6thrust23THRUST_200600_302600_NS5tupleIblNS6_9null_typeES8_S8_S8_S8_S8_S8_S8_EEEEZNS1_11reduce_implILb1ES3_PS9_SC_S9_NS6_11hip_rocprim9__find_if7functorIS9_EEEE10hipError_tPvRmT1_T2_T3_mT4_P12ihipStream_tbEUlT_E0_NS1_11comp_targetILNS1_3genE5ELNS1_11target_archE942ELNS1_3gpuE9ELNS1_3repE0EEENS1_30default_config_static_selectorELNS0_4arch9wavefront6targetE0EEEvSK_: ; @_ZN7rocprim17ROCPRIM_400000_NS6detail17trampoline_kernelINS0_14default_configENS1_22reduce_config_selectorIN6thrust23THRUST_200600_302600_NS5tupleIblNS6_9null_typeES8_S8_S8_S8_S8_S8_S8_EEEEZNS1_11reduce_implILb1ES3_PS9_SC_S9_NS6_11hip_rocprim9__find_if7functorIS9_EEEE10hipError_tPvRmT1_T2_T3_mT4_P12ihipStream_tbEUlT_E0_NS1_11comp_targetILNS1_3genE5ELNS1_11target_archE942ELNS1_3gpuE9ELNS1_3repE0EEENS1_30default_config_static_selectorELNS0_4arch9wavefront6targetE0EEEvSK_
; %bb.0:
	.section	.rodata,"a",@progbits
	.p2align	6, 0x0
	.amdhsa_kernel _ZN7rocprim17ROCPRIM_400000_NS6detail17trampoline_kernelINS0_14default_configENS1_22reduce_config_selectorIN6thrust23THRUST_200600_302600_NS5tupleIblNS6_9null_typeES8_S8_S8_S8_S8_S8_S8_EEEEZNS1_11reduce_implILb1ES3_PS9_SC_S9_NS6_11hip_rocprim9__find_if7functorIS9_EEEE10hipError_tPvRmT1_T2_T3_mT4_P12ihipStream_tbEUlT_E0_NS1_11comp_targetILNS1_3genE5ELNS1_11target_archE942ELNS1_3gpuE9ELNS1_3repE0EEENS1_30default_config_static_selectorELNS0_4arch9wavefront6targetE0EEEvSK_
		.amdhsa_group_segment_fixed_size 0
		.amdhsa_private_segment_fixed_size 0
		.amdhsa_kernarg_size 72
		.amdhsa_user_sgpr_count 15
		.amdhsa_user_sgpr_dispatch_ptr 0
		.amdhsa_user_sgpr_queue_ptr 0
		.amdhsa_user_sgpr_kernarg_segment_ptr 1
		.amdhsa_user_sgpr_dispatch_id 0
		.amdhsa_user_sgpr_private_segment_size 0
		.amdhsa_wavefront_size32 1
		.amdhsa_uses_dynamic_stack 0
		.amdhsa_enable_private_segment 0
		.amdhsa_system_sgpr_workgroup_id_x 1
		.amdhsa_system_sgpr_workgroup_id_y 0
		.amdhsa_system_sgpr_workgroup_id_z 0
		.amdhsa_system_sgpr_workgroup_info 0
		.amdhsa_system_vgpr_workitem_id 0
		.amdhsa_next_free_vgpr 1
		.amdhsa_next_free_sgpr 1
		.amdhsa_reserve_vcc 0
		.amdhsa_float_round_mode_32 0
		.amdhsa_float_round_mode_16_64 0
		.amdhsa_float_denorm_mode_32 3
		.amdhsa_float_denorm_mode_16_64 3
		.amdhsa_dx10_clamp 1
		.amdhsa_ieee_mode 1
		.amdhsa_fp16_overflow 0
		.amdhsa_workgroup_processor_mode 1
		.amdhsa_memory_ordered 1
		.amdhsa_forward_progress 0
		.amdhsa_shared_vgpr_count 0
		.amdhsa_exception_fp_ieee_invalid_op 0
		.amdhsa_exception_fp_denorm_src 0
		.amdhsa_exception_fp_ieee_div_zero 0
		.amdhsa_exception_fp_ieee_overflow 0
		.amdhsa_exception_fp_ieee_underflow 0
		.amdhsa_exception_fp_ieee_inexact 0
		.amdhsa_exception_int_div_zero 0
	.end_amdhsa_kernel
	.section	.text._ZN7rocprim17ROCPRIM_400000_NS6detail17trampoline_kernelINS0_14default_configENS1_22reduce_config_selectorIN6thrust23THRUST_200600_302600_NS5tupleIblNS6_9null_typeES8_S8_S8_S8_S8_S8_S8_EEEEZNS1_11reduce_implILb1ES3_PS9_SC_S9_NS6_11hip_rocprim9__find_if7functorIS9_EEEE10hipError_tPvRmT1_T2_T3_mT4_P12ihipStream_tbEUlT_E0_NS1_11comp_targetILNS1_3genE5ELNS1_11target_archE942ELNS1_3gpuE9ELNS1_3repE0EEENS1_30default_config_static_selectorELNS0_4arch9wavefront6targetE0EEEvSK_,"axG",@progbits,_ZN7rocprim17ROCPRIM_400000_NS6detail17trampoline_kernelINS0_14default_configENS1_22reduce_config_selectorIN6thrust23THRUST_200600_302600_NS5tupleIblNS6_9null_typeES8_S8_S8_S8_S8_S8_S8_EEEEZNS1_11reduce_implILb1ES3_PS9_SC_S9_NS6_11hip_rocprim9__find_if7functorIS9_EEEE10hipError_tPvRmT1_T2_T3_mT4_P12ihipStream_tbEUlT_E0_NS1_11comp_targetILNS1_3genE5ELNS1_11target_archE942ELNS1_3gpuE9ELNS1_3repE0EEENS1_30default_config_static_selectorELNS0_4arch9wavefront6targetE0EEEvSK_,comdat
.Lfunc_end6:
	.size	_ZN7rocprim17ROCPRIM_400000_NS6detail17trampoline_kernelINS0_14default_configENS1_22reduce_config_selectorIN6thrust23THRUST_200600_302600_NS5tupleIblNS6_9null_typeES8_S8_S8_S8_S8_S8_S8_EEEEZNS1_11reduce_implILb1ES3_PS9_SC_S9_NS6_11hip_rocprim9__find_if7functorIS9_EEEE10hipError_tPvRmT1_T2_T3_mT4_P12ihipStream_tbEUlT_E0_NS1_11comp_targetILNS1_3genE5ELNS1_11target_archE942ELNS1_3gpuE9ELNS1_3repE0EEENS1_30default_config_static_selectorELNS0_4arch9wavefront6targetE0EEEvSK_, .Lfunc_end6-_ZN7rocprim17ROCPRIM_400000_NS6detail17trampoline_kernelINS0_14default_configENS1_22reduce_config_selectorIN6thrust23THRUST_200600_302600_NS5tupleIblNS6_9null_typeES8_S8_S8_S8_S8_S8_S8_EEEEZNS1_11reduce_implILb1ES3_PS9_SC_S9_NS6_11hip_rocprim9__find_if7functorIS9_EEEE10hipError_tPvRmT1_T2_T3_mT4_P12ihipStream_tbEUlT_E0_NS1_11comp_targetILNS1_3genE5ELNS1_11target_archE942ELNS1_3gpuE9ELNS1_3repE0EEENS1_30default_config_static_selectorELNS0_4arch9wavefront6targetE0EEEvSK_
                                        ; -- End function
	.section	.AMDGPU.csdata,"",@progbits
; Kernel info:
; codeLenInByte = 0
; NumSgprs: 0
; NumVgprs: 0
; ScratchSize: 0
; MemoryBound: 0
; FloatMode: 240
; IeeeMode: 1
; LDSByteSize: 0 bytes/workgroup (compile time only)
; SGPRBlocks: 0
; VGPRBlocks: 0
; NumSGPRsForWavesPerEU: 1
; NumVGPRsForWavesPerEU: 1
; Occupancy: 16
; WaveLimiterHint : 0
; COMPUTE_PGM_RSRC2:SCRATCH_EN: 0
; COMPUTE_PGM_RSRC2:USER_SGPR: 15
; COMPUTE_PGM_RSRC2:TRAP_HANDLER: 0
; COMPUTE_PGM_RSRC2:TGID_X_EN: 1
; COMPUTE_PGM_RSRC2:TGID_Y_EN: 0
; COMPUTE_PGM_RSRC2:TGID_Z_EN: 0
; COMPUTE_PGM_RSRC2:TIDIG_COMP_CNT: 0
	.section	.text._ZN7rocprim17ROCPRIM_400000_NS6detail17trampoline_kernelINS0_14default_configENS1_22reduce_config_selectorIN6thrust23THRUST_200600_302600_NS5tupleIblNS6_9null_typeES8_S8_S8_S8_S8_S8_S8_EEEEZNS1_11reduce_implILb1ES3_PS9_SC_S9_NS6_11hip_rocprim9__find_if7functorIS9_EEEE10hipError_tPvRmT1_T2_T3_mT4_P12ihipStream_tbEUlT_E0_NS1_11comp_targetILNS1_3genE4ELNS1_11target_archE910ELNS1_3gpuE8ELNS1_3repE0EEENS1_30default_config_static_selectorELNS0_4arch9wavefront6targetE0EEEvSK_,"axG",@progbits,_ZN7rocprim17ROCPRIM_400000_NS6detail17trampoline_kernelINS0_14default_configENS1_22reduce_config_selectorIN6thrust23THRUST_200600_302600_NS5tupleIblNS6_9null_typeES8_S8_S8_S8_S8_S8_S8_EEEEZNS1_11reduce_implILb1ES3_PS9_SC_S9_NS6_11hip_rocprim9__find_if7functorIS9_EEEE10hipError_tPvRmT1_T2_T3_mT4_P12ihipStream_tbEUlT_E0_NS1_11comp_targetILNS1_3genE4ELNS1_11target_archE910ELNS1_3gpuE8ELNS1_3repE0EEENS1_30default_config_static_selectorELNS0_4arch9wavefront6targetE0EEEvSK_,comdat
	.protected	_ZN7rocprim17ROCPRIM_400000_NS6detail17trampoline_kernelINS0_14default_configENS1_22reduce_config_selectorIN6thrust23THRUST_200600_302600_NS5tupleIblNS6_9null_typeES8_S8_S8_S8_S8_S8_S8_EEEEZNS1_11reduce_implILb1ES3_PS9_SC_S9_NS6_11hip_rocprim9__find_if7functorIS9_EEEE10hipError_tPvRmT1_T2_T3_mT4_P12ihipStream_tbEUlT_E0_NS1_11comp_targetILNS1_3genE4ELNS1_11target_archE910ELNS1_3gpuE8ELNS1_3repE0EEENS1_30default_config_static_selectorELNS0_4arch9wavefront6targetE0EEEvSK_ ; -- Begin function _ZN7rocprim17ROCPRIM_400000_NS6detail17trampoline_kernelINS0_14default_configENS1_22reduce_config_selectorIN6thrust23THRUST_200600_302600_NS5tupleIblNS6_9null_typeES8_S8_S8_S8_S8_S8_S8_EEEEZNS1_11reduce_implILb1ES3_PS9_SC_S9_NS6_11hip_rocprim9__find_if7functorIS9_EEEE10hipError_tPvRmT1_T2_T3_mT4_P12ihipStream_tbEUlT_E0_NS1_11comp_targetILNS1_3genE4ELNS1_11target_archE910ELNS1_3gpuE8ELNS1_3repE0EEENS1_30default_config_static_selectorELNS0_4arch9wavefront6targetE0EEEvSK_
	.globl	_ZN7rocprim17ROCPRIM_400000_NS6detail17trampoline_kernelINS0_14default_configENS1_22reduce_config_selectorIN6thrust23THRUST_200600_302600_NS5tupleIblNS6_9null_typeES8_S8_S8_S8_S8_S8_S8_EEEEZNS1_11reduce_implILb1ES3_PS9_SC_S9_NS6_11hip_rocprim9__find_if7functorIS9_EEEE10hipError_tPvRmT1_T2_T3_mT4_P12ihipStream_tbEUlT_E0_NS1_11comp_targetILNS1_3genE4ELNS1_11target_archE910ELNS1_3gpuE8ELNS1_3repE0EEENS1_30default_config_static_selectorELNS0_4arch9wavefront6targetE0EEEvSK_
	.p2align	8
	.type	_ZN7rocprim17ROCPRIM_400000_NS6detail17trampoline_kernelINS0_14default_configENS1_22reduce_config_selectorIN6thrust23THRUST_200600_302600_NS5tupleIblNS6_9null_typeES8_S8_S8_S8_S8_S8_S8_EEEEZNS1_11reduce_implILb1ES3_PS9_SC_S9_NS6_11hip_rocprim9__find_if7functorIS9_EEEE10hipError_tPvRmT1_T2_T3_mT4_P12ihipStream_tbEUlT_E0_NS1_11comp_targetILNS1_3genE4ELNS1_11target_archE910ELNS1_3gpuE8ELNS1_3repE0EEENS1_30default_config_static_selectorELNS0_4arch9wavefront6targetE0EEEvSK_,@function
_ZN7rocprim17ROCPRIM_400000_NS6detail17trampoline_kernelINS0_14default_configENS1_22reduce_config_selectorIN6thrust23THRUST_200600_302600_NS5tupleIblNS6_9null_typeES8_S8_S8_S8_S8_S8_S8_EEEEZNS1_11reduce_implILb1ES3_PS9_SC_S9_NS6_11hip_rocprim9__find_if7functorIS9_EEEE10hipError_tPvRmT1_T2_T3_mT4_P12ihipStream_tbEUlT_E0_NS1_11comp_targetILNS1_3genE4ELNS1_11target_archE910ELNS1_3gpuE8ELNS1_3repE0EEENS1_30default_config_static_selectorELNS0_4arch9wavefront6targetE0EEEvSK_: ; @_ZN7rocprim17ROCPRIM_400000_NS6detail17trampoline_kernelINS0_14default_configENS1_22reduce_config_selectorIN6thrust23THRUST_200600_302600_NS5tupleIblNS6_9null_typeES8_S8_S8_S8_S8_S8_S8_EEEEZNS1_11reduce_implILb1ES3_PS9_SC_S9_NS6_11hip_rocprim9__find_if7functorIS9_EEEE10hipError_tPvRmT1_T2_T3_mT4_P12ihipStream_tbEUlT_E0_NS1_11comp_targetILNS1_3genE4ELNS1_11target_archE910ELNS1_3gpuE8ELNS1_3repE0EEENS1_30default_config_static_selectorELNS0_4arch9wavefront6targetE0EEEvSK_
; %bb.0:
	.section	.rodata,"a",@progbits
	.p2align	6, 0x0
	.amdhsa_kernel _ZN7rocprim17ROCPRIM_400000_NS6detail17trampoline_kernelINS0_14default_configENS1_22reduce_config_selectorIN6thrust23THRUST_200600_302600_NS5tupleIblNS6_9null_typeES8_S8_S8_S8_S8_S8_S8_EEEEZNS1_11reduce_implILb1ES3_PS9_SC_S9_NS6_11hip_rocprim9__find_if7functorIS9_EEEE10hipError_tPvRmT1_T2_T3_mT4_P12ihipStream_tbEUlT_E0_NS1_11comp_targetILNS1_3genE4ELNS1_11target_archE910ELNS1_3gpuE8ELNS1_3repE0EEENS1_30default_config_static_selectorELNS0_4arch9wavefront6targetE0EEEvSK_
		.amdhsa_group_segment_fixed_size 0
		.amdhsa_private_segment_fixed_size 0
		.amdhsa_kernarg_size 72
		.amdhsa_user_sgpr_count 15
		.amdhsa_user_sgpr_dispatch_ptr 0
		.amdhsa_user_sgpr_queue_ptr 0
		.amdhsa_user_sgpr_kernarg_segment_ptr 1
		.amdhsa_user_sgpr_dispatch_id 0
		.amdhsa_user_sgpr_private_segment_size 0
		.amdhsa_wavefront_size32 1
		.amdhsa_uses_dynamic_stack 0
		.amdhsa_enable_private_segment 0
		.amdhsa_system_sgpr_workgroup_id_x 1
		.amdhsa_system_sgpr_workgroup_id_y 0
		.amdhsa_system_sgpr_workgroup_id_z 0
		.amdhsa_system_sgpr_workgroup_info 0
		.amdhsa_system_vgpr_workitem_id 0
		.amdhsa_next_free_vgpr 1
		.amdhsa_next_free_sgpr 1
		.amdhsa_reserve_vcc 0
		.amdhsa_float_round_mode_32 0
		.amdhsa_float_round_mode_16_64 0
		.amdhsa_float_denorm_mode_32 3
		.amdhsa_float_denorm_mode_16_64 3
		.amdhsa_dx10_clamp 1
		.amdhsa_ieee_mode 1
		.amdhsa_fp16_overflow 0
		.amdhsa_workgroup_processor_mode 1
		.amdhsa_memory_ordered 1
		.amdhsa_forward_progress 0
		.amdhsa_shared_vgpr_count 0
		.amdhsa_exception_fp_ieee_invalid_op 0
		.amdhsa_exception_fp_denorm_src 0
		.amdhsa_exception_fp_ieee_div_zero 0
		.amdhsa_exception_fp_ieee_overflow 0
		.amdhsa_exception_fp_ieee_underflow 0
		.amdhsa_exception_fp_ieee_inexact 0
		.amdhsa_exception_int_div_zero 0
	.end_amdhsa_kernel
	.section	.text._ZN7rocprim17ROCPRIM_400000_NS6detail17trampoline_kernelINS0_14default_configENS1_22reduce_config_selectorIN6thrust23THRUST_200600_302600_NS5tupleIblNS6_9null_typeES8_S8_S8_S8_S8_S8_S8_EEEEZNS1_11reduce_implILb1ES3_PS9_SC_S9_NS6_11hip_rocprim9__find_if7functorIS9_EEEE10hipError_tPvRmT1_T2_T3_mT4_P12ihipStream_tbEUlT_E0_NS1_11comp_targetILNS1_3genE4ELNS1_11target_archE910ELNS1_3gpuE8ELNS1_3repE0EEENS1_30default_config_static_selectorELNS0_4arch9wavefront6targetE0EEEvSK_,"axG",@progbits,_ZN7rocprim17ROCPRIM_400000_NS6detail17trampoline_kernelINS0_14default_configENS1_22reduce_config_selectorIN6thrust23THRUST_200600_302600_NS5tupleIblNS6_9null_typeES8_S8_S8_S8_S8_S8_S8_EEEEZNS1_11reduce_implILb1ES3_PS9_SC_S9_NS6_11hip_rocprim9__find_if7functorIS9_EEEE10hipError_tPvRmT1_T2_T3_mT4_P12ihipStream_tbEUlT_E0_NS1_11comp_targetILNS1_3genE4ELNS1_11target_archE910ELNS1_3gpuE8ELNS1_3repE0EEENS1_30default_config_static_selectorELNS0_4arch9wavefront6targetE0EEEvSK_,comdat
.Lfunc_end7:
	.size	_ZN7rocprim17ROCPRIM_400000_NS6detail17trampoline_kernelINS0_14default_configENS1_22reduce_config_selectorIN6thrust23THRUST_200600_302600_NS5tupleIblNS6_9null_typeES8_S8_S8_S8_S8_S8_S8_EEEEZNS1_11reduce_implILb1ES3_PS9_SC_S9_NS6_11hip_rocprim9__find_if7functorIS9_EEEE10hipError_tPvRmT1_T2_T3_mT4_P12ihipStream_tbEUlT_E0_NS1_11comp_targetILNS1_3genE4ELNS1_11target_archE910ELNS1_3gpuE8ELNS1_3repE0EEENS1_30default_config_static_selectorELNS0_4arch9wavefront6targetE0EEEvSK_, .Lfunc_end7-_ZN7rocprim17ROCPRIM_400000_NS6detail17trampoline_kernelINS0_14default_configENS1_22reduce_config_selectorIN6thrust23THRUST_200600_302600_NS5tupleIblNS6_9null_typeES8_S8_S8_S8_S8_S8_S8_EEEEZNS1_11reduce_implILb1ES3_PS9_SC_S9_NS6_11hip_rocprim9__find_if7functorIS9_EEEE10hipError_tPvRmT1_T2_T3_mT4_P12ihipStream_tbEUlT_E0_NS1_11comp_targetILNS1_3genE4ELNS1_11target_archE910ELNS1_3gpuE8ELNS1_3repE0EEENS1_30default_config_static_selectorELNS0_4arch9wavefront6targetE0EEEvSK_
                                        ; -- End function
	.section	.AMDGPU.csdata,"",@progbits
; Kernel info:
; codeLenInByte = 0
; NumSgprs: 0
; NumVgprs: 0
; ScratchSize: 0
; MemoryBound: 0
; FloatMode: 240
; IeeeMode: 1
; LDSByteSize: 0 bytes/workgroup (compile time only)
; SGPRBlocks: 0
; VGPRBlocks: 0
; NumSGPRsForWavesPerEU: 1
; NumVGPRsForWavesPerEU: 1
; Occupancy: 16
; WaveLimiterHint : 0
; COMPUTE_PGM_RSRC2:SCRATCH_EN: 0
; COMPUTE_PGM_RSRC2:USER_SGPR: 15
; COMPUTE_PGM_RSRC2:TRAP_HANDLER: 0
; COMPUTE_PGM_RSRC2:TGID_X_EN: 1
; COMPUTE_PGM_RSRC2:TGID_Y_EN: 0
; COMPUTE_PGM_RSRC2:TGID_Z_EN: 0
; COMPUTE_PGM_RSRC2:TIDIG_COMP_CNT: 0
	.section	.text._ZN7rocprim17ROCPRIM_400000_NS6detail17trampoline_kernelINS0_14default_configENS1_22reduce_config_selectorIN6thrust23THRUST_200600_302600_NS5tupleIblNS6_9null_typeES8_S8_S8_S8_S8_S8_S8_EEEEZNS1_11reduce_implILb1ES3_PS9_SC_S9_NS6_11hip_rocprim9__find_if7functorIS9_EEEE10hipError_tPvRmT1_T2_T3_mT4_P12ihipStream_tbEUlT_E0_NS1_11comp_targetILNS1_3genE3ELNS1_11target_archE908ELNS1_3gpuE7ELNS1_3repE0EEENS1_30default_config_static_selectorELNS0_4arch9wavefront6targetE0EEEvSK_,"axG",@progbits,_ZN7rocprim17ROCPRIM_400000_NS6detail17trampoline_kernelINS0_14default_configENS1_22reduce_config_selectorIN6thrust23THRUST_200600_302600_NS5tupleIblNS6_9null_typeES8_S8_S8_S8_S8_S8_S8_EEEEZNS1_11reduce_implILb1ES3_PS9_SC_S9_NS6_11hip_rocprim9__find_if7functorIS9_EEEE10hipError_tPvRmT1_T2_T3_mT4_P12ihipStream_tbEUlT_E0_NS1_11comp_targetILNS1_3genE3ELNS1_11target_archE908ELNS1_3gpuE7ELNS1_3repE0EEENS1_30default_config_static_selectorELNS0_4arch9wavefront6targetE0EEEvSK_,comdat
	.protected	_ZN7rocprim17ROCPRIM_400000_NS6detail17trampoline_kernelINS0_14default_configENS1_22reduce_config_selectorIN6thrust23THRUST_200600_302600_NS5tupleIblNS6_9null_typeES8_S8_S8_S8_S8_S8_S8_EEEEZNS1_11reduce_implILb1ES3_PS9_SC_S9_NS6_11hip_rocprim9__find_if7functorIS9_EEEE10hipError_tPvRmT1_T2_T3_mT4_P12ihipStream_tbEUlT_E0_NS1_11comp_targetILNS1_3genE3ELNS1_11target_archE908ELNS1_3gpuE7ELNS1_3repE0EEENS1_30default_config_static_selectorELNS0_4arch9wavefront6targetE0EEEvSK_ ; -- Begin function _ZN7rocprim17ROCPRIM_400000_NS6detail17trampoline_kernelINS0_14default_configENS1_22reduce_config_selectorIN6thrust23THRUST_200600_302600_NS5tupleIblNS6_9null_typeES8_S8_S8_S8_S8_S8_S8_EEEEZNS1_11reduce_implILb1ES3_PS9_SC_S9_NS6_11hip_rocprim9__find_if7functorIS9_EEEE10hipError_tPvRmT1_T2_T3_mT4_P12ihipStream_tbEUlT_E0_NS1_11comp_targetILNS1_3genE3ELNS1_11target_archE908ELNS1_3gpuE7ELNS1_3repE0EEENS1_30default_config_static_selectorELNS0_4arch9wavefront6targetE0EEEvSK_
	.globl	_ZN7rocprim17ROCPRIM_400000_NS6detail17trampoline_kernelINS0_14default_configENS1_22reduce_config_selectorIN6thrust23THRUST_200600_302600_NS5tupleIblNS6_9null_typeES8_S8_S8_S8_S8_S8_S8_EEEEZNS1_11reduce_implILb1ES3_PS9_SC_S9_NS6_11hip_rocprim9__find_if7functorIS9_EEEE10hipError_tPvRmT1_T2_T3_mT4_P12ihipStream_tbEUlT_E0_NS1_11comp_targetILNS1_3genE3ELNS1_11target_archE908ELNS1_3gpuE7ELNS1_3repE0EEENS1_30default_config_static_selectorELNS0_4arch9wavefront6targetE0EEEvSK_
	.p2align	8
	.type	_ZN7rocprim17ROCPRIM_400000_NS6detail17trampoline_kernelINS0_14default_configENS1_22reduce_config_selectorIN6thrust23THRUST_200600_302600_NS5tupleIblNS6_9null_typeES8_S8_S8_S8_S8_S8_S8_EEEEZNS1_11reduce_implILb1ES3_PS9_SC_S9_NS6_11hip_rocprim9__find_if7functorIS9_EEEE10hipError_tPvRmT1_T2_T3_mT4_P12ihipStream_tbEUlT_E0_NS1_11comp_targetILNS1_3genE3ELNS1_11target_archE908ELNS1_3gpuE7ELNS1_3repE0EEENS1_30default_config_static_selectorELNS0_4arch9wavefront6targetE0EEEvSK_,@function
_ZN7rocprim17ROCPRIM_400000_NS6detail17trampoline_kernelINS0_14default_configENS1_22reduce_config_selectorIN6thrust23THRUST_200600_302600_NS5tupleIblNS6_9null_typeES8_S8_S8_S8_S8_S8_S8_EEEEZNS1_11reduce_implILb1ES3_PS9_SC_S9_NS6_11hip_rocprim9__find_if7functorIS9_EEEE10hipError_tPvRmT1_T2_T3_mT4_P12ihipStream_tbEUlT_E0_NS1_11comp_targetILNS1_3genE3ELNS1_11target_archE908ELNS1_3gpuE7ELNS1_3repE0EEENS1_30default_config_static_selectorELNS0_4arch9wavefront6targetE0EEEvSK_: ; @_ZN7rocprim17ROCPRIM_400000_NS6detail17trampoline_kernelINS0_14default_configENS1_22reduce_config_selectorIN6thrust23THRUST_200600_302600_NS5tupleIblNS6_9null_typeES8_S8_S8_S8_S8_S8_S8_EEEEZNS1_11reduce_implILb1ES3_PS9_SC_S9_NS6_11hip_rocprim9__find_if7functorIS9_EEEE10hipError_tPvRmT1_T2_T3_mT4_P12ihipStream_tbEUlT_E0_NS1_11comp_targetILNS1_3genE3ELNS1_11target_archE908ELNS1_3gpuE7ELNS1_3repE0EEENS1_30default_config_static_selectorELNS0_4arch9wavefront6targetE0EEEvSK_
; %bb.0:
	.section	.rodata,"a",@progbits
	.p2align	6, 0x0
	.amdhsa_kernel _ZN7rocprim17ROCPRIM_400000_NS6detail17trampoline_kernelINS0_14default_configENS1_22reduce_config_selectorIN6thrust23THRUST_200600_302600_NS5tupleIblNS6_9null_typeES8_S8_S8_S8_S8_S8_S8_EEEEZNS1_11reduce_implILb1ES3_PS9_SC_S9_NS6_11hip_rocprim9__find_if7functorIS9_EEEE10hipError_tPvRmT1_T2_T3_mT4_P12ihipStream_tbEUlT_E0_NS1_11comp_targetILNS1_3genE3ELNS1_11target_archE908ELNS1_3gpuE7ELNS1_3repE0EEENS1_30default_config_static_selectorELNS0_4arch9wavefront6targetE0EEEvSK_
		.amdhsa_group_segment_fixed_size 0
		.amdhsa_private_segment_fixed_size 0
		.amdhsa_kernarg_size 72
		.amdhsa_user_sgpr_count 15
		.amdhsa_user_sgpr_dispatch_ptr 0
		.amdhsa_user_sgpr_queue_ptr 0
		.amdhsa_user_sgpr_kernarg_segment_ptr 1
		.amdhsa_user_sgpr_dispatch_id 0
		.amdhsa_user_sgpr_private_segment_size 0
		.amdhsa_wavefront_size32 1
		.amdhsa_uses_dynamic_stack 0
		.amdhsa_enable_private_segment 0
		.amdhsa_system_sgpr_workgroup_id_x 1
		.amdhsa_system_sgpr_workgroup_id_y 0
		.amdhsa_system_sgpr_workgroup_id_z 0
		.amdhsa_system_sgpr_workgroup_info 0
		.amdhsa_system_vgpr_workitem_id 0
		.amdhsa_next_free_vgpr 1
		.amdhsa_next_free_sgpr 1
		.amdhsa_reserve_vcc 0
		.amdhsa_float_round_mode_32 0
		.amdhsa_float_round_mode_16_64 0
		.amdhsa_float_denorm_mode_32 3
		.amdhsa_float_denorm_mode_16_64 3
		.amdhsa_dx10_clamp 1
		.amdhsa_ieee_mode 1
		.amdhsa_fp16_overflow 0
		.amdhsa_workgroup_processor_mode 1
		.amdhsa_memory_ordered 1
		.amdhsa_forward_progress 0
		.amdhsa_shared_vgpr_count 0
		.amdhsa_exception_fp_ieee_invalid_op 0
		.amdhsa_exception_fp_denorm_src 0
		.amdhsa_exception_fp_ieee_div_zero 0
		.amdhsa_exception_fp_ieee_overflow 0
		.amdhsa_exception_fp_ieee_underflow 0
		.amdhsa_exception_fp_ieee_inexact 0
		.amdhsa_exception_int_div_zero 0
	.end_amdhsa_kernel
	.section	.text._ZN7rocprim17ROCPRIM_400000_NS6detail17trampoline_kernelINS0_14default_configENS1_22reduce_config_selectorIN6thrust23THRUST_200600_302600_NS5tupleIblNS6_9null_typeES8_S8_S8_S8_S8_S8_S8_EEEEZNS1_11reduce_implILb1ES3_PS9_SC_S9_NS6_11hip_rocprim9__find_if7functorIS9_EEEE10hipError_tPvRmT1_T2_T3_mT4_P12ihipStream_tbEUlT_E0_NS1_11comp_targetILNS1_3genE3ELNS1_11target_archE908ELNS1_3gpuE7ELNS1_3repE0EEENS1_30default_config_static_selectorELNS0_4arch9wavefront6targetE0EEEvSK_,"axG",@progbits,_ZN7rocprim17ROCPRIM_400000_NS6detail17trampoline_kernelINS0_14default_configENS1_22reduce_config_selectorIN6thrust23THRUST_200600_302600_NS5tupleIblNS6_9null_typeES8_S8_S8_S8_S8_S8_S8_EEEEZNS1_11reduce_implILb1ES3_PS9_SC_S9_NS6_11hip_rocprim9__find_if7functorIS9_EEEE10hipError_tPvRmT1_T2_T3_mT4_P12ihipStream_tbEUlT_E0_NS1_11comp_targetILNS1_3genE3ELNS1_11target_archE908ELNS1_3gpuE7ELNS1_3repE0EEENS1_30default_config_static_selectorELNS0_4arch9wavefront6targetE0EEEvSK_,comdat
.Lfunc_end8:
	.size	_ZN7rocprim17ROCPRIM_400000_NS6detail17trampoline_kernelINS0_14default_configENS1_22reduce_config_selectorIN6thrust23THRUST_200600_302600_NS5tupleIblNS6_9null_typeES8_S8_S8_S8_S8_S8_S8_EEEEZNS1_11reduce_implILb1ES3_PS9_SC_S9_NS6_11hip_rocprim9__find_if7functorIS9_EEEE10hipError_tPvRmT1_T2_T3_mT4_P12ihipStream_tbEUlT_E0_NS1_11comp_targetILNS1_3genE3ELNS1_11target_archE908ELNS1_3gpuE7ELNS1_3repE0EEENS1_30default_config_static_selectorELNS0_4arch9wavefront6targetE0EEEvSK_, .Lfunc_end8-_ZN7rocprim17ROCPRIM_400000_NS6detail17trampoline_kernelINS0_14default_configENS1_22reduce_config_selectorIN6thrust23THRUST_200600_302600_NS5tupleIblNS6_9null_typeES8_S8_S8_S8_S8_S8_S8_EEEEZNS1_11reduce_implILb1ES3_PS9_SC_S9_NS6_11hip_rocprim9__find_if7functorIS9_EEEE10hipError_tPvRmT1_T2_T3_mT4_P12ihipStream_tbEUlT_E0_NS1_11comp_targetILNS1_3genE3ELNS1_11target_archE908ELNS1_3gpuE7ELNS1_3repE0EEENS1_30default_config_static_selectorELNS0_4arch9wavefront6targetE0EEEvSK_
                                        ; -- End function
	.section	.AMDGPU.csdata,"",@progbits
; Kernel info:
; codeLenInByte = 0
; NumSgprs: 0
; NumVgprs: 0
; ScratchSize: 0
; MemoryBound: 0
; FloatMode: 240
; IeeeMode: 1
; LDSByteSize: 0 bytes/workgroup (compile time only)
; SGPRBlocks: 0
; VGPRBlocks: 0
; NumSGPRsForWavesPerEU: 1
; NumVGPRsForWavesPerEU: 1
; Occupancy: 16
; WaveLimiterHint : 0
; COMPUTE_PGM_RSRC2:SCRATCH_EN: 0
; COMPUTE_PGM_RSRC2:USER_SGPR: 15
; COMPUTE_PGM_RSRC2:TRAP_HANDLER: 0
; COMPUTE_PGM_RSRC2:TGID_X_EN: 1
; COMPUTE_PGM_RSRC2:TGID_Y_EN: 0
; COMPUTE_PGM_RSRC2:TGID_Z_EN: 0
; COMPUTE_PGM_RSRC2:TIDIG_COMP_CNT: 0
	.section	.text._ZN7rocprim17ROCPRIM_400000_NS6detail17trampoline_kernelINS0_14default_configENS1_22reduce_config_selectorIN6thrust23THRUST_200600_302600_NS5tupleIblNS6_9null_typeES8_S8_S8_S8_S8_S8_S8_EEEEZNS1_11reduce_implILb1ES3_PS9_SC_S9_NS6_11hip_rocprim9__find_if7functorIS9_EEEE10hipError_tPvRmT1_T2_T3_mT4_P12ihipStream_tbEUlT_E0_NS1_11comp_targetILNS1_3genE2ELNS1_11target_archE906ELNS1_3gpuE6ELNS1_3repE0EEENS1_30default_config_static_selectorELNS0_4arch9wavefront6targetE0EEEvSK_,"axG",@progbits,_ZN7rocprim17ROCPRIM_400000_NS6detail17trampoline_kernelINS0_14default_configENS1_22reduce_config_selectorIN6thrust23THRUST_200600_302600_NS5tupleIblNS6_9null_typeES8_S8_S8_S8_S8_S8_S8_EEEEZNS1_11reduce_implILb1ES3_PS9_SC_S9_NS6_11hip_rocprim9__find_if7functorIS9_EEEE10hipError_tPvRmT1_T2_T3_mT4_P12ihipStream_tbEUlT_E0_NS1_11comp_targetILNS1_3genE2ELNS1_11target_archE906ELNS1_3gpuE6ELNS1_3repE0EEENS1_30default_config_static_selectorELNS0_4arch9wavefront6targetE0EEEvSK_,comdat
	.protected	_ZN7rocprim17ROCPRIM_400000_NS6detail17trampoline_kernelINS0_14default_configENS1_22reduce_config_selectorIN6thrust23THRUST_200600_302600_NS5tupleIblNS6_9null_typeES8_S8_S8_S8_S8_S8_S8_EEEEZNS1_11reduce_implILb1ES3_PS9_SC_S9_NS6_11hip_rocprim9__find_if7functorIS9_EEEE10hipError_tPvRmT1_T2_T3_mT4_P12ihipStream_tbEUlT_E0_NS1_11comp_targetILNS1_3genE2ELNS1_11target_archE906ELNS1_3gpuE6ELNS1_3repE0EEENS1_30default_config_static_selectorELNS0_4arch9wavefront6targetE0EEEvSK_ ; -- Begin function _ZN7rocprim17ROCPRIM_400000_NS6detail17trampoline_kernelINS0_14default_configENS1_22reduce_config_selectorIN6thrust23THRUST_200600_302600_NS5tupleIblNS6_9null_typeES8_S8_S8_S8_S8_S8_S8_EEEEZNS1_11reduce_implILb1ES3_PS9_SC_S9_NS6_11hip_rocprim9__find_if7functorIS9_EEEE10hipError_tPvRmT1_T2_T3_mT4_P12ihipStream_tbEUlT_E0_NS1_11comp_targetILNS1_3genE2ELNS1_11target_archE906ELNS1_3gpuE6ELNS1_3repE0EEENS1_30default_config_static_selectorELNS0_4arch9wavefront6targetE0EEEvSK_
	.globl	_ZN7rocprim17ROCPRIM_400000_NS6detail17trampoline_kernelINS0_14default_configENS1_22reduce_config_selectorIN6thrust23THRUST_200600_302600_NS5tupleIblNS6_9null_typeES8_S8_S8_S8_S8_S8_S8_EEEEZNS1_11reduce_implILb1ES3_PS9_SC_S9_NS6_11hip_rocprim9__find_if7functorIS9_EEEE10hipError_tPvRmT1_T2_T3_mT4_P12ihipStream_tbEUlT_E0_NS1_11comp_targetILNS1_3genE2ELNS1_11target_archE906ELNS1_3gpuE6ELNS1_3repE0EEENS1_30default_config_static_selectorELNS0_4arch9wavefront6targetE0EEEvSK_
	.p2align	8
	.type	_ZN7rocprim17ROCPRIM_400000_NS6detail17trampoline_kernelINS0_14default_configENS1_22reduce_config_selectorIN6thrust23THRUST_200600_302600_NS5tupleIblNS6_9null_typeES8_S8_S8_S8_S8_S8_S8_EEEEZNS1_11reduce_implILb1ES3_PS9_SC_S9_NS6_11hip_rocprim9__find_if7functorIS9_EEEE10hipError_tPvRmT1_T2_T3_mT4_P12ihipStream_tbEUlT_E0_NS1_11comp_targetILNS1_3genE2ELNS1_11target_archE906ELNS1_3gpuE6ELNS1_3repE0EEENS1_30default_config_static_selectorELNS0_4arch9wavefront6targetE0EEEvSK_,@function
_ZN7rocprim17ROCPRIM_400000_NS6detail17trampoline_kernelINS0_14default_configENS1_22reduce_config_selectorIN6thrust23THRUST_200600_302600_NS5tupleIblNS6_9null_typeES8_S8_S8_S8_S8_S8_S8_EEEEZNS1_11reduce_implILb1ES3_PS9_SC_S9_NS6_11hip_rocprim9__find_if7functorIS9_EEEE10hipError_tPvRmT1_T2_T3_mT4_P12ihipStream_tbEUlT_E0_NS1_11comp_targetILNS1_3genE2ELNS1_11target_archE906ELNS1_3gpuE6ELNS1_3repE0EEENS1_30default_config_static_selectorELNS0_4arch9wavefront6targetE0EEEvSK_: ; @_ZN7rocprim17ROCPRIM_400000_NS6detail17trampoline_kernelINS0_14default_configENS1_22reduce_config_selectorIN6thrust23THRUST_200600_302600_NS5tupleIblNS6_9null_typeES8_S8_S8_S8_S8_S8_S8_EEEEZNS1_11reduce_implILb1ES3_PS9_SC_S9_NS6_11hip_rocprim9__find_if7functorIS9_EEEE10hipError_tPvRmT1_T2_T3_mT4_P12ihipStream_tbEUlT_E0_NS1_11comp_targetILNS1_3genE2ELNS1_11target_archE906ELNS1_3gpuE6ELNS1_3repE0EEENS1_30default_config_static_selectorELNS0_4arch9wavefront6targetE0EEEvSK_
; %bb.0:
	.section	.rodata,"a",@progbits
	.p2align	6, 0x0
	.amdhsa_kernel _ZN7rocprim17ROCPRIM_400000_NS6detail17trampoline_kernelINS0_14default_configENS1_22reduce_config_selectorIN6thrust23THRUST_200600_302600_NS5tupleIblNS6_9null_typeES8_S8_S8_S8_S8_S8_S8_EEEEZNS1_11reduce_implILb1ES3_PS9_SC_S9_NS6_11hip_rocprim9__find_if7functorIS9_EEEE10hipError_tPvRmT1_T2_T3_mT4_P12ihipStream_tbEUlT_E0_NS1_11comp_targetILNS1_3genE2ELNS1_11target_archE906ELNS1_3gpuE6ELNS1_3repE0EEENS1_30default_config_static_selectorELNS0_4arch9wavefront6targetE0EEEvSK_
		.amdhsa_group_segment_fixed_size 0
		.amdhsa_private_segment_fixed_size 0
		.amdhsa_kernarg_size 72
		.amdhsa_user_sgpr_count 15
		.amdhsa_user_sgpr_dispatch_ptr 0
		.amdhsa_user_sgpr_queue_ptr 0
		.amdhsa_user_sgpr_kernarg_segment_ptr 1
		.amdhsa_user_sgpr_dispatch_id 0
		.amdhsa_user_sgpr_private_segment_size 0
		.amdhsa_wavefront_size32 1
		.amdhsa_uses_dynamic_stack 0
		.amdhsa_enable_private_segment 0
		.amdhsa_system_sgpr_workgroup_id_x 1
		.amdhsa_system_sgpr_workgroup_id_y 0
		.amdhsa_system_sgpr_workgroup_id_z 0
		.amdhsa_system_sgpr_workgroup_info 0
		.amdhsa_system_vgpr_workitem_id 0
		.amdhsa_next_free_vgpr 1
		.amdhsa_next_free_sgpr 1
		.amdhsa_reserve_vcc 0
		.amdhsa_float_round_mode_32 0
		.amdhsa_float_round_mode_16_64 0
		.amdhsa_float_denorm_mode_32 3
		.amdhsa_float_denorm_mode_16_64 3
		.amdhsa_dx10_clamp 1
		.amdhsa_ieee_mode 1
		.amdhsa_fp16_overflow 0
		.amdhsa_workgroup_processor_mode 1
		.amdhsa_memory_ordered 1
		.amdhsa_forward_progress 0
		.amdhsa_shared_vgpr_count 0
		.amdhsa_exception_fp_ieee_invalid_op 0
		.amdhsa_exception_fp_denorm_src 0
		.amdhsa_exception_fp_ieee_div_zero 0
		.amdhsa_exception_fp_ieee_overflow 0
		.amdhsa_exception_fp_ieee_underflow 0
		.amdhsa_exception_fp_ieee_inexact 0
		.amdhsa_exception_int_div_zero 0
	.end_amdhsa_kernel
	.section	.text._ZN7rocprim17ROCPRIM_400000_NS6detail17trampoline_kernelINS0_14default_configENS1_22reduce_config_selectorIN6thrust23THRUST_200600_302600_NS5tupleIblNS6_9null_typeES8_S8_S8_S8_S8_S8_S8_EEEEZNS1_11reduce_implILb1ES3_PS9_SC_S9_NS6_11hip_rocprim9__find_if7functorIS9_EEEE10hipError_tPvRmT1_T2_T3_mT4_P12ihipStream_tbEUlT_E0_NS1_11comp_targetILNS1_3genE2ELNS1_11target_archE906ELNS1_3gpuE6ELNS1_3repE0EEENS1_30default_config_static_selectorELNS0_4arch9wavefront6targetE0EEEvSK_,"axG",@progbits,_ZN7rocprim17ROCPRIM_400000_NS6detail17trampoline_kernelINS0_14default_configENS1_22reduce_config_selectorIN6thrust23THRUST_200600_302600_NS5tupleIblNS6_9null_typeES8_S8_S8_S8_S8_S8_S8_EEEEZNS1_11reduce_implILb1ES3_PS9_SC_S9_NS6_11hip_rocprim9__find_if7functorIS9_EEEE10hipError_tPvRmT1_T2_T3_mT4_P12ihipStream_tbEUlT_E0_NS1_11comp_targetILNS1_3genE2ELNS1_11target_archE906ELNS1_3gpuE6ELNS1_3repE0EEENS1_30default_config_static_selectorELNS0_4arch9wavefront6targetE0EEEvSK_,comdat
.Lfunc_end9:
	.size	_ZN7rocprim17ROCPRIM_400000_NS6detail17trampoline_kernelINS0_14default_configENS1_22reduce_config_selectorIN6thrust23THRUST_200600_302600_NS5tupleIblNS6_9null_typeES8_S8_S8_S8_S8_S8_S8_EEEEZNS1_11reduce_implILb1ES3_PS9_SC_S9_NS6_11hip_rocprim9__find_if7functorIS9_EEEE10hipError_tPvRmT1_T2_T3_mT4_P12ihipStream_tbEUlT_E0_NS1_11comp_targetILNS1_3genE2ELNS1_11target_archE906ELNS1_3gpuE6ELNS1_3repE0EEENS1_30default_config_static_selectorELNS0_4arch9wavefront6targetE0EEEvSK_, .Lfunc_end9-_ZN7rocprim17ROCPRIM_400000_NS6detail17trampoline_kernelINS0_14default_configENS1_22reduce_config_selectorIN6thrust23THRUST_200600_302600_NS5tupleIblNS6_9null_typeES8_S8_S8_S8_S8_S8_S8_EEEEZNS1_11reduce_implILb1ES3_PS9_SC_S9_NS6_11hip_rocprim9__find_if7functorIS9_EEEE10hipError_tPvRmT1_T2_T3_mT4_P12ihipStream_tbEUlT_E0_NS1_11comp_targetILNS1_3genE2ELNS1_11target_archE906ELNS1_3gpuE6ELNS1_3repE0EEENS1_30default_config_static_selectorELNS0_4arch9wavefront6targetE0EEEvSK_
                                        ; -- End function
	.section	.AMDGPU.csdata,"",@progbits
; Kernel info:
; codeLenInByte = 0
; NumSgprs: 0
; NumVgprs: 0
; ScratchSize: 0
; MemoryBound: 0
; FloatMode: 240
; IeeeMode: 1
; LDSByteSize: 0 bytes/workgroup (compile time only)
; SGPRBlocks: 0
; VGPRBlocks: 0
; NumSGPRsForWavesPerEU: 1
; NumVGPRsForWavesPerEU: 1
; Occupancy: 16
; WaveLimiterHint : 0
; COMPUTE_PGM_RSRC2:SCRATCH_EN: 0
; COMPUTE_PGM_RSRC2:USER_SGPR: 15
; COMPUTE_PGM_RSRC2:TRAP_HANDLER: 0
; COMPUTE_PGM_RSRC2:TGID_X_EN: 1
; COMPUTE_PGM_RSRC2:TGID_Y_EN: 0
; COMPUTE_PGM_RSRC2:TGID_Z_EN: 0
; COMPUTE_PGM_RSRC2:TIDIG_COMP_CNT: 0
	.section	.text._ZN7rocprim17ROCPRIM_400000_NS6detail17trampoline_kernelINS0_14default_configENS1_22reduce_config_selectorIN6thrust23THRUST_200600_302600_NS5tupleIblNS6_9null_typeES8_S8_S8_S8_S8_S8_S8_EEEEZNS1_11reduce_implILb1ES3_PS9_SC_S9_NS6_11hip_rocprim9__find_if7functorIS9_EEEE10hipError_tPvRmT1_T2_T3_mT4_P12ihipStream_tbEUlT_E0_NS1_11comp_targetILNS1_3genE10ELNS1_11target_archE1201ELNS1_3gpuE5ELNS1_3repE0EEENS1_30default_config_static_selectorELNS0_4arch9wavefront6targetE0EEEvSK_,"axG",@progbits,_ZN7rocprim17ROCPRIM_400000_NS6detail17trampoline_kernelINS0_14default_configENS1_22reduce_config_selectorIN6thrust23THRUST_200600_302600_NS5tupleIblNS6_9null_typeES8_S8_S8_S8_S8_S8_S8_EEEEZNS1_11reduce_implILb1ES3_PS9_SC_S9_NS6_11hip_rocprim9__find_if7functorIS9_EEEE10hipError_tPvRmT1_T2_T3_mT4_P12ihipStream_tbEUlT_E0_NS1_11comp_targetILNS1_3genE10ELNS1_11target_archE1201ELNS1_3gpuE5ELNS1_3repE0EEENS1_30default_config_static_selectorELNS0_4arch9wavefront6targetE0EEEvSK_,comdat
	.protected	_ZN7rocprim17ROCPRIM_400000_NS6detail17trampoline_kernelINS0_14default_configENS1_22reduce_config_selectorIN6thrust23THRUST_200600_302600_NS5tupleIblNS6_9null_typeES8_S8_S8_S8_S8_S8_S8_EEEEZNS1_11reduce_implILb1ES3_PS9_SC_S9_NS6_11hip_rocprim9__find_if7functorIS9_EEEE10hipError_tPvRmT1_T2_T3_mT4_P12ihipStream_tbEUlT_E0_NS1_11comp_targetILNS1_3genE10ELNS1_11target_archE1201ELNS1_3gpuE5ELNS1_3repE0EEENS1_30default_config_static_selectorELNS0_4arch9wavefront6targetE0EEEvSK_ ; -- Begin function _ZN7rocprim17ROCPRIM_400000_NS6detail17trampoline_kernelINS0_14default_configENS1_22reduce_config_selectorIN6thrust23THRUST_200600_302600_NS5tupleIblNS6_9null_typeES8_S8_S8_S8_S8_S8_S8_EEEEZNS1_11reduce_implILb1ES3_PS9_SC_S9_NS6_11hip_rocprim9__find_if7functorIS9_EEEE10hipError_tPvRmT1_T2_T3_mT4_P12ihipStream_tbEUlT_E0_NS1_11comp_targetILNS1_3genE10ELNS1_11target_archE1201ELNS1_3gpuE5ELNS1_3repE0EEENS1_30default_config_static_selectorELNS0_4arch9wavefront6targetE0EEEvSK_
	.globl	_ZN7rocprim17ROCPRIM_400000_NS6detail17trampoline_kernelINS0_14default_configENS1_22reduce_config_selectorIN6thrust23THRUST_200600_302600_NS5tupleIblNS6_9null_typeES8_S8_S8_S8_S8_S8_S8_EEEEZNS1_11reduce_implILb1ES3_PS9_SC_S9_NS6_11hip_rocprim9__find_if7functorIS9_EEEE10hipError_tPvRmT1_T2_T3_mT4_P12ihipStream_tbEUlT_E0_NS1_11comp_targetILNS1_3genE10ELNS1_11target_archE1201ELNS1_3gpuE5ELNS1_3repE0EEENS1_30default_config_static_selectorELNS0_4arch9wavefront6targetE0EEEvSK_
	.p2align	8
	.type	_ZN7rocprim17ROCPRIM_400000_NS6detail17trampoline_kernelINS0_14default_configENS1_22reduce_config_selectorIN6thrust23THRUST_200600_302600_NS5tupleIblNS6_9null_typeES8_S8_S8_S8_S8_S8_S8_EEEEZNS1_11reduce_implILb1ES3_PS9_SC_S9_NS6_11hip_rocprim9__find_if7functorIS9_EEEE10hipError_tPvRmT1_T2_T3_mT4_P12ihipStream_tbEUlT_E0_NS1_11comp_targetILNS1_3genE10ELNS1_11target_archE1201ELNS1_3gpuE5ELNS1_3repE0EEENS1_30default_config_static_selectorELNS0_4arch9wavefront6targetE0EEEvSK_,@function
_ZN7rocprim17ROCPRIM_400000_NS6detail17trampoline_kernelINS0_14default_configENS1_22reduce_config_selectorIN6thrust23THRUST_200600_302600_NS5tupleIblNS6_9null_typeES8_S8_S8_S8_S8_S8_S8_EEEEZNS1_11reduce_implILb1ES3_PS9_SC_S9_NS6_11hip_rocprim9__find_if7functorIS9_EEEE10hipError_tPvRmT1_T2_T3_mT4_P12ihipStream_tbEUlT_E0_NS1_11comp_targetILNS1_3genE10ELNS1_11target_archE1201ELNS1_3gpuE5ELNS1_3repE0EEENS1_30default_config_static_selectorELNS0_4arch9wavefront6targetE0EEEvSK_: ; @_ZN7rocprim17ROCPRIM_400000_NS6detail17trampoline_kernelINS0_14default_configENS1_22reduce_config_selectorIN6thrust23THRUST_200600_302600_NS5tupleIblNS6_9null_typeES8_S8_S8_S8_S8_S8_S8_EEEEZNS1_11reduce_implILb1ES3_PS9_SC_S9_NS6_11hip_rocprim9__find_if7functorIS9_EEEE10hipError_tPvRmT1_T2_T3_mT4_P12ihipStream_tbEUlT_E0_NS1_11comp_targetILNS1_3genE10ELNS1_11target_archE1201ELNS1_3gpuE5ELNS1_3repE0EEENS1_30default_config_static_selectorELNS0_4arch9wavefront6targetE0EEEvSK_
; %bb.0:
	.section	.rodata,"a",@progbits
	.p2align	6, 0x0
	.amdhsa_kernel _ZN7rocprim17ROCPRIM_400000_NS6detail17trampoline_kernelINS0_14default_configENS1_22reduce_config_selectorIN6thrust23THRUST_200600_302600_NS5tupleIblNS6_9null_typeES8_S8_S8_S8_S8_S8_S8_EEEEZNS1_11reduce_implILb1ES3_PS9_SC_S9_NS6_11hip_rocprim9__find_if7functorIS9_EEEE10hipError_tPvRmT1_T2_T3_mT4_P12ihipStream_tbEUlT_E0_NS1_11comp_targetILNS1_3genE10ELNS1_11target_archE1201ELNS1_3gpuE5ELNS1_3repE0EEENS1_30default_config_static_selectorELNS0_4arch9wavefront6targetE0EEEvSK_
		.amdhsa_group_segment_fixed_size 0
		.amdhsa_private_segment_fixed_size 0
		.amdhsa_kernarg_size 72
		.amdhsa_user_sgpr_count 15
		.amdhsa_user_sgpr_dispatch_ptr 0
		.amdhsa_user_sgpr_queue_ptr 0
		.amdhsa_user_sgpr_kernarg_segment_ptr 1
		.amdhsa_user_sgpr_dispatch_id 0
		.amdhsa_user_sgpr_private_segment_size 0
		.amdhsa_wavefront_size32 1
		.amdhsa_uses_dynamic_stack 0
		.amdhsa_enable_private_segment 0
		.amdhsa_system_sgpr_workgroup_id_x 1
		.amdhsa_system_sgpr_workgroup_id_y 0
		.amdhsa_system_sgpr_workgroup_id_z 0
		.amdhsa_system_sgpr_workgroup_info 0
		.amdhsa_system_vgpr_workitem_id 0
		.amdhsa_next_free_vgpr 1
		.amdhsa_next_free_sgpr 1
		.amdhsa_reserve_vcc 0
		.amdhsa_float_round_mode_32 0
		.amdhsa_float_round_mode_16_64 0
		.amdhsa_float_denorm_mode_32 3
		.amdhsa_float_denorm_mode_16_64 3
		.amdhsa_dx10_clamp 1
		.amdhsa_ieee_mode 1
		.amdhsa_fp16_overflow 0
		.amdhsa_workgroup_processor_mode 1
		.amdhsa_memory_ordered 1
		.amdhsa_forward_progress 0
		.amdhsa_shared_vgpr_count 0
		.amdhsa_exception_fp_ieee_invalid_op 0
		.amdhsa_exception_fp_denorm_src 0
		.amdhsa_exception_fp_ieee_div_zero 0
		.amdhsa_exception_fp_ieee_overflow 0
		.amdhsa_exception_fp_ieee_underflow 0
		.amdhsa_exception_fp_ieee_inexact 0
		.amdhsa_exception_int_div_zero 0
	.end_amdhsa_kernel
	.section	.text._ZN7rocprim17ROCPRIM_400000_NS6detail17trampoline_kernelINS0_14default_configENS1_22reduce_config_selectorIN6thrust23THRUST_200600_302600_NS5tupleIblNS6_9null_typeES8_S8_S8_S8_S8_S8_S8_EEEEZNS1_11reduce_implILb1ES3_PS9_SC_S9_NS6_11hip_rocprim9__find_if7functorIS9_EEEE10hipError_tPvRmT1_T2_T3_mT4_P12ihipStream_tbEUlT_E0_NS1_11comp_targetILNS1_3genE10ELNS1_11target_archE1201ELNS1_3gpuE5ELNS1_3repE0EEENS1_30default_config_static_selectorELNS0_4arch9wavefront6targetE0EEEvSK_,"axG",@progbits,_ZN7rocprim17ROCPRIM_400000_NS6detail17trampoline_kernelINS0_14default_configENS1_22reduce_config_selectorIN6thrust23THRUST_200600_302600_NS5tupleIblNS6_9null_typeES8_S8_S8_S8_S8_S8_S8_EEEEZNS1_11reduce_implILb1ES3_PS9_SC_S9_NS6_11hip_rocprim9__find_if7functorIS9_EEEE10hipError_tPvRmT1_T2_T3_mT4_P12ihipStream_tbEUlT_E0_NS1_11comp_targetILNS1_3genE10ELNS1_11target_archE1201ELNS1_3gpuE5ELNS1_3repE0EEENS1_30default_config_static_selectorELNS0_4arch9wavefront6targetE0EEEvSK_,comdat
.Lfunc_end10:
	.size	_ZN7rocprim17ROCPRIM_400000_NS6detail17trampoline_kernelINS0_14default_configENS1_22reduce_config_selectorIN6thrust23THRUST_200600_302600_NS5tupleIblNS6_9null_typeES8_S8_S8_S8_S8_S8_S8_EEEEZNS1_11reduce_implILb1ES3_PS9_SC_S9_NS6_11hip_rocprim9__find_if7functorIS9_EEEE10hipError_tPvRmT1_T2_T3_mT4_P12ihipStream_tbEUlT_E0_NS1_11comp_targetILNS1_3genE10ELNS1_11target_archE1201ELNS1_3gpuE5ELNS1_3repE0EEENS1_30default_config_static_selectorELNS0_4arch9wavefront6targetE0EEEvSK_, .Lfunc_end10-_ZN7rocprim17ROCPRIM_400000_NS6detail17trampoline_kernelINS0_14default_configENS1_22reduce_config_selectorIN6thrust23THRUST_200600_302600_NS5tupleIblNS6_9null_typeES8_S8_S8_S8_S8_S8_S8_EEEEZNS1_11reduce_implILb1ES3_PS9_SC_S9_NS6_11hip_rocprim9__find_if7functorIS9_EEEE10hipError_tPvRmT1_T2_T3_mT4_P12ihipStream_tbEUlT_E0_NS1_11comp_targetILNS1_3genE10ELNS1_11target_archE1201ELNS1_3gpuE5ELNS1_3repE0EEENS1_30default_config_static_selectorELNS0_4arch9wavefront6targetE0EEEvSK_
                                        ; -- End function
	.section	.AMDGPU.csdata,"",@progbits
; Kernel info:
; codeLenInByte = 0
; NumSgprs: 0
; NumVgprs: 0
; ScratchSize: 0
; MemoryBound: 0
; FloatMode: 240
; IeeeMode: 1
; LDSByteSize: 0 bytes/workgroup (compile time only)
; SGPRBlocks: 0
; VGPRBlocks: 0
; NumSGPRsForWavesPerEU: 1
; NumVGPRsForWavesPerEU: 1
; Occupancy: 16
; WaveLimiterHint : 0
; COMPUTE_PGM_RSRC2:SCRATCH_EN: 0
; COMPUTE_PGM_RSRC2:USER_SGPR: 15
; COMPUTE_PGM_RSRC2:TRAP_HANDLER: 0
; COMPUTE_PGM_RSRC2:TGID_X_EN: 1
; COMPUTE_PGM_RSRC2:TGID_Y_EN: 0
; COMPUTE_PGM_RSRC2:TGID_Z_EN: 0
; COMPUTE_PGM_RSRC2:TIDIG_COMP_CNT: 0
	.section	.text._ZN7rocprim17ROCPRIM_400000_NS6detail17trampoline_kernelINS0_14default_configENS1_22reduce_config_selectorIN6thrust23THRUST_200600_302600_NS5tupleIblNS6_9null_typeES8_S8_S8_S8_S8_S8_S8_EEEEZNS1_11reduce_implILb1ES3_PS9_SC_S9_NS6_11hip_rocprim9__find_if7functorIS9_EEEE10hipError_tPvRmT1_T2_T3_mT4_P12ihipStream_tbEUlT_E0_NS1_11comp_targetILNS1_3genE10ELNS1_11target_archE1200ELNS1_3gpuE4ELNS1_3repE0EEENS1_30default_config_static_selectorELNS0_4arch9wavefront6targetE0EEEvSK_,"axG",@progbits,_ZN7rocprim17ROCPRIM_400000_NS6detail17trampoline_kernelINS0_14default_configENS1_22reduce_config_selectorIN6thrust23THRUST_200600_302600_NS5tupleIblNS6_9null_typeES8_S8_S8_S8_S8_S8_S8_EEEEZNS1_11reduce_implILb1ES3_PS9_SC_S9_NS6_11hip_rocprim9__find_if7functorIS9_EEEE10hipError_tPvRmT1_T2_T3_mT4_P12ihipStream_tbEUlT_E0_NS1_11comp_targetILNS1_3genE10ELNS1_11target_archE1200ELNS1_3gpuE4ELNS1_3repE0EEENS1_30default_config_static_selectorELNS0_4arch9wavefront6targetE0EEEvSK_,comdat
	.protected	_ZN7rocprim17ROCPRIM_400000_NS6detail17trampoline_kernelINS0_14default_configENS1_22reduce_config_selectorIN6thrust23THRUST_200600_302600_NS5tupleIblNS6_9null_typeES8_S8_S8_S8_S8_S8_S8_EEEEZNS1_11reduce_implILb1ES3_PS9_SC_S9_NS6_11hip_rocprim9__find_if7functorIS9_EEEE10hipError_tPvRmT1_T2_T3_mT4_P12ihipStream_tbEUlT_E0_NS1_11comp_targetILNS1_3genE10ELNS1_11target_archE1200ELNS1_3gpuE4ELNS1_3repE0EEENS1_30default_config_static_selectorELNS0_4arch9wavefront6targetE0EEEvSK_ ; -- Begin function _ZN7rocprim17ROCPRIM_400000_NS6detail17trampoline_kernelINS0_14default_configENS1_22reduce_config_selectorIN6thrust23THRUST_200600_302600_NS5tupleIblNS6_9null_typeES8_S8_S8_S8_S8_S8_S8_EEEEZNS1_11reduce_implILb1ES3_PS9_SC_S9_NS6_11hip_rocprim9__find_if7functorIS9_EEEE10hipError_tPvRmT1_T2_T3_mT4_P12ihipStream_tbEUlT_E0_NS1_11comp_targetILNS1_3genE10ELNS1_11target_archE1200ELNS1_3gpuE4ELNS1_3repE0EEENS1_30default_config_static_selectorELNS0_4arch9wavefront6targetE0EEEvSK_
	.globl	_ZN7rocprim17ROCPRIM_400000_NS6detail17trampoline_kernelINS0_14default_configENS1_22reduce_config_selectorIN6thrust23THRUST_200600_302600_NS5tupleIblNS6_9null_typeES8_S8_S8_S8_S8_S8_S8_EEEEZNS1_11reduce_implILb1ES3_PS9_SC_S9_NS6_11hip_rocprim9__find_if7functorIS9_EEEE10hipError_tPvRmT1_T2_T3_mT4_P12ihipStream_tbEUlT_E0_NS1_11comp_targetILNS1_3genE10ELNS1_11target_archE1200ELNS1_3gpuE4ELNS1_3repE0EEENS1_30default_config_static_selectorELNS0_4arch9wavefront6targetE0EEEvSK_
	.p2align	8
	.type	_ZN7rocprim17ROCPRIM_400000_NS6detail17trampoline_kernelINS0_14default_configENS1_22reduce_config_selectorIN6thrust23THRUST_200600_302600_NS5tupleIblNS6_9null_typeES8_S8_S8_S8_S8_S8_S8_EEEEZNS1_11reduce_implILb1ES3_PS9_SC_S9_NS6_11hip_rocprim9__find_if7functorIS9_EEEE10hipError_tPvRmT1_T2_T3_mT4_P12ihipStream_tbEUlT_E0_NS1_11comp_targetILNS1_3genE10ELNS1_11target_archE1200ELNS1_3gpuE4ELNS1_3repE0EEENS1_30default_config_static_selectorELNS0_4arch9wavefront6targetE0EEEvSK_,@function
_ZN7rocprim17ROCPRIM_400000_NS6detail17trampoline_kernelINS0_14default_configENS1_22reduce_config_selectorIN6thrust23THRUST_200600_302600_NS5tupleIblNS6_9null_typeES8_S8_S8_S8_S8_S8_S8_EEEEZNS1_11reduce_implILb1ES3_PS9_SC_S9_NS6_11hip_rocprim9__find_if7functorIS9_EEEE10hipError_tPvRmT1_T2_T3_mT4_P12ihipStream_tbEUlT_E0_NS1_11comp_targetILNS1_3genE10ELNS1_11target_archE1200ELNS1_3gpuE4ELNS1_3repE0EEENS1_30default_config_static_selectorELNS0_4arch9wavefront6targetE0EEEvSK_: ; @_ZN7rocprim17ROCPRIM_400000_NS6detail17trampoline_kernelINS0_14default_configENS1_22reduce_config_selectorIN6thrust23THRUST_200600_302600_NS5tupleIblNS6_9null_typeES8_S8_S8_S8_S8_S8_S8_EEEEZNS1_11reduce_implILb1ES3_PS9_SC_S9_NS6_11hip_rocprim9__find_if7functorIS9_EEEE10hipError_tPvRmT1_T2_T3_mT4_P12ihipStream_tbEUlT_E0_NS1_11comp_targetILNS1_3genE10ELNS1_11target_archE1200ELNS1_3gpuE4ELNS1_3repE0EEENS1_30default_config_static_selectorELNS0_4arch9wavefront6targetE0EEEvSK_
; %bb.0:
	.section	.rodata,"a",@progbits
	.p2align	6, 0x0
	.amdhsa_kernel _ZN7rocprim17ROCPRIM_400000_NS6detail17trampoline_kernelINS0_14default_configENS1_22reduce_config_selectorIN6thrust23THRUST_200600_302600_NS5tupleIblNS6_9null_typeES8_S8_S8_S8_S8_S8_S8_EEEEZNS1_11reduce_implILb1ES3_PS9_SC_S9_NS6_11hip_rocprim9__find_if7functorIS9_EEEE10hipError_tPvRmT1_T2_T3_mT4_P12ihipStream_tbEUlT_E0_NS1_11comp_targetILNS1_3genE10ELNS1_11target_archE1200ELNS1_3gpuE4ELNS1_3repE0EEENS1_30default_config_static_selectorELNS0_4arch9wavefront6targetE0EEEvSK_
		.amdhsa_group_segment_fixed_size 0
		.amdhsa_private_segment_fixed_size 0
		.amdhsa_kernarg_size 72
		.amdhsa_user_sgpr_count 15
		.amdhsa_user_sgpr_dispatch_ptr 0
		.amdhsa_user_sgpr_queue_ptr 0
		.amdhsa_user_sgpr_kernarg_segment_ptr 1
		.amdhsa_user_sgpr_dispatch_id 0
		.amdhsa_user_sgpr_private_segment_size 0
		.amdhsa_wavefront_size32 1
		.amdhsa_uses_dynamic_stack 0
		.amdhsa_enable_private_segment 0
		.amdhsa_system_sgpr_workgroup_id_x 1
		.amdhsa_system_sgpr_workgroup_id_y 0
		.amdhsa_system_sgpr_workgroup_id_z 0
		.amdhsa_system_sgpr_workgroup_info 0
		.amdhsa_system_vgpr_workitem_id 0
		.amdhsa_next_free_vgpr 1
		.amdhsa_next_free_sgpr 1
		.amdhsa_reserve_vcc 0
		.amdhsa_float_round_mode_32 0
		.amdhsa_float_round_mode_16_64 0
		.amdhsa_float_denorm_mode_32 3
		.amdhsa_float_denorm_mode_16_64 3
		.amdhsa_dx10_clamp 1
		.amdhsa_ieee_mode 1
		.amdhsa_fp16_overflow 0
		.amdhsa_workgroup_processor_mode 1
		.amdhsa_memory_ordered 1
		.amdhsa_forward_progress 0
		.amdhsa_shared_vgpr_count 0
		.amdhsa_exception_fp_ieee_invalid_op 0
		.amdhsa_exception_fp_denorm_src 0
		.amdhsa_exception_fp_ieee_div_zero 0
		.amdhsa_exception_fp_ieee_overflow 0
		.amdhsa_exception_fp_ieee_underflow 0
		.amdhsa_exception_fp_ieee_inexact 0
		.amdhsa_exception_int_div_zero 0
	.end_amdhsa_kernel
	.section	.text._ZN7rocprim17ROCPRIM_400000_NS6detail17trampoline_kernelINS0_14default_configENS1_22reduce_config_selectorIN6thrust23THRUST_200600_302600_NS5tupleIblNS6_9null_typeES8_S8_S8_S8_S8_S8_S8_EEEEZNS1_11reduce_implILb1ES3_PS9_SC_S9_NS6_11hip_rocprim9__find_if7functorIS9_EEEE10hipError_tPvRmT1_T2_T3_mT4_P12ihipStream_tbEUlT_E0_NS1_11comp_targetILNS1_3genE10ELNS1_11target_archE1200ELNS1_3gpuE4ELNS1_3repE0EEENS1_30default_config_static_selectorELNS0_4arch9wavefront6targetE0EEEvSK_,"axG",@progbits,_ZN7rocprim17ROCPRIM_400000_NS6detail17trampoline_kernelINS0_14default_configENS1_22reduce_config_selectorIN6thrust23THRUST_200600_302600_NS5tupleIblNS6_9null_typeES8_S8_S8_S8_S8_S8_S8_EEEEZNS1_11reduce_implILb1ES3_PS9_SC_S9_NS6_11hip_rocprim9__find_if7functorIS9_EEEE10hipError_tPvRmT1_T2_T3_mT4_P12ihipStream_tbEUlT_E0_NS1_11comp_targetILNS1_3genE10ELNS1_11target_archE1200ELNS1_3gpuE4ELNS1_3repE0EEENS1_30default_config_static_selectorELNS0_4arch9wavefront6targetE0EEEvSK_,comdat
.Lfunc_end11:
	.size	_ZN7rocprim17ROCPRIM_400000_NS6detail17trampoline_kernelINS0_14default_configENS1_22reduce_config_selectorIN6thrust23THRUST_200600_302600_NS5tupleIblNS6_9null_typeES8_S8_S8_S8_S8_S8_S8_EEEEZNS1_11reduce_implILb1ES3_PS9_SC_S9_NS6_11hip_rocprim9__find_if7functorIS9_EEEE10hipError_tPvRmT1_T2_T3_mT4_P12ihipStream_tbEUlT_E0_NS1_11comp_targetILNS1_3genE10ELNS1_11target_archE1200ELNS1_3gpuE4ELNS1_3repE0EEENS1_30default_config_static_selectorELNS0_4arch9wavefront6targetE0EEEvSK_, .Lfunc_end11-_ZN7rocprim17ROCPRIM_400000_NS6detail17trampoline_kernelINS0_14default_configENS1_22reduce_config_selectorIN6thrust23THRUST_200600_302600_NS5tupleIblNS6_9null_typeES8_S8_S8_S8_S8_S8_S8_EEEEZNS1_11reduce_implILb1ES3_PS9_SC_S9_NS6_11hip_rocprim9__find_if7functorIS9_EEEE10hipError_tPvRmT1_T2_T3_mT4_P12ihipStream_tbEUlT_E0_NS1_11comp_targetILNS1_3genE10ELNS1_11target_archE1200ELNS1_3gpuE4ELNS1_3repE0EEENS1_30default_config_static_selectorELNS0_4arch9wavefront6targetE0EEEvSK_
                                        ; -- End function
	.section	.AMDGPU.csdata,"",@progbits
; Kernel info:
; codeLenInByte = 0
; NumSgprs: 0
; NumVgprs: 0
; ScratchSize: 0
; MemoryBound: 0
; FloatMode: 240
; IeeeMode: 1
; LDSByteSize: 0 bytes/workgroup (compile time only)
; SGPRBlocks: 0
; VGPRBlocks: 0
; NumSGPRsForWavesPerEU: 1
; NumVGPRsForWavesPerEU: 1
; Occupancy: 16
; WaveLimiterHint : 0
; COMPUTE_PGM_RSRC2:SCRATCH_EN: 0
; COMPUTE_PGM_RSRC2:USER_SGPR: 15
; COMPUTE_PGM_RSRC2:TRAP_HANDLER: 0
; COMPUTE_PGM_RSRC2:TGID_X_EN: 1
; COMPUTE_PGM_RSRC2:TGID_Y_EN: 0
; COMPUTE_PGM_RSRC2:TGID_Z_EN: 0
; COMPUTE_PGM_RSRC2:TIDIG_COMP_CNT: 0
	.section	.text._ZN7rocprim17ROCPRIM_400000_NS6detail17trampoline_kernelINS0_14default_configENS1_22reduce_config_selectorIN6thrust23THRUST_200600_302600_NS5tupleIblNS6_9null_typeES8_S8_S8_S8_S8_S8_S8_EEEEZNS1_11reduce_implILb1ES3_PS9_SC_S9_NS6_11hip_rocprim9__find_if7functorIS9_EEEE10hipError_tPvRmT1_T2_T3_mT4_P12ihipStream_tbEUlT_E0_NS1_11comp_targetILNS1_3genE9ELNS1_11target_archE1100ELNS1_3gpuE3ELNS1_3repE0EEENS1_30default_config_static_selectorELNS0_4arch9wavefront6targetE0EEEvSK_,"axG",@progbits,_ZN7rocprim17ROCPRIM_400000_NS6detail17trampoline_kernelINS0_14default_configENS1_22reduce_config_selectorIN6thrust23THRUST_200600_302600_NS5tupleIblNS6_9null_typeES8_S8_S8_S8_S8_S8_S8_EEEEZNS1_11reduce_implILb1ES3_PS9_SC_S9_NS6_11hip_rocprim9__find_if7functorIS9_EEEE10hipError_tPvRmT1_T2_T3_mT4_P12ihipStream_tbEUlT_E0_NS1_11comp_targetILNS1_3genE9ELNS1_11target_archE1100ELNS1_3gpuE3ELNS1_3repE0EEENS1_30default_config_static_selectorELNS0_4arch9wavefront6targetE0EEEvSK_,comdat
	.protected	_ZN7rocprim17ROCPRIM_400000_NS6detail17trampoline_kernelINS0_14default_configENS1_22reduce_config_selectorIN6thrust23THRUST_200600_302600_NS5tupleIblNS6_9null_typeES8_S8_S8_S8_S8_S8_S8_EEEEZNS1_11reduce_implILb1ES3_PS9_SC_S9_NS6_11hip_rocprim9__find_if7functorIS9_EEEE10hipError_tPvRmT1_T2_T3_mT4_P12ihipStream_tbEUlT_E0_NS1_11comp_targetILNS1_3genE9ELNS1_11target_archE1100ELNS1_3gpuE3ELNS1_3repE0EEENS1_30default_config_static_selectorELNS0_4arch9wavefront6targetE0EEEvSK_ ; -- Begin function _ZN7rocprim17ROCPRIM_400000_NS6detail17trampoline_kernelINS0_14default_configENS1_22reduce_config_selectorIN6thrust23THRUST_200600_302600_NS5tupleIblNS6_9null_typeES8_S8_S8_S8_S8_S8_S8_EEEEZNS1_11reduce_implILb1ES3_PS9_SC_S9_NS6_11hip_rocprim9__find_if7functorIS9_EEEE10hipError_tPvRmT1_T2_T3_mT4_P12ihipStream_tbEUlT_E0_NS1_11comp_targetILNS1_3genE9ELNS1_11target_archE1100ELNS1_3gpuE3ELNS1_3repE0EEENS1_30default_config_static_selectorELNS0_4arch9wavefront6targetE0EEEvSK_
	.globl	_ZN7rocprim17ROCPRIM_400000_NS6detail17trampoline_kernelINS0_14default_configENS1_22reduce_config_selectorIN6thrust23THRUST_200600_302600_NS5tupleIblNS6_9null_typeES8_S8_S8_S8_S8_S8_S8_EEEEZNS1_11reduce_implILb1ES3_PS9_SC_S9_NS6_11hip_rocprim9__find_if7functorIS9_EEEE10hipError_tPvRmT1_T2_T3_mT4_P12ihipStream_tbEUlT_E0_NS1_11comp_targetILNS1_3genE9ELNS1_11target_archE1100ELNS1_3gpuE3ELNS1_3repE0EEENS1_30default_config_static_selectorELNS0_4arch9wavefront6targetE0EEEvSK_
	.p2align	8
	.type	_ZN7rocprim17ROCPRIM_400000_NS6detail17trampoline_kernelINS0_14default_configENS1_22reduce_config_selectorIN6thrust23THRUST_200600_302600_NS5tupleIblNS6_9null_typeES8_S8_S8_S8_S8_S8_S8_EEEEZNS1_11reduce_implILb1ES3_PS9_SC_S9_NS6_11hip_rocprim9__find_if7functorIS9_EEEE10hipError_tPvRmT1_T2_T3_mT4_P12ihipStream_tbEUlT_E0_NS1_11comp_targetILNS1_3genE9ELNS1_11target_archE1100ELNS1_3gpuE3ELNS1_3repE0EEENS1_30default_config_static_selectorELNS0_4arch9wavefront6targetE0EEEvSK_,@function
_ZN7rocprim17ROCPRIM_400000_NS6detail17trampoline_kernelINS0_14default_configENS1_22reduce_config_selectorIN6thrust23THRUST_200600_302600_NS5tupleIblNS6_9null_typeES8_S8_S8_S8_S8_S8_S8_EEEEZNS1_11reduce_implILb1ES3_PS9_SC_S9_NS6_11hip_rocprim9__find_if7functorIS9_EEEE10hipError_tPvRmT1_T2_T3_mT4_P12ihipStream_tbEUlT_E0_NS1_11comp_targetILNS1_3genE9ELNS1_11target_archE1100ELNS1_3gpuE3ELNS1_3repE0EEENS1_30default_config_static_selectorELNS0_4arch9wavefront6targetE0EEEvSK_: ; @_ZN7rocprim17ROCPRIM_400000_NS6detail17trampoline_kernelINS0_14default_configENS1_22reduce_config_selectorIN6thrust23THRUST_200600_302600_NS5tupleIblNS6_9null_typeES8_S8_S8_S8_S8_S8_S8_EEEEZNS1_11reduce_implILb1ES3_PS9_SC_S9_NS6_11hip_rocprim9__find_if7functorIS9_EEEE10hipError_tPvRmT1_T2_T3_mT4_P12ihipStream_tbEUlT_E0_NS1_11comp_targetILNS1_3genE9ELNS1_11target_archE1100ELNS1_3gpuE3ELNS1_3repE0EEENS1_30default_config_static_selectorELNS0_4arch9wavefront6targetE0EEEvSK_
; %bb.0:
	s_mov_b32 s16, s15
	s_clause 0x1
	s_load_b256 s[4:11], s[0:1], 0x0
	s_load_b128 s[12:15], s[0:1], 0x20
	s_mov_b32 s19, 0
	s_delay_alu instid0(SALU_CYCLE_1) | instskip(SKIP_2) | instid1(SALU_CYCLE_1)
	s_mov_b32 s17, s19
	s_waitcnt lgkmcnt(0)
	s_lshl_b64 s[2:3], s[6:7], 4
	s_add_u32 s4, s4, s2
	s_addc_u32 s5, s5, s3
	s_lshl_b32 s18, s16, 10
	s_lshr_b64 s[6:7], s[8:9], 10
	s_lshl_b64 s[2:3], s[18:19], 4
	s_delay_alu instid0(SALU_CYCLE_1)
	s_add_u32 s4, s4, s2
	s_addc_u32 s5, s5, s3
	s_cmp_lg_u64 s[6:7], s[16:17]
	s_cbranch_scc0 .LBB12_18
; %bb.1:
	v_lshlrev_b32_e32 v1, 4, v0
	s_mov_b32 s3, exec_lo
	s_delay_alu instid0(VALU_DEP_1) | instskip(NEXT) | instid1(VALU_DEP_1)
	v_add_co_u32 v7, s2, s4, v1
	v_add_co_ci_u32_e64 v8, null, s5, 0, s2
	global_load_u8 v11, v1, s[4:5]
	v_add_co_u32 v1, vcc_lo, 0x1000, v7
	v_add_co_ci_u32_e32 v2, vcc_lo, 0, v8, vcc_lo
	v_add_co_u32 v12, vcc_lo, v7, 0x2000
	v_add_co_ci_u32_e32 v13, vcc_lo, 0, v8, vcc_lo
	;; [unrolled: 2-line block ×4, first 2 shown]
	s_clause 0x5
	global_load_u8 v10, v[12:13], off
	global_load_b64 v[5:6], v[1:2], off offset:8
	global_load_b64 v[3:4], v[3:4], off offset:8
	global_load_u8 v9, v[14:15], off
	global_load_u8 v12, v[12:13], off offset:-4096
	global_load_b64 v[1:2], v[14:15], off offset:8
	s_waitcnt vmcnt(6)
	v_and_b32_e32 v13, 1, v11
	s_delay_alu instid0(VALU_DEP_1)
	v_cmpx_eq_u32_e32 1, v13
	s_cbranch_execz .LBB12_3
; %bb.2:
	global_load_b64 v[7:8], v[7:8], off offset:8
	s_waitcnt vmcnt(2)
	v_and_b32_e32 v12, 1, v12
	s_delay_alu instid0(VALU_DEP_1) | instskip(NEXT) | instid1(VALU_DEP_1)
	v_cmp_eq_u32_e64 s2, 1, v12
	v_cndmask_b32_e64 v12, v11, 1, s2
	s_waitcnt vmcnt(0)
	v_cmp_lt_i64_e32 vcc_lo, v[5:6], v[7:8]
	v_cndmask_b32_e32 v6, v8, v6, vcc_lo
	s_and_b32 vcc_lo, s2, vcc_lo
	v_cndmask_b32_e32 v5, v7, v5, vcc_lo
	s_delay_alu instid0(VALU_DEP_2)
	v_cndmask_b32_e64 v6, v8, v6, s2
.LBB12_3:
	s_or_b32 exec_lo, exec_lo, s3
	s_waitcnt vmcnt(5)
	v_and_b32_e32 v7, 1, v10
	s_waitcnt vmcnt(3)
	v_cmp_lt_i64_e32 vcc_lo, v[3:4], v[5:6]
	s_delay_alu instid0(VALU_DEP_2) | instskip(SKIP_2) | instid1(VALU_DEP_2)
	v_cmp_eq_u32_e64 s2, 1, v7
	s_waitcnt vmcnt(1)
	v_and_b32_e32 v7, 1, v12
	v_cndmask_b32_e64 v8, v12, 1, s2
	s_and_b32 vcc_lo, s2, vcc_lo
	s_delay_alu instid0(VALU_DEP_2) | instskip(SKIP_1) | instid1(VALU_DEP_2)
	v_cmp_eq_u32_e64 s2, 1, v7
	v_dual_cndmask_b32 v5, v5, v3 :: v_dual_cndmask_b32 v6, v6, v4
	v_cndmask_b32_e64 v7, v10, v8, s2
	v_and_b32_e32 v8, 1, v9
	s_delay_alu instid0(VALU_DEP_3) | instskip(NEXT) | instid1(VALU_DEP_4)
	v_cndmask_b32_e64 v3, v3, v5, s2
	v_cndmask_b32_e64 v4, v4, v6, s2
	s_delay_alu instid0(VALU_DEP_4) | instskip(NEXT) | instid1(VALU_DEP_4)
	v_and_b32_e32 v5, 1, v7
	v_cmp_eq_u32_e32 vcc_lo, 1, v8
	s_waitcnt vmcnt(0)
	s_delay_alu instid0(VALU_DEP_3) | instskip(NEXT) | instid1(VALU_DEP_3)
	v_cmp_lt_i64_e64 s3, v[1:2], v[3:4]
	v_cmp_eq_u32_e64 s2, 1, v5
	v_cndmask_b32_e64 v7, v7, 1, vcc_lo
	s_delay_alu instid0(VALU_DEP_3) | instskip(NEXT) | instid1(VALU_DEP_1)
	s_and_b32 vcc_lo, vcc_lo, s3
	v_cndmask_b32_e64 v7, v9, v7, s2
	s_delay_alu instid0(VALU_DEP_1) | instskip(NEXT) | instid1(VALU_DEP_1)
	v_dual_cndmask_b32 v4, v4, v2 :: v_dual_and_b32 v5, 0xff, v7
	v_cndmask_b32_e64 v2, v2, v4, s2
	v_and_b32_e32 v7, 1, v7
	s_delay_alu instid0(VALU_DEP_3) | instskip(SKIP_1) | instid1(VALU_DEP_4)
	v_mov_b32_dpp v6, v5 quad_perm:[1,0,3,2] row_mask:0xf bank_mask:0xf
	v_cndmask_b32_e32 v3, v3, v1, vcc_lo
	v_mov_b32_dpp v4, v2 quad_perm:[1,0,3,2] row_mask:0xf bank_mask:0xf
	s_delay_alu instid0(VALU_DEP_4) | instskip(NEXT) | instid1(VALU_DEP_4)
	v_cmp_eq_u32_e64 s3, 1, v7
	v_and_b32_e32 v8, 1, v6
	s_delay_alu instid0(VALU_DEP_4) | instskip(SKIP_1) | instid1(VALU_DEP_1)
	v_cndmask_b32_e64 v1, v1, v3, s2
	s_mov_b32 s2, exec_lo
	v_mov_b32_dpp v3, v1 quad_perm:[1,0,3,2] row_mask:0xf bank_mask:0xf
	s_delay_alu instid0(VALU_DEP_3)
	v_cmpx_eq_u32_e32 1, v8
	s_xor_b32 s6, exec_lo, s2
; %bb.4:
	v_cndmask_b32_e64 v5, v6, 1, s3
	s_delay_alu instid0(VALU_DEP_3) | instskip(NEXT) | instid1(VALU_DEP_2)
	v_cmp_lt_i64_e32 vcc_lo, v[1:2], v[3:4]
	v_and_b32_e32 v6, 1, v5
	v_and_b32_e32 v5, 0xff, v5
	s_and_b32 vcc_lo, s3, vcc_lo
	s_and_not1_b32 s3, s3, exec_lo
	v_dual_cndmask_b32 v2, v4, v2 :: v_dual_cndmask_b32 v1, v3, v1
	v_cmp_eq_u32_e64 s2, 1, v6
	s_delay_alu instid0(VALU_DEP_1) | instskip(NEXT) | instid1(SALU_CYCLE_1)
	s_and_b32 s2, s2, exec_lo
	s_or_b32 s3, s3, s2
; %bb.5:
	s_or_b32 exec_lo, exec_lo, s6
	v_mov_b32_dpp v6, v5 quad_perm:[2,3,0,1] row_mask:0xf bank_mask:0xf
	v_mov_b32_dpp v3, v1 quad_perm:[2,3,0,1] row_mask:0xf bank_mask:0xf
	;; [unrolled: 1-line block ×3, first 2 shown]
	s_mov_b32 s6, exec_lo
	s_delay_alu instid0(VALU_DEP_3) | instskip(NEXT) | instid1(VALU_DEP_1)
	v_and_b32_e32 v7, 1, v6
	v_cmpx_eq_u32_e32 1, v7
; %bb.6:
	v_cndmask_b32_e64 v5, v6, 1, s3
	v_cmp_lt_i64_e32 vcc_lo, v[1:2], v[3:4]
	s_delay_alu instid0(VALU_DEP_2)
	v_and_b32_e32 v6, 1, v5
	v_and_b32_e32 v5, 0xff, v5
	s_and_b32 vcc_lo, s3, vcc_lo
	s_and_not1_b32 s3, s3, exec_lo
	v_dual_cndmask_b32 v2, v4, v2 :: v_dual_cndmask_b32 v1, v3, v1
	v_cmp_eq_u32_e64 s2, 1, v6
	s_delay_alu instid0(VALU_DEP_1) | instskip(NEXT) | instid1(SALU_CYCLE_1)
	s_and_b32 s2, s2, exec_lo
	s_or_b32 s3, s3, s2
; %bb.7:
	s_or_b32 exec_lo, exec_lo, s6
	v_mov_b32_dpp v6, v5 row_ror:4 row_mask:0xf bank_mask:0xf
	v_mov_b32_dpp v3, v1 row_ror:4 row_mask:0xf bank_mask:0xf
	;; [unrolled: 1-line block ×3, first 2 shown]
	s_mov_b32 s6, exec_lo
	s_delay_alu instid0(VALU_DEP_3) | instskip(NEXT) | instid1(VALU_DEP_1)
	v_and_b32_e32 v7, 1, v6
	v_cmpx_eq_u32_e32 1, v7
; %bb.8:
	v_cndmask_b32_e64 v5, v6, 1, s3
	v_cmp_lt_i64_e32 vcc_lo, v[1:2], v[3:4]
	s_delay_alu instid0(VALU_DEP_2)
	v_and_b32_e32 v6, 1, v5
	v_and_b32_e32 v5, 0xff, v5
	s_and_b32 vcc_lo, s3, vcc_lo
	s_and_not1_b32 s3, s3, exec_lo
	v_dual_cndmask_b32 v2, v4, v2 :: v_dual_cndmask_b32 v1, v3, v1
	v_cmp_eq_u32_e64 s2, 1, v6
	s_delay_alu instid0(VALU_DEP_1) | instskip(NEXT) | instid1(SALU_CYCLE_1)
	s_and_b32 s2, s2, exec_lo
	s_or_b32 s3, s3, s2
; %bb.9:
	s_or_b32 exec_lo, exec_lo, s6
	v_mov_b32_dpp v6, v5 row_ror:8 row_mask:0xf bank_mask:0xf
	v_mov_b32_dpp v3, v1 row_ror:8 row_mask:0xf bank_mask:0xf
	;; [unrolled: 1-line block ×3, first 2 shown]
	s_mov_b32 s6, exec_lo
	s_delay_alu instid0(VALU_DEP_3) | instskip(NEXT) | instid1(VALU_DEP_1)
	v_and_b32_e32 v7, 1, v6
	v_cmpx_eq_u32_e32 1, v7
; %bb.10:
	v_cndmask_b32_e64 v5, v6, 1, s3
	v_cmp_lt_i64_e32 vcc_lo, v[1:2], v[3:4]
	s_delay_alu instid0(VALU_DEP_2)
	v_and_b32_e32 v6, 1, v5
	v_and_b32_e32 v5, 0xff, v5
	s_and_b32 vcc_lo, s3, vcc_lo
	s_and_not1_b32 s3, s3, exec_lo
	v_dual_cndmask_b32 v2, v4, v2 :: v_dual_cndmask_b32 v1, v3, v1
	v_cmp_eq_u32_e64 s2, 1, v6
	s_delay_alu instid0(VALU_DEP_1) | instskip(NEXT) | instid1(SALU_CYCLE_1)
	s_and_b32 s2, s2, exec_lo
	s_or_b32 s3, s3, s2
; %bb.11:
	s_or_b32 exec_lo, exec_lo, s6
	ds_swizzle_b32 v6, v5 offset:swizzle(BROADCAST,32,15)
	ds_swizzle_b32 v3, v1 offset:swizzle(BROADCAST,32,15)
	;; [unrolled: 1-line block ×3, first 2 shown]
	s_mov_b32 s2, exec_lo
	s_waitcnt lgkmcnt(2)
	v_and_b32_e32 v7, 1, v6
	s_delay_alu instid0(VALU_DEP_1)
	v_cmpx_eq_u32_e32 1, v7
	s_cbranch_execz .LBB12_13
; %bb.12:
	s_waitcnt lgkmcnt(0)
	v_cmp_lt_i64_e32 vcc_lo, v[1:2], v[3:4]
	v_and_b32_e32 v5, 0xff, v6
	s_delay_alu instid0(VALU_DEP_1)
	v_cndmask_b32_e64 v5, v5, 1, s3
	s_and_b32 vcc_lo, s3, vcc_lo
	v_dual_cndmask_b32 v1, v3, v1 :: v_dual_cndmask_b32 v2, v4, v2
.LBB12_13:
	s_or_b32 exec_lo, exec_lo, s2
	s_waitcnt lgkmcnt(1)
	v_mov_b32_e32 v3, 0
	s_mov_b32 s2, exec_lo
	ds_bpermute_b32 v6, v3, v5 offset:124
	ds_bpermute_b32 v1, v3, v1 offset:124
	;; [unrolled: 1-line block ×3, first 2 shown]
	v_mbcnt_lo_u32_b32 v3, -1, 0
	s_delay_alu instid0(VALU_DEP_1)
	v_cmpx_eq_u32_e32 0, v3
	s_cbranch_execz .LBB12_15
; %bb.14:
	s_waitcnt lgkmcnt(3)
	v_lshrrev_b32_e32 v4, 1, v0
	s_delay_alu instid0(VALU_DEP_1)
	v_and_b32_e32 v4, 0x70, v4
	s_waitcnt lgkmcnt(2)
	ds_store_b8 v4, v6
	s_waitcnt lgkmcnt(1)
	ds_store_b64 v4, v[1:2] offset:8
.LBB12_15:
	s_or_b32 exec_lo, exec_lo, s2
	s_delay_alu instid0(SALU_CYCLE_1)
	s_mov_b32 s6, exec_lo
	s_waitcnt lgkmcnt(0)
	s_barrier
	buffer_gl0_inv
	v_cmpx_gt_u32_e32 32, v0
	s_cbranch_execz .LBB12_17
; %bb.16:
	v_and_b32_e32 v6, 7, v3
	s_delay_alu instid0(VALU_DEP_1)
	v_lshlrev_b32_e32 v1, 4, v6
	v_cmp_ne_u32_e32 vcc_lo, 7, v6
	ds_load_u8 v7, v1
	ds_load_b64 v[1:2], v1 offset:8
	v_add_co_ci_u32_e32 v4, vcc_lo, 0, v3, vcc_lo
	v_cmp_gt_u32_e32 vcc_lo, 6, v6
	s_delay_alu instid0(VALU_DEP_2)
	v_lshlrev_b32_e32 v5, 2, v4
	v_cndmask_b32_e64 v10, 0, 1, vcc_lo
	s_waitcnt lgkmcnt(1)
	v_and_b32_e32 v4, 0xff, v7
	v_and_b32_e32 v11, 1, v7
	ds_bpermute_b32 v8, v5, v4
	s_waitcnt lgkmcnt(1)
	ds_bpermute_b32 v4, v5, v1
	ds_bpermute_b32 v5, v5, v2
	v_cmp_eq_u32_e64 s3, 1, v11
	s_waitcnt lgkmcnt(2)
	v_and_b32_e32 v9, 1, v8
	s_waitcnt lgkmcnt(0)
	v_cmp_lt_i64_e64 s2, v[4:5], v[1:2]
	s_delay_alu instid0(VALU_DEP_2) | instskip(SKIP_2) | instid1(VALU_DEP_4)
	v_cmp_eq_u32_e32 vcc_lo, 1, v9
	v_lshlrev_b32_e32 v9, 1, v10
	v_cndmask_b32_e64 v7, v7, 1, vcc_lo
	s_and_b32 vcc_lo, vcc_lo, s2
	v_dual_cndmask_b32 v1, v1, v4 :: v_dual_cndmask_b32 v2, v2, v5
	s_delay_alu instid0(VALU_DEP_2) | instskip(SKIP_2) | instid1(VALU_DEP_4)
	v_cndmask_b32_e64 v7, v8, v7, s3
	v_add_lshl_u32 v8, v9, v3, 2
	v_cmp_gt_u32_e32 vcc_lo, 4, v6
	v_cndmask_b32_e64 v1, v4, v1, s3
	v_cndmask_b32_e64 v2, v5, v2, s3
	v_and_b32_e32 v9, 0xff, v7
	v_and_b32_e32 v10, 1, v7
	v_cndmask_b32_e64 v6, 0, 1, vcc_lo
	ds_bpermute_b32 v4, v8, v1
	ds_bpermute_b32 v5, v8, v2
	;; [unrolled: 1-line block ×3, first 2 shown]
	v_cmp_eq_u32_e64 s3, 1, v10
	s_waitcnt lgkmcnt(1)
	v_cmp_lt_i64_e64 s2, v[4:5], v[1:2]
	s_waitcnt lgkmcnt(0)
	v_and_b32_e32 v8, 1, v9
	s_delay_alu instid0(VALU_DEP_1) | instskip(SKIP_1) | instid1(VALU_DEP_4)
	v_cmp_eq_u32_e32 vcc_lo, 1, v8
	v_cndmask_b32_e64 v7, v7, 1, vcc_lo
	s_and_b32 vcc_lo, vcc_lo, s2
	v_dual_cndmask_b32 v1, v1, v4 :: v_dual_cndmask_b32 v2, v2, v5
	s_delay_alu instid0(VALU_DEP_2) | instskip(NEXT) | instid1(VALU_DEP_2)
	v_cndmask_b32_e64 v7, v9, v7, s3
	v_cndmask_b32_e64 v1, v4, v1, s3
	v_lshlrev_b32_e32 v6, 2, v6
	s_delay_alu instid0(VALU_DEP_4) | instskip(NEXT) | instid1(VALU_DEP_2)
	v_cndmask_b32_e64 v2, v5, v2, s3
	v_add_lshl_u32 v6, v6, v3, 2
	v_and_b32_e32 v3, 0xff, v7
	ds_bpermute_b32 v4, v6, v2
	ds_bpermute_b32 v5, v6, v3
	;; [unrolled: 1-line block ×3, first 2 shown]
	s_waitcnt lgkmcnt(1)
	v_and_b32_e32 v6, 1, v5
	s_waitcnt lgkmcnt(0)
	v_cmp_lt_i64_e32 vcc_lo, v[3:4], v[1:2]
	s_delay_alu instid0(VALU_DEP_2) | instskip(SKIP_1) | instid1(VALU_DEP_2)
	v_cmp_eq_u32_e64 s2, 1, v6
	v_and_b32_e32 v6, 1, v7
	v_cndmask_b32_e64 v7, v7, 1, s2
	s_and_b32 vcc_lo, s2, vcc_lo
	s_delay_alu instid0(VALU_DEP_2) | instskip(SKIP_1) | instid1(VALU_DEP_2)
	v_cmp_eq_u32_e64 s2, 1, v6
	v_dual_cndmask_b32 v1, v1, v3 :: v_dual_cndmask_b32 v2, v2, v4
	v_cndmask_b32_e64 v5, v5, v7, s2
	s_delay_alu instid0(VALU_DEP_2) | instskip(NEXT) | instid1(VALU_DEP_3)
	v_cndmask_b32_e64 v1, v3, v1, s2
	v_cndmask_b32_e64 v2, v4, v2, s2
	s_delay_alu instid0(VALU_DEP_3)
	v_and_b32_e32 v6, 0xff, v5
.LBB12_17:
	s_or_b32 exec_lo, exec_lo, s6
	s_load_b64 s[6:7], s[0:1], 0x38
	s_branch .LBB12_51
.LBB12_18:
                                        ; implicit-def: $vgpr1_vgpr2
                                        ; implicit-def: $vgpr6
	s_load_b64 s[6:7], s[0:1], 0x38
	s_cbranch_execz .LBB12_51
; %bb.19:
	v_mov_b32_e32 v5, 0
	v_dual_mov_b32 v6, 0 :: v_dual_mov_b32 v11, 0
	s_delay_alu instid0(VALU_DEP_2) | instskip(SKIP_2) | instid1(VALU_DEP_3)
	v_mov_b32_e32 v1, v5
	v_mov_b32_e32 v9, 0
	s_sub_i32 s18, s8, s18
	v_mov_b32_e32 v2, v6
	s_mov_b32 s2, exec_lo
	v_cmpx_gt_u32_e64 s18, v0
; %bb.20:
	v_lshlrev_b32_e32 v1, 4, v0
	s_clause 0x1
	global_load_u8 v9, v1, s[4:5]
	global_load_b64 v[1:2], v1, s[4:5] offset:8
; %bb.21:
	s_or_b32 exec_lo, exec_lo, s2
	v_or_b32_e32 v3, 0x100, v0
	s_delay_alu instid0(VALU_DEP_1) | instskip(NEXT) | instid1(VALU_DEP_1)
	v_cmp_gt_u32_e64 s3, s18, v3
	s_and_saveexec_b32 s2, s3
; %bb.22:
	v_lshlrev_b32_e32 v3, 4, v3
	s_clause 0x1
	global_load_u8 v11, v3, s[4:5]
	global_load_b64 v[5:6], v3, s[4:5] offset:8
; %bb.23:
	s_or_b32 exec_lo, exec_lo, s2
	v_dual_mov_b32 v3, 0 :: v_dual_mov_b32 v10, 0
	v_mov_b32_e32 v4, 0
	v_or_b32_e32 v13, 0x200, v0
	v_mov_b32_e32 v12, 0
	s_delay_alu instid0(VALU_DEP_3) | instskip(NEXT) | instid1(VALU_DEP_3)
	v_dual_mov_b32 v8, v4 :: v_dual_mov_b32 v7, v3
	v_cmp_gt_u32_e64 s2, s18, v13
	s_delay_alu instid0(VALU_DEP_1)
	s_and_saveexec_b32 s19, s2
; %bb.24:
	v_lshlrev_b32_e32 v7, 4, v13
	s_clause 0x1
	global_load_u8 v12, v7, s[4:5]
	global_load_b64 v[7:8], v7, s[4:5] offset:8
; %bb.25:
	s_or_b32 exec_lo, exec_lo, s19
	v_or_b32_e32 v13, 0x300, v0
	s_delay_alu instid0(VALU_DEP_1)
	v_cmp_gt_u32_e32 vcc_lo, s18, v13
	s_and_saveexec_b32 s19, vcc_lo
	s_cbranch_execnz .LBB12_54
; %bb.26:
	s_or_b32 exec_lo, exec_lo, s19
	s_and_saveexec_b32 s5, s3
	s_cbranch_execnz .LBB12_55
.LBB12_27:
	s_or_b32 exec_lo, exec_lo, s5
	s_and_saveexec_b32 s4, s2
	s_cbranch_execnz .LBB12_56
.LBB12_28:
	s_or_b32 exec_lo, exec_lo, s4
	s_and_saveexec_b32 s3, vcc_lo
	s_cbranch_execz .LBB12_30
.LBB12_29:
	s_waitcnt vmcnt(0)
	v_and_b32_e32 v5, 1, v10
	v_cmp_lt_i64_e32 vcc_lo, v[3:4], v[1:2]
	s_delay_alu instid0(VALU_DEP_2) | instskip(NEXT) | instid1(VALU_DEP_1)
	v_cmp_eq_u32_e64 s2, 1, v5
	s_and_b32 vcc_lo, s2, vcc_lo
	v_cndmask_b32_e64 v6, v9, 1, s2
	v_dual_cndmask_b32 v2, v2, v4 :: v_dual_and_b32 v5, 1, v9
	v_cndmask_b32_e32 v1, v1, v3, vcc_lo
	s_delay_alu instid0(VALU_DEP_2) | instskip(NEXT) | instid1(VALU_DEP_3)
	v_cmp_eq_u32_e32 vcc_lo, 1, v5
	v_cndmask_b32_e32 v2, v4, v2, vcc_lo
	v_cndmask_b32_e32 v9, v10, v6, vcc_lo
	s_delay_alu instid0(VALU_DEP_4)
	v_cndmask_b32_e32 v1, v3, v1, vcc_lo
.LBB12_30:
	s_or_b32 exec_lo, exec_lo, s3
	s_waitcnt vmcnt(0)
	v_mbcnt_lo_u32_b32 v5, -1, 0
	v_and_b32_e32 v7, 0xe0, v0
	s_min_u32 s3, s18, 0x100
	v_and_b32_e32 v6, 0xff, v9
	s_delay_alu instid0(VALU_DEP_3) | instskip(NEXT) | instid1(VALU_DEP_3)
	v_cmp_ne_u32_e32 vcc_lo, 31, v5
	v_sub_nc_u32_e64 v8, s3, v7 clamp
	v_add_nc_u32_e32 v7, 1, v5
	v_add_co_ci_u32_e32 v3, vcc_lo, 0, v5, vcc_lo
	s_delay_alu instid0(VALU_DEP_2) | instskip(NEXT) | instid1(VALU_DEP_2)
	v_cmp_lt_u32_e32 vcc_lo, v7, v8
	v_dual_mov_b32 v7, v6 :: v_dual_lshlrev_b32 v4, 2, v3
	ds_bpermute_b32 v10, v4, v6
	ds_bpermute_b32 v3, v4, v1
	;; [unrolled: 1-line block ×3, first 2 shown]
	s_and_saveexec_b32 s2, vcc_lo
	s_delay_alu instid0(SALU_CYCLE_1)
	s_xor_b32 s4, exec_lo, s2
	s_cbranch_execz .LBB12_32
; %bb.31:
	s_waitcnt lgkmcnt(0)
	v_and_b32_e32 v7, 1, v10
	v_cmp_lt_i64_e32 vcc_lo, v[3:4], v[1:2]
	s_delay_alu instid0(VALU_DEP_2) | instskip(SKIP_1) | instid1(VALU_DEP_2)
	v_cmp_eq_u32_e64 s2, 1, v7
	v_and_b32_e32 v7, 1, v9
	v_cndmask_b32_e64 v6, v6, 1, s2
	s_and_b32 vcc_lo, s2, vcc_lo
	s_delay_alu instid0(VALU_DEP_2) | instskip(SKIP_1) | instid1(VALU_DEP_2)
	v_cmp_eq_u32_e64 s2, 1, v7
	v_dual_cndmask_b32 v2, v2, v4 :: v_dual_cndmask_b32 v1, v1, v3
	v_cndmask_b32_e64 v7, v10, v6, s2
	s_delay_alu instid0(VALU_DEP_2) | instskip(NEXT) | instid1(VALU_DEP_3)
	v_cndmask_b32_e64 v2, v4, v2, s2
	v_cndmask_b32_e64 v1, v3, v1, s2
	s_delay_alu instid0(VALU_DEP_3)
	v_and_b32_e32 v6, 0xff, v7
.LBB12_32:
	s_or_b32 exec_lo, exec_lo, s4
	v_cmp_gt_u32_e32 vcc_lo, 30, v5
	s_waitcnt lgkmcnt(0)
	v_add_nc_u32_e32 v10, 2, v5
	s_mov_b32 s4, exec_lo
	v_cndmask_b32_e64 v3, 0, 1, vcc_lo
	s_delay_alu instid0(VALU_DEP_1) | instskip(NEXT) | instid1(VALU_DEP_1)
	v_lshlrev_b32_e32 v3, 1, v3
	v_add_lshl_u32 v4, v3, v5, 2
	ds_bpermute_b32 v9, v4, v6
	ds_bpermute_b32 v3, v4, v1
	ds_bpermute_b32 v4, v4, v2
	v_cmpx_lt_u32_e64 v10, v8
	s_cbranch_execz .LBB12_34
; %bb.33:
	s_waitcnt lgkmcnt(2)
	v_and_b32_e32 v6, 1, v9
	s_waitcnt lgkmcnt(0)
	v_cmp_lt_i64_e32 vcc_lo, v[3:4], v[1:2]
	s_delay_alu instid0(VALU_DEP_2) | instskip(SKIP_1) | instid1(VALU_DEP_2)
	v_cmp_eq_u32_e64 s2, 1, v6
	v_and_b32_e32 v6, 1, v7
	v_cndmask_b32_e64 v7, v7, 1, s2
	s_and_b32 vcc_lo, s2, vcc_lo
	s_delay_alu instid0(VALU_DEP_2) | instskip(SKIP_1) | instid1(VALU_DEP_2)
	v_cmp_eq_u32_e64 s2, 1, v6
	v_dual_cndmask_b32 v1, v1, v3 :: v_dual_cndmask_b32 v2, v2, v4
	v_cndmask_b32_e64 v7, v9, v7, s2
	s_delay_alu instid0(VALU_DEP_2) | instskip(NEXT) | instid1(VALU_DEP_3)
	v_cndmask_b32_e64 v1, v3, v1, s2
	v_cndmask_b32_e64 v2, v4, v2, s2
	s_delay_alu instid0(VALU_DEP_3)
	v_and_b32_e32 v6, 0xff, v7
.LBB12_34:
	s_or_b32 exec_lo, exec_lo, s4
	v_cmp_gt_u32_e32 vcc_lo, 28, v5
	v_add_nc_u32_e32 v10, 4, v5
	s_mov_b32 s4, exec_lo
	s_waitcnt lgkmcnt(1)
	v_cndmask_b32_e64 v3, 0, 1, vcc_lo
	s_delay_alu instid0(VALU_DEP_1) | instskip(SKIP_1) | instid1(VALU_DEP_1)
	v_lshlrev_b32_e32 v3, 2, v3
	s_waitcnt lgkmcnt(0)
	v_add_lshl_u32 v4, v3, v5, 2
	ds_bpermute_b32 v9, v4, v6
	ds_bpermute_b32 v3, v4, v1
	ds_bpermute_b32 v4, v4, v2
	v_cmpx_lt_u32_e64 v10, v8
	s_cbranch_execz .LBB12_36
; %bb.35:
	s_waitcnt lgkmcnt(2)
	v_and_b32_e32 v6, 1, v9
	s_waitcnt lgkmcnt(0)
	v_cmp_lt_i64_e32 vcc_lo, v[3:4], v[1:2]
	s_delay_alu instid0(VALU_DEP_2) | instskip(SKIP_1) | instid1(VALU_DEP_2)
	v_cmp_eq_u32_e64 s2, 1, v6
	v_and_b32_e32 v6, 1, v7
	v_cndmask_b32_e64 v7, v7, 1, s2
	s_and_b32 vcc_lo, s2, vcc_lo
	s_delay_alu instid0(VALU_DEP_2) | instskip(SKIP_1) | instid1(VALU_DEP_2)
	v_cmp_eq_u32_e64 s2, 1, v6
	v_dual_cndmask_b32 v1, v1, v3 :: v_dual_cndmask_b32 v2, v2, v4
	v_cndmask_b32_e64 v7, v9, v7, s2
	s_delay_alu instid0(VALU_DEP_2) | instskip(NEXT) | instid1(VALU_DEP_3)
	v_cndmask_b32_e64 v1, v3, v1, s2
	v_cndmask_b32_e64 v2, v4, v2, s2
	s_delay_alu instid0(VALU_DEP_3)
	v_and_b32_e32 v6, 0xff, v7
.LBB12_36:
	s_or_b32 exec_lo, exec_lo, s4
	v_cmp_gt_u32_e32 vcc_lo, 24, v5
	v_add_nc_u32_e32 v10, 8, v5
	s_mov_b32 s4, exec_lo
	s_waitcnt lgkmcnt(1)
	v_cndmask_b32_e64 v3, 0, 1, vcc_lo
	s_delay_alu instid0(VALU_DEP_1) | instskip(SKIP_1) | instid1(VALU_DEP_1)
	v_lshlrev_b32_e32 v3, 3, v3
	s_waitcnt lgkmcnt(0)
	v_add_lshl_u32 v4, v3, v5, 2
	ds_bpermute_b32 v9, v4, v6
	ds_bpermute_b32 v3, v4, v1
	ds_bpermute_b32 v4, v4, v2
	v_cmpx_lt_u32_e64 v10, v8
	s_cbranch_execz .LBB12_38
; %bb.37:
	s_waitcnt lgkmcnt(2)
	v_and_b32_e32 v6, 1, v9
	s_waitcnt lgkmcnt(0)
	v_cmp_lt_i64_e32 vcc_lo, v[3:4], v[1:2]
	s_delay_alu instid0(VALU_DEP_2) | instskip(SKIP_1) | instid1(VALU_DEP_2)
	v_cmp_eq_u32_e64 s2, 1, v6
	v_and_b32_e32 v6, 1, v7
	v_cndmask_b32_e64 v7, v7, 1, s2
	s_and_b32 vcc_lo, s2, vcc_lo
	s_delay_alu instid0(VALU_DEP_2) | instskip(SKIP_1) | instid1(VALU_DEP_2)
	v_cmp_eq_u32_e64 s2, 1, v6
	v_dual_cndmask_b32 v1, v1, v3 :: v_dual_cndmask_b32 v2, v2, v4
	v_cndmask_b32_e64 v7, v9, v7, s2
	s_delay_alu instid0(VALU_DEP_2) | instskip(NEXT) | instid1(VALU_DEP_3)
	v_cndmask_b32_e64 v1, v3, v1, s2
	v_cndmask_b32_e64 v2, v4, v2, s2
	s_delay_alu instid0(VALU_DEP_3)
	v_and_b32_e32 v6, 0xff, v7
.LBB12_38:
	s_or_b32 exec_lo, exec_lo, s4
	v_cmp_gt_u32_e32 vcc_lo, 16, v5
	v_add_nc_u32_e32 v10, 16, v5
	s_mov_b32 s4, exec_lo
	s_waitcnt lgkmcnt(1)
	v_cndmask_b32_e64 v3, 0, 1, vcc_lo
	s_delay_alu instid0(VALU_DEP_1) | instskip(SKIP_1) | instid1(VALU_DEP_1)
	v_lshlrev_b32_e32 v3, 4, v3
	s_waitcnt lgkmcnt(0)
	v_add_lshl_u32 v4, v3, v5, 2
	ds_bpermute_b32 v9, v4, v6
	ds_bpermute_b32 v3, v4, v1
	ds_bpermute_b32 v4, v4, v2
	v_cmpx_lt_u32_e64 v10, v8
	s_cbranch_execz .LBB12_40
; %bb.39:
	s_waitcnt lgkmcnt(2)
	v_and_b32_e32 v6, 1, v9
	s_waitcnt lgkmcnt(0)
	v_cmp_lt_i64_e32 vcc_lo, v[3:4], v[1:2]
	s_delay_alu instid0(VALU_DEP_2) | instskip(SKIP_1) | instid1(VALU_DEP_2)
	v_cmp_eq_u32_e64 s2, 1, v6
	v_and_b32_e32 v6, 1, v7
	v_cndmask_b32_e64 v7, v7, 1, s2
	s_and_b32 vcc_lo, s2, vcc_lo
	s_delay_alu instid0(VALU_DEP_2) | instskip(SKIP_1) | instid1(VALU_DEP_2)
	v_cmp_eq_u32_e64 s2, 1, v6
	v_dual_cndmask_b32 v1, v1, v3 :: v_dual_cndmask_b32 v2, v2, v4
	v_cndmask_b32_e64 v7, v9, v7, s2
	s_delay_alu instid0(VALU_DEP_2) | instskip(NEXT) | instid1(VALU_DEP_3)
	v_cndmask_b32_e64 v1, v3, v1, s2
	v_cndmask_b32_e64 v2, v4, v2, s2
	s_delay_alu instid0(VALU_DEP_3)
	v_and_b32_e32 v6, 0xff, v7
.LBB12_40:
	s_or_b32 exec_lo, exec_lo, s4
	s_delay_alu instid0(SALU_CYCLE_1)
	s_mov_b32 s2, exec_lo
	v_cmpx_eq_u32_e32 0, v5
	s_cbranch_execz .LBB12_42
; %bb.41:
	s_waitcnt lgkmcnt(1)
	v_lshrrev_b32_e32 v3, 1, v0
	s_delay_alu instid0(VALU_DEP_1)
	v_and_b32_e32 v3, 0x70, v3
	ds_store_b8 v3, v7 offset:128
	ds_store_b64 v3, v[1:2] offset:136
.LBB12_42:
	s_or_b32 exec_lo, exec_lo, s2
	s_delay_alu instid0(SALU_CYCLE_1)
	s_mov_b32 s4, exec_lo
	s_waitcnt lgkmcnt(0)
	s_barrier
	buffer_gl0_inv
	v_cmpx_gt_u32_e32 8, v0
	s_cbranch_execz .LBB12_50
; %bb.43:
	v_lshlrev_b32_e32 v1, 4, v5
	v_and_b32_e32 v8, 7, v5
	s_add_i32 s3, s3, 31
	s_mov_b32 s5, exec_lo
	s_lshr_b32 s3, s3, 5
	ds_load_u8 v7, v1 offset:128
	ds_load_b64 v[1:2], v1 offset:136
	v_cmp_ne_u32_e32 vcc_lo, 7, v8
	v_add_nc_u32_e32 v10, 1, v8
	v_add_co_ci_u32_e32 v3, vcc_lo, 0, v5, vcc_lo
	s_delay_alu instid0(VALU_DEP_1)
	v_lshlrev_b32_e32 v4, 2, v3
	s_waitcnt lgkmcnt(1)
	v_and_b32_e32 v6, 0xff, v7
	s_waitcnt lgkmcnt(0)
	ds_bpermute_b32 v3, v4, v1
	ds_bpermute_b32 v9, v4, v6
	ds_bpermute_b32 v4, v4, v2
	v_cmpx_gt_u32_e64 s3, v10
	s_cbranch_execz .LBB12_45
; %bb.44:
	s_waitcnt lgkmcnt(1)
	v_and_b32_e32 v6, 1, v9
	s_waitcnt lgkmcnt(0)
	v_cmp_lt_i64_e32 vcc_lo, v[3:4], v[1:2]
	s_delay_alu instid0(VALU_DEP_2) | instskip(SKIP_1) | instid1(VALU_DEP_2)
	v_cmp_eq_u32_e64 s2, 1, v6
	v_and_b32_e32 v6, 1, v7
	v_cndmask_b32_e64 v7, v7, 1, s2
	s_and_b32 vcc_lo, s2, vcc_lo
	s_delay_alu instid0(VALU_DEP_2) | instskip(SKIP_1) | instid1(VALU_DEP_2)
	v_cmp_eq_u32_e64 s2, 1, v6
	v_dual_cndmask_b32 v1, v1, v3 :: v_dual_cndmask_b32 v2, v2, v4
	v_cndmask_b32_e64 v7, v9, v7, s2
	s_delay_alu instid0(VALU_DEP_2) | instskip(NEXT) | instid1(VALU_DEP_3)
	v_cndmask_b32_e64 v1, v3, v1, s2
	v_cndmask_b32_e64 v2, v4, v2, s2
	s_delay_alu instid0(VALU_DEP_3)
	v_and_b32_e32 v6, 0xff, v7
.LBB12_45:
	s_or_b32 exec_lo, exec_lo, s5
	v_cmp_gt_u32_e32 vcc_lo, 6, v8
	v_add_nc_u32_e32 v10, 2, v8
	s_mov_b32 s5, exec_lo
	s_waitcnt lgkmcnt(2)
	v_cndmask_b32_e64 v3, 0, 1, vcc_lo
	s_delay_alu instid0(VALU_DEP_1) | instskip(SKIP_1) | instid1(VALU_DEP_1)
	v_lshlrev_b32_e32 v3, 1, v3
	s_waitcnt lgkmcnt(0)
	v_add_lshl_u32 v4, v3, v5, 2
	ds_bpermute_b32 v9, v4, v6
	ds_bpermute_b32 v3, v4, v1
	;; [unrolled: 1-line block ×3, first 2 shown]
	v_cmpx_gt_u32_e64 s3, v10
	s_cbranch_execz .LBB12_47
; %bb.46:
	s_waitcnt lgkmcnt(2)
	v_and_b32_e32 v6, 1, v9
	s_waitcnt lgkmcnt(0)
	v_cmp_lt_i64_e32 vcc_lo, v[3:4], v[1:2]
	s_delay_alu instid0(VALU_DEP_2) | instskip(SKIP_1) | instid1(VALU_DEP_2)
	v_cmp_eq_u32_e64 s2, 1, v6
	v_and_b32_e32 v6, 1, v7
	v_cndmask_b32_e64 v7, v7, 1, s2
	s_and_b32 vcc_lo, s2, vcc_lo
	s_delay_alu instid0(VALU_DEP_2) | instskip(SKIP_1) | instid1(VALU_DEP_2)
	v_cmp_eq_u32_e64 s2, 1, v6
	v_dual_cndmask_b32 v1, v1, v3 :: v_dual_cndmask_b32 v2, v2, v4
	v_cndmask_b32_e64 v7, v9, v7, s2
	s_delay_alu instid0(VALU_DEP_2) | instskip(NEXT) | instid1(VALU_DEP_3)
	v_cndmask_b32_e64 v1, v3, v1, s2
	v_cndmask_b32_e64 v2, v4, v2, s2
	s_delay_alu instid0(VALU_DEP_3)
	v_and_b32_e32 v6, 0xff, v7
.LBB12_47:
	s_or_b32 exec_lo, exec_lo, s5
	v_cmp_gt_u32_e32 vcc_lo, 4, v8
	v_add_nc_u32_e32 v8, 4, v8
	s_waitcnt lgkmcnt(1)
	v_cndmask_b32_e64 v3, 0, 1, vcc_lo
	s_delay_alu instid0(VALU_DEP_2) | instskip(NEXT) | instid1(VALU_DEP_2)
	v_cmp_gt_u32_e32 vcc_lo, s3, v8
	v_lshlrev_b32_e32 v3, 2, v3
	s_waitcnt lgkmcnt(0)
	s_delay_alu instid0(VALU_DEP_1)
	v_add_lshl_u32 v4, v3, v5, 2
	ds_bpermute_b32 v5, v4, v6
	ds_bpermute_b32 v3, v4, v1
	;; [unrolled: 1-line block ×3, first 2 shown]
	s_and_saveexec_b32 s3, vcc_lo
	s_cbranch_execz .LBB12_49
; %bb.48:
	s_waitcnt lgkmcnt(2)
	v_and_b32_e32 v6, 1, v5
	s_waitcnt lgkmcnt(0)
	v_cmp_lt_i64_e32 vcc_lo, v[3:4], v[1:2]
	s_delay_alu instid0(VALU_DEP_2) | instskip(SKIP_1) | instid1(VALU_DEP_2)
	v_cmp_eq_u32_e64 s2, 1, v6
	v_and_b32_e32 v6, 1, v7
	v_cndmask_b32_e64 v7, v7, 1, s2
	s_and_b32 vcc_lo, s2, vcc_lo
	s_delay_alu instid0(VALU_DEP_2) | instskip(SKIP_1) | instid1(VALU_DEP_2)
	v_cmp_eq_u32_e64 s2, 1, v6
	v_dual_cndmask_b32 v1, v1, v3 :: v_dual_cndmask_b32 v2, v2, v4
	v_cndmask_b32_e64 v5, v5, v7, s2
	s_delay_alu instid0(VALU_DEP_2) | instskip(NEXT) | instid1(VALU_DEP_3)
	v_cndmask_b32_e64 v1, v3, v1, s2
	v_cndmask_b32_e64 v2, v4, v2, s2
	s_delay_alu instid0(VALU_DEP_3)
	v_and_b32_e32 v6, 0xff, v5
.LBB12_49:
	s_or_b32 exec_lo, exec_lo, s3
.LBB12_50:
	s_delay_alu instid0(SALU_CYCLE_1)
	s_or_b32 exec_lo, exec_lo, s4
.LBB12_51:
	s_load_b32 s0, s[0:1], 0x30
	s_mov_b32 s1, exec_lo
	v_cmpx_eq_u32_e32 0, v0
	s_cbranch_execz .LBB12_53
; %bb.52:
	s_mul_i32 s1, s14, s13
	s_mul_hi_u32 s2, s14, s12
	s_mul_i32 s3, s15, s12
	s_add_i32 s1, s2, s1
	s_mul_i32 s2, s14, s12
	s_add_i32 s3, s1, s3
	v_mov_b32_e32 v0, 0
	s_lshl_b64 s[2:3], s[2:3], 4
	s_delay_alu instid0(SALU_CYCLE_1)
	s_add_u32 s1, s10, s2
	s_addc_u32 s4, s11, s3
	s_cmp_eq_u64 s[8:9], 0
	s_cselect_b32 s5, -1, 0
	s_lshl_b64 s[2:3], s[16:17], 4
	s_waitcnt lgkmcnt(0)
	v_cndmask_b32_e64 v3, v6, s0, s5
	v_cndmask_b32_e64 v2, v2, s7, s5
	;; [unrolled: 1-line block ×3, first 2 shown]
	s_add_u32 s0, s1, s2
	s_addc_u32 s1, s4, s3
	s_clause 0x1
	global_store_b8 v0, v3, s[0:1]
	global_store_b64 v0, v[1:2], s[0:1] offset:8
.LBB12_53:
	s_nop 0
	s_sendmsg sendmsg(MSG_DEALLOC_VGPRS)
	s_endpgm
.LBB12_54:
	v_lshlrev_b32_e32 v3, 4, v13
	s_clause 0x1
	global_load_u8 v10, v3, s[4:5]
	global_load_b64 v[3:4], v3, s[4:5] offset:8
	s_or_b32 exec_lo, exec_lo, s19
	s_and_saveexec_b32 s5, s3
	s_cbranch_execz .LBB12_27
.LBB12_55:
	s_waitcnt vmcnt(1)
	v_and_b32_e32 v13, 1, v11
	s_waitcnt vmcnt(0)
	v_cmp_lt_i64_e64 s3, v[5:6], v[1:2]
	s_delay_alu instid0(VALU_DEP_2) | instskip(SKIP_1) | instid1(VALU_DEP_2)
	v_cmp_eq_u32_e64 s4, 1, v13
	v_and_b32_e32 v13, 1, v9
	s_and_b32 s3, s4, s3
	v_cndmask_b32_e64 v9, v9, 1, s4
	v_cndmask_b32_e64 v1, v1, v5, s3
	;; [unrolled: 1-line block ×3, first 2 shown]
	v_cmp_eq_u32_e64 s3, 1, v13
	s_delay_alu instid0(VALU_DEP_1) | instskip(NEXT) | instid1(VALU_DEP_3)
	v_cndmask_b32_e64 v9, v11, v9, s3
	v_cndmask_b32_e64 v2, v6, v2, s3
	;; [unrolled: 1-line block ×3, first 2 shown]
	s_or_b32 exec_lo, exec_lo, s5
	s_and_saveexec_b32 s4, s2
	s_cbranch_execz .LBB12_28
.LBB12_56:
	s_waitcnt vmcnt(0)
	v_and_b32_e32 v5, 1, v12
	v_cmp_lt_i64_e64 s2, v[7:8], v[1:2]
	s_delay_alu instid0(VALU_DEP_2) | instskip(SKIP_1) | instid1(VALU_DEP_2)
	v_cmp_eq_u32_e64 s3, 1, v5
	v_and_b32_e32 v5, 1, v9
	s_and_b32 s2, s3, s2
	v_cndmask_b32_e64 v6, v9, 1, s3
	v_cndmask_b32_e64 v1, v1, v7, s2
	;; [unrolled: 1-line block ×3, first 2 shown]
	v_cmp_eq_u32_e64 s2, 1, v5
	s_delay_alu instid0(VALU_DEP_1) | instskip(NEXT) | instid1(VALU_DEP_3)
	v_cndmask_b32_e64 v9, v12, v6, s2
	v_cndmask_b32_e64 v2, v8, v2, s2
	;; [unrolled: 1-line block ×3, first 2 shown]
	s_or_b32 exec_lo, exec_lo, s4
	s_and_saveexec_b32 s3, vcc_lo
	s_cbranch_execnz .LBB12_29
	s_branch .LBB12_30
	.section	.rodata,"a",@progbits
	.p2align	6, 0x0
	.amdhsa_kernel _ZN7rocprim17ROCPRIM_400000_NS6detail17trampoline_kernelINS0_14default_configENS1_22reduce_config_selectorIN6thrust23THRUST_200600_302600_NS5tupleIblNS6_9null_typeES8_S8_S8_S8_S8_S8_S8_EEEEZNS1_11reduce_implILb1ES3_PS9_SC_S9_NS6_11hip_rocprim9__find_if7functorIS9_EEEE10hipError_tPvRmT1_T2_T3_mT4_P12ihipStream_tbEUlT_E0_NS1_11comp_targetILNS1_3genE9ELNS1_11target_archE1100ELNS1_3gpuE3ELNS1_3repE0EEENS1_30default_config_static_selectorELNS0_4arch9wavefront6targetE0EEEvSK_
		.amdhsa_group_segment_fixed_size 256
		.amdhsa_private_segment_fixed_size 0
		.amdhsa_kernarg_size 72
		.amdhsa_user_sgpr_count 15
		.amdhsa_user_sgpr_dispatch_ptr 0
		.amdhsa_user_sgpr_queue_ptr 0
		.amdhsa_user_sgpr_kernarg_segment_ptr 1
		.amdhsa_user_sgpr_dispatch_id 0
		.amdhsa_user_sgpr_private_segment_size 0
		.amdhsa_wavefront_size32 1
		.amdhsa_uses_dynamic_stack 0
		.amdhsa_enable_private_segment 0
		.amdhsa_system_sgpr_workgroup_id_x 1
		.amdhsa_system_sgpr_workgroup_id_y 0
		.amdhsa_system_sgpr_workgroup_id_z 0
		.amdhsa_system_sgpr_workgroup_info 0
		.amdhsa_system_vgpr_workitem_id 0
		.amdhsa_next_free_vgpr 16
		.amdhsa_next_free_sgpr 20
		.amdhsa_reserve_vcc 1
		.amdhsa_float_round_mode_32 0
		.amdhsa_float_round_mode_16_64 0
		.amdhsa_float_denorm_mode_32 3
		.amdhsa_float_denorm_mode_16_64 3
		.amdhsa_dx10_clamp 1
		.amdhsa_ieee_mode 1
		.amdhsa_fp16_overflow 0
		.amdhsa_workgroup_processor_mode 1
		.amdhsa_memory_ordered 1
		.amdhsa_forward_progress 0
		.amdhsa_shared_vgpr_count 0
		.amdhsa_exception_fp_ieee_invalid_op 0
		.amdhsa_exception_fp_denorm_src 0
		.amdhsa_exception_fp_ieee_div_zero 0
		.amdhsa_exception_fp_ieee_overflow 0
		.amdhsa_exception_fp_ieee_underflow 0
		.amdhsa_exception_fp_ieee_inexact 0
		.amdhsa_exception_int_div_zero 0
	.end_amdhsa_kernel
	.section	.text._ZN7rocprim17ROCPRIM_400000_NS6detail17trampoline_kernelINS0_14default_configENS1_22reduce_config_selectorIN6thrust23THRUST_200600_302600_NS5tupleIblNS6_9null_typeES8_S8_S8_S8_S8_S8_S8_EEEEZNS1_11reduce_implILb1ES3_PS9_SC_S9_NS6_11hip_rocprim9__find_if7functorIS9_EEEE10hipError_tPvRmT1_T2_T3_mT4_P12ihipStream_tbEUlT_E0_NS1_11comp_targetILNS1_3genE9ELNS1_11target_archE1100ELNS1_3gpuE3ELNS1_3repE0EEENS1_30default_config_static_selectorELNS0_4arch9wavefront6targetE0EEEvSK_,"axG",@progbits,_ZN7rocprim17ROCPRIM_400000_NS6detail17trampoline_kernelINS0_14default_configENS1_22reduce_config_selectorIN6thrust23THRUST_200600_302600_NS5tupleIblNS6_9null_typeES8_S8_S8_S8_S8_S8_S8_EEEEZNS1_11reduce_implILb1ES3_PS9_SC_S9_NS6_11hip_rocprim9__find_if7functorIS9_EEEE10hipError_tPvRmT1_T2_T3_mT4_P12ihipStream_tbEUlT_E0_NS1_11comp_targetILNS1_3genE9ELNS1_11target_archE1100ELNS1_3gpuE3ELNS1_3repE0EEENS1_30default_config_static_selectorELNS0_4arch9wavefront6targetE0EEEvSK_,comdat
.Lfunc_end12:
	.size	_ZN7rocprim17ROCPRIM_400000_NS6detail17trampoline_kernelINS0_14default_configENS1_22reduce_config_selectorIN6thrust23THRUST_200600_302600_NS5tupleIblNS6_9null_typeES8_S8_S8_S8_S8_S8_S8_EEEEZNS1_11reduce_implILb1ES3_PS9_SC_S9_NS6_11hip_rocprim9__find_if7functorIS9_EEEE10hipError_tPvRmT1_T2_T3_mT4_P12ihipStream_tbEUlT_E0_NS1_11comp_targetILNS1_3genE9ELNS1_11target_archE1100ELNS1_3gpuE3ELNS1_3repE0EEENS1_30default_config_static_selectorELNS0_4arch9wavefront6targetE0EEEvSK_, .Lfunc_end12-_ZN7rocprim17ROCPRIM_400000_NS6detail17trampoline_kernelINS0_14default_configENS1_22reduce_config_selectorIN6thrust23THRUST_200600_302600_NS5tupleIblNS6_9null_typeES8_S8_S8_S8_S8_S8_S8_EEEEZNS1_11reduce_implILb1ES3_PS9_SC_S9_NS6_11hip_rocprim9__find_if7functorIS9_EEEE10hipError_tPvRmT1_T2_T3_mT4_P12ihipStream_tbEUlT_E0_NS1_11comp_targetILNS1_3genE9ELNS1_11target_archE1100ELNS1_3gpuE3ELNS1_3repE0EEENS1_30default_config_static_selectorELNS0_4arch9wavefront6targetE0EEEvSK_
                                        ; -- End function
	.section	.AMDGPU.csdata,"",@progbits
; Kernel info:
; codeLenInByte = 4120
; NumSgprs: 22
; NumVgprs: 16
; ScratchSize: 0
; MemoryBound: 0
; FloatMode: 240
; IeeeMode: 1
; LDSByteSize: 256 bytes/workgroup (compile time only)
; SGPRBlocks: 2
; VGPRBlocks: 1
; NumSGPRsForWavesPerEU: 22
; NumVGPRsForWavesPerEU: 16
; Occupancy: 16
; WaveLimiterHint : 1
; COMPUTE_PGM_RSRC2:SCRATCH_EN: 0
; COMPUTE_PGM_RSRC2:USER_SGPR: 15
; COMPUTE_PGM_RSRC2:TRAP_HANDLER: 0
; COMPUTE_PGM_RSRC2:TGID_X_EN: 1
; COMPUTE_PGM_RSRC2:TGID_Y_EN: 0
; COMPUTE_PGM_RSRC2:TGID_Z_EN: 0
; COMPUTE_PGM_RSRC2:TIDIG_COMP_CNT: 0
	.section	.text._ZN7rocprim17ROCPRIM_400000_NS6detail17trampoline_kernelINS0_14default_configENS1_22reduce_config_selectorIN6thrust23THRUST_200600_302600_NS5tupleIblNS6_9null_typeES8_S8_S8_S8_S8_S8_S8_EEEEZNS1_11reduce_implILb1ES3_PS9_SC_S9_NS6_11hip_rocprim9__find_if7functorIS9_EEEE10hipError_tPvRmT1_T2_T3_mT4_P12ihipStream_tbEUlT_E0_NS1_11comp_targetILNS1_3genE8ELNS1_11target_archE1030ELNS1_3gpuE2ELNS1_3repE0EEENS1_30default_config_static_selectorELNS0_4arch9wavefront6targetE0EEEvSK_,"axG",@progbits,_ZN7rocprim17ROCPRIM_400000_NS6detail17trampoline_kernelINS0_14default_configENS1_22reduce_config_selectorIN6thrust23THRUST_200600_302600_NS5tupleIblNS6_9null_typeES8_S8_S8_S8_S8_S8_S8_EEEEZNS1_11reduce_implILb1ES3_PS9_SC_S9_NS6_11hip_rocprim9__find_if7functorIS9_EEEE10hipError_tPvRmT1_T2_T3_mT4_P12ihipStream_tbEUlT_E0_NS1_11comp_targetILNS1_3genE8ELNS1_11target_archE1030ELNS1_3gpuE2ELNS1_3repE0EEENS1_30default_config_static_selectorELNS0_4arch9wavefront6targetE0EEEvSK_,comdat
	.protected	_ZN7rocprim17ROCPRIM_400000_NS6detail17trampoline_kernelINS0_14default_configENS1_22reduce_config_selectorIN6thrust23THRUST_200600_302600_NS5tupleIblNS6_9null_typeES8_S8_S8_S8_S8_S8_S8_EEEEZNS1_11reduce_implILb1ES3_PS9_SC_S9_NS6_11hip_rocprim9__find_if7functorIS9_EEEE10hipError_tPvRmT1_T2_T3_mT4_P12ihipStream_tbEUlT_E0_NS1_11comp_targetILNS1_3genE8ELNS1_11target_archE1030ELNS1_3gpuE2ELNS1_3repE0EEENS1_30default_config_static_selectorELNS0_4arch9wavefront6targetE0EEEvSK_ ; -- Begin function _ZN7rocprim17ROCPRIM_400000_NS6detail17trampoline_kernelINS0_14default_configENS1_22reduce_config_selectorIN6thrust23THRUST_200600_302600_NS5tupleIblNS6_9null_typeES8_S8_S8_S8_S8_S8_S8_EEEEZNS1_11reduce_implILb1ES3_PS9_SC_S9_NS6_11hip_rocprim9__find_if7functorIS9_EEEE10hipError_tPvRmT1_T2_T3_mT4_P12ihipStream_tbEUlT_E0_NS1_11comp_targetILNS1_3genE8ELNS1_11target_archE1030ELNS1_3gpuE2ELNS1_3repE0EEENS1_30default_config_static_selectorELNS0_4arch9wavefront6targetE0EEEvSK_
	.globl	_ZN7rocprim17ROCPRIM_400000_NS6detail17trampoline_kernelINS0_14default_configENS1_22reduce_config_selectorIN6thrust23THRUST_200600_302600_NS5tupleIblNS6_9null_typeES8_S8_S8_S8_S8_S8_S8_EEEEZNS1_11reduce_implILb1ES3_PS9_SC_S9_NS6_11hip_rocprim9__find_if7functorIS9_EEEE10hipError_tPvRmT1_T2_T3_mT4_P12ihipStream_tbEUlT_E0_NS1_11comp_targetILNS1_3genE8ELNS1_11target_archE1030ELNS1_3gpuE2ELNS1_3repE0EEENS1_30default_config_static_selectorELNS0_4arch9wavefront6targetE0EEEvSK_
	.p2align	8
	.type	_ZN7rocprim17ROCPRIM_400000_NS6detail17trampoline_kernelINS0_14default_configENS1_22reduce_config_selectorIN6thrust23THRUST_200600_302600_NS5tupleIblNS6_9null_typeES8_S8_S8_S8_S8_S8_S8_EEEEZNS1_11reduce_implILb1ES3_PS9_SC_S9_NS6_11hip_rocprim9__find_if7functorIS9_EEEE10hipError_tPvRmT1_T2_T3_mT4_P12ihipStream_tbEUlT_E0_NS1_11comp_targetILNS1_3genE8ELNS1_11target_archE1030ELNS1_3gpuE2ELNS1_3repE0EEENS1_30default_config_static_selectorELNS0_4arch9wavefront6targetE0EEEvSK_,@function
_ZN7rocprim17ROCPRIM_400000_NS6detail17trampoline_kernelINS0_14default_configENS1_22reduce_config_selectorIN6thrust23THRUST_200600_302600_NS5tupleIblNS6_9null_typeES8_S8_S8_S8_S8_S8_S8_EEEEZNS1_11reduce_implILb1ES3_PS9_SC_S9_NS6_11hip_rocprim9__find_if7functorIS9_EEEE10hipError_tPvRmT1_T2_T3_mT4_P12ihipStream_tbEUlT_E0_NS1_11comp_targetILNS1_3genE8ELNS1_11target_archE1030ELNS1_3gpuE2ELNS1_3repE0EEENS1_30default_config_static_selectorELNS0_4arch9wavefront6targetE0EEEvSK_: ; @_ZN7rocprim17ROCPRIM_400000_NS6detail17trampoline_kernelINS0_14default_configENS1_22reduce_config_selectorIN6thrust23THRUST_200600_302600_NS5tupleIblNS6_9null_typeES8_S8_S8_S8_S8_S8_S8_EEEEZNS1_11reduce_implILb1ES3_PS9_SC_S9_NS6_11hip_rocprim9__find_if7functorIS9_EEEE10hipError_tPvRmT1_T2_T3_mT4_P12ihipStream_tbEUlT_E0_NS1_11comp_targetILNS1_3genE8ELNS1_11target_archE1030ELNS1_3gpuE2ELNS1_3repE0EEENS1_30default_config_static_selectorELNS0_4arch9wavefront6targetE0EEEvSK_
; %bb.0:
	.section	.rodata,"a",@progbits
	.p2align	6, 0x0
	.amdhsa_kernel _ZN7rocprim17ROCPRIM_400000_NS6detail17trampoline_kernelINS0_14default_configENS1_22reduce_config_selectorIN6thrust23THRUST_200600_302600_NS5tupleIblNS6_9null_typeES8_S8_S8_S8_S8_S8_S8_EEEEZNS1_11reduce_implILb1ES3_PS9_SC_S9_NS6_11hip_rocprim9__find_if7functorIS9_EEEE10hipError_tPvRmT1_T2_T3_mT4_P12ihipStream_tbEUlT_E0_NS1_11comp_targetILNS1_3genE8ELNS1_11target_archE1030ELNS1_3gpuE2ELNS1_3repE0EEENS1_30default_config_static_selectorELNS0_4arch9wavefront6targetE0EEEvSK_
		.amdhsa_group_segment_fixed_size 0
		.amdhsa_private_segment_fixed_size 0
		.amdhsa_kernarg_size 72
		.amdhsa_user_sgpr_count 15
		.amdhsa_user_sgpr_dispatch_ptr 0
		.amdhsa_user_sgpr_queue_ptr 0
		.amdhsa_user_sgpr_kernarg_segment_ptr 1
		.amdhsa_user_sgpr_dispatch_id 0
		.amdhsa_user_sgpr_private_segment_size 0
		.amdhsa_wavefront_size32 1
		.amdhsa_uses_dynamic_stack 0
		.amdhsa_enable_private_segment 0
		.amdhsa_system_sgpr_workgroup_id_x 1
		.amdhsa_system_sgpr_workgroup_id_y 0
		.amdhsa_system_sgpr_workgroup_id_z 0
		.amdhsa_system_sgpr_workgroup_info 0
		.amdhsa_system_vgpr_workitem_id 0
		.amdhsa_next_free_vgpr 1
		.amdhsa_next_free_sgpr 1
		.amdhsa_reserve_vcc 0
		.amdhsa_float_round_mode_32 0
		.amdhsa_float_round_mode_16_64 0
		.amdhsa_float_denorm_mode_32 3
		.amdhsa_float_denorm_mode_16_64 3
		.amdhsa_dx10_clamp 1
		.amdhsa_ieee_mode 1
		.amdhsa_fp16_overflow 0
		.amdhsa_workgroup_processor_mode 1
		.amdhsa_memory_ordered 1
		.amdhsa_forward_progress 0
		.amdhsa_shared_vgpr_count 0
		.amdhsa_exception_fp_ieee_invalid_op 0
		.amdhsa_exception_fp_denorm_src 0
		.amdhsa_exception_fp_ieee_div_zero 0
		.amdhsa_exception_fp_ieee_overflow 0
		.amdhsa_exception_fp_ieee_underflow 0
		.amdhsa_exception_fp_ieee_inexact 0
		.amdhsa_exception_int_div_zero 0
	.end_amdhsa_kernel
	.section	.text._ZN7rocprim17ROCPRIM_400000_NS6detail17trampoline_kernelINS0_14default_configENS1_22reduce_config_selectorIN6thrust23THRUST_200600_302600_NS5tupleIblNS6_9null_typeES8_S8_S8_S8_S8_S8_S8_EEEEZNS1_11reduce_implILb1ES3_PS9_SC_S9_NS6_11hip_rocprim9__find_if7functorIS9_EEEE10hipError_tPvRmT1_T2_T3_mT4_P12ihipStream_tbEUlT_E0_NS1_11comp_targetILNS1_3genE8ELNS1_11target_archE1030ELNS1_3gpuE2ELNS1_3repE0EEENS1_30default_config_static_selectorELNS0_4arch9wavefront6targetE0EEEvSK_,"axG",@progbits,_ZN7rocprim17ROCPRIM_400000_NS6detail17trampoline_kernelINS0_14default_configENS1_22reduce_config_selectorIN6thrust23THRUST_200600_302600_NS5tupleIblNS6_9null_typeES8_S8_S8_S8_S8_S8_S8_EEEEZNS1_11reduce_implILb1ES3_PS9_SC_S9_NS6_11hip_rocprim9__find_if7functorIS9_EEEE10hipError_tPvRmT1_T2_T3_mT4_P12ihipStream_tbEUlT_E0_NS1_11comp_targetILNS1_3genE8ELNS1_11target_archE1030ELNS1_3gpuE2ELNS1_3repE0EEENS1_30default_config_static_selectorELNS0_4arch9wavefront6targetE0EEEvSK_,comdat
.Lfunc_end13:
	.size	_ZN7rocprim17ROCPRIM_400000_NS6detail17trampoline_kernelINS0_14default_configENS1_22reduce_config_selectorIN6thrust23THRUST_200600_302600_NS5tupleIblNS6_9null_typeES8_S8_S8_S8_S8_S8_S8_EEEEZNS1_11reduce_implILb1ES3_PS9_SC_S9_NS6_11hip_rocprim9__find_if7functorIS9_EEEE10hipError_tPvRmT1_T2_T3_mT4_P12ihipStream_tbEUlT_E0_NS1_11comp_targetILNS1_3genE8ELNS1_11target_archE1030ELNS1_3gpuE2ELNS1_3repE0EEENS1_30default_config_static_selectorELNS0_4arch9wavefront6targetE0EEEvSK_, .Lfunc_end13-_ZN7rocprim17ROCPRIM_400000_NS6detail17trampoline_kernelINS0_14default_configENS1_22reduce_config_selectorIN6thrust23THRUST_200600_302600_NS5tupleIblNS6_9null_typeES8_S8_S8_S8_S8_S8_S8_EEEEZNS1_11reduce_implILb1ES3_PS9_SC_S9_NS6_11hip_rocprim9__find_if7functorIS9_EEEE10hipError_tPvRmT1_T2_T3_mT4_P12ihipStream_tbEUlT_E0_NS1_11comp_targetILNS1_3genE8ELNS1_11target_archE1030ELNS1_3gpuE2ELNS1_3repE0EEENS1_30default_config_static_selectorELNS0_4arch9wavefront6targetE0EEEvSK_
                                        ; -- End function
	.section	.AMDGPU.csdata,"",@progbits
; Kernel info:
; codeLenInByte = 0
; NumSgprs: 0
; NumVgprs: 0
; ScratchSize: 0
; MemoryBound: 0
; FloatMode: 240
; IeeeMode: 1
; LDSByteSize: 0 bytes/workgroup (compile time only)
; SGPRBlocks: 0
; VGPRBlocks: 0
; NumSGPRsForWavesPerEU: 1
; NumVGPRsForWavesPerEU: 1
; Occupancy: 16
; WaveLimiterHint : 0
; COMPUTE_PGM_RSRC2:SCRATCH_EN: 0
; COMPUTE_PGM_RSRC2:USER_SGPR: 15
; COMPUTE_PGM_RSRC2:TRAP_HANDLER: 0
; COMPUTE_PGM_RSRC2:TGID_X_EN: 1
; COMPUTE_PGM_RSRC2:TGID_Y_EN: 0
; COMPUTE_PGM_RSRC2:TGID_Z_EN: 0
; COMPUTE_PGM_RSRC2:TIDIG_COMP_CNT: 0
	.section	.text._ZN7rocprim17ROCPRIM_400000_NS6detail17trampoline_kernelINS0_14default_configENS1_22reduce_config_selectorIN6thrust23THRUST_200600_302600_NS5tupleIblNS6_9null_typeES8_S8_S8_S8_S8_S8_S8_EEEEZNS1_11reduce_implILb1ES3_PS9_SC_S9_NS6_11hip_rocprim9__find_if7functorIS9_EEEE10hipError_tPvRmT1_T2_T3_mT4_P12ihipStream_tbEUlT_E1_NS1_11comp_targetILNS1_3genE0ELNS1_11target_archE4294967295ELNS1_3gpuE0ELNS1_3repE0EEENS1_30default_config_static_selectorELNS0_4arch9wavefront6targetE0EEEvSK_,"axG",@progbits,_ZN7rocprim17ROCPRIM_400000_NS6detail17trampoline_kernelINS0_14default_configENS1_22reduce_config_selectorIN6thrust23THRUST_200600_302600_NS5tupleIblNS6_9null_typeES8_S8_S8_S8_S8_S8_S8_EEEEZNS1_11reduce_implILb1ES3_PS9_SC_S9_NS6_11hip_rocprim9__find_if7functorIS9_EEEE10hipError_tPvRmT1_T2_T3_mT4_P12ihipStream_tbEUlT_E1_NS1_11comp_targetILNS1_3genE0ELNS1_11target_archE4294967295ELNS1_3gpuE0ELNS1_3repE0EEENS1_30default_config_static_selectorELNS0_4arch9wavefront6targetE0EEEvSK_,comdat
	.protected	_ZN7rocprim17ROCPRIM_400000_NS6detail17trampoline_kernelINS0_14default_configENS1_22reduce_config_selectorIN6thrust23THRUST_200600_302600_NS5tupleIblNS6_9null_typeES8_S8_S8_S8_S8_S8_S8_EEEEZNS1_11reduce_implILb1ES3_PS9_SC_S9_NS6_11hip_rocprim9__find_if7functorIS9_EEEE10hipError_tPvRmT1_T2_T3_mT4_P12ihipStream_tbEUlT_E1_NS1_11comp_targetILNS1_3genE0ELNS1_11target_archE4294967295ELNS1_3gpuE0ELNS1_3repE0EEENS1_30default_config_static_selectorELNS0_4arch9wavefront6targetE0EEEvSK_ ; -- Begin function _ZN7rocprim17ROCPRIM_400000_NS6detail17trampoline_kernelINS0_14default_configENS1_22reduce_config_selectorIN6thrust23THRUST_200600_302600_NS5tupleIblNS6_9null_typeES8_S8_S8_S8_S8_S8_S8_EEEEZNS1_11reduce_implILb1ES3_PS9_SC_S9_NS6_11hip_rocprim9__find_if7functorIS9_EEEE10hipError_tPvRmT1_T2_T3_mT4_P12ihipStream_tbEUlT_E1_NS1_11comp_targetILNS1_3genE0ELNS1_11target_archE4294967295ELNS1_3gpuE0ELNS1_3repE0EEENS1_30default_config_static_selectorELNS0_4arch9wavefront6targetE0EEEvSK_
	.globl	_ZN7rocprim17ROCPRIM_400000_NS6detail17trampoline_kernelINS0_14default_configENS1_22reduce_config_selectorIN6thrust23THRUST_200600_302600_NS5tupleIblNS6_9null_typeES8_S8_S8_S8_S8_S8_S8_EEEEZNS1_11reduce_implILb1ES3_PS9_SC_S9_NS6_11hip_rocprim9__find_if7functorIS9_EEEE10hipError_tPvRmT1_T2_T3_mT4_P12ihipStream_tbEUlT_E1_NS1_11comp_targetILNS1_3genE0ELNS1_11target_archE4294967295ELNS1_3gpuE0ELNS1_3repE0EEENS1_30default_config_static_selectorELNS0_4arch9wavefront6targetE0EEEvSK_
	.p2align	8
	.type	_ZN7rocprim17ROCPRIM_400000_NS6detail17trampoline_kernelINS0_14default_configENS1_22reduce_config_selectorIN6thrust23THRUST_200600_302600_NS5tupleIblNS6_9null_typeES8_S8_S8_S8_S8_S8_S8_EEEEZNS1_11reduce_implILb1ES3_PS9_SC_S9_NS6_11hip_rocprim9__find_if7functorIS9_EEEE10hipError_tPvRmT1_T2_T3_mT4_P12ihipStream_tbEUlT_E1_NS1_11comp_targetILNS1_3genE0ELNS1_11target_archE4294967295ELNS1_3gpuE0ELNS1_3repE0EEENS1_30default_config_static_selectorELNS0_4arch9wavefront6targetE0EEEvSK_,@function
_ZN7rocprim17ROCPRIM_400000_NS6detail17trampoline_kernelINS0_14default_configENS1_22reduce_config_selectorIN6thrust23THRUST_200600_302600_NS5tupleIblNS6_9null_typeES8_S8_S8_S8_S8_S8_S8_EEEEZNS1_11reduce_implILb1ES3_PS9_SC_S9_NS6_11hip_rocprim9__find_if7functorIS9_EEEE10hipError_tPvRmT1_T2_T3_mT4_P12ihipStream_tbEUlT_E1_NS1_11comp_targetILNS1_3genE0ELNS1_11target_archE4294967295ELNS1_3gpuE0ELNS1_3repE0EEENS1_30default_config_static_selectorELNS0_4arch9wavefront6targetE0EEEvSK_: ; @_ZN7rocprim17ROCPRIM_400000_NS6detail17trampoline_kernelINS0_14default_configENS1_22reduce_config_selectorIN6thrust23THRUST_200600_302600_NS5tupleIblNS6_9null_typeES8_S8_S8_S8_S8_S8_S8_EEEEZNS1_11reduce_implILb1ES3_PS9_SC_S9_NS6_11hip_rocprim9__find_if7functorIS9_EEEE10hipError_tPvRmT1_T2_T3_mT4_P12ihipStream_tbEUlT_E1_NS1_11comp_targetILNS1_3genE0ELNS1_11target_archE4294967295ELNS1_3gpuE0ELNS1_3repE0EEENS1_30default_config_static_selectorELNS0_4arch9wavefront6targetE0EEEvSK_
; %bb.0:
	.section	.rodata,"a",@progbits
	.p2align	6, 0x0
	.amdhsa_kernel _ZN7rocprim17ROCPRIM_400000_NS6detail17trampoline_kernelINS0_14default_configENS1_22reduce_config_selectorIN6thrust23THRUST_200600_302600_NS5tupleIblNS6_9null_typeES8_S8_S8_S8_S8_S8_S8_EEEEZNS1_11reduce_implILb1ES3_PS9_SC_S9_NS6_11hip_rocprim9__find_if7functorIS9_EEEE10hipError_tPvRmT1_T2_T3_mT4_P12ihipStream_tbEUlT_E1_NS1_11comp_targetILNS1_3genE0ELNS1_11target_archE4294967295ELNS1_3gpuE0ELNS1_3repE0EEENS1_30default_config_static_selectorELNS0_4arch9wavefront6targetE0EEEvSK_
		.amdhsa_group_segment_fixed_size 0
		.amdhsa_private_segment_fixed_size 0
		.amdhsa_kernarg_size 56
		.amdhsa_user_sgpr_count 15
		.amdhsa_user_sgpr_dispatch_ptr 0
		.amdhsa_user_sgpr_queue_ptr 0
		.amdhsa_user_sgpr_kernarg_segment_ptr 1
		.amdhsa_user_sgpr_dispatch_id 0
		.amdhsa_user_sgpr_private_segment_size 0
		.amdhsa_wavefront_size32 1
		.amdhsa_uses_dynamic_stack 0
		.amdhsa_enable_private_segment 0
		.amdhsa_system_sgpr_workgroup_id_x 1
		.amdhsa_system_sgpr_workgroup_id_y 0
		.amdhsa_system_sgpr_workgroup_id_z 0
		.amdhsa_system_sgpr_workgroup_info 0
		.amdhsa_system_vgpr_workitem_id 0
		.amdhsa_next_free_vgpr 1
		.amdhsa_next_free_sgpr 1
		.amdhsa_reserve_vcc 0
		.amdhsa_float_round_mode_32 0
		.amdhsa_float_round_mode_16_64 0
		.amdhsa_float_denorm_mode_32 3
		.amdhsa_float_denorm_mode_16_64 3
		.amdhsa_dx10_clamp 1
		.amdhsa_ieee_mode 1
		.amdhsa_fp16_overflow 0
		.amdhsa_workgroup_processor_mode 1
		.amdhsa_memory_ordered 1
		.amdhsa_forward_progress 0
		.amdhsa_shared_vgpr_count 0
		.amdhsa_exception_fp_ieee_invalid_op 0
		.amdhsa_exception_fp_denorm_src 0
		.amdhsa_exception_fp_ieee_div_zero 0
		.amdhsa_exception_fp_ieee_overflow 0
		.amdhsa_exception_fp_ieee_underflow 0
		.amdhsa_exception_fp_ieee_inexact 0
		.amdhsa_exception_int_div_zero 0
	.end_amdhsa_kernel
	.section	.text._ZN7rocprim17ROCPRIM_400000_NS6detail17trampoline_kernelINS0_14default_configENS1_22reduce_config_selectorIN6thrust23THRUST_200600_302600_NS5tupleIblNS6_9null_typeES8_S8_S8_S8_S8_S8_S8_EEEEZNS1_11reduce_implILb1ES3_PS9_SC_S9_NS6_11hip_rocprim9__find_if7functorIS9_EEEE10hipError_tPvRmT1_T2_T3_mT4_P12ihipStream_tbEUlT_E1_NS1_11comp_targetILNS1_3genE0ELNS1_11target_archE4294967295ELNS1_3gpuE0ELNS1_3repE0EEENS1_30default_config_static_selectorELNS0_4arch9wavefront6targetE0EEEvSK_,"axG",@progbits,_ZN7rocprim17ROCPRIM_400000_NS6detail17trampoline_kernelINS0_14default_configENS1_22reduce_config_selectorIN6thrust23THRUST_200600_302600_NS5tupleIblNS6_9null_typeES8_S8_S8_S8_S8_S8_S8_EEEEZNS1_11reduce_implILb1ES3_PS9_SC_S9_NS6_11hip_rocprim9__find_if7functorIS9_EEEE10hipError_tPvRmT1_T2_T3_mT4_P12ihipStream_tbEUlT_E1_NS1_11comp_targetILNS1_3genE0ELNS1_11target_archE4294967295ELNS1_3gpuE0ELNS1_3repE0EEENS1_30default_config_static_selectorELNS0_4arch9wavefront6targetE0EEEvSK_,comdat
.Lfunc_end14:
	.size	_ZN7rocprim17ROCPRIM_400000_NS6detail17trampoline_kernelINS0_14default_configENS1_22reduce_config_selectorIN6thrust23THRUST_200600_302600_NS5tupleIblNS6_9null_typeES8_S8_S8_S8_S8_S8_S8_EEEEZNS1_11reduce_implILb1ES3_PS9_SC_S9_NS6_11hip_rocprim9__find_if7functorIS9_EEEE10hipError_tPvRmT1_T2_T3_mT4_P12ihipStream_tbEUlT_E1_NS1_11comp_targetILNS1_3genE0ELNS1_11target_archE4294967295ELNS1_3gpuE0ELNS1_3repE0EEENS1_30default_config_static_selectorELNS0_4arch9wavefront6targetE0EEEvSK_, .Lfunc_end14-_ZN7rocprim17ROCPRIM_400000_NS6detail17trampoline_kernelINS0_14default_configENS1_22reduce_config_selectorIN6thrust23THRUST_200600_302600_NS5tupleIblNS6_9null_typeES8_S8_S8_S8_S8_S8_S8_EEEEZNS1_11reduce_implILb1ES3_PS9_SC_S9_NS6_11hip_rocprim9__find_if7functorIS9_EEEE10hipError_tPvRmT1_T2_T3_mT4_P12ihipStream_tbEUlT_E1_NS1_11comp_targetILNS1_3genE0ELNS1_11target_archE4294967295ELNS1_3gpuE0ELNS1_3repE0EEENS1_30default_config_static_selectorELNS0_4arch9wavefront6targetE0EEEvSK_
                                        ; -- End function
	.section	.AMDGPU.csdata,"",@progbits
; Kernel info:
; codeLenInByte = 0
; NumSgprs: 0
; NumVgprs: 0
; ScratchSize: 0
; MemoryBound: 0
; FloatMode: 240
; IeeeMode: 1
; LDSByteSize: 0 bytes/workgroup (compile time only)
; SGPRBlocks: 0
; VGPRBlocks: 0
; NumSGPRsForWavesPerEU: 1
; NumVGPRsForWavesPerEU: 1
; Occupancy: 16
; WaveLimiterHint : 0
; COMPUTE_PGM_RSRC2:SCRATCH_EN: 0
; COMPUTE_PGM_RSRC2:USER_SGPR: 15
; COMPUTE_PGM_RSRC2:TRAP_HANDLER: 0
; COMPUTE_PGM_RSRC2:TGID_X_EN: 1
; COMPUTE_PGM_RSRC2:TGID_Y_EN: 0
; COMPUTE_PGM_RSRC2:TGID_Z_EN: 0
; COMPUTE_PGM_RSRC2:TIDIG_COMP_CNT: 0
	.section	.text._ZN7rocprim17ROCPRIM_400000_NS6detail17trampoline_kernelINS0_14default_configENS1_22reduce_config_selectorIN6thrust23THRUST_200600_302600_NS5tupleIblNS6_9null_typeES8_S8_S8_S8_S8_S8_S8_EEEEZNS1_11reduce_implILb1ES3_PS9_SC_S9_NS6_11hip_rocprim9__find_if7functorIS9_EEEE10hipError_tPvRmT1_T2_T3_mT4_P12ihipStream_tbEUlT_E1_NS1_11comp_targetILNS1_3genE5ELNS1_11target_archE942ELNS1_3gpuE9ELNS1_3repE0EEENS1_30default_config_static_selectorELNS0_4arch9wavefront6targetE0EEEvSK_,"axG",@progbits,_ZN7rocprim17ROCPRIM_400000_NS6detail17trampoline_kernelINS0_14default_configENS1_22reduce_config_selectorIN6thrust23THRUST_200600_302600_NS5tupleIblNS6_9null_typeES8_S8_S8_S8_S8_S8_S8_EEEEZNS1_11reduce_implILb1ES3_PS9_SC_S9_NS6_11hip_rocprim9__find_if7functorIS9_EEEE10hipError_tPvRmT1_T2_T3_mT4_P12ihipStream_tbEUlT_E1_NS1_11comp_targetILNS1_3genE5ELNS1_11target_archE942ELNS1_3gpuE9ELNS1_3repE0EEENS1_30default_config_static_selectorELNS0_4arch9wavefront6targetE0EEEvSK_,comdat
	.protected	_ZN7rocprim17ROCPRIM_400000_NS6detail17trampoline_kernelINS0_14default_configENS1_22reduce_config_selectorIN6thrust23THRUST_200600_302600_NS5tupleIblNS6_9null_typeES8_S8_S8_S8_S8_S8_S8_EEEEZNS1_11reduce_implILb1ES3_PS9_SC_S9_NS6_11hip_rocprim9__find_if7functorIS9_EEEE10hipError_tPvRmT1_T2_T3_mT4_P12ihipStream_tbEUlT_E1_NS1_11comp_targetILNS1_3genE5ELNS1_11target_archE942ELNS1_3gpuE9ELNS1_3repE0EEENS1_30default_config_static_selectorELNS0_4arch9wavefront6targetE0EEEvSK_ ; -- Begin function _ZN7rocprim17ROCPRIM_400000_NS6detail17trampoline_kernelINS0_14default_configENS1_22reduce_config_selectorIN6thrust23THRUST_200600_302600_NS5tupleIblNS6_9null_typeES8_S8_S8_S8_S8_S8_S8_EEEEZNS1_11reduce_implILb1ES3_PS9_SC_S9_NS6_11hip_rocprim9__find_if7functorIS9_EEEE10hipError_tPvRmT1_T2_T3_mT4_P12ihipStream_tbEUlT_E1_NS1_11comp_targetILNS1_3genE5ELNS1_11target_archE942ELNS1_3gpuE9ELNS1_3repE0EEENS1_30default_config_static_selectorELNS0_4arch9wavefront6targetE0EEEvSK_
	.globl	_ZN7rocprim17ROCPRIM_400000_NS6detail17trampoline_kernelINS0_14default_configENS1_22reduce_config_selectorIN6thrust23THRUST_200600_302600_NS5tupleIblNS6_9null_typeES8_S8_S8_S8_S8_S8_S8_EEEEZNS1_11reduce_implILb1ES3_PS9_SC_S9_NS6_11hip_rocprim9__find_if7functorIS9_EEEE10hipError_tPvRmT1_T2_T3_mT4_P12ihipStream_tbEUlT_E1_NS1_11comp_targetILNS1_3genE5ELNS1_11target_archE942ELNS1_3gpuE9ELNS1_3repE0EEENS1_30default_config_static_selectorELNS0_4arch9wavefront6targetE0EEEvSK_
	.p2align	8
	.type	_ZN7rocprim17ROCPRIM_400000_NS6detail17trampoline_kernelINS0_14default_configENS1_22reduce_config_selectorIN6thrust23THRUST_200600_302600_NS5tupleIblNS6_9null_typeES8_S8_S8_S8_S8_S8_S8_EEEEZNS1_11reduce_implILb1ES3_PS9_SC_S9_NS6_11hip_rocprim9__find_if7functorIS9_EEEE10hipError_tPvRmT1_T2_T3_mT4_P12ihipStream_tbEUlT_E1_NS1_11comp_targetILNS1_3genE5ELNS1_11target_archE942ELNS1_3gpuE9ELNS1_3repE0EEENS1_30default_config_static_selectorELNS0_4arch9wavefront6targetE0EEEvSK_,@function
_ZN7rocprim17ROCPRIM_400000_NS6detail17trampoline_kernelINS0_14default_configENS1_22reduce_config_selectorIN6thrust23THRUST_200600_302600_NS5tupleIblNS6_9null_typeES8_S8_S8_S8_S8_S8_S8_EEEEZNS1_11reduce_implILb1ES3_PS9_SC_S9_NS6_11hip_rocprim9__find_if7functorIS9_EEEE10hipError_tPvRmT1_T2_T3_mT4_P12ihipStream_tbEUlT_E1_NS1_11comp_targetILNS1_3genE5ELNS1_11target_archE942ELNS1_3gpuE9ELNS1_3repE0EEENS1_30default_config_static_selectorELNS0_4arch9wavefront6targetE0EEEvSK_: ; @_ZN7rocprim17ROCPRIM_400000_NS6detail17trampoline_kernelINS0_14default_configENS1_22reduce_config_selectorIN6thrust23THRUST_200600_302600_NS5tupleIblNS6_9null_typeES8_S8_S8_S8_S8_S8_S8_EEEEZNS1_11reduce_implILb1ES3_PS9_SC_S9_NS6_11hip_rocprim9__find_if7functorIS9_EEEE10hipError_tPvRmT1_T2_T3_mT4_P12ihipStream_tbEUlT_E1_NS1_11comp_targetILNS1_3genE5ELNS1_11target_archE942ELNS1_3gpuE9ELNS1_3repE0EEENS1_30default_config_static_selectorELNS0_4arch9wavefront6targetE0EEEvSK_
; %bb.0:
	.section	.rodata,"a",@progbits
	.p2align	6, 0x0
	.amdhsa_kernel _ZN7rocprim17ROCPRIM_400000_NS6detail17trampoline_kernelINS0_14default_configENS1_22reduce_config_selectorIN6thrust23THRUST_200600_302600_NS5tupleIblNS6_9null_typeES8_S8_S8_S8_S8_S8_S8_EEEEZNS1_11reduce_implILb1ES3_PS9_SC_S9_NS6_11hip_rocprim9__find_if7functorIS9_EEEE10hipError_tPvRmT1_T2_T3_mT4_P12ihipStream_tbEUlT_E1_NS1_11comp_targetILNS1_3genE5ELNS1_11target_archE942ELNS1_3gpuE9ELNS1_3repE0EEENS1_30default_config_static_selectorELNS0_4arch9wavefront6targetE0EEEvSK_
		.amdhsa_group_segment_fixed_size 0
		.amdhsa_private_segment_fixed_size 0
		.amdhsa_kernarg_size 56
		.amdhsa_user_sgpr_count 15
		.amdhsa_user_sgpr_dispatch_ptr 0
		.amdhsa_user_sgpr_queue_ptr 0
		.amdhsa_user_sgpr_kernarg_segment_ptr 1
		.amdhsa_user_sgpr_dispatch_id 0
		.amdhsa_user_sgpr_private_segment_size 0
		.amdhsa_wavefront_size32 1
		.amdhsa_uses_dynamic_stack 0
		.amdhsa_enable_private_segment 0
		.amdhsa_system_sgpr_workgroup_id_x 1
		.amdhsa_system_sgpr_workgroup_id_y 0
		.amdhsa_system_sgpr_workgroup_id_z 0
		.amdhsa_system_sgpr_workgroup_info 0
		.amdhsa_system_vgpr_workitem_id 0
		.amdhsa_next_free_vgpr 1
		.amdhsa_next_free_sgpr 1
		.amdhsa_reserve_vcc 0
		.amdhsa_float_round_mode_32 0
		.amdhsa_float_round_mode_16_64 0
		.amdhsa_float_denorm_mode_32 3
		.amdhsa_float_denorm_mode_16_64 3
		.amdhsa_dx10_clamp 1
		.amdhsa_ieee_mode 1
		.amdhsa_fp16_overflow 0
		.amdhsa_workgroup_processor_mode 1
		.amdhsa_memory_ordered 1
		.amdhsa_forward_progress 0
		.amdhsa_shared_vgpr_count 0
		.amdhsa_exception_fp_ieee_invalid_op 0
		.amdhsa_exception_fp_denorm_src 0
		.amdhsa_exception_fp_ieee_div_zero 0
		.amdhsa_exception_fp_ieee_overflow 0
		.amdhsa_exception_fp_ieee_underflow 0
		.amdhsa_exception_fp_ieee_inexact 0
		.amdhsa_exception_int_div_zero 0
	.end_amdhsa_kernel
	.section	.text._ZN7rocprim17ROCPRIM_400000_NS6detail17trampoline_kernelINS0_14default_configENS1_22reduce_config_selectorIN6thrust23THRUST_200600_302600_NS5tupleIblNS6_9null_typeES8_S8_S8_S8_S8_S8_S8_EEEEZNS1_11reduce_implILb1ES3_PS9_SC_S9_NS6_11hip_rocprim9__find_if7functorIS9_EEEE10hipError_tPvRmT1_T2_T3_mT4_P12ihipStream_tbEUlT_E1_NS1_11comp_targetILNS1_3genE5ELNS1_11target_archE942ELNS1_3gpuE9ELNS1_3repE0EEENS1_30default_config_static_selectorELNS0_4arch9wavefront6targetE0EEEvSK_,"axG",@progbits,_ZN7rocprim17ROCPRIM_400000_NS6detail17trampoline_kernelINS0_14default_configENS1_22reduce_config_selectorIN6thrust23THRUST_200600_302600_NS5tupleIblNS6_9null_typeES8_S8_S8_S8_S8_S8_S8_EEEEZNS1_11reduce_implILb1ES3_PS9_SC_S9_NS6_11hip_rocprim9__find_if7functorIS9_EEEE10hipError_tPvRmT1_T2_T3_mT4_P12ihipStream_tbEUlT_E1_NS1_11comp_targetILNS1_3genE5ELNS1_11target_archE942ELNS1_3gpuE9ELNS1_3repE0EEENS1_30default_config_static_selectorELNS0_4arch9wavefront6targetE0EEEvSK_,comdat
.Lfunc_end15:
	.size	_ZN7rocprim17ROCPRIM_400000_NS6detail17trampoline_kernelINS0_14default_configENS1_22reduce_config_selectorIN6thrust23THRUST_200600_302600_NS5tupleIblNS6_9null_typeES8_S8_S8_S8_S8_S8_S8_EEEEZNS1_11reduce_implILb1ES3_PS9_SC_S9_NS6_11hip_rocprim9__find_if7functorIS9_EEEE10hipError_tPvRmT1_T2_T3_mT4_P12ihipStream_tbEUlT_E1_NS1_11comp_targetILNS1_3genE5ELNS1_11target_archE942ELNS1_3gpuE9ELNS1_3repE0EEENS1_30default_config_static_selectorELNS0_4arch9wavefront6targetE0EEEvSK_, .Lfunc_end15-_ZN7rocprim17ROCPRIM_400000_NS6detail17trampoline_kernelINS0_14default_configENS1_22reduce_config_selectorIN6thrust23THRUST_200600_302600_NS5tupleIblNS6_9null_typeES8_S8_S8_S8_S8_S8_S8_EEEEZNS1_11reduce_implILb1ES3_PS9_SC_S9_NS6_11hip_rocprim9__find_if7functorIS9_EEEE10hipError_tPvRmT1_T2_T3_mT4_P12ihipStream_tbEUlT_E1_NS1_11comp_targetILNS1_3genE5ELNS1_11target_archE942ELNS1_3gpuE9ELNS1_3repE0EEENS1_30default_config_static_selectorELNS0_4arch9wavefront6targetE0EEEvSK_
                                        ; -- End function
	.section	.AMDGPU.csdata,"",@progbits
; Kernel info:
; codeLenInByte = 0
; NumSgprs: 0
; NumVgprs: 0
; ScratchSize: 0
; MemoryBound: 0
; FloatMode: 240
; IeeeMode: 1
; LDSByteSize: 0 bytes/workgroup (compile time only)
; SGPRBlocks: 0
; VGPRBlocks: 0
; NumSGPRsForWavesPerEU: 1
; NumVGPRsForWavesPerEU: 1
; Occupancy: 16
; WaveLimiterHint : 0
; COMPUTE_PGM_RSRC2:SCRATCH_EN: 0
; COMPUTE_PGM_RSRC2:USER_SGPR: 15
; COMPUTE_PGM_RSRC2:TRAP_HANDLER: 0
; COMPUTE_PGM_RSRC2:TGID_X_EN: 1
; COMPUTE_PGM_RSRC2:TGID_Y_EN: 0
; COMPUTE_PGM_RSRC2:TGID_Z_EN: 0
; COMPUTE_PGM_RSRC2:TIDIG_COMP_CNT: 0
	.section	.text._ZN7rocprim17ROCPRIM_400000_NS6detail17trampoline_kernelINS0_14default_configENS1_22reduce_config_selectorIN6thrust23THRUST_200600_302600_NS5tupleIblNS6_9null_typeES8_S8_S8_S8_S8_S8_S8_EEEEZNS1_11reduce_implILb1ES3_PS9_SC_S9_NS6_11hip_rocprim9__find_if7functorIS9_EEEE10hipError_tPvRmT1_T2_T3_mT4_P12ihipStream_tbEUlT_E1_NS1_11comp_targetILNS1_3genE4ELNS1_11target_archE910ELNS1_3gpuE8ELNS1_3repE0EEENS1_30default_config_static_selectorELNS0_4arch9wavefront6targetE0EEEvSK_,"axG",@progbits,_ZN7rocprim17ROCPRIM_400000_NS6detail17trampoline_kernelINS0_14default_configENS1_22reduce_config_selectorIN6thrust23THRUST_200600_302600_NS5tupleIblNS6_9null_typeES8_S8_S8_S8_S8_S8_S8_EEEEZNS1_11reduce_implILb1ES3_PS9_SC_S9_NS6_11hip_rocprim9__find_if7functorIS9_EEEE10hipError_tPvRmT1_T2_T3_mT4_P12ihipStream_tbEUlT_E1_NS1_11comp_targetILNS1_3genE4ELNS1_11target_archE910ELNS1_3gpuE8ELNS1_3repE0EEENS1_30default_config_static_selectorELNS0_4arch9wavefront6targetE0EEEvSK_,comdat
	.protected	_ZN7rocprim17ROCPRIM_400000_NS6detail17trampoline_kernelINS0_14default_configENS1_22reduce_config_selectorIN6thrust23THRUST_200600_302600_NS5tupleIblNS6_9null_typeES8_S8_S8_S8_S8_S8_S8_EEEEZNS1_11reduce_implILb1ES3_PS9_SC_S9_NS6_11hip_rocprim9__find_if7functorIS9_EEEE10hipError_tPvRmT1_T2_T3_mT4_P12ihipStream_tbEUlT_E1_NS1_11comp_targetILNS1_3genE4ELNS1_11target_archE910ELNS1_3gpuE8ELNS1_3repE0EEENS1_30default_config_static_selectorELNS0_4arch9wavefront6targetE0EEEvSK_ ; -- Begin function _ZN7rocprim17ROCPRIM_400000_NS6detail17trampoline_kernelINS0_14default_configENS1_22reduce_config_selectorIN6thrust23THRUST_200600_302600_NS5tupleIblNS6_9null_typeES8_S8_S8_S8_S8_S8_S8_EEEEZNS1_11reduce_implILb1ES3_PS9_SC_S9_NS6_11hip_rocprim9__find_if7functorIS9_EEEE10hipError_tPvRmT1_T2_T3_mT4_P12ihipStream_tbEUlT_E1_NS1_11comp_targetILNS1_3genE4ELNS1_11target_archE910ELNS1_3gpuE8ELNS1_3repE0EEENS1_30default_config_static_selectorELNS0_4arch9wavefront6targetE0EEEvSK_
	.globl	_ZN7rocprim17ROCPRIM_400000_NS6detail17trampoline_kernelINS0_14default_configENS1_22reduce_config_selectorIN6thrust23THRUST_200600_302600_NS5tupleIblNS6_9null_typeES8_S8_S8_S8_S8_S8_S8_EEEEZNS1_11reduce_implILb1ES3_PS9_SC_S9_NS6_11hip_rocprim9__find_if7functorIS9_EEEE10hipError_tPvRmT1_T2_T3_mT4_P12ihipStream_tbEUlT_E1_NS1_11comp_targetILNS1_3genE4ELNS1_11target_archE910ELNS1_3gpuE8ELNS1_3repE0EEENS1_30default_config_static_selectorELNS0_4arch9wavefront6targetE0EEEvSK_
	.p2align	8
	.type	_ZN7rocprim17ROCPRIM_400000_NS6detail17trampoline_kernelINS0_14default_configENS1_22reduce_config_selectorIN6thrust23THRUST_200600_302600_NS5tupleIblNS6_9null_typeES8_S8_S8_S8_S8_S8_S8_EEEEZNS1_11reduce_implILb1ES3_PS9_SC_S9_NS6_11hip_rocprim9__find_if7functorIS9_EEEE10hipError_tPvRmT1_T2_T3_mT4_P12ihipStream_tbEUlT_E1_NS1_11comp_targetILNS1_3genE4ELNS1_11target_archE910ELNS1_3gpuE8ELNS1_3repE0EEENS1_30default_config_static_selectorELNS0_4arch9wavefront6targetE0EEEvSK_,@function
_ZN7rocprim17ROCPRIM_400000_NS6detail17trampoline_kernelINS0_14default_configENS1_22reduce_config_selectorIN6thrust23THRUST_200600_302600_NS5tupleIblNS6_9null_typeES8_S8_S8_S8_S8_S8_S8_EEEEZNS1_11reduce_implILb1ES3_PS9_SC_S9_NS6_11hip_rocprim9__find_if7functorIS9_EEEE10hipError_tPvRmT1_T2_T3_mT4_P12ihipStream_tbEUlT_E1_NS1_11comp_targetILNS1_3genE4ELNS1_11target_archE910ELNS1_3gpuE8ELNS1_3repE0EEENS1_30default_config_static_selectorELNS0_4arch9wavefront6targetE0EEEvSK_: ; @_ZN7rocprim17ROCPRIM_400000_NS6detail17trampoline_kernelINS0_14default_configENS1_22reduce_config_selectorIN6thrust23THRUST_200600_302600_NS5tupleIblNS6_9null_typeES8_S8_S8_S8_S8_S8_S8_EEEEZNS1_11reduce_implILb1ES3_PS9_SC_S9_NS6_11hip_rocprim9__find_if7functorIS9_EEEE10hipError_tPvRmT1_T2_T3_mT4_P12ihipStream_tbEUlT_E1_NS1_11comp_targetILNS1_3genE4ELNS1_11target_archE910ELNS1_3gpuE8ELNS1_3repE0EEENS1_30default_config_static_selectorELNS0_4arch9wavefront6targetE0EEEvSK_
; %bb.0:
	.section	.rodata,"a",@progbits
	.p2align	6, 0x0
	.amdhsa_kernel _ZN7rocprim17ROCPRIM_400000_NS6detail17trampoline_kernelINS0_14default_configENS1_22reduce_config_selectorIN6thrust23THRUST_200600_302600_NS5tupleIblNS6_9null_typeES8_S8_S8_S8_S8_S8_S8_EEEEZNS1_11reduce_implILb1ES3_PS9_SC_S9_NS6_11hip_rocprim9__find_if7functorIS9_EEEE10hipError_tPvRmT1_T2_T3_mT4_P12ihipStream_tbEUlT_E1_NS1_11comp_targetILNS1_3genE4ELNS1_11target_archE910ELNS1_3gpuE8ELNS1_3repE0EEENS1_30default_config_static_selectorELNS0_4arch9wavefront6targetE0EEEvSK_
		.amdhsa_group_segment_fixed_size 0
		.amdhsa_private_segment_fixed_size 0
		.amdhsa_kernarg_size 56
		.amdhsa_user_sgpr_count 15
		.amdhsa_user_sgpr_dispatch_ptr 0
		.amdhsa_user_sgpr_queue_ptr 0
		.amdhsa_user_sgpr_kernarg_segment_ptr 1
		.amdhsa_user_sgpr_dispatch_id 0
		.amdhsa_user_sgpr_private_segment_size 0
		.amdhsa_wavefront_size32 1
		.amdhsa_uses_dynamic_stack 0
		.amdhsa_enable_private_segment 0
		.amdhsa_system_sgpr_workgroup_id_x 1
		.amdhsa_system_sgpr_workgroup_id_y 0
		.amdhsa_system_sgpr_workgroup_id_z 0
		.amdhsa_system_sgpr_workgroup_info 0
		.amdhsa_system_vgpr_workitem_id 0
		.amdhsa_next_free_vgpr 1
		.amdhsa_next_free_sgpr 1
		.amdhsa_reserve_vcc 0
		.amdhsa_float_round_mode_32 0
		.amdhsa_float_round_mode_16_64 0
		.amdhsa_float_denorm_mode_32 3
		.amdhsa_float_denorm_mode_16_64 3
		.amdhsa_dx10_clamp 1
		.amdhsa_ieee_mode 1
		.amdhsa_fp16_overflow 0
		.amdhsa_workgroup_processor_mode 1
		.amdhsa_memory_ordered 1
		.amdhsa_forward_progress 0
		.amdhsa_shared_vgpr_count 0
		.amdhsa_exception_fp_ieee_invalid_op 0
		.amdhsa_exception_fp_denorm_src 0
		.amdhsa_exception_fp_ieee_div_zero 0
		.amdhsa_exception_fp_ieee_overflow 0
		.amdhsa_exception_fp_ieee_underflow 0
		.amdhsa_exception_fp_ieee_inexact 0
		.amdhsa_exception_int_div_zero 0
	.end_amdhsa_kernel
	.section	.text._ZN7rocprim17ROCPRIM_400000_NS6detail17trampoline_kernelINS0_14default_configENS1_22reduce_config_selectorIN6thrust23THRUST_200600_302600_NS5tupleIblNS6_9null_typeES8_S8_S8_S8_S8_S8_S8_EEEEZNS1_11reduce_implILb1ES3_PS9_SC_S9_NS6_11hip_rocprim9__find_if7functorIS9_EEEE10hipError_tPvRmT1_T2_T3_mT4_P12ihipStream_tbEUlT_E1_NS1_11comp_targetILNS1_3genE4ELNS1_11target_archE910ELNS1_3gpuE8ELNS1_3repE0EEENS1_30default_config_static_selectorELNS0_4arch9wavefront6targetE0EEEvSK_,"axG",@progbits,_ZN7rocprim17ROCPRIM_400000_NS6detail17trampoline_kernelINS0_14default_configENS1_22reduce_config_selectorIN6thrust23THRUST_200600_302600_NS5tupleIblNS6_9null_typeES8_S8_S8_S8_S8_S8_S8_EEEEZNS1_11reduce_implILb1ES3_PS9_SC_S9_NS6_11hip_rocprim9__find_if7functorIS9_EEEE10hipError_tPvRmT1_T2_T3_mT4_P12ihipStream_tbEUlT_E1_NS1_11comp_targetILNS1_3genE4ELNS1_11target_archE910ELNS1_3gpuE8ELNS1_3repE0EEENS1_30default_config_static_selectorELNS0_4arch9wavefront6targetE0EEEvSK_,comdat
.Lfunc_end16:
	.size	_ZN7rocprim17ROCPRIM_400000_NS6detail17trampoline_kernelINS0_14default_configENS1_22reduce_config_selectorIN6thrust23THRUST_200600_302600_NS5tupleIblNS6_9null_typeES8_S8_S8_S8_S8_S8_S8_EEEEZNS1_11reduce_implILb1ES3_PS9_SC_S9_NS6_11hip_rocprim9__find_if7functorIS9_EEEE10hipError_tPvRmT1_T2_T3_mT4_P12ihipStream_tbEUlT_E1_NS1_11comp_targetILNS1_3genE4ELNS1_11target_archE910ELNS1_3gpuE8ELNS1_3repE0EEENS1_30default_config_static_selectorELNS0_4arch9wavefront6targetE0EEEvSK_, .Lfunc_end16-_ZN7rocprim17ROCPRIM_400000_NS6detail17trampoline_kernelINS0_14default_configENS1_22reduce_config_selectorIN6thrust23THRUST_200600_302600_NS5tupleIblNS6_9null_typeES8_S8_S8_S8_S8_S8_S8_EEEEZNS1_11reduce_implILb1ES3_PS9_SC_S9_NS6_11hip_rocprim9__find_if7functorIS9_EEEE10hipError_tPvRmT1_T2_T3_mT4_P12ihipStream_tbEUlT_E1_NS1_11comp_targetILNS1_3genE4ELNS1_11target_archE910ELNS1_3gpuE8ELNS1_3repE0EEENS1_30default_config_static_selectorELNS0_4arch9wavefront6targetE0EEEvSK_
                                        ; -- End function
	.section	.AMDGPU.csdata,"",@progbits
; Kernel info:
; codeLenInByte = 0
; NumSgprs: 0
; NumVgprs: 0
; ScratchSize: 0
; MemoryBound: 0
; FloatMode: 240
; IeeeMode: 1
; LDSByteSize: 0 bytes/workgroup (compile time only)
; SGPRBlocks: 0
; VGPRBlocks: 0
; NumSGPRsForWavesPerEU: 1
; NumVGPRsForWavesPerEU: 1
; Occupancy: 16
; WaveLimiterHint : 0
; COMPUTE_PGM_RSRC2:SCRATCH_EN: 0
; COMPUTE_PGM_RSRC2:USER_SGPR: 15
; COMPUTE_PGM_RSRC2:TRAP_HANDLER: 0
; COMPUTE_PGM_RSRC2:TGID_X_EN: 1
; COMPUTE_PGM_RSRC2:TGID_Y_EN: 0
; COMPUTE_PGM_RSRC2:TGID_Z_EN: 0
; COMPUTE_PGM_RSRC2:TIDIG_COMP_CNT: 0
	.section	.text._ZN7rocprim17ROCPRIM_400000_NS6detail17trampoline_kernelINS0_14default_configENS1_22reduce_config_selectorIN6thrust23THRUST_200600_302600_NS5tupleIblNS6_9null_typeES8_S8_S8_S8_S8_S8_S8_EEEEZNS1_11reduce_implILb1ES3_PS9_SC_S9_NS6_11hip_rocprim9__find_if7functorIS9_EEEE10hipError_tPvRmT1_T2_T3_mT4_P12ihipStream_tbEUlT_E1_NS1_11comp_targetILNS1_3genE3ELNS1_11target_archE908ELNS1_3gpuE7ELNS1_3repE0EEENS1_30default_config_static_selectorELNS0_4arch9wavefront6targetE0EEEvSK_,"axG",@progbits,_ZN7rocprim17ROCPRIM_400000_NS6detail17trampoline_kernelINS0_14default_configENS1_22reduce_config_selectorIN6thrust23THRUST_200600_302600_NS5tupleIblNS6_9null_typeES8_S8_S8_S8_S8_S8_S8_EEEEZNS1_11reduce_implILb1ES3_PS9_SC_S9_NS6_11hip_rocprim9__find_if7functorIS9_EEEE10hipError_tPvRmT1_T2_T3_mT4_P12ihipStream_tbEUlT_E1_NS1_11comp_targetILNS1_3genE3ELNS1_11target_archE908ELNS1_3gpuE7ELNS1_3repE0EEENS1_30default_config_static_selectorELNS0_4arch9wavefront6targetE0EEEvSK_,comdat
	.protected	_ZN7rocprim17ROCPRIM_400000_NS6detail17trampoline_kernelINS0_14default_configENS1_22reduce_config_selectorIN6thrust23THRUST_200600_302600_NS5tupleIblNS6_9null_typeES8_S8_S8_S8_S8_S8_S8_EEEEZNS1_11reduce_implILb1ES3_PS9_SC_S9_NS6_11hip_rocprim9__find_if7functorIS9_EEEE10hipError_tPvRmT1_T2_T3_mT4_P12ihipStream_tbEUlT_E1_NS1_11comp_targetILNS1_3genE3ELNS1_11target_archE908ELNS1_3gpuE7ELNS1_3repE0EEENS1_30default_config_static_selectorELNS0_4arch9wavefront6targetE0EEEvSK_ ; -- Begin function _ZN7rocprim17ROCPRIM_400000_NS6detail17trampoline_kernelINS0_14default_configENS1_22reduce_config_selectorIN6thrust23THRUST_200600_302600_NS5tupleIblNS6_9null_typeES8_S8_S8_S8_S8_S8_S8_EEEEZNS1_11reduce_implILb1ES3_PS9_SC_S9_NS6_11hip_rocprim9__find_if7functorIS9_EEEE10hipError_tPvRmT1_T2_T3_mT4_P12ihipStream_tbEUlT_E1_NS1_11comp_targetILNS1_3genE3ELNS1_11target_archE908ELNS1_3gpuE7ELNS1_3repE0EEENS1_30default_config_static_selectorELNS0_4arch9wavefront6targetE0EEEvSK_
	.globl	_ZN7rocprim17ROCPRIM_400000_NS6detail17trampoline_kernelINS0_14default_configENS1_22reduce_config_selectorIN6thrust23THRUST_200600_302600_NS5tupleIblNS6_9null_typeES8_S8_S8_S8_S8_S8_S8_EEEEZNS1_11reduce_implILb1ES3_PS9_SC_S9_NS6_11hip_rocprim9__find_if7functorIS9_EEEE10hipError_tPvRmT1_T2_T3_mT4_P12ihipStream_tbEUlT_E1_NS1_11comp_targetILNS1_3genE3ELNS1_11target_archE908ELNS1_3gpuE7ELNS1_3repE0EEENS1_30default_config_static_selectorELNS0_4arch9wavefront6targetE0EEEvSK_
	.p2align	8
	.type	_ZN7rocprim17ROCPRIM_400000_NS6detail17trampoline_kernelINS0_14default_configENS1_22reduce_config_selectorIN6thrust23THRUST_200600_302600_NS5tupleIblNS6_9null_typeES8_S8_S8_S8_S8_S8_S8_EEEEZNS1_11reduce_implILb1ES3_PS9_SC_S9_NS6_11hip_rocprim9__find_if7functorIS9_EEEE10hipError_tPvRmT1_T2_T3_mT4_P12ihipStream_tbEUlT_E1_NS1_11comp_targetILNS1_3genE3ELNS1_11target_archE908ELNS1_3gpuE7ELNS1_3repE0EEENS1_30default_config_static_selectorELNS0_4arch9wavefront6targetE0EEEvSK_,@function
_ZN7rocprim17ROCPRIM_400000_NS6detail17trampoline_kernelINS0_14default_configENS1_22reduce_config_selectorIN6thrust23THRUST_200600_302600_NS5tupleIblNS6_9null_typeES8_S8_S8_S8_S8_S8_S8_EEEEZNS1_11reduce_implILb1ES3_PS9_SC_S9_NS6_11hip_rocprim9__find_if7functorIS9_EEEE10hipError_tPvRmT1_T2_T3_mT4_P12ihipStream_tbEUlT_E1_NS1_11comp_targetILNS1_3genE3ELNS1_11target_archE908ELNS1_3gpuE7ELNS1_3repE0EEENS1_30default_config_static_selectorELNS0_4arch9wavefront6targetE0EEEvSK_: ; @_ZN7rocprim17ROCPRIM_400000_NS6detail17trampoline_kernelINS0_14default_configENS1_22reduce_config_selectorIN6thrust23THRUST_200600_302600_NS5tupleIblNS6_9null_typeES8_S8_S8_S8_S8_S8_S8_EEEEZNS1_11reduce_implILb1ES3_PS9_SC_S9_NS6_11hip_rocprim9__find_if7functorIS9_EEEE10hipError_tPvRmT1_T2_T3_mT4_P12ihipStream_tbEUlT_E1_NS1_11comp_targetILNS1_3genE3ELNS1_11target_archE908ELNS1_3gpuE7ELNS1_3repE0EEENS1_30default_config_static_selectorELNS0_4arch9wavefront6targetE0EEEvSK_
; %bb.0:
	.section	.rodata,"a",@progbits
	.p2align	6, 0x0
	.amdhsa_kernel _ZN7rocprim17ROCPRIM_400000_NS6detail17trampoline_kernelINS0_14default_configENS1_22reduce_config_selectorIN6thrust23THRUST_200600_302600_NS5tupleIblNS6_9null_typeES8_S8_S8_S8_S8_S8_S8_EEEEZNS1_11reduce_implILb1ES3_PS9_SC_S9_NS6_11hip_rocprim9__find_if7functorIS9_EEEE10hipError_tPvRmT1_T2_T3_mT4_P12ihipStream_tbEUlT_E1_NS1_11comp_targetILNS1_3genE3ELNS1_11target_archE908ELNS1_3gpuE7ELNS1_3repE0EEENS1_30default_config_static_selectorELNS0_4arch9wavefront6targetE0EEEvSK_
		.amdhsa_group_segment_fixed_size 0
		.amdhsa_private_segment_fixed_size 0
		.amdhsa_kernarg_size 56
		.amdhsa_user_sgpr_count 15
		.amdhsa_user_sgpr_dispatch_ptr 0
		.amdhsa_user_sgpr_queue_ptr 0
		.amdhsa_user_sgpr_kernarg_segment_ptr 1
		.amdhsa_user_sgpr_dispatch_id 0
		.amdhsa_user_sgpr_private_segment_size 0
		.amdhsa_wavefront_size32 1
		.amdhsa_uses_dynamic_stack 0
		.amdhsa_enable_private_segment 0
		.amdhsa_system_sgpr_workgroup_id_x 1
		.amdhsa_system_sgpr_workgroup_id_y 0
		.amdhsa_system_sgpr_workgroup_id_z 0
		.amdhsa_system_sgpr_workgroup_info 0
		.amdhsa_system_vgpr_workitem_id 0
		.amdhsa_next_free_vgpr 1
		.amdhsa_next_free_sgpr 1
		.amdhsa_reserve_vcc 0
		.amdhsa_float_round_mode_32 0
		.amdhsa_float_round_mode_16_64 0
		.amdhsa_float_denorm_mode_32 3
		.amdhsa_float_denorm_mode_16_64 3
		.amdhsa_dx10_clamp 1
		.amdhsa_ieee_mode 1
		.amdhsa_fp16_overflow 0
		.amdhsa_workgroup_processor_mode 1
		.amdhsa_memory_ordered 1
		.amdhsa_forward_progress 0
		.amdhsa_shared_vgpr_count 0
		.amdhsa_exception_fp_ieee_invalid_op 0
		.amdhsa_exception_fp_denorm_src 0
		.amdhsa_exception_fp_ieee_div_zero 0
		.amdhsa_exception_fp_ieee_overflow 0
		.amdhsa_exception_fp_ieee_underflow 0
		.amdhsa_exception_fp_ieee_inexact 0
		.amdhsa_exception_int_div_zero 0
	.end_amdhsa_kernel
	.section	.text._ZN7rocprim17ROCPRIM_400000_NS6detail17trampoline_kernelINS0_14default_configENS1_22reduce_config_selectorIN6thrust23THRUST_200600_302600_NS5tupleIblNS6_9null_typeES8_S8_S8_S8_S8_S8_S8_EEEEZNS1_11reduce_implILb1ES3_PS9_SC_S9_NS6_11hip_rocprim9__find_if7functorIS9_EEEE10hipError_tPvRmT1_T2_T3_mT4_P12ihipStream_tbEUlT_E1_NS1_11comp_targetILNS1_3genE3ELNS1_11target_archE908ELNS1_3gpuE7ELNS1_3repE0EEENS1_30default_config_static_selectorELNS0_4arch9wavefront6targetE0EEEvSK_,"axG",@progbits,_ZN7rocprim17ROCPRIM_400000_NS6detail17trampoline_kernelINS0_14default_configENS1_22reduce_config_selectorIN6thrust23THRUST_200600_302600_NS5tupleIblNS6_9null_typeES8_S8_S8_S8_S8_S8_S8_EEEEZNS1_11reduce_implILb1ES3_PS9_SC_S9_NS6_11hip_rocprim9__find_if7functorIS9_EEEE10hipError_tPvRmT1_T2_T3_mT4_P12ihipStream_tbEUlT_E1_NS1_11comp_targetILNS1_3genE3ELNS1_11target_archE908ELNS1_3gpuE7ELNS1_3repE0EEENS1_30default_config_static_selectorELNS0_4arch9wavefront6targetE0EEEvSK_,comdat
.Lfunc_end17:
	.size	_ZN7rocprim17ROCPRIM_400000_NS6detail17trampoline_kernelINS0_14default_configENS1_22reduce_config_selectorIN6thrust23THRUST_200600_302600_NS5tupleIblNS6_9null_typeES8_S8_S8_S8_S8_S8_S8_EEEEZNS1_11reduce_implILb1ES3_PS9_SC_S9_NS6_11hip_rocprim9__find_if7functorIS9_EEEE10hipError_tPvRmT1_T2_T3_mT4_P12ihipStream_tbEUlT_E1_NS1_11comp_targetILNS1_3genE3ELNS1_11target_archE908ELNS1_3gpuE7ELNS1_3repE0EEENS1_30default_config_static_selectorELNS0_4arch9wavefront6targetE0EEEvSK_, .Lfunc_end17-_ZN7rocprim17ROCPRIM_400000_NS6detail17trampoline_kernelINS0_14default_configENS1_22reduce_config_selectorIN6thrust23THRUST_200600_302600_NS5tupleIblNS6_9null_typeES8_S8_S8_S8_S8_S8_S8_EEEEZNS1_11reduce_implILb1ES3_PS9_SC_S9_NS6_11hip_rocprim9__find_if7functorIS9_EEEE10hipError_tPvRmT1_T2_T3_mT4_P12ihipStream_tbEUlT_E1_NS1_11comp_targetILNS1_3genE3ELNS1_11target_archE908ELNS1_3gpuE7ELNS1_3repE0EEENS1_30default_config_static_selectorELNS0_4arch9wavefront6targetE0EEEvSK_
                                        ; -- End function
	.section	.AMDGPU.csdata,"",@progbits
; Kernel info:
; codeLenInByte = 0
; NumSgprs: 0
; NumVgprs: 0
; ScratchSize: 0
; MemoryBound: 0
; FloatMode: 240
; IeeeMode: 1
; LDSByteSize: 0 bytes/workgroup (compile time only)
; SGPRBlocks: 0
; VGPRBlocks: 0
; NumSGPRsForWavesPerEU: 1
; NumVGPRsForWavesPerEU: 1
; Occupancy: 16
; WaveLimiterHint : 0
; COMPUTE_PGM_RSRC2:SCRATCH_EN: 0
; COMPUTE_PGM_RSRC2:USER_SGPR: 15
; COMPUTE_PGM_RSRC2:TRAP_HANDLER: 0
; COMPUTE_PGM_RSRC2:TGID_X_EN: 1
; COMPUTE_PGM_RSRC2:TGID_Y_EN: 0
; COMPUTE_PGM_RSRC2:TGID_Z_EN: 0
; COMPUTE_PGM_RSRC2:TIDIG_COMP_CNT: 0
	.section	.text._ZN7rocprim17ROCPRIM_400000_NS6detail17trampoline_kernelINS0_14default_configENS1_22reduce_config_selectorIN6thrust23THRUST_200600_302600_NS5tupleIblNS6_9null_typeES8_S8_S8_S8_S8_S8_S8_EEEEZNS1_11reduce_implILb1ES3_PS9_SC_S9_NS6_11hip_rocprim9__find_if7functorIS9_EEEE10hipError_tPvRmT1_T2_T3_mT4_P12ihipStream_tbEUlT_E1_NS1_11comp_targetILNS1_3genE2ELNS1_11target_archE906ELNS1_3gpuE6ELNS1_3repE0EEENS1_30default_config_static_selectorELNS0_4arch9wavefront6targetE0EEEvSK_,"axG",@progbits,_ZN7rocprim17ROCPRIM_400000_NS6detail17trampoline_kernelINS0_14default_configENS1_22reduce_config_selectorIN6thrust23THRUST_200600_302600_NS5tupleIblNS6_9null_typeES8_S8_S8_S8_S8_S8_S8_EEEEZNS1_11reduce_implILb1ES3_PS9_SC_S9_NS6_11hip_rocprim9__find_if7functorIS9_EEEE10hipError_tPvRmT1_T2_T3_mT4_P12ihipStream_tbEUlT_E1_NS1_11comp_targetILNS1_3genE2ELNS1_11target_archE906ELNS1_3gpuE6ELNS1_3repE0EEENS1_30default_config_static_selectorELNS0_4arch9wavefront6targetE0EEEvSK_,comdat
	.protected	_ZN7rocprim17ROCPRIM_400000_NS6detail17trampoline_kernelINS0_14default_configENS1_22reduce_config_selectorIN6thrust23THRUST_200600_302600_NS5tupleIblNS6_9null_typeES8_S8_S8_S8_S8_S8_S8_EEEEZNS1_11reduce_implILb1ES3_PS9_SC_S9_NS6_11hip_rocprim9__find_if7functorIS9_EEEE10hipError_tPvRmT1_T2_T3_mT4_P12ihipStream_tbEUlT_E1_NS1_11comp_targetILNS1_3genE2ELNS1_11target_archE906ELNS1_3gpuE6ELNS1_3repE0EEENS1_30default_config_static_selectorELNS0_4arch9wavefront6targetE0EEEvSK_ ; -- Begin function _ZN7rocprim17ROCPRIM_400000_NS6detail17trampoline_kernelINS0_14default_configENS1_22reduce_config_selectorIN6thrust23THRUST_200600_302600_NS5tupleIblNS6_9null_typeES8_S8_S8_S8_S8_S8_S8_EEEEZNS1_11reduce_implILb1ES3_PS9_SC_S9_NS6_11hip_rocprim9__find_if7functorIS9_EEEE10hipError_tPvRmT1_T2_T3_mT4_P12ihipStream_tbEUlT_E1_NS1_11comp_targetILNS1_3genE2ELNS1_11target_archE906ELNS1_3gpuE6ELNS1_3repE0EEENS1_30default_config_static_selectorELNS0_4arch9wavefront6targetE0EEEvSK_
	.globl	_ZN7rocprim17ROCPRIM_400000_NS6detail17trampoline_kernelINS0_14default_configENS1_22reduce_config_selectorIN6thrust23THRUST_200600_302600_NS5tupleIblNS6_9null_typeES8_S8_S8_S8_S8_S8_S8_EEEEZNS1_11reduce_implILb1ES3_PS9_SC_S9_NS6_11hip_rocprim9__find_if7functorIS9_EEEE10hipError_tPvRmT1_T2_T3_mT4_P12ihipStream_tbEUlT_E1_NS1_11comp_targetILNS1_3genE2ELNS1_11target_archE906ELNS1_3gpuE6ELNS1_3repE0EEENS1_30default_config_static_selectorELNS0_4arch9wavefront6targetE0EEEvSK_
	.p2align	8
	.type	_ZN7rocprim17ROCPRIM_400000_NS6detail17trampoline_kernelINS0_14default_configENS1_22reduce_config_selectorIN6thrust23THRUST_200600_302600_NS5tupleIblNS6_9null_typeES8_S8_S8_S8_S8_S8_S8_EEEEZNS1_11reduce_implILb1ES3_PS9_SC_S9_NS6_11hip_rocprim9__find_if7functorIS9_EEEE10hipError_tPvRmT1_T2_T3_mT4_P12ihipStream_tbEUlT_E1_NS1_11comp_targetILNS1_3genE2ELNS1_11target_archE906ELNS1_3gpuE6ELNS1_3repE0EEENS1_30default_config_static_selectorELNS0_4arch9wavefront6targetE0EEEvSK_,@function
_ZN7rocprim17ROCPRIM_400000_NS6detail17trampoline_kernelINS0_14default_configENS1_22reduce_config_selectorIN6thrust23THRUST_200600_302600_NS5tupleIblNS6_9null_typeES8_S8_S8_S8_S8_S8_S8_EEEEZNS1_11reduce_implILb1ES3_PS9_SC_S9_NS6_11hip_rocprim9__find_if7functorIS9_EEEE10hipError_tPvRmT1_T2_T3_mT4_P12ihipStream_tbEUlT_E1_NS1_11comp_targetILNS1_3genE2ELNS1_11target_archE906ELNS1_3gpuE6ELNS1_3repE0EEENS1_30default_config_static_selectorELNS0_4arch9wavefront6targetE0EEEvSK_: ; @_ZN7rocprim17ROCPRIM_400000_NS6detail17trampoline_kernelINS0_14default_configENS1_22reduce_config_selectorIN6thrust23THRUST_200600_302600_NS5tupleIblNS6_9null_typeES8_S8_S8_S8_S8_S8_S8_EEEEZNS1_11reduce_implILb1ES3_PS9_SC_S9_NS6_11hip_rocprim9__find_if7functorIS9_EEEE10hipError_tPvRmT1_T2_T3_mT4_P12ihipStream_tbEUlT_E1_NS1_11comp_targetILNS1_3genE2ELNS1_11target_archE906ELNS1_3gpuE6ELNS1_3repE0EEENS1_30default_config_static_selectorELNS0_4arch9wavefront6targetE0EEEvSK_
; %bb.0:
	.section	.rodata,"a",@progbits
	.p2align	6, 0x0
	.amdhsa_kernel _ZN7rocprim17ROCPRIM_400000_NS6detail17trampoline_kernelINS0_14default_configENS1_22reduce_config_selectorIN6thrust23THRUST_200600_302600_NS5tupleIblNS6_9null_typeES8_S8_S8_S8_S8_S8_S8_EEEEZNS1_11reduce_implILb1ES3_PS9_SC_S9_NS6_11hip_rocprim9__find_if7functorIS9_EEEE10hipError_tPvRmT1_T2_T3_mT4_P12ihipStream_tbEUlT_E1_NS1_11comp_targetILNS1_3genE2ELNS1_11target_archE906ELNS1_3gpuE6ELNS1_3repE0EEENS1_30default_config_static_selectorELNS0_4arch9wavefront6targetE0EEEvSK_
		.amdhsa_group_segment_fixed_size 0
		.amdhsa_private_segment_fixed_size 0
		.amdhsa_kernarg_size 56
		.amdhsa_user_sgpr_count 15
		.amdhsa_user_sgpr_dispatch_ptr 0
		.amdhsa_user_sgpr_queue_ptr 0
		.amdhsa_user_sgpr_kernarg_segment_ptr 1
		.amdhsa_user_sgpr_dispatch_id 0
		.amdhsa_user_sgpr_private_segment_size 0
		.amdhsa_wavefront_size32 1
		.amdhsa_uses_dynamic_stack 0
		.amdhsa_enable_private_segment 0
		.amdhsa_system_sgpr_workgroup_id_x 1
		.amdhsa_system_sgpr_workgroup_id_y 0
		.amdhsa_system_sgpr_workgroup_id_z 0
		.amdhsa_system_sgpr_workgroup_info 0
		.amdhsa_system_vgpr_workitem_id 0
		.amdhsa_next_free_vgpr 1
		.amdhsa_next_free_sgpr 1
		.amdhsa_reserve_vcc 0
		.amdhsa_float_round_mode_32 0
		.amdhsa_float_round_mode_16_64 0
		.amdhsa_float_denorm_mode_32 3
		.amdhsa_float_denorm_mode_16_64 3
		.amdhsa_dx10_clamp 1
		.amdhsa_ieee_mode 1
		.amdhsa_fp16_overflow 0
		.amdhsa_workgroup_processor_mode 1
		.amdhsa_memory_ordered 1
		.amdhsa_forward_progress 0
		.amdhsa_shared_vgpr_count 0
		.amdhsa_exception_fp_ieee_invalid_op 0
		.amdhsa_exception_fp_denorm_src 0
		.amdhsa_exception_fp_ieee_div_zero 0
		.amdhsa_exception_fp_ieee_overflow 0
		.amdhsa_exception_fp_ieee_underflow 0
		.amdhsa_exception_fp_ieee_inexact 0
		.amdhsa_exception_int_div_zero 0
	.end_amdhsa_kernel
	.section	.text._ZN7rocprim17ROCPRIM_400000_NS6detail17trampoline_kernelINS0_14default_configENS1_22reduce_config_selectorIN6thrust23THRUST_200600_302600_NS5tupleIblNS6_9null_typeES8_S8_S8_S8_S8_S8_S8_EEEEZNS1_11reduce_implILb1ES3_PS9_SC_S9_NS6_11hip_rocprim9__find_if7functorIS9_EEEE10hipError_tPvRmT1_T2_T3_mT4_P12ihipStream_tbEUlT_E1_NS1_11comp_targetILNS1_3genE2ELNS1_11target_archE906ELNS1_3gpuE6ELNS1_3repE0EEENS1_30default_config_static_selectorELNS0_4arch9wavefront6targetE0EEEvSK_,"axG",@progbits,_ZN7rocprim17ROCPRIM_400000_NS6detail17trampoline_kernelINS0_14default_configENS1_22reduce_config_selectorIN6thrust23THRUST_200600_302600_NS5tupleIblNS6_9null_typeES8_S8_S8_S8_S8_S8_S8_EEEEZNS1_11reduce_implILb1ES3_PS9_SC_S9_NS6_11hip_rocprim9__find_if7functorIS9_EEEE10hipError_tPvRmT1_T2_T3_mT4_P12ihipStream_tbEUlT_E1_NS1_11comp_targetILNS1_3genE2ELNS1_11target_archE906ELNS1_3gpuE6ELNS1_3repE0EEENS1_30default_config_static_selectorELNS0_4arch9wavefront6targetE0EEEvSK_,comdat
.Lfunc_end18:
	.size	_ZN7rocprim17ROCPRIM_400000_NS6detail17trampoline_kernelINS0_14default_configENS1_22reduce_config_selectorIN6thrust23THRUST_200600_302600_NS5tupleIblNS6_9null_typeES8_S8_S8_S8_S8_S8_S8_EEEEZNS1_11reduce_implILb1ES3_PS9_SC_S9_NS6_11hip_rocprim9__find_if7functorIS9_EEEE10hipError_tPvRmT1_T2_T3_mT4_P12ihipStream_tbEUlT_E1_NS1_11comp_targetILNS1_3genE2ELNS1_11target_archE906ELNS1_3gpuE6ELNS1_3repE0EEENS1_30default_config_static_selectorELNS0_4arch9wavefront6targetE0EEEvSK_, .Lfunc_end18-_ZN7rocprim17ROCPRIM_400000_NS6detail17trampoline_kernelINS0_14default_configENS1_22reduce_config_selectorIN6thrust23THRUST_200600_302600_NS5tupleIblNS6_9null_typeES8_S8_S8_S8_S8_S8_S8_EEEEZNS1_11reduce_implILb1ES3_PS9_SC_S9_NS6_11hip_rocprim9__find_if7functorIS9_EEEE10hipError_tPvRmT1_T2_T3_mT4_P12ihipStream_tbEUlT_E1_NS1_11comp_targetILNS1_3genE2ELNS1_11target_archE906ELNS1_3gpuE6ELNS1_3repE0EEENS1_30default_config_static_selectorELNS0_4arch9wavefront6targetE0EEEvSK_
                                        ; -- End function
	.section	.AMDGPU.csdata,"",@progbits
; Kernel info:
; codeLenInByte = 0
; NumSgprs: 0
; NumVgprs: 0
; ScratchSize: 0
; MemoryBound: 0
; FloatMode: 240
; IeeeMode: 1
; LDSByteSize: 0 bytes/workgroup (compile time only)
; SGPRBlocks: 0
; VGPRBlocks: 0
; NumSGPRsForWavesPerEU: 1
; NumVGPRsForWavesPerEU: 1
; Occupancy: 16
; WaveLimiterHint : 0
; COMPUTE_PGM_RSRC2:SCRATCH_EN: 0
; COMPUTE_PGM_RSRC2:USER_SGPR: 15
; COMPUTE_PGM_RSRC2:TRAP_HANDLER: 0
; COMPUTE_PGM_RSRC2:TGID_X_EN: 1
; COMPUTE_PGM_RSRC2:TGID_Y_EN: 0
; COMPUTE_PGM_RSRC2:TGID_Z_EN: 0
; COMPUTE_PGM_RSRC2:TIDIG_COMP_CNT: 0
	.section	.text._ZN7rocprim17ROCPRIM_400000_NS6detail17trampoline_kernelINS0_14default_configENS1_22reduce_config_selectorIN6thrust23THRUST_200600_302600_NS5tupleIblNS6_9null_typeES8_S8_S8_S8_S8_S8_S8_EEEEZNS1_11reduce_implILb1ES3_PS9_SC_S9_NS6_11hip_rocprim9__find_if7functorIS9_EEEE10hipError_tPvRmT1_T2_T3_mT4_P12ihipStream_tbEUlT_E1_NS1_11comp_targetILNS1_3genE10ELNS1_11target_archE1201ELNS1_3gpuE5ELNS1_3repE0EEENS1_30default_config_static_selectorELNS0_4arch9wavefront6targetE0EEEvSK_,"axG",@progbits,_ZN7rocprim17ROCPRIM_400000_NS6detail17trampoline_kernelINS0_14default_configENS1_22reduce_config_selectorIN6thrust23THRUST_200600_302600_NS5tupleIblNS6_9null_typeES8_S8_S8_S8_S8_S8_S8_EEEEZNS1_11reduce_implILb1ES3_PS9_SC_S9_NS6_11hip_rocprim9__find_if7functorIS9_EEEE10hipError_tPvRmT1_T2_T3_mT4_P12ihipStream_tbEUlT_E1_NS1_11comp_targetILNS1_3genE10ELNS1_11target_archE1201ELNS1_3gpuE5ELNS1_3repE0EEENS1_30default_config_static_selectorELNS0_4arch9wavefront6targetE0EEEvSK_,comdat
	.protected	_ZN7rocprim17ROCPRIM_400000_NS6detail17trampoline_kernelINS0_14default_configENS1_22reduce_config_selectorIN6thrust23THRUST_200600_302600_NS5tupleIblNS6_9null_typeES8_S8_S8_S8_S8_S8_S8_EEEEZNS1_11reduce_implILb1ES3_PS9_SC_S9_NS6_11hip_rocprim9__find_if7functorIS9_EEEE10hipError_tPvRmT1_T2_T3_mT4_P12ihipStream_tbEUlT_E1_NS1_11comp_targetILNS1_3genE10ELNS1_11target_archE1201ELNS1_3gpuE5ELNS1_3repE0EEENS1_30default_config_static_selectorELNS0_4arch9wavefront6targetE0EEEvSK_ ; -- Begin function _ZN7rocprim17ROCPRIM_400000_NS6detail17trampoline_kernelINS0_14default_configENS1_22reduce_config_selectorIN6thrust23THRUST_200600_302600_NS5tupleIblNS6_9null_typeES8_S8_S8_S8_S8_S8_S8_EEEEZNS1_11reduce_implILb1ES3_PS9_SC_S9_NS6_11hip_rocprim9__find_if7functorIS9_EEEE10hipError_tPvRmT1_T2_T3_mT4_P12ihipStream_tbEUlT_E1_NS1_11comp_targetILNS1_3genE10ELNS1_11target_archE1201ELNS1_3gpuE5ELNS1_3repE0EEENS1_30default_config_static_selectorELNS0_4arch9wavefront6targetE0EEEvSK_
	.globl	_ZN7rocprim17ROCPRIM_400000_NS6detail17trampoline_kernelINS0_14default_configENS1_22reduce_config_selectorIN6thrust23THRUST_200600_302600_NS5tupleIblNS6_9null_typeES8_S8_S8_S8_S8_S8_S8_EEEEZNS1_11reduce_implILb1ES3_PS9_SC_S9_NS6_11hip_rocprim9__find_if7functorIS9_EEEE10hipError_tPvRmT1_T2_T3_mT4_P12ihipStream_tbEUlT_E1_NS1_11comp_targetILNS1_3genE10ELNS1_11target_archE1201ELNS1_3gpuE5ELNS1_3repE0EEENS1_30default_config_static_selectorELNS0_4arch9wavefront6targetE0EEEvSK_
	.p2align	8
	.type	_ZN7rocprim17ROCPRIM_400000_NS6detail17trampoline_kernelINS0_14default_configENS1_22reduce_config_selectorIN6thrust23THRUST_200600_302600_NS5tupleIblNS6_9null_typeES8_S8_S8_S8_S8_S8_S8_EEEEZNS1_11reduce_implILb1ES3_PS9_SC_S9_NS6_11hip_rocprim9__find_if7functorIS9_EEEE10hipError_tPvRmT1_T2_T3_mT4_P12ihipStream_tbEUlT_E1_NS1_11comp_targetILNS1_3genE10ELNS1_11target_archE1201ELNS1_3gpuE5ELNS1_3repE0EEENS1_30default_config_static_selectorELNS0_4arch9wavefront6targetE0EEEvSK_,@function
_ZN7rocprim17ROCPRIM_400000_NS6detail17trampoline_kernelINS0_14default_configENS1_22reduce_config_selectorIN6thrust23THRUST_200600_302600_NS5tupleIblNS6_9null_typeES8_S8_S8_S8_S8_S8_S8_EEEEZNS1_11reduce_implILb1ES3_PS9_SC_S9_NS6_11hip_rocprim9__find_if7functorIS9_EEEE10hipError_tPvRmT1_T2_T3_mT4_P12ihipStream_tbEUlT_E1_NS1_11comp_targetILNS1_3genE10ELNS1_11target_archE1201ELNS1_3gpuE5ELNS1_3repE0EEENS1_30default_config_static_selectorELNS0_4arch9wavefront6targetE0EEEvSK_: ; @_ZN7rocprim17ROCPRIM_400000_NS6detail17trampoline_kernelINS0_14default_configENS1_22reduce_config_selectorIN6thrust23THRUST_200600_302600_NS5tupleIblNS6_9null_typeES8_S8_S8_S8_S8_S8_S8_EEEEZNS1_11reduce_implILb1ES3_PS9_SC_S9_NS6_11hip_rocprim9__find_if7functorIS9_EEEE10hipError_tPvRmT1_T2_T3_mT4_P12ihipStream_tbEUlT_E1_NS1_11comp_targetILNS1_3genE10ELNS1_11target_archE1201ELNS1_3gpuE5ELNS1_3repE0EEENS1_30default_config_static_selectorELNS0_4arch9wavefront6targetE0EEEvSK_
; %bb.0:
	.section	.rodata,"a",@progbits
	.p2align	6, 0x0
	.amdhsa_kernel _ZN7rocprim17ROCPRIM_400000_NS6detail17trampoline_kernelINS0_14default_configENS1_22reduce_config_selectorIN6thrust23THRUST_200600_302600_NS5tupleIblNS6_9null_typeES8_S8_S8_S8_S8_S8_S8_EEEEZNS1_11reduce_implILb1ES3_PS9_SC_S9_NS6_11hip_rocprim9__find_if7functorIS9_EEEE10hipError_tPvRmT1_T2_T3_mT4_P12ihipStream_tbEUlT_E1_NS1_11comp_targetILNS1_3genE10ELNS1_11target_archE1201ELNS1_3gpuE5ELNS1_3repE0EEENS1_30default_config_static_selectorELNS0_4arch9wavefront6targetE0EEEvSK_
		.amdhsa_group_segment_fixed_size 0
		.amdhsa_private_segment_fixed_size 0
		.amdhsa_kernarg_size 56
		.amdhsa_user_sgpr_count 15
		.amdhsa_user_sgpr_dispatch_ptr 0
		.amdhsa_user_sgpr_queue_ptr 0
		.amdhsa_user_sgpr_kernarg_segment_ptr 1
		.amdhsa_user_sgpr_dispatch_id 0
		.amdhsa_user_sgpr_private_segment_size 0
		.amdhsa_wavefront_size32 1
		.amdhsa_uses_dynamic_stack 0
		.amdhsa_enable_private_segment 0
		.amdhsa_system_sgpr_workgroup_id_x 1
		.amdhsa_system_sgpr_workgroup_id_y 0
		.amdhsa_system_sgpr_workgroup_id_z 0
		.amdhsa_system_sgpr_workgroup_info 0
		.amdhsa_system_vgpr_workitem_id 0
		.amdhsa_next_free_vgpr 1
		.amdhsa_next_free_sgpr 1
		.amdhsa_reserve_vcc 0
		.amdhsa_float_round_mode_32 0
		.amdhsa_float_round_mode_16_64 0
		.amdhsa_float_denorm_mode_32 3
		.amdhsa_float_denorm_mode_16_64 3
		.amdhsa_dx10_clamp 1
		.amdhsa_ieee_mode 1
		.amdhsa_fp16_overflow 0
		.amdhsa_workgroup_processor_mode 1
		.amdhsa_memory_ordered 1
		.amdhsa_forward_progress 0
		.amdhsa_shared_vgpr_count 0
		.amdhsa_exception_fp_ieee_invalid_op 0
		.amdhsa_exception_fp_denorm_src 0
		.amdhsa_exception_fp_ieee_div_zero 0
		.amdhsa_exception_fp_ieee_overflow 0
		.amdhsa_exception_fp_ieee_underflow 0
		.amdhsa_exception_fp_ieee_inexact 0
		.amdhsa_exception_int_div_zero 0
	.end_amdhsa_kernel
	.section	.text._ZN7rocprim17ROCPRIM_400000_NS6detail17trampoline_kernelINS0_14default_configENS1_22reduce_config_selectorIN6thrust23THRUST_200600_302600_NS5tupleIblNS6_9null_typeES8_S8_S8_S8_S8_S8_S8_EEEEZNS1_11reduce_implILb1ES3_PS9_SC_S9_NS6_11hip_rocprim9__find_if7functorIS9_EEEE10hipError_tPvRmT1_T2_T3_mT4_P12ihipStream_tbEUlT_E1_NS1_11comp_targetILNS1_3genE10ELNS1_11target_archE1201ELNS1_3gpuE5ELNS1_3repE0EEENS1_30default_config_static_selectorELNS0_4arch9wavefront6targetE0EEEvSK_,"axG",@progbits,_ZN7rocprim17ROCPRIM_400000_NS6detail17trampoline_kernelINS0_14default_configENS1_22reduce_config_selectorIN6thrust23THRUST_200600_302600_NS5tupleIblNS6_9null_typeES8_S8_S8_S8_S8_S8_S8_EEEEZNS1_11reduce_implILb1ES3_PS9_SC_S9_NS6_11hip_rocprim9__find_if7functorIS9_EEEE10hipError_tPvRmT1_T2_T3_mT4_P12ihipStream_tbEUlT_E1_NS1_11comp_targetILNS1_3genE10ELNS1_11target_archE1201ELNS1_3gpuE5ELNS1_3repE0EEENS1_30default_config_static_selectorELNS0_4arch9wavefront6targetE0EEEvSK_,comdat
.Lfunc_end19:
	.size	_ZN7rocprim17ROCPRIM_400000_NS6detail17trampoline_kernelINS0_14default_configENS1_22reduce_config_selectorIN6thrust23THRUST_200600_302600_NS5tupleIblNS6_9null_typeES8_S8_S8_S8_S8_S8_S8_EEEEZNS1_11reduce_implILb1ES3_PS9_SC_S9_NS6_11hip_rocprim9__find_if7functorIS9_EEEE10hipError_tPvRmT1_T2_T3_mT4_P12ihipStream_tbEUlT_E1_NS1_11comp_targetILNS1_3genE10ELNS1_11target_archE1201ELNS1_3gpuE5ELNS1_3repE0EEENS1_30default_config_static_selectorELNS0_4arch9wavefront6targetE0EEEvSK_, .Lfunc_end19-_ZN7rocprim17ROCPRIM_400000_NS6detail17trampoline_kernelINS0_14default_configENS1_22reduce_config_selectorIN6thrust23THRUST_200600_302600_NS5tupleIblNS6_9null_typeES8_S8_S8_S8_S8_S8_S8_EEEEZNS1_11reduce_implILb1ES3_PS9_SC_S9_NS6_11hip_rocprim9__find_if7functorIS9_EEEE10hipError_tPvRmT1_T2_T3_mT4_P12ihipStream_tbEUlT_E1_NS1_11comp_targetILNS1_3genE10ELNS1_11target_archE1201ELNS1_3gpuE5ELNS1_3repE0EEENS1_30default_config_static_selectorELNS0_4arch9wavefront6targetE0EEEvSK_
                                        ; -- End function
	.section	.AMDGPU.csdata,"",@progbits
; Kernel info:
; codeLenInByte = 0
; NumSgprs: 0
; NumVgprs: 0
; ScratchSize: 0
; MemoryBound: 0
; FloatMode: 240
; IeeeMode: 1
; LDSByteSize: 0 bytes/workgroup (compile time only)
; SGPRBlocks: 0
; VGPRBlocks: 0
; NumSGPRsForWavesPerEU: 1
; NumVGPRsForWavesPerEU: 1
; Occupancy: 16
; WaveLimiterHint : 0
; COMPUTE_PGM_RSRC2:SCRATCH_EN: 0
; COMPUTE_PGM_RSRC2:USER_SGPR: 15
; COMPUTE_PGM_RSRC2:TRAP_HANDLER: 0
; COMPUTE_PGM_RSRC2:TGID_X_EN: 1
; COMPUTE_PGM_RSRC2:TGID_Y_EN: 0
; COMPUTE_PGM_RSRC2:TGID_Z_EN: 0
; COMPUTE_PGM_RSRC2:TIDIG_COMP_CNT: 0
	.section	.text._ZN7rocprim17ROCPRIM_400000_NS6detail17trampoline_kernelINS0_14default_configENS1_22reduce_config_selectorIN6thrust23THRUST_200600_302600_NS5tupleIblNS6_9null_typeES8_S8_S8_S8_S8_S8_S8_EEEEZNS1_11reduce_implILb1ES3_PS9_SC_S9_NS6_11hip_rocprim9__find_if7functorIS9_EEEE10hipError_tPvRmT1_T2_T3_mT4_P12ihipStream_tbEUlT_E1_NS1_11comp_targetILNS1_3genE10ELNS1_11target_archE1200ELNS1_3gpuE4ELNS1_3repE0EEENS1_30default_config_static_selectorELNS0_4arch9wavefront6targetE0EEEvSK_,"axG",@progbits,_ZN7rocprim17ROCPRIM_400000_NS6detail17trampoline_kernelINS0_14default_configENS1_22reduce_config_selectorIN6thrust23THRUST_200600_302600_NS5tupleIblNS6_9null_typeES8_S8_S8_S8_S8_S8_S8_EEEEZNS1_11reduce_implILb1ES3_PS9_SC_S9_NS6_11hip_rocprim9__find_if7functorIS9_EEEE10hipError_tPvRmT1_T2_T3_mT4_P12ihipStream_tbEUlT_E1_NS1_11comp_targetILNS1_3genE10ELNS1_11target_archE1200ELNS1_3gpuE4ELNS1_3repE0EEENS1_30default_config_static_selectorELNS0_4arch9wavefront6targetE0EEEvSK_,comdat
	.protected	_ZN7rocprim17ROCPRIM_400000_NS6detail17trampoline_kernelINS0_14default_configENS1_22reduce_config_selectorIN6thrust23THRUST_200600_302600_NS5tupleIblNS6_9null_typeES8_S8_S8_S8_S8_S8_S8_EEEEZNS1_11reduce_implILb1ES3_PS9_SC_S9_NS6_11hip_rocprim9__find_if7functorIS9_EEEE10hipError_tPvRmT1_T2_T3_mT4_P12ihipStream_tbEUlT_E1_NS1_11comp_targetILNS1_3genE10ELNS1_11target_archE1200ELNS1_3gpuE4ELNS1_3repE0EEENS1_30default_config_static_selectorELNS0_4arch9wavefront6targetE0EEEvSK_ ; -- Begin function _ZN7rocprim17ROCPRIM_400000_NS6detail17trampoline_kernelINS0_14default_configENS1_22reduce_config_selectorIN6thrust23THRUST_200600_302600_NS5tupleIblNS6_9null_typeES8_S8_S8_S8_S8_S8_S8_EEEEZNS1_11reduce_implILb1ES3_PS9_SC_S9_NS6_11hip_rocprim9__find_if7functorIS9_EEEE10hipError_tPvRmT1_T2_T3_mT4_P12ihipStream_tbEUlT_E1_NS1_11comp_targetILNS1_3genE10ELNS1_11target_archE1200ELNS1_3gpuE4ELNS1_3repE0EEENS1_30default_config_static_selectorELNS0_4arch9wavefront6targetE0EEEvSK_
	.globl	_ZN7rocprim17ROCPRIM_400000_NS6detail17trampoline_kernelINS0_14default_configENS1_22reduce_config_selectorIN6thrust23THRUST_200600_302600_NS5tupleIblNS6_9null_typeES8_S8_S8_S8_S8_S8_S8_EEEEZNS1_11reduce_implILb1ES3_PS9_SC_S9_NS6_11hip_rocprim9__find_if7functorIS9_EEEE10hipError_tPvRmT1_T2_T3_mT4_P12ihipStream_tbEUlT_E1_NS1_11comp_targetILNS1_3genE10ELNS1_11target_archE1200ELNS1_3gpuE4ELNS1_3repE0EEENS1_30default_config_static_selectorELNS0_4arch9wavefront6targetE0EEEvSK_
	.p2align	8
	.type	_ZN7rocprim17ROCPRIM_400000_NS6detail17trampoline_kernelINS0_14default_configENS1_22reduce_config_selectorIN6thrust23THRUST_200600_302600_NS5tupleIblNS6_9null_typeES8_S8_S8_S8_S8_S8_S8_EEEEZNS1_11reduce_implILb1ES3_PS9_SC_S9_NS6_11hip_rocprim9__find_if7functorIS9_EEEE10hipError_tPvRmT1_T2_T3_mT4_P12ihipStream_tbEUlT_E1_NS1_11comp_targetILNS1_3genE10ELNS1_11target_archE1200ELNS1_3gpuE4ELNS1_3repE0EEENS1_30default_config_static_selectorELNS0_4arch9wavefront6targetE0EEEvSK_,@function
_ZN7rocprim17ROCPRIM_400000_NS6detail17trampoline_kernelINS0_14default_configENS1_22reduce_config_selectorIN6thrust23THRUST_200600_302600_NS5tupleIblNS6_9null_typeES8_S8_S8_S8_S8_S8_S8_EEEEZNS1_11reduce_implILb1ES3_PS9_SC_S9_NS6_11hip_rocprim9__find_if7functorIS9_EEEE10hipError_tPvRmT1_T2_T3_mT4_P12ihipStream_tbEUlT_E1_NS1_11comp_targetILNS1_3genE10ELNS1_11target_archE1200ELNS1_3gpuE4ELNS1_3repE0EEENS1_30default_config_static_selectorELNS0_4arch9wavefront6targetE0EEEvSK_: ; @_ZN7rocprim17ROCPRIM_400000_NS6detail17trampoline_kernelINS0_14default_configENS1_22reduce_config_selectorIN6thrust23THRUST_200600_302600_NS5tupleIblNS6_9null_typeES8_S8_S8_S8_S8_S8_S8_EEEEZNS1_11reduce_implILb1ES3_PS9_SC_S9_NS6_11hip_rocprim9__find_if7functorIS9_EEEE10hipError_tPvRmT1_T2_T3_mT4_P12ihipStream_tbEUlT_E1_NS1_11comp_targetILNS1_3genE10ELNS1_11target_archE1200ELNS1_3gpuE4ELNS1_3repE0EEENS1_30default_config_static_selectorELNS0_4arch9wavefront6targetE0EEEvSK_
; %bb.0:
	.section	.rodata,"a",@progbits
	.p2align	6, 0x0
	.amdhsa_kernel _ZN7rocprim17ROCPRIM_400000_NS6detail17trampoline_kernelINS0_14default_configENS1_22reduce_config_selectorIN6thrust23THRUST_200600_302600_NS5tupleIblNS6_9null_typeES8_S8_S8_S8_S8_S8_S8_EEEEZNS1_11reduce_implILb1ES3_PS9_SC_S9_NS6_11hip_rocprim9__find_if7functorIS9_EEEE10hipError_tPvRmT1_T2_T3_mT4_P12ihipStream_tbEUlT_E1_NS1_11comp_targetILNS1_3genE10ELNS1_11target_archE1200ELNS1_3gpuE4ELNS1_3repE0EEENS1_30default_config_static_selectorELNS0_4arch9wavefront6targetE0EEEvSK_
		.amdhsa_group_segment_fixed_size 0
		.amdhsa_private_segment_fixed_size 0
		.amdhsa_kernarg_size 56
		.amdhsa_user_sgpr_count 15
		.amdhsa_user_sgpr_dispatch_ptr 0
		.amdhsa_user_sgpr_queue_ptr 0
		.amdhsa_user_sgpr_kernarg_segment_ptr 1
		.amdhsa_user_sgpr_dispatch_id 0
		.amdhsa_user_sgpr_private_segment_size 0
		.amdhsa_wavefront_size32 1
		.amdhsa_uses_dynamic_stack 0
		.amdhsa_enable_private_segment 0
		.amdhsa_system_sgpr_workgroup_id_x 1
		.amdhsa_system_sgpr_workgroup_id_y 0
		.amdhsa_system_sgpr_workgroup_id_z 0
		.amdhsa_system_sgpr_workgroup_info 0
		.amdhsa_system_vgpr_workitem_id 0
		.amdhsa_next_free_vgpr 1
		.amdhsa_next_free_sgpr 1
		.amdhsa_reserve_vcc 0
		.amdhsa_float_round_mode_32 0
		.amdhsa_float_round_mode_16_64 0
		.amdhsa_float_denorm_mode_32 3
		.amdhsa_float_denorm_mode_16_64 3
		.amdhsa_dx10_clamp 1
		.amdhsa_ieee_mode 1
		.amdhsa_fp16_overflow 0
		.amdhsa_workgroup_processor_mode 1
		.amdhsa_memory_ordered 1
		.amdhsa_forward_progress 0
		.amdhsa_shared_vgpr_count 0
		.amdhsa_exception_fp_ieee_invalid_op 0
		.amdhsa_exception_fp_denorm_src 0
		.amdhsa_exception_fp_ieee_div_zero 0
		.amdhsa_exception_fp_ieee_overflow 0
		.amdhsa_exception_fp_ieee_underflow 0
		.amdhsa_exception_fp_ieee_inexact 0
		.amdhsa_exception_int_div_zero 0
	.end_amdhsa_kernel
	.section	.text._ZN7rocprim17ROCPRIM_400000_NS6detail17trampoline_kernelINS0_14default_configENS1_22reduce_config_selectorIN6thrust23THRUST_200600_302600_NS5tupleIblNS6_9null_typeES8_S8_S8_S8_S8_S8_S8_EEEEZNS1_11reduce_implILb1ES3_PS9_SC_S9_NS6_11hip_rocprim9__find_if7functorIS9_EEEE10hipError_tPvRmT1_T2_T3_mT4_P12ihipStream_tbEUlT_E1_NS1_11comp_targetILNS1_3genE10ELNS1_11target_archE1200ELNS1_3gpuE4ELNS1_3repE0EEENS1_30default_config_static_selectorELNS0_4arch9wavefront6targetE0EEEvSK_,"axG",@progbits,_ZN7rocprim17ROCPRIM_400000_NS6detail17trampoline_kernelINS0_14default_configENS1_22reduce_config_selectorIN6thrust23THRUST_200600_302600_NS5tupleIblNS6_9null_typeES8_S8_S8_S8_S8_S8_S8_EEEEZNS1_11reduce_implILb1ES3_PS9_SC_S9_NS6_11hip_rocprim9__find_if7functorIS9_EEEE10hipError_tPvRmT1_T2_T3_mT4_P12ihipStream_tbEUlT_E1_NS1_11comp_targetILNS1_3genE10ELNS1_11target_archE1200ELNS1_3gpuE4ELNS1_3repE0EEENS1_30default_config_static_selectorELNS0_4arch9wavefront6targetE0EEEvSK_,comdat
.Lfunc_end20:
	.size	_ZN7rocprim17ROCPRIM_400000_NS6detail17trampoline_kernelINS0_14default_configENS1_22reduce_config_selectorIN6thrust23THRUST_200600_302600_NS5tupleIblNS6_9null_typeES8_S8_S8_S8_S8_S8_S8_EEEEZNS1_11reduce_implILb1ES3_PS9_SC_S9_NS6_11hip_rocprim9__find_if7functorIS9_EEEE10hipError_tPvRmT1_T2_T3_mT4_P12ihipStream_tbEUlT_E1_NS1_11comp_targetILNS1_3genE10ELNS1_11target_archE1200ELNS1_3gpuE4ELNS1_3repE0EEENS1_30default_config_static_selectorELNS0_4arch9wavefront6targetE0EEEvSK_, .Lfunc_end20-_ZN7rocprim17ROCPRIM_400000_NS6detail17trampoline_kernelINS0_14default_configENS1_22reduce_config_selectorIN6thrust23THRUST_200600_302600_NS5tupleIblNS6_9null_typeES8_S8_S8_S8_S8_S8_S8_EEEEZNS1_11reduce_implILb1ES3_PS9_SC_S9_NS6_11hip_rocprim9__find_if7functorIS9_EEEE10hipError_tPvRmT1_T2_T3_mT4_P12ihipStream_tbEUlT_E1_NS1_11comp_targetILNS1_3genE10ELNS1_11target_archE1200ELNS1_3gpuE4ELNS1_3repE0EEENS1_30default_config_static_selectorELNS0_4arch9wavefront6targetE0EEEvSK_
                                        ; -- End function
	.section	.AMDGPU.csdata,"",@progbits
; Kernel info:
; codeLenInByte = 0
; NumSgprs: 0
; NumVgprs: 0
; ScratchSize: 0
; MemoryBound: 0
; FloatMode: 240
; IeeeMode: 1
; LDSByteSize: 0 bytes/workgroup (compile time only)
; SGPRBlocks: 0
; VGPRBlocks: 0
; NumSGPRsForWavesPerEU: 1
; NumVGPRsForWavesPerEU: 1
; Occupancy: 16
; WaveLimiterHint : 0
; COMPUTE_PGM_RSRC2:SCRATCH_EN: 0
; COMPUTE_PGM_RSRC2:USER_SGPR: 15
; COMPUTE_PGM_RSRC2:TRAP_HANDLER: 0
; COMPUTE_PGM_RSRC2:TGID_X_EN: 1
; COMPUTE_PGM_RSRC2:TGID_Y_EN: 0
; COMPUTE_PGM_RSRC2:TGID_Z_EN: 0
; COMPUTE_PGM_RSRC2:TIDIG_COMP_CNT: 0
	.section	.text._ZN7rocprim17ROCPRIM_400000_NS6detail17trampoline_kernelINS0_14default_configENS1_22reduce_config_selectorIN6thrust23THRUST_200600_302600_NS5tupleIblNS6_9null_typeES8_S8_S8_S8_S8_S8_S8_EEEEZNS1_11reduce_implILb1ES3_PS9_SC_S9_NS6_11hip_rocprim9__find_if7functorIS9_EEEE10hipError_tPvRmT1_T2_T3_mT4_P12ihipStream_tbEUlT_E1_NS1_11comp_targetILNS1_3genE9ELNS1_11target_archE1100ELNS1_3gpuE3ELNS1_3repE0EEENS1_30default_config_static_selectorELNS0_4arch9wavefront6targetE0EEEvSK_,"axG",@progbits,_ZN7rocprim17ROCPRIM_400000_NS6detail17trampoline_kernelINS0_14default_configENS1_22reduce_config_selectorIN6thrust23THRUST_200600_302600_NS5tupleIblNS6_9null_typeES8_S8_S8_S8_S8_S8_S8_EEEEZNS1_11reduce_implILb1ES3_PS9_SC_S9_NS6_11hip_rocprim9__find_if7functorIS9_EEEE10hipError_tPvRmT1_T2_T3_mT4_P12ihipStream_tbEUlT_E1_NS1_11comp_targetILNS1_3genE9ELNS1_11target_archE1100ELNS1_3gpuE3ELNS1_3repE0EEENS1_30default_config_static_selectorELNS0_4arch9wavefront6targetE0EEEvSK_,comdat
	.protected	_ZN7rocprim17ROCPRIM_400000_NS6detail17trampoline_kernelINS0_14default_configENS1_22reduce_config_selectorIN6thrust23THRUST_200600_302600_NS5tupleIblNS6_9null_typeES8_S8_S8_S8_S8_S8_S8_EEEEZNS1_11reduce_implILb1ES3_PS9_SC_S9_NS6_11hip_rocprim9__find_if7functorIS9_EEEE10hipError_tPvRmT1_T2_T3_mT4_P12ihipStream_tbEUlT_E1_NS1_11comp_targetILNS1_3genE9ELNS1_11target_archE1100ELNS1_3gpuE3ELNS1_3repE0EEENS1_30default_config_static_selectorELNS0_4arch9wavefront6targetE0EEEvSK_ ; -- Begin function _ZN7rocprim17ROCPRIM_400000_NS6detail17trampoline_kernelINS0_14default_configENS1_22reduce_config_selectorIN6thrust23THRUST_200600_302600_NS5tupleIblNS6_9null_typeES8_S8_S8_S8_S8_S8_S8_EEEEZNS1_11reduce_implILb1ES3_PS9_SC_S9_NS6_11hip_rocprim9__find_if7functorIS9_EEEE10hipError_tPvRmT1_T2_T3_mT4_P12ihipStream_tbEUlT_E1_NS1_11comp_targetILNS1_3genE9ELNS1_11target_archE1100ELNS1_3gpuE3ELNS1_3repE0EEENS1_30default_config_static_selectorELNS0_4arch9wavefront6targetE0EEEvSK_
	.globl	_ZN7rocprim17ROCPRIM_400000_NS6detail17trampoline_kernelINS0_14default_configENS1_22reduce_config_selectorIN6thrust23THRUST_200600_302600_NS5tupleIblNS6_9null_typeES8_S8_S8_S8_S8_S8_S8_EEEEZNS1_11reduce_implILb1ES3_PS9_SC_S9_NS6_11hip_rocprim9__find_if7functorIS9_EEEE10hipError_tPvRmT1_T2_T3_mT4_P12ihipStream_tbEUlT_E1_NS1_11comp_targetILNS1_3genE9ELNS1_11target_archE1100ELNS1_3gpuE3ELNS1_3repE0EEENS1_30default_config_static_selectorELNS0_4arch9wavefront6targetE0EEEvSK_
	.p2align	8
	.type	_ZN7rocprim17ROCPRIM_400000_NS6detail17trampoline_kernelINS0_14default_configENS1_22reduce_config_selectorIN6thrust23THRUST_200600_302600_NS5tupleIblNS6_9null_typeES8_S8_S8_S8_S8_S8_S8_EEEEZNS1_11reduce_implILb1ES3_PS9_SC_S9_NS6_11hip_rocprim9__find_if7functorIS9_EEEE10hipError_tPvRmT1_T2_T3_mT4_P12ihipStream_tbEUlT_E1_NS1_11comp_targetILNS1_3genE9ELNS1_11target_archE1100ELNS1_3gpuE3ELNS1_3repE0EEENS1_30default_config_static_selectorELNS0_4arch9wavefront6targetE0EEEvSK_,@function
_ZN7rocprim17ROCPRIM_400000_NS6detail17trampoline_kernelINS0_14default_configENS1_22reduce_config_selectorIN6thrust23THRUST_200600_302600_NS5tupleIblNS6_9null_typeES8_S8_S8_S8_S8_S8_S8_EEEEZNS1_11reduce_implILb1ES3_PS9_SC_S9_NS6_11hip_rocprim9__find_if7functorIS9_EEEE10hipError_tPvRmT1_T2_T3_mT4_P12ihipStream_tbEUlT_E1_NS1_11comp_targetILNS1_3genE9ELNS1_11target_archE1100ELNS1_3gpuE3ELNS1_3repE0EEENS1_30default_config_static_selectorELNS0_4arch9wavefront6targetE0EEEvSK_: ; @_ZN7rocprim17ROCPRIM_400000_NS6detail17trampoline_kernelINS0_14default_configENS1_22reduce_config_selectorIN6thrust23THRUST_200600_302600_NS5tupleIblNS6_9null_typeES8_S8_S8_S8_S8_S8_S8_EEEEZNS1_11reduce_implILb1ES3_PS9_SC_S9_NS6_11hip_rocprim9__find_if7functorIS9_EEEE10hipError_tPvRmT1_T2_T3_mT4_P12ihipStream_tbEUlT_E1_NS1_11comp_targetILNS1_3genE9ELNS1_11target_archE1100ELNS1_3gpuE3ELNS1_3repE0EEENS1_30default_config_static_selectorELNS0_4arch9wavefront6targetE0EEEvSK_
; %bb.0:
	s_mov_b32 s10, s15
	s_clause 0x3
	s_load_b32 s19, s[0:1], 0x4
	s_load_b128 s[12:15], s[0:1], 0x8
	s_load_b32 s18, s[0:1], 0x20
	s_load_b64 s[16:17], s[0:1], 0x28
	s_waitcnt lgkmcnt(0)
	s_cmp_lt_i32 s19, 4
	s_cbranch_scc1 .LBB21_21
; %bb.1:
	s_cmp_gt_i32 s19, 7
	s_cbranch_scc0 .LBB21_22
; %bb.2:
	s_cmp_eq_u32 s19, 8
	s_mov_b32 s20, 0
	s_cbranch_scc0 .LBB21_23
; %bb.3:
	s_mov_b32 s11, 0
	s_lshl_b32 s4, s10, 11
	s_mov_b32 s5, s11
	s_lshr_b64 s[6:7], s[14:15], 11
	s_lshl_b64 s[2:3], s[4:5], 4
	s_delay_alu instid0(SALU_CYCLE_1)
	s_add_u32 s8, s12, s2
	s_addc_u32 s9, s13, s3
	s_cmp_lg_u64 s[6:7], s[10:11]
	s_cbranch_scc0 .LBB21_44
; %bb.4:
	v_lshlrev_b32_e32 v7, 4, v0
	s_mov_b32 s3, exec_lo
	s_delay_alu instid0(VALU_DEP_1) | instskip(NEXT) | instid1(VALU_DEP_1)
	v_add_co_u32 v15, s2, s8, v7
	v_add_co_ci_u32_e64 v16, null, s9, 0, s2
	s_delay_alu instid0(VALU_DEP_2) | instskip(NEXT) | instid1(VALU_DEP_2)
	v_add_co_u32 v1, vcc_lo, 0x1000, v15
	v_add_co_ci_u32_e32 v2, vcc_lo, 0, v16, vcc_lo
	v_add_co_u32 v24, vcc_lo, v15, 0x2000
	v_add_co_ci_u32_e32 v25, vcc_lo, 0, v16, vcc_lo
	;; [unrolled: 2-line block ×5, first 2 shown]
	s_clause 0x3
	global_load_u8 v22, v7, s[8:9]
	global_load_b64 v[13:14], v[1:2], off offset:8
	global_load_b64 v[11:12], v[3:4], off offset:8
	;; [unrolled: 1-line block ×3, first 2 shown]
	v_add_co_u32 v1, vcc_lo, 0x4000, v15
	v_add_co_ci_u32_e32 v2, vcc_lo, 0, v16, vcc_lo
	v_add_co_u32 v3, vcc_lo, 0x5000, v15
	v_add_co_ci_u32_e32 v4, vcc_lo, 0, v16, vcc_lo
	;; [unrolled: 2-line block ×5, first 2 shown]
	s_clause 0xa
	global_load_u8 v23, v[24:25], off
	global_load_u8 v21, v[9:10], off offset:-4096
	global_load_u8 v20, v[9:10], off
	global_load_u8 v19, v[5:6], off offset:-4096
	global_load_u8 v18, v[5:6], off
	global_load_b64 v[9:10], v[1:2], off offset:8
	global_load_b64 v[5:6], v[3:4], off offset:8
	;; [unrolled: 1-line block ×3, first 2 shown]
	global_load_u8 v17, v[28:29], off
	global_load_u8 v24, v[24:25], off offset:-4096
	global_load_b64 v[1:2], v[28:29], off offset:8
	s_waitcnt vmcnt(14)
	v_and_b32_e32 v25, 1, v22
	s_delay_alu instid0(VALU_DEP_1)
	v_cmpx_eq_u32_e32 1, v25
	s_cbranch_execz .LBB21_6
; %bb.5:
	global_load_b64 v[15:16], v[15:16], off offset:8
	s_waitcnt vmcnt(2)
	v_and_b32_e32 v24, 1, v24
	s_delay_alu instid0(VALU_DEP_1) | instskip(NEXT) | instid1(VALU_DEP_1)
	v_cmp_eq_u32_e64 s2, 1, v24
	v_cndmask_b32_e64 v24, v22, 1, s2
	s_waitcnt vmcnt(0)
	v_cmp_lt_i64_e32 vcc_lo, v[13:14], v[15:16]
	v_cndmask_b32_e32 v14, v16, v14, vcc_lo
	s_and_b32 vcc_lo, s2, vcc_lo
	v_cndmask_b32_e32 v13, v15, v13, vcc_lo
	s_delay_alu instid0(VALU_DEP_2)
	v_cndmask_b32_e64 v14, v16, v14, s2
.LBB21_6:
	s_or_b32 exec_lo, exec_lo, s3
	s_waitcnt vmcnt(10)
	v_and_b32_e32 v15, 1, v23
	s_delay_alu instid0(VALU_DEP_2) | instskip(NEXT) | instid1(VALU_DEP_2)
	v_cmp_lt_i64_e32 vcc_lo, v[11:12], v[13:14]
	v_cmp_eq_u32_e64 s2, 1, v15
	s_waitcnt vmcnt(1)
	v_and_b32_e32 v15, 1, v24
	s_delay_alu instid0(VALU_DEP_2) | instskip(SKIP_1) | instid1(VALU_DEP_2)
	s_and_b32 vcc_lo, s2, vcc_lo
	v_cndmask_b32_e64 v16, v24, 1, s2
	v_cmp_eq_u32_e64 s2, 1, v15
	v_cndmask_b32_e32 v14, v14, v12, vcc_lo
	s_delay_alu instid0(VALU_DEP_2) | instskip(NEXT) | instid1(VALU_DEP_2)
	v_cndmask_b32_e64 v15, v23, v16, s2
	v_cndmask_b32_e64 v12, v12, v14, s2
	v_cndmask_b32_e32 v13, v13, v11, vcc_lo
	s_delay_alu instid0(VALU_DEP_1) | instskip(SKIP_1) | instid1(VALU_DEP_2)
	v_cndmask_b32_e64 v11, v11, v13, s2
	v_and_b32_e32 v13, 1, v21
	v_cmp_lt_i64_e32 vcc_lo, v[7:8], v[11:12]
	s_delay_alu instid0(VALU_DEP_2) | instskip(SKIP_1) | instid1(VALU_DEP_2)
	v_cmp_eq_u32_e64 s2, 1, v13
	v_and_b32_e32 v13, 1, v15
	v_cndmask_b32_e64 v14, v15, 1, s2
	s_and_b32 vcc_lo, s2, vcc_lo
	s_delay_alu instid0(VALU_DEP_2) | instskip(SKIP_1) | instid1(VALU_DEP_2)
	v_cmp_eq_u32_e64 s2, 1, v13
	v_dual_cndmask_b32 v11, v11, v7 :: v_dual_cndmask_b32 v12, v12, v8
	v_cndmask_b32_e64 v13, v21, v14, s2
	s_delay_alu instid0(VALU_DEP_2) | instskip(NEXT) | instid1(VALU_DEP_3)
	v_cndmask_b32_e64 v7, v7, v11, s2
	v_cndmask_b32_e64 v8, v8, v12, s2
	v_and_b32_e32 v11, 1, v20
	s_delay_alu instid0(VALU_DEP_2) | instskip(NEXT) | instid1(VALU_DEP_2)
	v_cmp_lt_i64_e32 vcc_lo, v[9:10], v[7:8]
	v_cmp_eq_u32_e64 s2, 1, v11
	v_and_b32_e32 v11, 1, v13
	s_delay_alu instid0(VALU_DEP_2) | instskip(SKIP_1) | instid1(VALU_DEP_2)
	s_and_b32 vcc_lo, s2, vcc_lo
	v_cndmask_b32_e64 v12, v13, 1, s2
	v_cmp_eq_u32_e64 s2, 1, v11
	v_dual_cndmask_b32 v7, v7, v9 :: v_dual_cndmask_b32 v8, v8, v10
	s_delay_alu instid0(VALU_DEP_2) | instskip(SKIP_1) | instid1(VALU_DEP_3)
	v_cndmask_b32_e64 v11, v20, v12, s2
	v_and_b32_e32 v12, 1, v19
	v_cndmask_b32_e64 v7, v9, v7, s2
	s_delay_alu instid0(VALU_DEP_4) | instskip(NEXT) | instid1(VALU_DEP_4)
	v_cndmask_b32_e64 v8, v10, v8, s2
	v_and_b32_e32 v9, 1, v11
	s_delay_alu instid0(VALU_DEP_4) | instskip(NEXT) | instid1(VALU_DEP_3)
	v_cmp_eq_u32_e32 vcc_lo, 1, v12
	v_cmp_lt_i64_e64 s2, v[5:6], v[7:8]
	s_delay_alu instid0(VALU_DEP_3) | instskip(SKIP_1) | instid1(VALU_DEP_3)
	v_cmp_eq_u32_e64 s3, 1, v9
	v_cndmask_b32_e64 v10, v11, 1, vcc_lo
	s_and_b32 vcc_lo, vcc_lo, s2
	v_dual_cndmask_b32 v7, v7, v5 :: v_dual_cndmask_b32 v8, v8, v6
	s_delay_alu instid0(VALU_DEP_2) | instskip(SKIP_1) | instid1(VALU_DEP_3)
	v_cndmask_b32_e64 v9, v19, v10, s3
	v_and_b32_e32 v10, 1, v18
	v_cndmask_b32_e64 v5, v5, v7, s3
	s_delay_alu instid0(VALU_DEP_4) | instskip(NEXT) | instid1(VALU_DEP_4)
	v_cndmask_b32_e64 v6, v6, v8, s3
	v_and_b32_e32 v11, 1, v9
	s_delay_alu instid0(VALU_DEP_4) | instskip(NEXT) | instid1(VALU_DEP_3)
	v_cmp_eq_u32_e32 vcc_lo, 1, v10
	v_cmp_lt_i64_e64 s3, v[3:4], v[5:6]
	s_delay_alu instid0(VALU_DEP_3) | instskip(SKIP_1) | instid1(VALU_DEP_3)
	v_cmp_eq_u32_e64 s2, 1, v11
	v_cndmask_b32_e64 v9, v9, 1, vcc_lo
	s_and_b32 vcc_lo, vcc_lo, s3
	s_delay_alu instid0(VALU_DEP_1) | instskip(SKIP_1) | instid1(VALU_DEP_2)
	v_cndmask_b32_e64 v7, v18, v9, s2
	v_dual_cndmask_b32 v5, v5, v3 :: v_dual_and_b32 v8, 1, v17
	v_dual_cndmask_b32 v6, v6, v4 :: v_dual_and_b32 v9, 1, v7
	s_delay_alu instid0(VALU_DEP_2) | instskip(NEXT) | instid1(VALU_DEP_3)
	v_cmp_eq_u32_e32 vcc_lo, 1, v8
	v_cndmask_b32_e64 v3, v3, v5, s2
	s_delay_alu instid0(VALU_DEP_3) | instskip(NEXT) | instid1(VALU_DEP_4)
	v_cndmask_b32_e64 v4, v4, v6, s2
	v_cmp_eq_u32_e64 s2, 1, v9
	v_cndmask_b32_e64 v7, v7, 1, vcc_lo
	s_waitcnt vmcnt(0)
	s_delay_alu instid0(VALU_DEP_3) | instskip(NEXT) | instid1(VALU_DEP_2)
	v_cmp_lt_i64_e64 s3, v[1:2], v[3:4]
	v_cndmask_b32_e64 v7, v17, v7, s2
	s_delay_alu instid0(VALU_DEP_2) | instskip(NEXT) | instid1(VALU_DEP_1)
	s_and_b32 vcc_lo, vcc_lo, s3
	v_and_b32_e32 v5, 0xff, v7
	v_dual_cndmask_b32 v3, v3, v1 :: v_dual_cndmask_b32 v4, v4, v2
	v_and_b32_e32 v7, 1, v7
	s_delay_alu instid0(VALU_DEP_3) | instskip(NEXT) | instid1(VALU_DEP_3)
	v_mov_b32_dpp v6, v5 quad_perm:[1,0,3,2] row_mask:0xf bank_mask:0xf
	v_cndmask_b32_e64 v1, v1, v3, s2
	s_delay_alu instid0(VALU_DEP_4) | instskip(NEXT) | instid1(VALU_DEP_4)
	v_cndmask_b32_e64 v2, v2, v4, s2
	v_cmp_eq_u32_e64 s3, 1, v7
	s_mov_b32 s2, exec_lo
	v_and_b32_e32 v8, 1, v6
	v_mov_b32_dpp v3, v1 quad_perm:[1,0,3,2] row_mask:0xf bank_mask:0xf
	v_mov_b32_dpp v4, v2 quad_perm:[1,0,3,2] row_mask:0xf bank_mask:0xf
	s_delay_alu instid0(VALU_DEP_3)
	v_cmpx_eq_u32_e32 1, v8
	s_xor_b32 s5, exec_lo, s2
; %bb.7:
	v_cndmask_b32_e64 v5, v6, 1, s3
	s_delay_alu instid0(VALU_DEP_3) | instskip(NEXT) | instid1(VALU_DEP_2)
	v_cmp_lt_i64_e32 vcc_lo, v[1:2], v[3:4]
	v_and_b32_e32 v6, 1, v5
	v_and_b32_e32 v5, 0xff, v5
	s_and_b32 vcc_lo, s3, vcc_lo
	s_and_not1_b32 s3, s3, exec_lo
	v_dual_cndmask_b32 v2, v4, v2 :: v_dual_cndmask_b32 v1, v3, v1
	v_cmp_eq_u32_e64 s2, 1, v6
	s_delay_alu instid0(VALU_DEP_1) | instskip(NEXT) | instid1(SALU_CYCLE_1)
	s_and_b32 s2, s2, exec_lo
	s_or_b32 s3, s3, s2
; %bb.8:
	s_or_b32 exec_lo, exec_lo, s5
	v_mov_b32_dpp v6, v5 quad_perm:[2,3,0,1] row_mask:0xf bank_mask:0xf
	v_mov_b32_dpp v3, v1 quad_perm:[2,3,0,1] row_mask:0xf bank_mask:0xf
	;; [unrolled: 1-line block ×3, first 2 shown]
	s_mov_b32 s5, exec_lo
	s_delay_alu instid0(VALU_DEP_3) | instskip(NEXT) | instid1(VALU_DEP_1)
	v_and_b32_e32 v7, 1, v6
	v_cmpx_eq_u32_e32 1, v7
; %bb.9:
	v_cndmask_b32_e64 v5, v6, 1, s3
	v_cmp_lt_i64_e32 vcc_lo, v[1:2], v[3:4]
	s_delay_alu instid0(VALU_DEP_2)
	v_and_b32_e32 v6, 1, v5
	v_and_b32_e32 v5, 0xff, v5
	s_and_b32 vcc_lo, s3, vcc_lo
	s_and_not1_b32 s3, s3, exec_lo
	v_dual_cndmask_b32 v2, v4, v2 :: v_dual_cndmask_b32 v1, v3, v1
	v_cmp_eq_u32_e64 s2, 1, v6
	s_delay_alu instid0(VALU_DEP_1) | instskip(NEXT) | instid1(SALU_CYCLE_1)
	s_and_b32 s2, s2, exec_lo
	s_or_b32 s3, s3, s2
; %bb.10:
	s_or_b32 exec_lo, exec_lo, s5
	v_mov_b32_dpp v6, v5 row_ror:4 row_mask:0xf bank_mask:0xf
	v_mov_b32_dpp v3, v1 row_ror:4 row_mask:0xf bank_mask:0xf
	v_mov_b32_dpp v4, v2 row_ror:4 row_mask:0xf bank_mask:0xf
	s_mov_b32 s5, exec_lo
	s_delay_alu instid0(VALU_DEP_3) | instskip(NEXT) | instid1(VALU_DEP_1)
	v_and_b32_e32 v7, 1, v6
	v_cmpx_eq_u32_e32 1, v7
; %bb.11:
	v_cndmask_b32_e64 v5, v6, 1, s3
	v_cmp_lt_i64_e32 vcc_lo, v[1:2], v[3:4]
	s_delay_alu instid0(VALU_DEP_2)
	v_and_b32_e32 v6, 1, v5
	v_and_b32_e32 v5, 0xff, v5
	s_and_b32 vcc_lo, s3, vcc_lo
	s_and_not1_b32 s3, s3, exec_lo
	v_dual_cndmask_b32 v2, v4, v2 :: v_dual_cndmask_b32 v1, v3, v1
	v_cmp_eq_u32_e64 s2, 1, v6
	s_delay_alu instid0(VALU_DEP_1) | instskip(NEXT) | instid1(SALU_CYCLE_1)
	s_and_b32 s2, s2, exec_lo
	s_or_b32 s3, s3, s2
; %bb.12:
	s_or_b32 exec_lo, exec_lo, s5
	v_mov_b32_dpp v6, v5 row_ror:8 row_mask:0xf bank_mask:0xf
	v_mov_b32_dpp v3, v1 row_ror:8 row_mask:0xf bank_mask:0xf
	;; [unrolled: 1-line block ×3, first 2 shown]
	s_mov_b32 s5, exec_lo
	s_delay_alu instid0(VALU_DEP_3) | instskip(NEXT) | instid1(VALU_DEP_1)
	v_and_b32_e32 v7, 1, v6
	v_cmpx_eq_u32_e32 1, v7
; %bb.13:
	v_cndmask_b32_e64 v5, v6, 1, s3
	v_cmp_lt_i64_e32 vcc_lo, v[1:2], v[3:4]
	s_delay_alu instid0(VALU_DEP_2)
	v_and_b32_e32 v6, 1, v5
	v_and_b32_e32 v5, 0xff, v5
	s_and_b32 vcc_lo, s3, vcc_lo
	s_and_not1_b32 s3, s3, exec_lo
	v_dual_cndmask_b32 v2, v4, v2 :: v_dual_cndmask_b32 v1, v3, v1
	v_cmp_eq_u32_e64 s2, 1, v6
	s_delay_alu instid0(VALU_DEP_1) | instskip(NEXT) | instid1(SALU_CYCLE_1)
	s_and_b32 s2, s2, exec_lo
	s_or_b32 s3, s3, s2
; %bb.14:
	s_or_b32 exec_lo, exec_lo, s5
	ds_swizzle_b32 v6, v5 offset:swizzle(BROADCAST,32,15)
	ds_swizzle_b32 v3, v1 offset:swizzle(BROADCAST,32,15)
	;; [unrolled: 1-line block ×3, first 2 shown]
	s_mov_b32 s2, exec_lo
	s_waitcnt lgkmcnt(2)
	v_and_b32_e32 v7, 1, v6
	s_delay_alu instid0(VALU_DEP_1)
	v_cmpx_eq_u32_e32 1, v7
	s_cbranch_execz .LBB21_16
; %bb.15:
	s_waitcnt lgkmcnt(0)
	v_cmp_lt_i64_e32 vcc_lo, v[1:2], v[3:4]
	v_and_b32_e32 v5, 0xff, v6
	s_delay_alu instid0(VALU_DEP_1)
	v_cndmask_b32_e64 v5, v5, 1, s3
	s_and_b32 vcc_lo, s3, vcc_lo
	v_dual_cndmask_b32 v1, v3, v1 :: v_dual_cndmask_b32 v2, v4, v2
.LBB21_16:
	s_or_b32 exec_lo, exec_lo, s2
	s_waitcnt lgkmcnt(1)
	v_mov_b32_e32 v3, 0
	s_mov_b32 s2, exec_lo
	ds_bpermute_b32 v6, v3, v5 offset:124
	ds_bpermute_b32 v1, v3, v1 offset:124
	;; [unrolled: 1-line block ×3, first 2 shown]
	v_mbcnt_lo_u32_b32 v3, -1, 0
	s_delay_alu instid0(VALU_DEP_1)
	v_cmpx_eq_u32_e32 0, v3
	s_cbranch_execz .LBB21_18
; %bb.17:
	s_waitcnt lgkmcnt(3)
	v_lshrrev_b32_e32 v4, 1, v0
	s_delay_alu instid0(VALU_DEP_1)
	v_and_b32_e32 v4, 0x70, v4
	s_waitcnt lgkmcnt(2)
	ds_store_b8 v4, v6 offset:384
	s_waitcnt lgkmcnt(1)
	ds_store_b64 v4, v[1:2] offset:392
.LBB21_18:
	s_or_b32 exec_lo, exec_lo, s2
	s_delay_alu instid0(SALU_CYCLE_1)
	s_mov_b32 s5, exec_lo
	s_waitcnt lgkmcnt(0)
	s_barrier
	buffer_gl0_inv
	v_cmpx_gt_u32_e32 32, v0
	s_cbranch_execz .LBB21_20
; %bb.19:
	v_and_b32_e32 v6, 7, v3
	s_delay_alu instid0(VALU_DEP_1)
	v_lshlrev_b32_e32 v1, 4, v6
	v_cmp_ne_u32_e32 vcc_lo, 7, v6
	ds_load_u8 v7, v1 offset:384
	ds_load_b64 v[1:2], v1 offset:392
	v_add_co_ci_u32_e32 v4, vcc_lo, 0, v3, vcc_lo
	v_cmp_gt_u32_e32 vcc_lo, 6, v6
	s_delay_alu instid0(VALU_DEP_2)
	v_lshlrev_b32_e32 v5, 2, v4
	v_cndmask_b32_e64 v10, 0, 1, vcc_lo
	s_waitcnt lgkmcnt(1)
	v_and_b32_e32 v4, 0xff, v7
	v_and_b32_e32 v11, 1, v7
	ds_bpermute_b32 v8, v5, v4
	s_waitcnt lgkmcnt(1)
	ds_bpermute_b32 v4, v5, v1
	ds_bpermute_b32 v5, v5, v2
	v_cmp_eq_u32_e64 s3, 1, v11
	s_waitcnt lgkmcnt(2)
	v_and_b32_e32 v9, 1, v8
	s_waitcnt lgkmcnt(0)
	v_cmp_lt_i64_e64 s2, v[4:5], v[1:2]
	s_delay_alu instid0(VALU_DEP_2) | instskip(SKIP_2) | instid1(VALU_DEP_4)
	v_cmp_eq_u32_e32 vcc_lo, 1, v9
	v_lshlrev_b32_e32 v9, 1, v10
	v_cndmask_b32_e64 v7, v7, 1, vcc_lo
	s_and_b32 vcc_lo, vcc_lo, s2
	v_dual_cndmask_b32 v1, v1, v4 :: v_dual_cndmask_b32 v2, v2, v5
	s_delay_alu instid0(VALU_DEP_2) | instskip(SKIP_2) | instid1(VALU_DEP_4)
	v_cndmask_b32_e64 v7, v8, v7, s3
	v_add_lshl_u32 v8, v9, v3, 2
	v_cmp_gt_u32_e32 vcc_lo, 4, v6
	v_cndmask_b32_e64 v1, v4, v1, s3
	v_cndmask_b32_e64 v2, v5, v2, s3
	v_and_b32_e32 v9, 0xff, v7
	v_and_b32_e32 v10, 1, v7
	v_cndmask_b32_e64 v6, 0, 1, vcc_lo
	ds_bpermute_b32 v4, v8, v1
	ds_bpermute_b32 v5, v8, v2
	;; [unrolled: 1-line block ×3, first 2 shown]
	v_cmp_eq_u32_e64 s3, 1, v10
	s_waitcnt lgkmcnt(1)
	v_cmp_lt_i64_e64 s2, v[4:5], v[1:2]
	s_waitcnt lgkmcnt(0)
	v_and_b32_e32 v8, 1, v9
	s_delay_alu instid0(VALU_DEP_1) | instskip(SKIP_1) | instid1(VALU_DEP_4)
	v_cmp_eq_u32_e32 vcc_lo, 1, v8
	v_cndmask_b32_e64 v7, v7, 1, vcc_lo
	s_and_b32 vcc_lo, vcc_lo, s2
	v_dual_cndmask_b32 v1, v1, v4 :: v_dual_cndmask_b32 v2, v2, v5
	s_delay_alu instid0(VALU_DEP_2) | instskip(NEXT) | instid1(VALU_DEP_2)
	v_cndmask_b32_e64 v7, v9, v7, s3
	v_cndmask_b32_e64 v1, v4, v1, s3
	v_lshlrev_b32_e32 v6, 2, v6
	s_delay_alu instid0(VALU_DEP_4) | instskip(NEXT) | instid1(VALU_DEP_2)
	v_cndmask_b32_e64 v2, v5, v2, s3
	v_add_lshl_u32 v6, v6, v3, 2
	v_and_b32_e32 v3, 0xff, v7
	ds_bpermute_b32 v4, v6, v2
	ds_bpermute_b32 v5, v6, v3
	;; [unrolled: 1-line block ×3, first 2 shown]
	s_waitcnt lgkmcnt(1)
	v_and_b32_e32 v6, 1, v5
	s_waitcnt lgkmcnt(0)
	v_cmp_lt_i64_e32 vcc_lo, v[3:4], v[1:2]
	s_delay_alu instid0(VALU_DEP_2) | instskip(SKIP_1) | instid1(VALU_DEP_2)
	v_cmp_eq_u32_e64 s2, 1, v6
	v_and_b32_e32 v6, 1, v7
	v_cndmask_b32_e64 v7, v7, 1, s2
	s_and_b32 vcc_lo, s2, vcc_lo
	s_delay_alu instid0(VALU_DEP_2) | instskip(SKIP_1) | instid1(VALU_DEP_2)
	v_cmp_eq_u32_e64 s2, 1, v6
	v_dual_cndmask_b32 v1, v1, v3 :: v_dual_cndmask_b32 v2, v2, v4
	v_cndmask_b32_e64 v5, v5, v7, s2
	s_delay_alu instid0(VALU_DEP_2) | instskip(NEXT) | instid1(VALU_DEP_3)
	v_cndmask_b32_e64 v1, v3, v1, s2
	v_cndmask_b32_e64 v2, v4, v2, s2
	s_delay_alu instid0(VALU_DEP_3)
	v_and_b32_e32 v6, 0xff, v5
.LBB21_20:
	s_or_b32 exec_lo, exec_lo, s5
	s_branch .LBB21_89
.LBB21_21:
	s_mov_b32 s8, 0
                                        ; implicit-def: $vgpr3_vgpr4
                                        ; implicit-def: $vgpr5
	s_cbranch_execnz .LBB21_133
	s_branch .LBB21_206
.LBB21_22:
	s_mov_b32 s20, -1
.LBB21_23:
	s_mov_b32 s8, 0
                                        ; implicit-def: $vgpr3_vgpr4
                                        ; implicit-def: $vgpr5
	s_and_b32 vcc_lo, exec_lo, s20
	s_cbranch_vccz .LBB21_94
.LBB21_24:
	s_cmp_eq_u32 s19, 4
	s_cbranch_scc0 .LBB21_43
; %bb.25:
	s_mov_b32 s11, 0
	s_lshl_b32 s6, s10, 10
	s_mov_b32 s7, s11
	s_lshr_b64 s[20:21], s[14:15], 10
	s_lshl_b64 s[2:3], s[6:7], 4
	s_delay_alu instid0(SALU_CYCLE_1)
	s_add_u32 s4, s12, s2
	s_addc_u32 s5, s13, s3
	s_cmp_lg_u64 s[20:21], s[10:11]
	s_cbranch_scc0 .LBB21_95
; %bb.26:
	v_lshlrev_b32_e32 v1, 4, v0
	s_mov_b32 s3, exec_lo
	s_delay_alu instid0(VALU_DEP_1) | instskip(NEXT) | instid1(VALU_DEP_1)
	v_add_co_u32 v7, s2, s4, v1
	v_add_co_ci_u32_e64 v8, null, s5, 0, s2
	global_load_u8 v11, v1, s[4:5]
	v_add_co_u32 v1, vcc_lo, 0x1000, v7
	v_add_co_ci_u32_e32 v2, vcc_lo, 0, v8, vcc_lo
	v_add_co_u32 v12, vcc_lo, v7, 0x2000
	v_add_co_ci_u32_e32 v13, vcc_lo, 0, v8, vcc_lo
	s_waitcnt lgkmcnt(1)
	v_add_co_u32 v3, vcc_lo, 0x2000, v7
	s_waitcnt lgkmcnt(0)
	v_add_co_ci_u32_e32 v4, vcc_lo, 0, v8, vcc_lo
	v_add_co_u32 v14, vcc_lo, 0x3000, v7
	v_add_co_ci_u32_e32 v15, vcc_lo, 0, v8, vcc_lo
	s_clause 0x5
	global_load_u8 v10, v[12:13], off
	global_load_b64 v[5:6], v[1:2], off offset:8
	global_load_b64 v[3:4], v[3:4], off offset:8
	global_load_u8 v9, v[14:15], off
	global_load_u8 v12, v[12:13], off offset:-4096
	global_load_b64 v[1:2], v[14:15], off offset:8
	s_waitcnt vmcnt(6)
	v_and_b32_e32 v13, 1, v11
	s_delay_alu instid0(VALU_DEP_1)
	v_cmpx_eq_u32_e32 1, v13
	s_cbranch_execz .LBB21_28
; %bb.27:
	global_load_b64 v[7:8], v[7:8], off offset:8
	s_waitcnt vmcnt(2)
	v_and_b32_e32 v12, 1, v12
	s_delay_alu instid0(VALU_DEP_1) | instskip(NEXT) | instid1(VALU_DEP_1)
	v_cmp_eq_u32_e64 s2, 1, v12
	v_cndmask_b32_e64 v12, v11, 1, s2
	s_waitcnt vmcnt(0)
	v_cmp_lt_i64_e32 vcc_lo, v[5:6], v[7:8]
	v_cndmask_b32_e32 v6, v8, v6, vcc_lo
	s_and_b32 vcc_lo, s2, vcc_lo
	v_cndmask_b32_e32 v5, v7, v5, vcc_lo
	s_delay_alu instid0(VALU_DEP_2)
	v_cndmask_b32_e64 v6, v8, v6, s2
.LBB21_28:
	s_or_b32 exec_lo, exec_lo, s3
	s_waitcnt vmcnt(5)
	v_and_b32_e32 v7, 1, v10
	s_waitcnt vmcnt(3)
	v_cmp_lt_i64_e32 vcc_lo, v[3:4], v[5:6]
	s_delay_alu instid0(VALU_DEP_2) | instskip(SKIP_2) | instid1(VALU_DEP_2)
	v_cmp_eq_u32_e64 s2, 1, v7
	s_waitcnt vmcnt(1)
	v_and_b32_e32 v7, 1, v12
	v_cndmask_b32_e64 v8, v12, 1, s2
	s_and_b32 vcc_lo, s2, vcc_lo
	s_delay_alu instid0(VALU_DEP_2) | instskip(SKIP_1) | instid1(VALU_DEP_2)
	v_cmp_eq_u32_e64 s2, 1, v7
	v_dual_cndmask_b32 v5, v5, v3 :: v_dual_cndmask_b32 v6, v6, v4
	v_cndmask_b32_e64 v7, v10, v8, s2
	v_and_b32_e32 v8, 1, v9
	s_delay_alu instid0(VALU_DEP_3) | instskip(NEXT) | instid1(VALU_DEP_4)
	v_cndmask_b32_e64 v3, v3, v5, s2
	v_cndmask_b32_e64 v4, v4, v6, s2
	s_delay_alu instid0(VALU_DEP_4) | instskip(NEXT) | instid1(VALU_DEP_4)
	v_and_b32_e32 v5, 1, v7
	v_cmp_eq_u32_e32 vcc_lo, 1, v8
	s_waitcnt vmcnt(0)
	s_delay_alu instid0(VALU_DEP_3) | instskip(NEXT) | instid1(VALU_DEP_3)
	v_cmp_lt_i64_e64 s3, v[1:2], v[3:4]
	v_cmp_eq_u32_e64 s2, 1, v5
	v_cndmask_b32_e64 v7, v7, 1, vcc_lo
	s_delay_alu instid0(VALU_DEP_3) | instskip(NEXT) | instid1(VALU_DEP_1)
	s_and_b32 vcc_lo, vcc_lo, s3
	v_cndmask_b32_e64 v7, v9, v7, s2
	s_delay_alu instid0(VALU_DEP_1) | instskip(NEXT) | instid1(VALU_DEP_1)
	v_dual_cndmask_b32 v4, v4, v2 :: v_dual_and_b32 v5, 0xff, v7
	v_cndmask_b32_e64 v2, v2, v4, s2
	v_and_b32_e32 v7, 1, v7
	s_delay_alu instid0(VALU_DEP_3) | instskip(SKIP_1) | instid1(VALU_DEP_4)
	v_mov_b32_dpp v6, v5 quad_perm:[1,0,3,2] row_mask:0xf bank_mask:0xf
	v_cndmask_b32_e32 v3, v3, v1, vcc_lo
	v_mov_b32_dpp v4, v2 quad_perm:[1,0,3,2] row_mask:0xf bank_mask:0xf
	s_delay_alu instid0(VALU_DEP_4) | instskip(NEXT) | instid1(VALU_DEP_4)
	v_cmp_eq_u32_e64 s3, 1, v7
	v_and_b32_e32 v8, 1, v6
	s_delay_alu instid0(VALU_DEP_4) | instskip(SKIP_1) | instid1(VALU_DEP_1)
	v_cndmask_b32_e64 v1, v1, v3, s2
	s_mov_b32 s2, exec_lo
	v_mov_b32_dpp v3, v1 quad_perm:[1,0,3,2] row_mask:0xf bank_mask:0xf
	s_delay_alu instid0(VALU_DEP_3)
	v_cmpx_eq_u32_e32 1, v8
	s_xor_b32 s7, exec_lo, s2
; %bb.29:
	v_cndmask_b32_e64 v5, v6, 1, s3
	s_delay_alu instid0(VALU_DEP_3) | instskip(NEXT) | instid1(VALU_DEP_2)
	v_cmp_lt_i64_e32 vcc_lo, v[1:2], v[3:4]
	v_and_b32_e32 v6, 1, v5
	v_and_b32_e32 v5, 0xff, v5
	s_and_b32 vcc_lo, s3, vcc_lo
	s_and_not1_b32 s3, s3, exec_lo
	v_dual_cndmask_b32 v2, v4, v2 :: v_dual_cndmask_b32 v1, v3, v1
	v_cmp_eq_u32_e64 s2, 1, v6
	s_delay_alu instid0(VALU_DEP_1) | instskip(NEXT) | instid1(SALU_CYCLE_1)
	s_and_b32 s2, s2, exec_lo
	s_or_b32 s3, s3, s2
; %bb.30:
	s_or_b32 exec_lo, exec_lo, s7
	v_mov_b32_dpp v6, v5 quad_perm:[2,3,0,1] row_mask:0xf bank_mask:0xf
	v_mov_b32_dpp v3, v1 quad_perm:[2,3,0,1] row_mask:0xf bank_mask:0xf
	;; [unrolled: 1-line block ×3, first 2 shown]
	s_mov_b32 s7, exec_lo
	s_delay_alu instid0(VALU_DEP_3) | instskip(NEXT) | instid1(VALU_DEP_1)
	v_and_b32_e32 v7, 1, v6
	v_cmpx_eq_u32_e32 1, v7
; %bb.31:
	v_cndmask_b32_e64 v5, v6, 1, s3
	v_cmp_lt_i64_e32 vcc_lo, v[1:2], v[3:4]
	s_delay_alu instid0(VALU_DEP_2)
	v_and_b32_e32 v6, 1, v5
	v_and_b32_e32 v5, 0xff, v5
	s_and_b32 vcc_lo, s3, vcc_lo
	s_and_not1_b32 s3, s3, exec_lo
	v_dual_cndmask_b32 v2, v4, v2 :: v_dual_cndmask_b32 v1, v3, v1
	v_cmp_eq_u32_e64 s2, 1, v6
	s_delay_alu instid0(VALU_DEP_1) | instskip(NEXT) | instid1(SALU_CYCLE_1)
	s_and_b32 s2, s2, exec_lo
	s_or_b32 s3, s3, s2
; %bb.32:
	s_or_b32 exec_lo, exec_lo, s7
	v_mov_b32_dpp v6, v5 row_ror:4 row_mask:0xf bank_mask:0xf
	v_mov_b32_dpp v3, v1 row_ror:4 row_mask:0xf bank_mask:0xf
	;; [unrolled: 1-line block ×3, first 2 shown]
	s_mov_b32 s7, exec_lo
	s_delay_alu instid0(VALU_DEP_3) | instskip(NEXT) | instid1(VALU_DEP_1)
	v_and_b32_e32 v7, 1, v6
	v_cmpx_eq_u32_e32 1, v7
; %bb.33:
	v_cndmask_b32_e64 v5, v6, 1, s3
	v_cmp_lt_i64_e32 vcc_lo, v[1:2], v[3:4]
	s_delay_alu instid0(VALU_DEP_2)
	v_and_b32_e32 v6, 1, v5
	v_and_b32_e32 v5, 0xff, v5
	s_and_b32 vcc_lo, s3, vcc_lo
	s_and_not1_b32 s3, s3, exec_lo
	v_dual_cndmask_b32 v2, v4, v2 :: v_dual_cndmask_b32 v1, v3, v1
	v_cmp_eq_u32_e64 s2, 1, v6
	s_delay_alu instid0(VALU_DEP_1) | instskip(NEXT) | instid1(SALU_CYCLE_1)
	s_and_b32 s2, s2, exec_lo
	s_or_b32 s3, s3, s2
; %bb.34:
	s_or_b32 exec_lo, exec_lo, s7
	v_mov_b32_dpp v6, v5 row_ror:8 row_mask:0xf bank_mask:0xf
	v_mov_b32_dpp v3, v1 row_ror:8 row_mask:0xf bank_mask:0xf
	;; [unrolled: 1-line block ×3, first 2 shown]
	s_mov_b32 s7, exec_lo
	s_delay_alu instid0(VALU_DEP_3) | instskip(NEXT) | instid1(VALU_DEP_1)
	v_and_b32_e32 v7, 1, v6
	v_cmpx_eq_u32_e32 1, v7
; %bb.35:
	v_cndmask_b32_e64 v5, v6, 1, s3
	v_cmp_lt_i64_e32 vcc_lo, v[1:2], v[3:4]
	s_delay_alu instid0(VALU_DEP_2)
	v_and_b32_e32 v6, 1, v5
	v_and_b32_e32 v5, 0xff, v5
	s_and_b32 vcc_lo, s3, vcc_lo
	s_and_not1_b32 s3, s3, exec_lo
	v_dual_cndmask_b32 v2, v4, v2 :: v_dual_cndmask_b32 v1, v3, v1
	v_cmp_eq_u32_e64 s2, 1, v6
	s_delay_alu instid0(VALU_DEP_1) | instskip(NEXT) | instid1(SALU_CYCLE_1)
	s_and_b32 s2, s2, exec_lo
	s_or_b32 s3, s3, s2
; %bb.36:
	s_or_b32 exec_lo, exec_lo, s7
	ds_swizzle_b32 v6, v5 offset:swizzle(BROADCAST,32,15)
	ds_swizzle_b32 v3, v1 offset:swizzle(BROADCAST,32,15)
	;; [unrolled: 1-line block ×3, first 2 shown]
	s_mov_b32 s2, exec_lo
	s_waitcnt lgkmcnt(2)
	v_and_b32_e32 v7, 1, v6
	s_delay_alu instid0(VALU_DEP_1)
	v_cmpx_eq_u32_e32 1, v7
	s_cbranch_execz .LBB21_38
; %bb.37:
	s_waitcnt lgkmcnt(0)
	v_cmp_lt_i64_e32 vcc_lo, v[1:2], v[3:4]
	v_and_b32_e32 v5, 0xff, v6
	s_delay_alu instid0(VALU_DEP_1)
	v_cndmask_b32_e64 v5, v5, 1, s3
	s_and_b32 vcc_lo, s3, vcc_lo
	v_dual_cndmask_b32 v1, v3, v1 :: v_dual_cndmask_b32 v2, v4, v2
.LBB21_38:
	s_or_b32 exec_lo, exec_lo, s2
	s_waitcnt lgkmcnt(1)
	v_mov_b32_e32 v3, 0
	s_mov_b32 s2, exec_lo
	ds_bpermute_b32 v6, v3, v5 offset:124
	ds_bpermute_b32 v1, v3, v1 offset:124
	;; [unrolled: 1-line block ×3, first 2 shown]
	v_mbcnt_lo_u32_b32 v3, -1, 0
	s_delay_alu instid0(VALU_DEP_1)
	v_cmpx_eq_u32_e32 0, v3
	s_cbranch_execz .LBB21_40
; %bb.39:
	s_waitcnt lgkmcnt(3)
	v_lshrrev_b32_e32 v4, 1, v0
	s_delay_alu instid0(VALU_DEP_1)
	v_and_b32_e32 v4, 0x70, v4
	s_waitcnt lgkmcnt(2)
	ds_store_b8 v4, v6 offset:256
	s_waitcnt lgkmcnt(1)
	ds_store_b64 v4, v[1:2] offset:264
.LBB21_40:
	s_or_b32 exec_lo, exec_lo, s2
	s_delay_alu instid0(SALU_CYCLE_1)
	s_mov_b32 s7, exec_lo
	s_waitcnt lgkmcnt(0)
	s_barrier
	buffer_gl0_inv
	v_cmpx_gt_u32_e32 32, v0
	s_cbranch_execz .LBB21_42
; %bb.41:
	v_and_b32_e32 v6, 7, v3
	s_delay_alu instid0(VALU_DEP_1)
	v_lshlrev_b32_e32 v1, 4, v6
	v_cmp_ne_u32_e32 vcc_lo, 7, v6
	ds_load_u8 v7, v1 offset:256
	ds_load_b64 v[1:2], v1 offset:264
	v_add_co_ci_u32_e32 v4, vcc_lo, 0, v3, vcc_lo
	v_cmp_gt_u32_e32 vcc_lo, 6, v6
	s_delay_alu instid0(VALU_DEP_2)
	v_lshlrev_b32_e32 v5, 2, v4
	v_cndmask_b32_e64 v10, 0, 1, vcc_lo
	s_waitcnt lgkmcnt(1)
	v_and_b32_e32 v4, 0xff, v7
	v_and_b32_e32 v11, 1, v7
	ds_bpermute_b32 v8, v5, v4
	s_waitcnt lgkmcnt(1)
	ds_bpermute_b32 v4, v5, v1
	ds_bpermute_b32 v5, v5, v2
	v_cmp_eq_u32_e64 s3, 1, v11
	s_waitcnt lgkmcnt(2)
	v_and_b32_e32 v9, 1, v8
	s_waitcnt lgkmcnt(0)
	v_cmp_lt_i64_e64 s2, v[4:5], v[1:2]
	s_delay_alu instid0(VALU_DEP_2) | instskip(SKIP_2) | instid1(VALU_DEP_4)
	v_cmp_eq_u32_e32 vcc_lo, 1, v9
	v_lshlrev_b32_e32 v9, 1, v10
	v_cndmask_b32_e64 v7, v7, 1, vcc_lo
	s_and_b32 vcc_lo, vcc_lo, s2
	v_dual_cndmask_b32 v1, v1, v4 :: v_dual_cndmask_b32 v2, v2, v5
	s_delay_alu instid0(VALU_DEP_2) | instskip(SKIP_2) | instid1(VALU_DEP_4)
	v_cndmask_b32_e64 v7, v8, v7, s3
	v_add_lshl_u32 v8, v9, v3, 2
	v_cmp_gt_u32_e32 vcc_lo, 4, v6
	v_cndmask_b32_e64 v1, v4, v1, s3
	v_cndmask_b32_e64 v2, v5, v2, s3
	v_and_b32_e32 v9, 0xff, v7
	v_and_b32_e32 v10, 1, v7
	v_cndmask_b32_e64 v6, 0, 1, vcc_lo
	ds_bpermute_b32 v4, v8, v1
	ds_bpermute_b32 v5, v8, v2
	ds_bpermute_b32 v9, v8, v9
	v_cmp_eq_u32_e64 s3, 1, v10
	s_waitcnt lgkmcnt(1)
	v_cmp_lt_i64_e64 s2, v[4:5], v[1:2]
	s_waitcnt lgkmcnt(0)
	v_and_b32_e32 v8, 1, v9
	s_delay_alu instid0(VALU_DEP_1) | instskip(SKIP_1) | instid1(VALU_DEP_4)
	v_cmp_eq_u32_e32 vcc_lo, 1, v8
	v_cndmask_b32_e64 v7, v7, 1, vcc_lo
	s_and_b32 vcc_lo, vcc_lo, s2
	v_dual_cndmask_b32 v1, v1, v4 :: v_dual_cndmask_b32 v2, v2, v5
	s_delay_alu instid0(VALU_DEP_2) | instskip(NEXT) | instid1(VALU_DEP_2)
	v_cndmask_b32_e64 v7, v9, v7, s3
	v_cndmask_b32_e64 v1, v4, v1, s3
	v_lshlrev_b32_e32 v6, 2, v6
	s_delay_alu instid0(VALU_DEP_4) | instskip(NEXT) | instid1(VALU_DEP_2)
	v_cndmask_b32_e64 v2, v5, v2, s3
	v_add_lshl_u32 v6, v6, v3, 2
	v_and_b32_e32 v3, 0xff, v7
	ds_bpermute_b32 v4, v6, v2
	ds_bpermute_b32 v5, v6, v3
	;; [unrolled: 1-line block ×3, first 2 shown]
	s_waitcnt lgkmcnt(1)
	v_and_b32_e32 v6, 1, v5
	s_waitcnt lgkmcnt(0)
	v_cmp_lt_i64_e32 vcc_lo, v[3:4], v[1:2]
	s_delay_alu instid0(VALU_DEP_2) | instskip(SKIP_1) | instid1(VALU_DEP_2)
	v_cmp_eq_u32_e64 s2, 1, v6
	v_and_b32_e32 v6, 1, v7
	v_cndmask_b32_e64 v7, v7, 1, s2
	s_and_b32 vcc_lo, s2, vcc_lo
	s_delay_alu instid0(VALU_DEP_2) | instskip(SKIP_1) | instid1(VALU_DEP_2)
	v_cmp_eq_u32_e64 s2, 1, v6
	v_dual_cndmask_b32 v1, v1, v3 :: v_dual_cndmask_b32 v2, v2, v4
	v_cndmask_b32_e64 v5, v5, v7, s2
	s_delay_alu instid0(VALU_DEP_2) | instskip(NEXT) | instid1(VALU_DEP_3)
	v_cndmask_b32_e64 v1, v3, v1, s2
	v_cndmask_b32_e64 v2, v4, v2, s2
	s_delay_alu instid0(VALU_DEP_3)
	v_and_b32_e32 v6, 0xff, v5
.LBB21_42:
	s_or_b32 exec_lo, exec_lo, s7
	s_branch .LBB21_128
.LBB21_43:
                                        ; implicit-def: $vgpr3_vgpr4
                                        ; implicit-def: $vgpr5
	s_branch .LBB21_206
.LBB21_44:
                                        ; implicit-def: $vgpr1_vgpr2
                                        ; implicit-def: $vgpr6
	s_cbranch_execz .LBB21_89
; %bb.45:
	v_mov_b32_e32 v13, 0
	v_dual_mov_b32 v14, 0 :: v_dual_mov_b32 v23, 0
	s_delay_alu instid0(VALU_DEP_2) | instskip(SKIP_2) | instid1(VALU_DEP_3)
	v_mov_b32_e32 v1, v13
	v_mov_b32_e32 v17, 0
	s_sub_i32 s21, s14, s4
	v_mov_b32_e32 v2, v14
	s_mov_b32 s2, exec_lo
	v_cmpx_gt_u32_e64 s21, v0
; %bb.46:
	v_lshlrev_b32_e32 v1, 4, v0
	s_clause 0x1
	global_load_u8 v17, v1, s[8:9]
	global_load_b64 v[1:2], v1, s[8:9] offset:8
; %bb.47:
	s_or_b32 exec_lo, exec_lo, s2
	v_or_b32_e32 v3, 0x100, v0
	s_delay_alu instid0(VALU_DEP_1) | instskip(NEXT) | instid1(VALU_DEP_1)
	v_cmp_gt_u32_e64 s7, s21, v3
	s_and_saveexec_b32 s2, s7
; %bb.48:
	v_lshlrev_b32_e32 v3, 4, v3
	s_clause 0x1
	global_load_u8 v23, v3, s[8:9]
	global_load_b64 v[13:14], v3, s[8:9] offset:8
; %bb.49:
	s_or_b32 exec_lo, exec_lo, s2
	v_dual_mov_b32 v9, 0 :: v_dual_mov_b32 v24, 0
	v_dual_mov_b32 v10, 0 :: v_dual_mov_b32 v21, 0
	v_or_b32_e32 v3, 0x200, v0
	s_delay_alu instid0(VALU_DEP_2) | instskip(NEXT) | instid1(VALU_DEP_2)
	v_dual_mov_b32 v16, v10 :: v_dual_mov_b32 v15, v9
	v_cmp_gt_u32_e64 s6, s21, v3
	s_delay_alu instid0(VALU_DEP_1)
	s_and_saveexec_b32 s2, s6
; %bb.50:
	v_lshlrev_b32_e32 v3, 4, v3
	s_clause 0x1
	global_load_u8 v24, v3, s[8:9]
	global_load_b64 v[15:16], v3, s[8:9] offset:8
; %bb.51:
	s_or_b32 exec_lo, exec_lo, s2
	v_or_b32_e32 v3, 0x300, v0
	s_delay_alu instid0(VALU_DEP_1) | instskip(NEXT) | instid1(VALU_DEP_1)
	v_cmp_gt_u32_e64 s5, s21, v3
	s_and_saveexec_b32 s2, s5
; %bb.52:
	v_lshlrev_b32_e32 v3, 4, v3
	s_clause 0x1
	global_load_u8 v21, v3, s[8:9]
	global_load_b64 v[9:10], v3, s[8:9] offset:8
; %bb.53:
	s_or_b32 exec_lo, exec_lo, s2
	v_dual_mov_b32 v5, 0 :: v_dual_mov_b32 v22, 0
	v_dual_mov_b32 v6, 0 :: v_dual_mov_b32 v19, 0
	v_or_b32_e32 v3, 0x400, v0
	s_delay_alu instid0(VALU_DEP_2) | instskip(NEXT) | instid1(VALU_DEP_2)
	v_dual_mov_b32 v12, v6 :: v_dual_mov_b32 v11, v5
	v_cmp_gt_u32_e64 s4, s21, v3
	s_delay_alu instid0(VALU_DEP_1)
	s_and_saveexec_b32 s2, s4
; %bb.54:
	v_lshlrev_b32_e32 v3, 4, v3
	s_clause 0x1
	global_load_u8 v22, v3, s[8:9]
	global_load_b64 v[11:12], v3, s[8:9] offset:8
; %bb.55:
	s_or_b32 exec_lo, exec_lo, s2
	v_or_b32_e32 v3, 0x500, v0
	s_delay_alu instid0(VALU_DEP_1) | instskip(NEXT) | instid1(VALU_DEP_1)
	v_cmp_gt_u32_e64 s3, s21, v3
	s_and_saveexec_b32 s2, s3
; %bb.56:
	v_lshlrev_b32_e32 v3, 4, v3
	s_clause 0x1
	global_load_u8 v19, v3, s[8:9]
	global_load_b64 v[5:6], v3, s[8:9] offset:8
; %bb.57:
	s_or_b32 exec_lo, exec_lo, s2
	v_dual_mov_b32 v3, 0 :: v_dual_mov_b32 v18, 0
	v_mov_b32_e32 v4, 0
	v_or_b32_e32 v25, 0x600, v0
	v_mov_b32_e32 v20, 0
	s_delay_alu instid0(VALU_DEP_3) | instskip(NEXT) | instid1(VALU_DEP_3)
	v_dual_mov_b32 v8, v4 :: v_dual_mov_b32 v7, v3
	v_cmp_gt_u32_e64 s2, s21, v25
	s_delay_alu instid0(VALU_DEP_1)
	s_and_saveexec_b32 s22, s2
; %bb.58:
	v_lshlrev_b32_e32 v7, 4, v25
	s_clause 0x1
	global_load_u8 v20, v7, s[8:9]
	global_load_b64 v[7:8], v7, s[8:9] offset:8
; %bb.59:
	s_or_b32 exec_lo, exec_lo, s22
	v_or_b32_e32 v25, 0x700, v0
	s_delay_alu instid0(VALU_DEP_1)
	v_cmp_gt_u32_e32 vcc_lo, s21, v25
	s_and_saveexec_b32 s22, vcc_lo
	s_cbranch_execnz .LBB21_238
; %bb.60:
	s_or_b32 exec_lo, exec_lo, s22
	s_and_saveexec_b32 s9, s7
	s_cbranch_execnz .LBB21_239
.LBB21_61:
	s_or_b32 exec_lo, exec_lo, s9
	s_and_saveexec_b32 s8, s6
	s_cbranch_execnz .LBB21_240
.LBB21_62:
	s_or_b32 exec_lo, exec_lo, s8
	s_and_saveexec_b32 s7, s5
	s_cbranch_execnz .LBB21_241
.LBB21_63:
	s_or_b32 exec_lo, exec_lo, s7
	s_and_saveexec_b32 s6, s4
	s_cbranch_execnz .LBB21_242
.LBB21_64:
	s_or_b32 exec_lo, exec_lo, s6
	s_and_saveexec_b32 s5, s3
	s_cbranch_execnz .LBB21_243
.LBB21_65:
	s_or_b32 exec_lo, exec_lo, s5
	s_and_saveexec_b32 s4, s2
	s_cbranch_execnz .LBB21_244
.LBB21_66:
	s_or_b32 exec_lo, exec_lo, s4
	s_and_saveexec_b32 s3, vcc_lo
	s_cbranch_execz .LBB21_68
.LBB21_67:
	s_waitcnt vmcnt(0)
	v_and_b32_e32 v5, 1, v18
	v_cmp_lt_i64_e32 vcc_lo, v[3:4], v[1:2]
	s_delay_alu instid0(VALU_DEP_2) | instskip(NEXT) | instid1(VALU_DEP_1)
	v_cmp_eq_u32_e64 s2, 1, v5
	s_and_b32 vcc_lo, s2, vcc_lo
	v_cndmask_b32_e64 v6, v17, 1, s2
	v_dual_cndmask_b32 v2, v2, v4 :: v_dual_and_b32 v5, 1, v17
	v_cndmask_b32_e32 v1, v1, v3, vcc_lo
	s_delay_alu instid0(VALU_DEP_2) | instskip(NEXT) | instid1(VALU_DEP_3)
	v_cmp_eq_u32_e32 vcc_lo, 1, v5
	v_cndmask_b32_e32 v2, v4, v2, vcc_lo
	v_cndmask_b32_e32 v17, v18, v6, vcc_lo
	s_delay_alu instid0(VALU_DEP_4)
	v_cndmask_b32_e32 v1, v3, v1, vcc_lo
.LBB21_68:
	s_or_b32 exec_lo, exec_lo, s3
	s_waitcnt vmcnt(0)
	v_mbcnt_lo_u32_b32 v5, -1, 0
	v_and_b32_e32 v7, 0xe0, v0
	s_min_u32 s3, s21, 0x100
	v_and_b32_e32 v6, 0xff, v17
	s_delay_alu instid0(VALU_DEP_3) | instskip(NEXT) | instid1(VALU_DEP_3)
	v_cmp_ne_u32_e32 vcc_lo, 31, v5
	v_sub_nc_u32_e64 v8, s3, v7 clamp
	v_add_nc_u32_e32 v7, 1, v5
	v_add_co_ci_u32_e32 v3, vcc_lo, 0, v5, vcc_lo
	s_delay_alu instid0(VALU_DEP_2) | instskip(NEXT) | instid1(VALU_DEP_2)
	v_cmp_lt_u32_e32 vcc_lo, v7, v8
	v_dual_mov_b32 v7, v6 :: v_dual_lshlrev_b32 v4, 2, v3
	ds_bpermute_b32 v9, v4, v6
	ds_bpermute_b32 v3, v4, v1
	;; [unrolled: 1-line block ×3, first 2 shown]
	s_and_saveexec_b32 s2, vcc_lo
	s_delay_alu instid0(SALU_CYCLE_1)
	s_xor_b32 s4, exec_lo, s2
	s_cbranch_execz .LBB21_70
; %bb.69:
	s_waitcnt lgkmcnt(2)
	v_and_b32_e32 v7, 1, v9
	s_waitcnt lgkmcnt(0)
	v_cmp_lt_i64_e32 vcc_lo, v[3:4], v[1:2]
	s_delay_alu instid0(VALU_DEP_2) | instskip(SKIP_1) | instid1(VALU_DEP_2)
	v_cmp_eq_u32_e64 s2, 1, v7
	v_and_b32_e32 v7, 1, v17
	v_cndmask_b32_e64 v6, v6, 1, s2
	s_and_b32 vcc_lo, s2, vcc_lo
	s_delay_alu instid0(VALU_DEP_2) | instskip(SKIP_1) | instid1(VALU_DEP_2)
	v_cmp_eq_u32_e64 s2, 1, v7
	v_dual_cndmask_b32 v2, v2, v4 :: v_dual_cndmask_b32 v1, v1, v3
	v_cndmask_b32_e64 v7, v9, v6, s2
	s_delay_alu instid0(VALU_DEP_2) | instskip(NEXT) | instid1(VALU_DEP_3)
	v_cndmask_b32_e64 v2, v4, v2, s2
	v_cndmask_b32_e64 v1, v3, v1, s2
	s_delay_alu instid0(VALU_DEP_3)
	v_and_b32_e32 v6, 0xff, v7
.LBB21_70:
	s_or_b32 exec_lo, exec_lo, s4
	v_cmp_gt_u32_e32 vcc_lo, 30, v5
	v_add_nc_u32_e32 v10, 2, v5
	s_mov_b32 s4, exec_lo
	s_waitcnt lgkmcnt(1)
	v_cndmask_b32_e64 v3, 0, 1, vcc_lo
	s_delay_alu instid0(VALU_DEP_1) | instskip(SKIP_1) | instid1(VALU_DEP_1)
	v_lshlrev_b32_e32 v3, 1, v3
	s_waitcnt lgkmcnt(0)
	v_add_lshl_u32 v4, v3, v5, 2
	ds_bpermute_b32 v9, v4, v6
	ds_bpermute_b32 v3, v4, v1
	ds_bpermute_b32 v4, v4, v2
	v_cmpx_lt_u32_e64 v10, v8
	s_cbranch_execz .LBB21_72
; %bb.71:
	s_waitcnt lgkmcnt(2)
	v_and_b32_e32 v6, 1, v9
	s_waitcnt lgkmcnt(0)
	v_cmp_lt_i64_e32 vcc_lo, v[3:4], v[1:2]
	s_delay_alu instid0(VALU_DEP_2) | instskip(SKIP_1) | instid1(VALU_DEP_2)
	v_cmp_eq_u32_e64 s2, 1, v6
	v_and_b32_e32 v6, 1, v7
	v_cndmask_b32_e64 v7, v7, 1, s2
	s_and_b32 vcc_lo, s2, vcc_lo
	s_delay_alu instid0(VALU_DEP_2) | instskip(SKIP_1) | instid1(VALU_DEP_2)
	v_cmp_eq_u32_e64 s2, 1, v6
	v_dual_cndmask_b32 v1, v1, v3 :: v_dual_cndmask_b32 v2, v2, v4
	v_cndmask_b32_e64 v7, v9, v7, s2
	s_delay_alu instid0(VALU_DEP_2) | instskip(NEXT) | instid1(VALU_DEP_3)
	v_cndmask_b32_e64 v1, v3, v1, s2
	v_cndmask_b32_e64 v2, v4, v2, s2
	s_delay_alu instid0(VALU_DEP_3)
	v_and_b32_e32 v6, 0xff, v7
.LBB21_72:
	s_or_b32 exec_lo, exec_lo, s4
	v_cmp_gt_u32_e32 vcc_lo, 28, v5
	v_add_nc_u32_e32 v10, 4, v5
	s_mov_b32 s4, exec_lo
	s_waitcnt lgkmcnt(1)
	v_cndmask_b32_e64 v3, 0, 1, vcc_lo
	s_delay_alu instid0(VALU_DEP_1) | instskip(SKIP_1) | instid1(VALU_DEP_1)
	v_lshlrev_b32_e32 v3, 2, v3
	s_waitcnt lgkmcnt(0)
	v_add_lshl_u32 v4, v3, v5, 2
	ds_bpermute_b32 v9, v4, v6
	ds_bpermute_b32 v3, v4, v1
	ds_bpermute_b32 v4, v4, v2
	v_cmpx_lt_u32_e64 v10, v8
	;; [unrolled: 35-line block ×4, first 2 shown]
	s_cbranch_execz .LBB21_78
; %bb.77:
	s_waitcnt lgkmcnt(2)
	v_and_b32_e32 v6, 1, v9
	s_waitcnt lgkmcnt(0)
	v_cmp_lt_i64_e32 vcc_lo, v[3:4], v[1:2]
	s_delay_alu instid0(VALU_DEP_2) | instskip(SKIP_1) | instid1(VALU_DEP_2)
	v_cmp_eq_u32_e64 s2, 1, v6
	v_and_b32_e32 v6, 1, v7
	v_cndmask_b32_e64 v7, v7, 1, s2
	s_and_b32 vcc_lo, s2, vcc_lo
	s_delay_alu instid0(VALU_DEP_2) | instskip(SKIP_1) | instid1(VALU_DEP_2)
	v_cmp_eq_u32_e64 s2, 1, v6
	v_dual_cndmask_b32 v1, v1, v3 :: v_dual_cndmask_b32 v2, v2, v4
	v_cndmask_b32_e64 v7, v9, v7, s2
	s_delay_alu instid0(VALU_DEP_2) | instskip(NEXT) | instid1(VALU_DEP_3)
	v_cndmask_b32_e64 v1, v3, v1, s2
	v_cndmask_b32_e64 v2, v4, v2, s2
	s_delay_alu instid0(VALU_DEP_3)
	v_and_b32_e32 v6, 0xff, v7
.LBB21_78:
	s_or_b32 exec_lo, exec_lo, s4
	s_delay_alu instid0(SALU_CYCLE_1)
	s_mov_b32 s2, exec_lo
	v_cmpx_eq_u32_e32 0, v5
	s_cbranch_execz .LBB21_80
; %bb.79:
	s_waitcnt lgkmcnt(1)
	v_lshrrev_b32_e32 v3, 1, v0
	s_delay_alu instid0(VALU_DEP_1)
	v_and_b32_e32 v3, 0x70, v3
	ds_store_b8 v3, v7 offset:512
	ds_store_b64 v3, v[1:2] offset:520
.LBB21_80:
	s_or_b32 exec_lo, exec_lo, s2
	s_delay_alu instid0(SALU_CYCLE_1)
	s_mov_b32 s4, exec_lo
	s_waitcnt lgkmcnt(0)
	s_barrier
	buffer_gl0_inv
	v_cmpx_gt_u32_e32 8, v0
	s_cbranch_execz .LBB21_88
; %bb.81:
	v_lshlrev_b32_e32 v1, 4, v5
	v_and_b32_e32 v8, 7, v5
	s_add_i32 s3, s3, 31
	s_mov_b32 s5, exec_lo
	s_lshr_b32 s3, s3, 5
	ds_load_u8 v7, v1 offset:512
	ds_load_b64 v[1:2], v1 offset:520
	v_cmp_ne_u32_e32 vcc_lo, 7, v8
	v_add_nc_u32_e32 v10, 1, v8
	v_add_co_ci_u32_e32 v3, vcc_lo, 0, v5, vcc_lo
	s_delay_alu instid0(VALU_DEP_1)
	v_lshlrev_b32_e32 v4, 2, v3
	s_waitcnt lgkmcnt(1)
	v_and_b32_e32 v6, 0xff, v7
	s_waitcnt lgkmcnt(0)
	ds_bpermute_b32 v3, v4, v1
	ds_bpermute_b32 v9, v4, v6
	;; [unrolled: 1-line block ×3, first 2 shown]
	v_cmpx_gt_u32_e64 s3, v10
	s_cbranch_execz .LBB21_83
; %bb.82:
	s_waitcnt lgkmcnt(1)
	v_and_b32_e32 v6, 1, v9
	s_waitcnt lgkmcnt(0)
	v_cmp_lt_i64_e32 vcc_lo, v[3:4], v[1:2]
	s_delay_alu instid0(VALU_DEP_2) | instskip(SKIP_1) | instid1(VALU_DEP_2)
	v_cmp_eq_u32_e64 s2, 1, v6
	v_and_b32_e32 v6, 1, v7
	v_cndmask_b32_e64 v7, v7, 1, s2
	s_and_b32 vcc_lo, s2, vcc_lo
	s_delay_alu instid0(VALU_DEP_2) | instskip(SKIP_1) | instid1(VALU_DEP_2)
	v_cmp_eq_u32_e64 s2, 1, v6
	v_dual_cndmask_b32 v1, v1, v3 :: v_dual_cndmask_b32 v2, v2, v4
	v_cndmask_b32_e64 v7, v9, v7, s2
	s_delay_alu instid0(VALU_DEP_2) | instskip(NEXT) | instid1(VALU_DEP_3)
	v_cndmask_b32_e64 v1, v3, v1, s2
	v_cndmask_b32_e64 v2, v4, v2, s2
	s_delay_alu instid0(VALU_DEP_3)
	v_and_b32_e32 v6, 0xff, v7
.LBB21_83:
	s_or_b32 exec_lo, exec_lo, s5
	v_cmp_gt_u32_e32 vcc_lo, 6, v8
	v_add_nc_u32_e32 v10, 2, v8
	s_mov_b32 s5, exec_lo
	s_waitcnt lgkmcnt(2)
	v_cndmask_b32_e64 v3, 0, 1, vcc_lo
	s_delay_alu instid0(VALU_DEP_1) | instskip(SKIP_1) | instid1(VALU_DEP_1)
	v_lshlrev_b32_e32 v3, 1, v3
	s_waitcnt lgkmcnt(0)
	v_add_lshl_u32 v4, v3, v5, 2
	ds_bpermute_b32 v9, v4, v6
	ds_bpermute_b32 v3, v4, v1
	;; [unrolled: 1-line block ×3, first 2 shown]
	v_cmpx_gt_u32_e64 s3, v10
	s_cbranch_execz .LBB21_85
; %bb.84:
	s_waitcnt lgkmcnt(2)
	v_and_b32_e32 v6, 1, v9
	s_waitcnt lgkmcnt(0)
	v_cmp_lt_i64_e32 vcc_lo, v[3:4], v[1:2]
	s_delay_alu instid0(VALU_DEP_2) | instskip(SKIP_1) | instid1(VALU_DEP_2)
	v_cmp_eq_u32_e64 s2, 1, v6
	v_and_b32_e32 v6, 1, v7
	v_cndmask_b32_e64 v7, v7, 1, s2
	s_and_b32 vcc_lo, s2, vcc_lo
	s_delay_alu instid0(VALU_DEP_2) | instskip(SKIP_1) | instid1(VALU_DEP_2)
	v_cmp_eq_u32_e64 s2, 1, v6
	v_dual_cndmask_b32 v1, v1, v3 :: v_dual_cndmask_b32 v2, v2, v4
	v_cndmask_b32_e64 v7, v9, v7, s2
	s_delay_alu instid0(VALU_DEP_2) | instskip(NEXT) | instid1(VALU_DEP_3)
	v_cndmask_b32_e64 v1, v3, v1, s2
	v_cndmask_b32_e64 v2, v4, v2, s2
	s_delay_alu instid0(VALU_DEP_3)
	v_and_b32_e32 v6, 0xff, v7
.LBB21_85:
	s_or_b32 exec_lo, exec_lo, s5
	v_cmp_gt_u32_e32 vcc_lo, 4, v8
	v_add_nc_u32_e32 v8, 4, v8
	s_waitcnt lgkmcnt(1)
	v_cndmask_b32_e64 v3, 0, 1, vcc_lo
	s_delay_alu instid0(VALU_DEP_2) | instskip(NEXT) | instid1(VALU_DEP_2)
	v_cmp_gt_u32_e32 vcc_lo, s3, v8
	v_lshlrev_b32_e32 v3, 2, v3
	s_waitcnt lgkmcnt(0)
	s_delay_alu instid0(VALU_DEP_1)
	v_add_lshl_u32 v4, v3, v5, 2
	ds_bpermute_b32 v5, v4, v6
	ds_bpermute_b32 v3, v4, v1
	;; [unrolled: 1-line block ×3, first 2 shown]
	s_and_saveexec_b32 s3, vcc_lo
	s_cbranch_execz .LBB21_87
; %bb.86:
	s_waitcnt lgkmcnt(2)
	v_and_b32_e32 v6, 1, v5
	s_waitcnt lgkmcnt(0)
	v_cmp_lt_i64_e32 vcc_lo, v[3:4], v[1:2]
	s_delay_alu instid0(VALU_DEP_2) | instskip(SKIP_1) | instid1(VALU_DEP_2)
	v_cmp_eq_u32_e64 s2, 1, v6
	v_and_b32_e32 v6, 1, v7
	v_cndmask_b32_e64 v7, v7, 1, s2
	s_and_b32 vcc_lo, s2, vcc_lo
	s_delay_alu instid0(VALU_DEP_2) | instskip(SKIP_1) | instid1(VALU_DEP_2)
	v_cmp_eq_u32_e64 s2, 1, v6
	v_dual_cndmask_b32 v1, v1, v3 :: v_dual_cndmask_b32 v2, v2, v4
	v_cndmask_b32_e64 v5, v5, v7, s2
	s_delay_alu instid0(VALU_DEP_2) | instskip(NEXT) | instid1(VALU_DEP_3)
	v_cndmask_b32_e64 v1, v3, v1, s2
	v_cndmask_b32_e64 v2, v4, v2, s2
	s_delay_alu instid0(VALU_DEP_3)
	v_and_b32_e32 v6, 0xff, v5
.LBB21_87:
	s_or_b32 exec_lo, exec_lo, s3
.LBB21_88:
	s_delay_alu instid0(SALU_CYCLE_1)
	s_or_b32 exec_lo, exec_lo, s4
.LBB21_89:
	s_mov_b32 s8, 0
                                        ; implicit-def: $vgpr3_vgpr4
                                        ; implicit-def: $vgpr5
	s_mov_b32 s2, exec_lo
	v_cmpx_eq_u32_e32 0, v0
	s_xor_b32 s4, exec_lo, s2
	s_cbranch_execz .LBB21_93
; %bb.90:
	s_waitcnt lgkmcnt(0)
	v_dual_mov_b32 v3, s16 :: v_dual_mov_b32 v4, s17
	v_mov_b32_e32 v5, s18
	s_cmp_eq_u64 s[14:15], 0
	s_cbranch_scc1 .LBB21_92
; %bb.91:
	v_and_b32_e32 v3, 1, v6
	v_cmp_gt_i64_e32 vcc_lo, s[16:17], v[1:2]
	s_bitcmp1_b32 s18, 0
	s_cselect_b32 s3, -1, 0
	s_delay_alu instid0(VALU_DEP_2) | instskip(NEXT) | instid1(VALU_DEP_1)
	v_cmp_eq_u32_e64 s2, 1, v3
	s_and_b32 vcc_lo, s2, vcc_lo
	v_cndmask_b32_e64 v3, s18, 1, s2
	v_cndmask_b32_e32 v7, s16, v1, vcc_lo
	v_cndmask_b32_e32 v4, s17, v2, vcc_lo
	s_delay_alu instid0(VALU_DEP_3) | instskip(NEXT) | instid1(VALU_DEP_3)
	v_cndmask_b32_e64 v5, v6, v3, s3
	v_cndmask_b32_e64 v3, v1, v7, s3
	s_delay_alu instid0(VALU_DEP_3)
	v_cndmask_b32_e64 v4, v2, v4, s3
.LBB21_92:
	s_mov_b32 s8, exec_lo
.LBB21_93:
	s_or_b32 exec_lo, exec_lo, s4
	s_delay_alu instid0(SALU_CYCLE_1)
	s_and_b32 vcc_lo, exec_lo, s20
	s_cbranch_vccnz .LBB21_24
.LBB21_94:
	s_branch .LBB21_206
.LBB21_95:
                                        ; implicit-def: $vgpr1_vgpr2
                                        ; implicit-def: $vgpr6
	s_cbranch_execz .LBB21_128
; %bb.96:
	s_waitcnt lgkmcnt(2)
	v_mov_b32_e32 v5, 0
	v_dual_mov_b32 v6, 0 :: v_dual_mov_b32 v11, 0
	s_delay_alu instid0(VALU_DEP_2) | instskip(SKIP_2) | instid1(VALU_DEP_3)
	v_mov_b32_e32 v1, v5
	v_mov_b32_e32 v9, 0
	s_sub_i32 s6, s14, s6
	v_mov_b32_e32 v2, v6
	s_mov_b32 s2, exec_lo
	v_cmpx_gt_u32_e64 s6, v0
; %bb.97:
	v_lshlrev_b32_e32 v1, 4, v0
	s_clause 0x1
	global_load_u8 v9, v1, s[4:5]
	global_load_b64 v[1:2], v1, s[4:5] offset:8
; %bb.98:
	s_or_b32 exec_lo, exec_lo, s2
	s_waitcnt lgkmcnt(1)
	v_or_b32_e32 v3, 0x100, v0
	s_delay_alu instid0(VALU_DEP_1) | instskip(NEXT) | instid1(VALU_DEP_1)
	v_cmp_gt_u32_e64 s3, s6, v3
	s_and_saveexec_b32 s2, s3
; %bb.99:
	v_lshlrev_b32_e32 v3, 4, v3
	s_clause 0x1
	global_load_u8 v11, v3, s[4:5]
	global_load_b64 v[5:6], v3, s[4:5] offset:8
; %bb.100:
	s_or_b32 exec_lo, exec_lo, s2
	s_waitcnt lgkmcnt(0)
	v_dual_mov_b32 v3, 0 :: v_dual_mov_b32 v10, 0
	v_mov_b32_e32 v4, 0
	v_or_b32_e32 v13, 0x200, v0
	v_mov_b32_e32 v12, 0
	s_delay_alu instid0(VALU_DEP_3) | instskip(NEXT) | instid1(VALU_DEP_3)
	v_dual_mov_b32 v8, v4 :: v_dual_mov_b32 v7, v3
	v_cmp_gt_u32_e64 s2, s6, v13
	s_delay_alu instid0(VALU_DEP_1)
	s_and_saveexec_b32 s7, s2
; %bb.101:
	v_lshlrev_b32_e32 v7, 4, v13
	s_clause 0x1
	global_load_u8 v12, v7, s[4:5]
	global_load_b64 v[7:8], v7, s[4:5] offset:8
; %bb.102:
	s_or_b32 exec_lo, exec_lo, s7
	v_or_b32_e32 v13, 0x300, v0
	s_delay_alu instid0(VALU_DEP_1)
	v_cmp_gt_u32_e32 vcc_lo, s6, v13
	s_and_saveexec_b32 s7, vcc_lo
	s_cbranch_execnz .LBB21_245
; %bb.103:
	s_or_b32 exec_lo, exec_lo, s7
	s_and_saveexec_b32 s5, s3
	s_cbranch_execnz .LBB21_246
.LBB21_104:
	s_or_b32 exec_lo, exec_lo, s5
	s_and_saveexec_b32 s4, s2
	s_cbranch_execnz .LBB21_247
.LBB21_105:
	s_or_b32 exec_lo, exec_lo, s4
	s_and_saveexec_b32 s3, vcc_lo
	s_cbranch_execz .LBB21_107
.LBB21_106:
	s_waitcnt vmcnt(0)
	v_and_b32_e32 v5, 1, v10
	v_cmp_lt_i64_e32 vcc_lo, v[3:4], v[1:2]
	s_delay_alu instid0(VALU_DEP_2) | instskip(NEXT) | instid1(VALU_DEP_1)
	v_cmp_eq_u32_e64 s2, 1, v5
	s_and_b32 vcc_lo, s2, vcc_lo
	v_cndmask_b32_e64 v6, v9, 1, s2
	v_dual_cndmask_b32 v2, v2, v4 :: v_dual_and_b32 v5, 1, v9
	v_cndmask_b32_e32 v1, v1, v3, vcc_lo
	s_delay_alu instid0(VALU_DEP_2) | instskip(NEXT) | instid1(VALU_DEP_3)
	v_cmp_eq_u32_e32 vcc_lo, 1, v5
	v_cndmask_b32_e32 v2, v4, v2, vcc_lo
	v_cndmask_b32_e32 v9, v10, v6, vcc_lo
	s_delay_alu instid0(VALU_DEP_4)
	v_cndmask_b32_e32 v1, v3, v1, vcc_lo
.LBB21_107:
	s_or_b32 exec_lo, exec_lo, s3
	s_waitcnt vmcnt(0)
	v_mbcnt_lo_u32_b32 v5, -1, 0
	v_and_b32_e32 v7, 0xe0, v0
	s_min_u32 s3, s6, 0x100
	v_and_b32_e32 v6, 0xff, v9
	s_delay_alu instid0(VALU_DEP_3) | instskip(NEXT) | instid1(VALU_DEP_3)
	v_cmp_ne_u32_e32 vcc_lo, 31, v5
	v_sub_nc_u32_e64 v8, s3, v7 clamp
	v_add_nc_u32_e32 v7, 1, v5
	v_add_co_ci_u32_e32 v3, vcc_lo, 0, v5, vcc_lo
	s_delay_alu instid0(VALU_DEP_2) | instskip(NEXT) | instid1(VALU_DEP_2)
	v_cmp_lt_u32_e32 vcc_lo, v7, v8
	v_dual_mov_b32 v7, v6 :: v_dual_lshlrev_b32 v4, 2, v3
	ds_bpermute_b32 v10, v4, v6
	ds_bpermute_b32 v3, v4, v1
	ds_bpermute_b32 v4, v4, v2
	s_and_saveexec_b32 s2, vcc_lo
	s_delay_alu instid0(SALU_CYCLE_1)
	s_xor_b32 s4, exec_lo, s2
	s_cbranch_execz .LBB21_109
; %bb.108:
	s_waitcnt lgkmcnt(2)
	v_and_b32_e32 v7, 1, v10
	s_waitcnt lgkmcnt(0)
	v_cmp_lt_i64_e32 vcc_lo, v[3:4], v[1:2]
	s_delay_alu instid0(VALU_DEP_2) | instskip(SKIP_1) | instid1(VALU_DEP_2)
	v_cmp_eq_u32_e64 s2, 1, v7
	v_and_b32_e32 v7, 1, v9
	v_cndmask_b32_e64 v6, v6, 1, s2
	s_and_b32 vcc_lo, s2, vcc_lo
	s_delay_alu instid0(VALU_DEP_2) | instskip(SKIP_1) | instid1(VALU_DEP_2)
	v_cmp_eq_u32_e64 s2, 1, v7
	v_dual_cndmask_b32 v2, v2, v4 :: v_dual_cndmask_b32 v1, v1, v3
	v_cndmask_b32_e64 v7, v10, v6, s2
	s_delay_alu instid0(VALU_DEP_2) | instskip(NEXT) | instid1(VALU_DEP_3)
	v_cndmask_b32_e64 v2, v4, v2, s2
	v_cndmask_b32_e64 v1, v3, v1, s2
	s_delay_alu instid0(VALU_DEP_3)
	v_and_b32_e32 v6, 0xff, v7
.LBB21_109:
	s_or_b32 exec_lo, exec_lo, s4
	v_cmp_gt_u32_e32 vcc_lo, 30, v5
	s_waitcnt lgkmcnt(2)
	v_add_nc_u32_e32 v10, 2, v5
	s_mov_b32 s4, exec_lo
	s_waitcnt lgkmcnt(1)
	v_cndmask_b32_e64 v3, 0, 1, vcc_lo
	s_delay_alu instid0(VALU_DEP_1) | instskip(SKIP_1) | instid1(VALU_DEP_1)
	v_lshlrev_b32_e32 v3, 1, v3
	s_waitcnt lgkmcnt(0)
	v_add_lshl_u32 v4, v3, v5, 2
	ds_bpermute_b32 v9, v4, v6
	ds_bpermute_b32 v3, v4, v1
	ds_bpermute_b32 v4, v4, v2
	v_cmpx_lt_u32_e64 v10, v8
	s_cbranch_execz .LBB21_111
; %bb.110:
	s_waitcnt lgkmcnt(2)
	v_and_b32_e32 v6, 1, v9
	s_waitcnt lgkmcnt(0)
	v_cmp_lt_i64_e32 vcc_lo, v[3:4], v[1:2]
	s_delay_alu instid0(VALU_DEP_2) | instskip(SKIP_1) | instid1(VALU_DEP_2)
	v_cmp_eq_u32_e64 s2, 1, v6
	v_and_b32_e32 v6, 1, v7
	v_cndmask_b32_e64 v7, v7, 1, s2
	s_and_b32 vcc_lo, s2, vcc_lo
	s_delay_alu instid0(VALU_DEP_2) | instskip(SKIP_1) | instid1(VALU_DEP_2)
	v_cmp_eq_u32_e64 s2, 1, v6
	v_dual_cndmask_b32 v1, v1, v3 :: v_dual_cndmask_b32 v2, v2, v4
	v_cndmask_b32_e64 v7, v9, v7, s2
	s_delay_alu instid0(VALU_DEP_2) | instskip(NEXT) | instid1(VALU_DEP_3)
	v_cndmask_b32_e64 v1, v3, v1, s2
	v_cndmask_b32_e64 v2, v4, v2, s2
	s_delay_alu instid0(VALU_DEP_3)
	v_and_b32_e32 v6, 0xff, v7
.LBB21_111:
	s_or_b32 exec_lo, exec_lo, s4
	v_cmp_gt_u32_e32 vcc_lo, 28, v5
	v_add_nc_u32_e32 v10, 4, v5
	s_mov_b32 s4, exec_lo
	s_waitcnt lgkmcnt(1)
	v_cndmask_b32_e64 v3, 0, 1, vcc_lo
	s_delay_alu instid0(VALU_DEP_1) | instskip(SKIP_1) | instid1(VALU_DEP_1)
	v_lshlrev_b32_e32 v3, 2, v3
	s_waitcnt lgkmcnt(0)
	v_add_lshl_u32 v4, v3, v5, 2
	ds_bpermute_b32 v9, v4, v6
	ds_bpermute_b32 v3, v4, v1
	ds_bpermute_b32 v4, v4, v2
	v_cmpx_lt_u32_e64 v10, v8
	s_cbranch_execz .LBB21_113
; %bb.112:
	s_waitcnt lgkmcnt(2)
	v_and_b32_e32 v6, 1, v9
	s_waitcnt lgkmcnt(0)
	v_cmp_lt_i64_e32 vcc_lo, v[3:4], v[1:2]
	s_delay_alu instid0(VALU_DEP_2) | instskip(SKIP_1) | instid1(VALU_DEP_2)
	v_cmp_eq_u32_e64 s2, 1, v6
	v_and_b32_e32 v6, 1, v7
	v_cndmask_b32_e64 v7, v7, 1, s2
	s_and_b32 vcc_lo, s2, vcc_lo
	s_delay_alu instid0(VALU_DEP_2) | instskip(SKIP_1) | instid1(VALU_DEP_2)
	v_cmp_eq_u32_e64 s2, 1, v6
	v_dual_cndmask_b32 v1, v1, v3 :: v_dual_cndmask_b32 v2, v2, v4
	v_cndmask_b32_e64 v7, v9, v7, s2
	s_delay_alu instid0(VALU_DEP_2) | instskip(NEXT) | instid1(VALU_DEP_3)
	v_cndmask_b32_e64 v1, v3, v1, s2
	v_cndmask_b32_e64 v2, v4, v2, s2
	s_delay_alu instid0(VALU_DEP_3)
	v_and_b32_e32 v6, 0xff, v7
.LBB21_113:
	s_or_b32 exec_lo, exec_lo, s4
	v_cmp_gt_u32_e32 vcc_lo, 24, v5
	;; [unrolled: 35-line block ×3, first 2 shown]
	v_add_nc_u32_e32 v10, 16, v5
	s_mov_b32 s4, exec_lo
	s_waitcnt lgkmcnt(1)
	v_cndmask_b32_e64 v3, 0, 1, vcc_lo
	s_delay_alu instid0(VALU_DEP_1) | instskip(SKIP_1) | instid1(VALU_DEP_1)
	v_lshlrev_b32_e32 v3, 4, v3
	s_waitcnt lgkmcnt(0)
	v_add_lshl_u32 v4, v3, v5, 2
	ds_bpermute_b32 v9, v4, v6
	ds_bpermute_b32 v3, v4, v1
	;; [unrolled: 1-line block ×3, first 2 shown]
	v_cmpx_lt_u32_e64 v10, v8
	s_cbranch_execz .LBB21_117
; %bb.116:
	s_waitcnt lgkmcnt(2)
	v_and_b32_e32 v6, 1, v9
	s_waitcnt lgkmcnt(0)
	v_cmp_lt_i64_e32 vcc_lo, v[3:4], v[1:2]
	s_delay_alu instid0(VALU_DEP_2) | instskip(SKIP_1) | instid1(VALU_DEP_2)
	v_cmp_eq_u32_e64 s2, 1, v6
	v_and_b32_e32 v6, 1, v7
	v_cndmask_b32_e64 v7, v7, 1, s2
	s_and_b32 vcc_lo, s2, vcc_lo
	s_delay_alu instid0(VALU_DEP_2) | instskip(SKIP_1) | instid1(VALU_DEP_2)
	v_cmp_eq_u32_e64 s2, 1, v6
	v_dual_cndmask_b32 v1, v1, v3 :: v_dual_cndmask_b32 v2, v2, v4
	v_cndmask_b32_e64 v7, v9, v7, s2
	s_delay_alu instid0(VALU_DEP_2) | instskip(NEXT) | instid1(VALU_DEP_3)
	v_cndmask_b32_e64 v1, v3, v1, s2
	v_cndmask_b32_e64 v2, v4, v2, s2
	s_delay_alu instid0(VALU_DEP_3)
	v_and_b32_e32 v6, 0xff, v7
.LBB21_117:
	s_or_b32 exec_lo, exec_lo, s4
	s_delay_alu instid0(SALU_CYCLE_1)
	s_mov_b32 s2, exec_lo
	v_cmpx_eq_u32_e32 0, v5
	s_cbranch_execz .LBB21_119
; %bb.118:
	s_waitcnt lgkmcnt(1)
	v_lshrrev_b32_e32 v3, 1, v0
	s_delay_alu instid0(VALU_DEP_1)
	v_and_b32_e32 v3, 0x70, v3
	ds_store_b8 v3, v7 offset:512
	ds_store_b64 v3, v[1:2] offset:520
.LBB21_119:
	s_or_b32 exec_lo, exec_lo, s2
	s_delay_alu instid0(SALU_CYCLE_1)
	s_mov_b32 s4, exec_lo
	s_waitcnt lgkmcnt(0)
	s_barrier
	buffer_gl0_inv
	v_cmpx_gt_u32_e32 8, v0
	s_cbranch_execz .LBB21_127
; %bb.120:
	v_lshlrev_b32_e32 v1, 4, v5
	v_and_b32_e32 v8, 7, v5
	s_add_i32 s3, s3, 31
	s_mov_b32 s5, exec_lo
	s_lshr_b32 s3, s3, 5
	ds_load_u8 v7, v1 offset:512
	ds_load_b64 v[1:2], v1 offset:520
	v_cmp_ne_u32_e32 vcc_lo, 7, v8
	v_add_nc_u32_e32 v10, 1, v8
	v_add_co_ci_u32_e32 v3, vcc_lo, 0, v5, vcc_lo
	s_delay_alu instid0(VALU_DEP_1)
	v_lshlrev_b32_e32 v4, 2, v3
	s_waitcnt lgkmcnt(1)
	v_and_b32_e32 v6, 0xff, v7
	s_waitcnt lgkmcnt(0)
	ds_bpermute_b32 v3, v4, v1
	ds_bpermute_b32 v9, v4, v6
	;; [unrolled: 1-line block ×3, first 2 shown]
	v_cmpx_gt_u32_e64 s3, v10
	s_cbranch_execz .LBB21_122
; %bb.121:
	s_waitcnt lgkmcnt(1)
	v_and_b32_e32 v6, 1, v9
	s_waitcnt lgkmcnt(0)
	v_cmp_lt_i64_e32 vcc_lo, v[3:4], v[1:2]
	s_delay_alu instid0(VALU_DEP_2) | instskip(SKIP_1) | instid1(VALU_DEP_2)
	v_cmp_eq_u32_e64 s2, 1, v6
	v_and_b32_e32 v6, 1, v7
	v_cndmask_b32_e64 v7, v7, 1, s2
	s_and_b32 vcc_lo, s2, vcc_lo
	s_delay_alu instid0(VALU_DEP_2) | instskip(SKIP_1) | instid1(VALU_DEP_2)
	v_cmp_eq_u32_e64 s2, 1, v6
	v_dual_cndmask_b32 v1, v1, v3 :: v_dual_cndmask_b32 v2, v2, v4
	v_cndmask_b32_e64 v7, v9, v7, s2
	s_delay_alu instid0(VALU_DEP_2) | instskip(NEXT) | instid1(VALU_DEP_3)
	v_cndmask_b32_e64 v1, v3, v1, s2
	v_cndmask_b32_e64 v2, v4, v2, s2
	s_delay_alu instid0(VALU_DEP_3)
	v_and_b32_e32 v6, 0xff, v7
.LBB21_122:
	s_or_b32 exec_lo, exec_lo, s5
	v_cmp_gt_u32_e32 vcc_lo, 6, v8
	v_add_nc_u32_e32 v10, 2, v8
	s_mov_b32 s5, exec_lo
	s_waitcnt lgkmcnt(2)
	v_cndmask_b32_e64 v3, 0, 1, vcc_lo
	s_delay_alu instid0(VALU_DEP_1) | instskip(SKIP_1) | instid1(VALU_DEP_1)
	v_lshlrev_b32_e32 v3, 1, v3
	s_waitcnt lgkmcnt(0)
	v_add_lshl_u32 v4, v3, v5, 2
	ds_bpermute_b32 v9, v4, v6
	ds_bpermute_b32 v3, v4, v1
	;; [unrolled: 1-line block ×3, first 2 shown]
	v_cmpx_gt_u32_e64 s3, v10
	s_cbranch_execz .LBB21_124
; %bb.123:
	s_waitcnt lgkmcnt(2)
	v_and_b32_e32 v6, 1, v9
	s_waitcnt lgkmcnt(0)
	v_cmp_lt_i64_e32 vcc_lo, v[3:4], v[1:2]
	s_delay_alu instid0(VALU_DEP_2) | instskip(SKIP_1) | instid1(VALU_DEP_2)
	v_cmp_eq_u32_e64 s2, 1, v6
	v_and_b32_e32 v6, 1, v7
	v_cndmask_b32_e64 v7, v7, 1, s2
	s_and_b32 vcc_lo, s2, vcc_lo
	s_delay_alu instid0(VALU_DEP_2) | instskip(SKIP_1) | instid1(VALU_DEP_2)
	v_cmp_eq_u32_e64 s2, 1, v6
	v_dual_cndmask_b32 v1, v1, v3 :: v_dual_cndmask_b32 v2, v2, v4
	v_cndmask_b32_e64 v7, v9, v7, s2
	s_delay_alu instid0(VALU_DEP_2) | instskip(NEXT) | instid1(VALU_DEP_3)
	v_cndmask_b32_e64 v1, v3, v1, s2
	v_cndmask_b32_e64 v2, v4, v2, s2
	s_delay_alu instid0(VALU_DEP_3)
	v_and_b32_e32 v6, 0xff, v7
.LBB21_124:
	s_or_b32 exec_lo, exec_lo, s5
	v_cmp_gt_u32_e32 vcc_lo, 4, v8
	v_add_nc_u32_e32 v8, 4, v8
	s_waitcnt lgkmcnt(1)
	v_cndmask_b32_e64 v3, 0, 1, vcc_lo
	s_delay_alu instid0(VALU_DEP_2) | instskip(NEXT) | instid1(VALU_DEP_2)
	v_cmp_gt_u32_e32 vcc_lo, s3, v8
	v_lshlrev_b32_e32 v3, 2, v3
	s_waitcnt lgkmcnt(0)
	s_delay_alu instid0(VALU_DEP_1)
	v_add_lshl_u32 v4, v3, v5, 2
	ds_bpermute_b32 v5, v4, v6
	ds_bpermute_b32 v3, v4, v1
	ds_bpermute_b32 v4, v4, v2
	s_and_saveexec_b32 s3, vcc_lo
	s_cbranch_execz .LBB21_126
; %bb.125:
	s_waitcnt lgkmcnt(2)
	v_and_b32_e32 v6, 1, v5
	s_waitcnt lgkmcnt(0)
	v_cmp_lt_i64_e32 vcc_lo, v[3:4], v[1:2]
	s_delay_alu instid0(VALU_DEP_2) | instskip(SKIP_1) | instid1(VALU_DEP_2)
	v_cmp_eq_u32_e64 s2, 1, v6
	v_and_b32_e32 v6, 1, v7
	v_cndmask_b32_e64 v7, v7, 1, s2
	s_and_b32 vcc_lo, s2, vcc_lo
	s_delay_alu instid0(VALU_DEP_2) | instskip(SKIP_1) | instid1(VALU_DEP_2)
	v_cmp_eq_u32_e64 s2, 1, v6
	v_dual_cndmask_b32 v1, v1, v3 :: v_dual_cndmask_b32 v2, v2, v4
	v_cndmask_b32_e64 v5, v5, v7, s2
	s_delay_alu instid0(VALU_DEP_2) | instskip(NEXT) | instid1(VALU_DEP_3)
	v_cndmask_b32_e64 v1, v3, v1, s2
	v_cndmask_b32_e64 v2, v4, v2, s2
	s_delay_alu instid0(VALU_DEP_3)
	v_and_b32_e32 v6, 0xff, v5
.LBB21_126:
	s_or_b32 exec_lo, exec_lo, s3
.LBB21_127:
	s_delay_alu instid0(SALU_CYCLE_1)
	s_or_b32 exec_lo, exec_lo, s4
.LBB21_128:
                                        ; implicit-def: $vgpr3_vgpr4
                                        ; implicit-def: $vgpr5
	s_delay_alu instid0(SALU_CYCLE_1)
	s_mov_b32 s2, exec_lo
	v_cmpx_eq_u32_e32 0, v0
	s_xor_b32 s4, exec_lo, s2
	s_cbranch_execz .LBB21_132
; %bb.129:
	s_waitcnt lgkmcnt(0)
	v_dual_mov_b32 v3, s16 :: v_dual_mov_b32 v4, s17
	v_mov_b32_e32 v5, s18
	s_cmp_eq_u64 s[14:15], 0
	s_cbranch_scc1 .LBB21_131
; %bb.130:
	v_and_b32_e32 v3, 1, v6
	v_cmp_gt_i64_e32 vcc_lo, s[16:17], v[1:2]
	s_bitcmp1_b32 s18, 0
	s_cselect_b32 s3, -1, 0
	s_delay_alu instid0(VALU_DEP_2) | instskip(NEXT) | instid1(VALU_DEP_1)
	v_cmp_eq_u32_e64 s2, 1, v3
	s_and_b32 vcc_lo, s2, vcc_lo
	v_cndmask_b32_e64 v3, s18, 1, s2
	v_cndmask_b32_e32 v7, s16, v1, vcc_lo
	v_cndmask_b32_e32 v4, s17, v2, vcc_lo
	s_delay_alu instid0(VALU_DEP_3) | instskip(NEXT) | instid1(VALU_DEP_3)
	v_cndmask_b32_e64 v5, v6, v3, s3
	v_cndmask_b32_e64 v3, v1, v7, s3
	s_delay_alu instid0(VALU_DEP_3)
	v_cndmask_b32_e64 v4, v2, v4, s3
.LBB21_131:
	s_or_b32 s8, s8, exec_lo
.LBB21_132:
	s_or_b32 exec_lo, exec_lo, s4
	s_branch .LBB21_206
.LBB21_133:
	s_cmp_gt_i32 s19, 1
	s_cbranch_scc0 .LBB21_153
; %bb.134:
	s_cmp_eq_u32 s19, 2
	s_cbranch_scc0 .LBB21_154
; %bb.135:
	s_mov_b32 s11, 0
	s_lshl_b32 s6, s10, 9
	s_mov_b32 s7, s11
	s_lshr_b64 s[20:21], s[14:15], 9
	s_lshl_b64 s[2:3], s[6:7], 4
	s_delay_alu instid0(SALU_CYCLE_1)
	s_add_u32 s4, s12, s2
	s_addc_u32 s5, s13, s3
	s_cmp_lg_u64 s[20:21], s[10:11]
	s_cbranch_scc0 .LBB21_155
; %bb.136:
	v_lshlrev_b32_e32 v1, 4, v0
	s_mov_b32 s3, exec_lo
	s_waitcnt lgkmcnt(1)
	s_delay_alu instid0(VALU_DEP_1)
	v_add_co_u32 v3, s2, s4, v1
	s_waitcnt lgkmcnt(0)
	v_add_co_ci_u32_e64 v4, null, s5, 0, s2
	global_load_u8 v5, v1, s[4:5]
	v_add_co_u32 v1, vcc_lo, 0x1000, v3
	v_add_co_ci_u32_e32 v2, vcc_lo, 0, v4, vcc_lo
	s_clause 0x1
	global_load_u8 v6, v[1:2], off
	global_load_b64 v[1:2], v[1:2], off offset:8
	s_waitcnt vmcnt(2)
	v_and_b32_e32 v7, 1, v5
	s_delay_alu instid0(VALU_DEP_1)
	v_cmpx_eq_u32_e32 1, v7
	s_cbranch_execz .LBB21_138
; %bb.137:
	global_load_b64 v[3:4], v[3:4], off offset:8
	s_waitcnt vmcnt(2)
	v_and_b32_e32 v6, 1, v6
	s_delay_alu instid0(VALU_DEP_1) | instskip(NEXT) | instid1(VALU_DEP_1)
	v_cmp_eq_u32_e64 s2, 1, v6
	v_cndmask_b32_e64 v6, v5, 1, s2
	s_waitcnt vmcnt(0)
	v_cmp_lt_i64_e32 vcc_lo, v[1:2], v[3:4]
	v_cndmask_b32_e32 v2, v4, v2, vcc_lo
	s_and_b32 vcc_lo, s2, vcc_lo
	v_cndmask_b32_e32 v1, v3, v1, vcc_lo
	s_delay_alu instid0(VALU_DEP_2)
	v_cndmask_b32_e64 v2, v4, v2, s2
.LBB21_138:
	s_or_b32 exec_lo, exec_lo, s3
	s_waitcnt vmcnt(1)
	v_and_b32_e32 v5, 0xff, v6
	v_and_b32_e32 v6, 1, v6
	s_waitcnt vmcnt(0)
	v_mov_b32_dpp v3, v1 quad_perm:[1,0,3,2] row_mask:0xf bank_mask:0xf
	v_mov_b32_dpp v4, v2 quad_perm:[1,0,3,2] row_mask:0xf bank_mask:0xf
	s_mov_b32 s7, exec_lo
	v_mov_b32_dpp v7, v5 quad_perm:[1,0,3,2] row_mask:0xf bank_mask:0xf
	v_cmp_eq_u32_e64 s3, 1, v6
	s_delay_alu instid0(VALU_DEP_2) | instskip(NEXT) | instid1(VALU_DEP_1)
	v_and_b32_e32 v8, 1, v7
	v_cmpx_eq_u32_e32 1, v8
; %bb.139:
	s_delay_alu instid0(VALU_DEP_3) | instskip(SKIP_1) | instid1(VALU_DEP_2)
	v_cndmask_b32_e64 v5, v7, 1, s3
	v_cmp_lt_i64_e32 vcc_lo, v[1:2], v[3:4]
	v_and_b32_e32 v6, 1, v5
	v_and_b32_e32 v5, 0xff, v5
	s_and_b32 vcc_lo, s3, vcc_lo
	s_and_not1_b32 s3, s3, exec_lo
	v_dual_cndmask_b32 v2, v4, v2 :: v_dual_cndmask_b32 v1, v3, v1
	v_cmp_eq_u32_e64 s2, 1, v6
	s_delay_alu instid0(VALU_DEP_1) | instskip(NEXT) | instid1(SALU_CYCLE_1)
	s_and_b32 s2, s2, exec_lo
	s_or_b32 s3, s3, s2
; %bb.140:
	s_or_b32 exec_lo, exec_lo, s7
	v_mov_b32_dpp v6, v5 quad_perm:[2,3,0,1] row_mask:0xf bank_mask:0xf
	v_mov_b32_dpp v3, v1 quad_perm:[2,3,0,1] row_mask:0xf bank_mask:0xf
	;; [unrolled: 1-line block ×3, first 2 shown]
	s_mov_b32 s7, exec_lo
	s_delay_alu instid0(VALU_DEP_3) | instskip(NEXT) | instid1(VALU_DEP_1)
	v_and_b32_e32 v7, 1, v6
	v_cmpx_eq_u32_e32 1, v7
; %bb.141:
	v_cndmask_b32_e64 v5, v6, 1, s3
	v_cmp_lt_i64_e32 vcc_lo, v[1:2], v[3:4]
	s_delay_alu instid0(VALU_DEP_2)
	v_and_b32_e32 v6, 1, v5
	v_and_b32_e32 v5, 0xff, v5
	s_and_b32 vcc_lo, s3, vcc_lo
	s_and_not1_b32 s3, s3, exec_lo
	v_dual_cndmask_b32 v2, v4, v2 :: v_dual_cndmask_b32 v1, v3, v1
	v_cmp_eq_u32_e64 s2, 1, v6
	s_delay_alu instid0(VALU_DEP_1) | instskip(NEXT) | instid1(SALU_CYCLE_1)
	s_and_b32 s2, s2, exec_lo
	s_or_b32 s3, s3, s2
; %bb.142:
	s_or_b32 exec_lo, exec_lo, s7
	v_mov_b32_dpp v6, v5 row_ror:4 row_mask:0xf bank_mask:0xf
	v_mov_b32_dpp v3, v1 row_ror:4 row_mask:0xf bank_mask:0xf
	;; [unrolled: 1-line block ×3, first 2 shown]
	s_mov_b32 s7, exec_lo
	s_delay_alu instid0(VALU_DEP_3) | instskip(NEXT) | instid1(VALU_DEP_1)
	v_and_b32_e32 v7, 1, v6
	v_cmpx_eq_u32_e32 1, v7
; %bb.143:
	v_cndmask_b32_e64 v5, v6, 1, s3
	v_cmp_lt_i64_e32 vcc_lo, v[1:2], v[3:4]
	s_delay_alu instid0(VALU_DEP_2)
	v_and_b32_e32 v6, 1, v5
	v_and_b32_e32 v5, 0xff, v5
	s_and_b32 vcc_lo, s3, vcc_lo
	s_and_not1_b32 s3, s3, exec_lo
	v_dual_cndmask_b32 v2, v4, v2 :: v_dual_cndmask_b32 v1, v3, v1
	v_cmp_eq_u32_e64 s2, 1, v6
	s_delay_alu instid0(VALU_DEP_1) | instskip(NEXT) | instid1(SALU_CYCLE_1)
	s_and_b32 s2, s2, exec_lo
	s_or_b32 s3, s3, s2
; %bb.144:
	s_or_b32 exec_lo, exec_lo, s7
	v_mov_b32_dpp v6, v5 row_ror:8 row_mask:0xf bank_mask:0xf
	v_mov_b32_dpp v3, v1 row_ror:8 row_mask:0xf bank_mask:0xf
	;; [unrolled: 1-line block ×3, first 2 shown]
	s_mov_b32 s7, exec_lo
	s_delay_alu instid0(VALU_DEP_3) | instskip(NEXT) | instid1(VALU_DEP_1)
	v_and_b32_e32 v7, 1, v6
	v_cmpx_eq_u32_e32 1, v7
; %bb.145:
	v_cndmask_b32_e64 v5, v6, 1, s3
	v_cmp_lt_i64_e32 vcc_lo, v[1:2], v[3:4]
	s_delay_alu instid0(VALU_DEP_2)
	v_and_b32_e32 v6, 1, v5
	v_and_b32_e32 v5, 0xff, v5
	s_and_b32 vcc_lo, s3, vcc_lo
	s_and_not1_b32 s3, s3, exec_lo
	v_dual_cndmask_b32 v2, v4, v2 :: v_dual_cndmask_b32 v1, v3, v1
	v_cmp_eq_u32_e64 s2, 1, v6
	s_delay_alu instid0(VALU_DEP_1) | instskip(NEXT) | instid1(SALU_CYCLE_1)
	s_and_b32 s2, s2, exec_lo
	s_or_b32 s3, s3, s2
; %bb.146:
	s_or_b32 exec_lo, exec_lo, s7
	ds_swizzle_b32 v6, v5 offset:swizzle(BROADCAST,32,15)
	ds_swizzle_b32 v3, v1 offset:swizzle(BROADCAST,32,15)
	;; [unrolled: 1-line block ×3, first 2 shown]
	s_mov_b32 s2, exec_lo
	s_waitcnt lgkmcnt(2)
	v_and_b32_e32 v7, 1, v6
	s_delay_alu instid0(VALU_DEP_1)
	v_cmpx_eq_u32_e32 1, v7
	s_cbranch_execz .LBB21_148
; %bb.147:
	s_waitcnt lgkmcnt(0)
	v_cmp_lt_i64_e32 vcc_lo, v[1:2], v[3:4]
	v_and_b32_e32 v5, 0xff, v6
	s_delay_alu instid0(VALU_DEP_1)
	v_cndmask_b32_e64 v5, v5, 1, s3
	s_and_b32 vcc_lo, s3, vcc_lo
	v_dual_cndmask_b32 v1, v3, v1 :: v_dual_cndmask_b32 v2, v4, v2
.LBB21_148:
	s_or_b32 exec_lo, exec_lo, s2
	s_waitcnt lgkmcnt(1)
	v_mov_b32_e32 v3, 0
	s_mov_b32 s2, exec_lo
	ds_bpermute_b32 v6, v3, v5 offset:124
	ds_bpermute_b32 v1, v3, v1 offset:124
	;; [unrolled: 1-line block ×3, first 2 shown]
	v_mbcnt_lo_u32_b32 v3, -1, 0
	s_delay_alu instid0(VALU_DEP_1)
	v_cmpx_eq_u32_e32 0, v3
	s_cbranch_execz .LBB21_150
; %bb.149:
	s_waitcnt lgkmcnt(3)
	v_lshrrev_b32_e32 v4, 1, v0
	s_delay_alu instid0(VALU_DEP_1)
	v_and_b32_e32 v4, 0x70, v4
	s_waitcnt lgkmcnt(2)
	ds_store_b8 v4, v6 offset:128
	s_waitcnt lgkmcnt(1)
	ds_store_b64 v4, v[1:2] offset:136
.LBB21_150:
	s_or_b32 exec_lo, exec_lo, s2
	s_delay_alu instid0(SALU_CYCLE_1)
	s_mov_b32 s7, exec_lo
	s_waitcnt lgkmcnt(0)
	s_barrier
	buffer_gl0_inv
	v_cmpx_gt_u32_e32 32, v0
	s_cbranch_execz .LBB21_152
; %bb.151:
	v_and_b32_e32 v6, 7, v3
	s_delay_alu instid0(VALU_DEP_1)
	v_lshlrev_b32_e32 v1, 4, v6
	v_cmp_ne_u32_e32 vcc_lo, 7, v6
	ds_load_u8 v7, v1 offset:128
	ds_load_b64 v[1:2], v1 offset:136
	v_add_co_ci_u32_e32 v4, vcc_lo, 0, v3, vcc_lo
	v_cmp_gt_u32_e32 vcc_lo, 6, v6
	s_delay_alu instid0(VALU_DEP_2)
	v_lshlrev_b32_e32 v5, 2, v4
	v_cndmask_b32_e64 v10, 0, 1, vcc_lo
	s_waitcnt lgkmcnt(1)
	v_and_b32_e32 v4, 0xff, v7
	v_and_b32_e32 v11, 1, v7
	ds_bpermute_b32 v8, v5, v4
	s_waitcnt lgkmcnt(1)
	ds_bpermute_b32 v4, v5, v1
	ds_bpermute_b32 v5, v5, v2
	v_cmp_eq_u32_e64 s3, 1, v11
	s_waitcnt lgkmcnt(2)
	v_and_b32_e32 v9, 1, v8
	s_waitcnt lgkmcnt(0)
	v_cmp_lt_i64_e64 s2, v[4:5], v[1:2]
	s_delay_alu instid0(VALU_DEP_2) | instskip(SKIP_2) | instid1(VALU_DEP_4)
	v_cmp_eq_u32_e32 vcc_lo, 1, v9
	v_lshlrev_b32_e32 v9, 1, v10
	v_cndmask_b32_e64 v7, v7, 1, vcc_lo
	s_and_b32 vcc_lo, vcc_lo, s2
	v_dual_cndmask_b32 v1, v1, v4 :: v_dual_cndmask_b32 v2, v2, v5
	s_delay_alu instid0(VALU_DEP_2) | instskip(SKIP_2) | instid1(VALU_DEP_4)
	v_cndmask_b32_e64 v7, v8, v7, s3
	v_add_lshl_u32 v8, v9, v3, 2
	v_cmp_gt_u32_e32 vcc_lo, 4, v6
	v_cndmask_b32_e64 v1, v4, v1, s3
	v_cndmask_b32_e64 v2, v5, v2, s3
	v_and_b32_e32 v9, 0xff, v7
	v_and_b32_e32 v10, 1, v7
	v_cndmask_b32_e64 v6, 0, 1, vcc_lo
	ds_bpermute_b32 v4, v8, v1
	ds_bpermute_b32 v5, v8, v2
	;; [unrolled: 1-line block ×3, first 2 shown]
	v_cmp_eq_u32_e64 s3, 1, v10
	s_waitcnt lgkmcnt(1)
	v_cmp_lt_i64_e64 s2, v[4:5], v[1:2]
	s_waitcnt lgkmcnt(0)
	v_and_b32_e32 v8, 1, v9
	s_delay_alu instid0(VALU_DEP_1) | instskip(SKIP_1) | instid1(VALU_DEP_4)
	v_cmp_eq_u32_e32 vcc_lo, 1, v8
	v_cndmask_b32_e64 v7, v7, 1, vcc_lo
	s_and_b32 vcc_lo, vcc_lo, s2
	v_dual_cndmask_b32 v1, v1, v4 :: v_dual_cndmask_b32 v2, v2, v5
	s_delay_alu instid0(VALU_DEP_2) | instskip(NEXT) | instid1(VALU_DEP_2)
	v_cndmask_b32_e64 v7, v9, v7, s3
	v_cndmask_b32_e64 v1, v4, v1, s3
	v_lshlrev_b32_e32 v6, 2, v6
	s_delay_alu instid0(VALU_DEP_4) | instskip(NEXT) | instid1(VALU_DEP_2)
	v_cndmask_b32_e64 v2, v5, v2, s3
	v_add_lshl_u32 v6, v6, v3, 2
	v_and_b32_e32 v3, 0xff, v7
	ds_bpermute_b32 v4, v6, v2
	ds_bpermute_b32 v5, v6, v3
	;; [unrolled: 1-line block ×3, first 2 shown]
	s_waitcnt lgkmcnt(1)
	v_and_b32_e32 v6, 1, v5
	s_waitcnt lgkmcnt(0)
	v_cmp_lt_i64_e32 vcc_lo, v[3:4], v[1:2]
	s_delay_alu instid0(VALU_DEP_2) | instskip(SKIP_1) | instid1(VALU_DEP_2)
	v_cmp_eq_u32_e64 s2, 1, v6
	v_and_b32_e32 v6, 1, v7
	v_cndmask_b32_e64 v7, v7, 1, s2
	s_and_b32 vcc_lo, s2, vcc_lo
	s_delay_alu instid0(VALU_DEP_2) | instskip(SKIP_1) | instid1(VALU_DEP_2)
	v_cmp_eq_u32_e64 s2, 1, v6
	v_dual_cndmask_b32 v1, v1, v3 :: v_dual_cndmask_b32 v2, v2, v4
	v_cndmask_b32_e64 v5, v5, v7, s2
	s_delay_alu instid0(VALU_DEP_2) | instskip(NEXT) | instid1(VALU_DEP_3)
	v_cndmask_b32_e64 v1, v3, v1, s2
	v_cndmask_b32_e64 v2, v4, v2, s2
	s_delay_alu instid0(VALU_DEP_3)
	v_and_b32_e32 v6, 0xff, v5
.LBB21_152:
	s_or_b32 exec_lo, exec_lo, s7
	s_branch .LBB21_183
.LBB21_153:
                                        ; implicit-def: $vgpr3_vgpr4
                                        ; implicit-def: $vgpr5
	s_cbranch_execnz .LBB21_188
	s_branch .LBB21_206
.LBB21_154:
                                        ; implicit-def: $vgpr3_vgpr4
                                        ; implicit-def: $vgpr5
	s_branch .LBB21_206
.LBB21_155:
                                        ; implicit-def: $vgpr1_vgpr2
                                        ; implicit-def: $vgpr6
	s_cbranch_execz .LBB21_183
; %bb.156:
	s_waitcnt lgkmcnt(0)
	v_mov_b32_e32 v3, 0
	v_dual_mov_b32 v4, 0 :: v_dual_mov_b32 v5, 0
	s_delay_alu instid0(VALU_DEP_2) | instskip(SKIP_2) | instid1(VALU_DEP_3)
	v_mov_b32_e32 v1, v3
	v_mov_b32_e32 v7, 0
	s_sub_i32 s3, s14, s6
	v_mov_b32_e32 v2, v4
	s_mov_b32 s2, exec_lo
	v_cmpx_gt_u32_e64 s3, v0
; %bb.157:
	v_lshlrev_b32_e32 v1, 4, v0
	s_clause 0x1
	global_load_u8 v7, v1, s[4:5]
	global_load_b64 v[1:2], v1, s[4:5] offset:8
; %bb.158:
	s_or_b32 exec_lo, exec_lo, s2
	v_or_b32_e32 v6, 0x100, v0
	s_delay_alu instid0(VALU_DEP_1)
	v_cmp_gt_u32_e32 vcc_lo, s3, v6
	s_and_saveexec_b32 s2, vcc_lo
; %bb.159:
	v_lshlrev_b32_e32 v3, 4, v6
	s_clause 0x1
	global_load_u8 v5, v3, s[4:5]
	global_load_b64 v[3:4], v3, s[4:5] offset:8
; %bb.160:
	s_or_b32 exec_lo, exec_lo, s2
	s_and_saveexec_b32 s4, vcc_lo
	s_cbranch_execz .LBB21_162
; %bb.161:
	s_waitcnt vmcnt(1)
	v_and_b32_e32 v6, 1, v5
	s_waitcnt vmcnt(0)
	v_cmp_lt_i64_e32 vcc_lo, v[3:4], v[1:2]
	s_delay_alu instid0(VALU_DEP_2) | instskip(NEXT) | instid1(VALU_DEP_1)
	v_cmp_eq_u32_e64 s2, 1, v6
	s_and_b32 vcc_lo, s2, vcc_lo
	v_cndmask_b32_e32 v1, v1, v3, vcc_lo
	v_and_b32_e32 v6, 1, v7
	v_cndmask_b32_e64 v7, v7, 1, s2
	v_cndmask_b32_e32 v2, v2, v4, vcc_lo
	s_delay_alu instid0(VALU_DEP_3) | instskip(NEXT) | instid1(VALU_DEP_2)
	v_cmp_eq_u32_e32 vcc_lo, 1, v6
	v_dual_cndmask_b32 v7, v5, v7 :: v_dual_cndmask_b32 v2, v4, v2
	v_cndmask_b32_e32 v1, v3, v1, vcc_lo
.LBB21_162:
	s_or_b32 exec_lo, exec_lo, s4
	s_waitcnt vmcnt(1)
	v_mbcnt_lo_u32_b32 v5, -1, 0
	v_and_b32_e32 v6, 0xff, v7
	v_and_b32_e32 v8, 0xe0, v0
	s_min_u32 s3, s3, 0x100
	s_mov_b32 s4, exec_lo
	v_cmp_ne_u32_e32 vcc_lo, 31, v5
	v_add_nc_u32_e32 v10, 1, v5
	v_sub_nc_u32_e64 v8, s3, v8 clamp
	s_waitcnt vmcnt(0)
	v_add_co_ci_u32_e32 v3, vcc_lo, 0, v5, vcc_lo
	s_delay_alu instid0(VALU_DEP_1)
	v_lshlrev_b32_e32 v4, 2, v3
	ds_bpermute_b32 v9, v4, v6
	ds_bpermute_b32 v3, v4, v1
	ds_bpermute_b32 v4, v4, v2
	v_cmpx_lt_u32_e64 v10, v8
	s_cbranch_execz .LBB21_164
; %bb.163:
	s_waitcnt lgkmcnt(2)
	v_and_b32_e32 v6, 1, v9
	s_waitcnt lgkmcnt(0)
	v_cmp_lt_i64_e32 vcc_lo, v[3:4], v[1:2]
	s_delay_alu instid0(VALU_DEP_2) | instskip(SKIP_1) | instid1(VALU_DEP_2)
	v_cmp_eq_u32_e64 s2, 1, v6
	v_and_b32_e32 v6, 1, v7
	v_cndmask_b32_e64 v7, v7, 1, s2
	s_and_b32 vcc_lo, s2, vcc_lo
	s_delay_alu instid0(VALU_DEP_2) | instskip(SKIP_1) | instid1(VALU_DEP_2)
	v_cmp_eq_u32_e64 s2, 1, v6
	v_dual_cndmask_b32 v1, v1, v3 :: v_dual_cndmask_b32 v2, v2, v4
	v_cndmask_b32_e64 v7, v9, v7, s2
	s_delay_alu instid0(VALU_DEP_2) | instskip(NEXT) | instid1(VALU_DEP_3)
	v_cndmask_b32_e64 v1, v3, v1, s2
	v_cndmask_b32_e64 v2, v4, v2, s2
	s_delay_alu instid0(VALU_DEP_3)
	v_and_b32_e32 v6, 0xff, v7
.LBB21_164:
	s_or_b32 exec_lo, exec_lo, s4
	v_cmp_gt_u32_e32 vcc_lo, 30, v5
	v_add_nc_u32_e32 v10, 2, v5
	s_mov_b32 s4, exec_lo
	s_waitcnt lgkmcnt(1)
	v_cndmask_b32_e64 v3, 0, 1, vcc_lo
	s_delay_alu instid0(VALU_DEP_1) | instskip(SKIP_1) | instid1(VALU_DEP_1)
	v_lshlrev_b32_e32 v3, 1, v3
	s_waitcnt lgkmcnt(0)
	v_add_lshl_u32 v4, v3, v5, 2
	ds_bpermute_b32 v9, v4, v6
	ds_bpermute_b32 v3, v4, v1
	ds_bpermute_b32 v4, v4, v2
	v_cmpx_lt_u32_e64 v10, v8
	s_cbranch_execz .LBB21_166
; %bb.165:
	s_waitcnt lgkmcnt(2)
	v_and_b32_e32 v6, 1, v9
	s_waitcnt lgkmcnt(0)
	v_cmp_lt_i64_e32 vcc_lo, v[3:4], v[1:2]
	s_delay_alu instid0(VALU_DEP_2) | instskip(SKIP_1) | instid1(VALU_DEP_2)
	v_cmp_eq_u32_e64 s2, 1, v6
	v_and_b32_e32 v6, 1, v7
	v_cndmask_b32_e64 v7, v7, 1, s2
	s_and_b32 vcc_lo, s2, vcc_lo
	s_delay_alu instid0(VALU_DEP_2) | instskip(SKIP_1) | instid1(VALU_DEP_2)
	v_cmp_eq_u32_e64 s2, 1, v6
	v_dual_cndmask_b32 v1, v1, v3 :: v_dual_cndmask_b32 v2, v2, v4
	v_cndmask_b32_e64 v7, v9, v7, s2
	s_delay_alu instid0(VALU_DEP_2) | instskip(NEXT) | instid1(VALU_DEP_3)
	v_cndmask_b32_e64 v1, v3, v1, s2
	v_cndmask_b32_e64 v2, v4, v2, s2
	s_delay_alu instid0(VALU_DEP_3)
	v_and_b32_e32 v6, 0xff, v7
.LBB21_166:
	s_or_b32 exec_lo, exec_lo, s4
	v_cmp_gt_u32_e32 vcc_lo, 28, v5
	v_add_nc_u32_e32 v10, 4, v5
	s_mov_b32 s4, exec_lo
	s_waitcnt lgkmcnt(1)
	v_cndmask_b32_e64 v3, 0, 1, vcc_lo
	s_delay_alu instid0(VALU_DEP_1) | instskip(SKIP_1) | instid1(VALU_DEP_1)
	v_lshlrev_b32_e32 v3, 2, v3
	s_waitcnt lgkmcnt(0)
	v_add_lshl_u32 v4, v3, v5, 2
	;; [unrolled: 35-line block ×4, first 2 shown]
	ds_bpermute_b32 v9, v4, v6
	ds_bpermute_b32 v3, v4, v1
	;; [unrolled: 1-line block ×3, first 2 shown]
	v_cmpx_lt_u32_e64 v10, v8
	s_cbranch_execz .LBB21_172
; %bb.171:
	s_waitcnt lgkmcnt(2)
	v_and_b32_e32 v6, 1, v9
	s_waitcnt lgkmcnt(0)
	v_cmp_lt_i64_e32 vcc_lo, v[3:4], v[1:2]
	s_delay_alu instid0(VALU_DEP_2) | instskip(SKIP_1) | instid1(VALU_DEP_2)
	v_cmp_eq_u32_e64 s2, 1, v6
	v_and_b32_e32 v6, 1, v7
	v_cndmask_b32_e64 v7, v7, 1, s2
	s_and_b32 vcc_lo, s2, vcc_lo
	s_delay_alu instid0(VALU_DEP_2) | instskip(SKIP_1) | instid1(VALU_DEP_2)
	v_cmp_eq_u32_e64 s2, 1, v6
	v_dual_cndmask_b32 v1, v1, v3 :: v_dual_cndmask_b32 v2, v2, v4
	v_cndmask_b32_e64 v7, v9, v7, s2
	s_delay_alu instid0(VALU_DEP_2) | instskip(NEXT) | instid1(VALU_DEP_3)
	v_cndmask_b32_e64 v1, v3, v1, s2
	v_cndmask_b32_e64 v2, v4, v2, s2
	s_delay_alu instid0(VALU_DEP_3)
	v_and_b32_e32 v6, 0xff, v7
.LBB21_172:
	s_or_b32 exec_lo, exec_lo, s4
	s_delay_alu instid0(SALU_CYCLE_1)
	s_mov_b32 s2, exec_lo
	v_cmpx_eq_u32_e32 0, v5
	s_cbranch_execz .LBB21_174
; %bb.173:
	s_waitcnt lgkmcnt(1)
	v_lshrrev_b32_e32 v3, 1, v0
	s_delay_alu instid0(VALU_DEP_1)
	v_and_b32_e32 v3, 0x70, v3
	ds_store_b8 v3, v7 offset:512
	ds_store_b64 v3, v[1:2] offset:520
.LBB21_174:
	s_or_b32 exec_lo, exec_lo, s2
	s_delay_alu instid0(SALU_CYCLE_1)
	s_mov_b32 s4, exec_lo
	s_waitcnt lgkmcnt(0)
	s_barrier
	buffer_gl0_inv
	v_cmpx_gt_u32_e32 8, v0
	s_cbranch_execz .LBB21_182
; %bb.175:
	v_lshlrev_b32_e32 v1, 4, v5
	v_and_b32_e32 v8, 7, v5
	s_add_i32 s3, s3, 31
	s_mov_b32 s5, exec_lo
	s_lshr_b32 s3, s3, 5
	ds_load_u8 v7, v1 offset:512
	ds_load_b64 v[1:2], v1 offset:520
	v_cmp_ne_u32_e32 vcc_lo, 7, v8
	v_add_nc_u32_e32 v10, 1, v8
	v_add_co_ci_u32_e32 v3, vcc_lo, 0, v5, vcc_lo
	s_delay_alu instid0(VALU_DEP_1)
	v_lshlrev_b32_e32 v4, 2, v3
	s_waitcnt lgkmcnt(1)
	v_and_b32_e32 v6, 0xff, v7
	s_waitcnt lgkmcnt(0)
	ds_bpermute_b32 v3, v4, v1
	ds_bpermute_b32 v9, v4, v6
	;; [unrolled: 1-line block ×3, first 2 shown]
	v_cmpx_gt_u32_e64 s3, v10
	s_cbranch_execz .LBB21_177
; %bb.176:
	s_waitcnt lgkmcnt(1)
	v_and_b32_e32 v6, 1, v9
	s_waitcnt lgkmcnt(0)
	v_cmp_lt_i64_e32 vcc_lo, v[3:4], v[1:2]
	s_delay_alu instid0(VALU_DEP_2) | instskip(SKIP_1) | instid1(VALU_DEP_2)
	v_cmp_eq_u32_e64 s2, 1, v6
	v_and_b32_e32 v6, 1, v7
	v_cndmask_b32_e64 v7, v7, 1, s2
	s_and_b32 vcc_lo, s2, vcc_lo
	s_delay_alu instid0(VALU_DEP_2) | instskip(SKIP_1) | instid1(VALU_DEP_2)
	v_cmp_eq_u32_e64 s2, 1, v6
	v_dual_cndmask_b32 v1, v1, v3 :: v_dual_cndmask_b32 v2, v2, v4
	v_cndmask_b32_e64 v7, v9, v7, s2
	s_delay_alu instid0(VALU_DEP_2) | instskip(NEXT) | instid1(VALU_DEP_3)
	v_cndmask_b32_e64 v1, v3, v1, s2
	v_cndmask_b32_e64 v2, v4, v2, s2
	s_delay_alu instid0(VALU_DEP_3)
	v_and_b32_e32 v6, 0xff, v7
.LBB21_177:
	s_or_b32 exec_lo, exec_lo, s5
	v_cmp_gt_u32_e32 vcc_lo, 6, v8
	v_add_nc_u32_e32 v10, 2, v8
	s_mov_b32 s5, exec_lo
	s_waitcnt lgkmcnt(2)
	v_cndmask_b32_e64 v3, 0, 1, vcc_lo
	s_delay_alu instid0(VALU_DEP_1) | instskip(SKIP_1) | instid1(VALU_DEP_1)
	v_lshlrev_b32_e32 v3, 1, v3
	s_waitcnt lgkmcnt(0)
	v_add_lshl_u32 v4, v3, v5, 2
	ds_bpermute_b32 v9, v4, v6
	ds_bpermute_b32 v3, v4, v1
	;; [unrolled: 1-line block ×3, first 2 shown]
	v_cmpx_gt_u32_e64 s3, v10
	s_cbranch_execz .LBB21_179
; %bb.178:
	s_waitcnt lgkmcnt(2)
	v_and_b32_e32 v6, 1, v9
	s_waitcnt lgkmcnt(0)
	v_cmp_lt_i64_e32 vcc_lo, v[3:4], v[1:2]
	s_delay_alu instid0(VALU_DEP_2) | instskip(SKIP_1) | instid1(VALU_DEP_2)
	v_cmp_eq_u32_e64 s2, 1, v6
	v_and_b32_e32 v6, 1, v7
	v_cndmask_b32_e64 v7, v7, 1, s2
	s_and_b32 vcc_lo, s2, vcc_lo
	s_delay_alu instid0(VALU_DEP_2) | instskip(SKIP_1) | instid1(VALU_DEP_2)
	v_cmp_eq_u32_e64 s2, 1, v6
	v_dual_cndmask_b32 v1, v1, v3 :: v_dual_cndmask_b32 v2, v2, v4
	v_cndmask_b32_e64 v7, v9, v7, s2
	s_delay_alu instid0(VALU_DEP_2) | instskip(NEXT) | instid1(VALU_DEP_3)
	v_cndmask_b32_e64 v1, v3, v1, s2
	v_cndmask_b32_e64 v2, v4, v2, s2
	s_delay_alu instid0(VALU_DEP_3)
	v_and_b32_e32 v6, 0xff, v7
.LBB21_179:
	s_or_b32 exec_lo, exec_lo, s5
	v_cmp_gt_u32_e32 vcc_lo, 4, v8
	v_add_nc_u32_e32 v8, 4, v8
	s_waitcnt lgkmcnt(1)
	v_cndmask_b32_e64 v3, 0, 1, vcc_lo
	s_delay_alu instid0(VALU_DEP_2) | instskip(NEXT) | instid1(VALU_DEP_2)
	v_cmp_gt_u32_e32 vcc_lo, s3, v8
	v_lshlrev_b32_e32 v3, 2, v3
	s_waitcnt lgkmcnt(0)
	s_delay_alu instid0(VALU_DEP_1)
	v_add_lshl_u32 v4, v3, v5, 2
	ds_bpermute_b32 v5, v4, v6
	ds_bpermute_b32 v3, v4, v1
	;; [unrolled: 1-line block ×3, first 2 shown]
	s_and_saveexec_b32 s3, vcc_lo
	s_cbranch_execz .LBB21_181
; %bb.180:
	s_waitcnt lgkmcnt(2)
	v_and_b32_e32 v6, 1, v5
	s_waitcnt lgkmcnt(0)
	v_cmp_lt_i64_e32 vcc_lo, v[3:4], v[1:2]
	s_delay_alu instid0(VALU_DEP_2) | instskip(SKIP_1) | instid1(VALU_DEP_2)
	v_cmp_eq_u32_e64 s2, 1, v6
	v_and_b32_e32 v6, 1, v7
	v_cndmask_b32_e64 v7, v7, 1, s2
	s_and_b32 vcc_lo, s2, vcc_lo
	s_delay_alu instid0(VALU_DEP_2) | instskip(SKIP_1) | instid1(VALU_DEP_2)
	v_cmp_eq_u32_e64 s2, 1, v6
	v_dual_cndmask_b32 v1, v1, v3 :: v_dual_cndmask_b32 v2, v2, v4
	v_cndmask_b32_e64 v5, v5, v7, s2
	s_delay_alu instid0(VALU_DEP_2) | instskip(NEXT) | instid1(VALU_DEP_3)
	v_cndmask_b32_e64 v1, v3, v1, s2
	v_cndmask_b32_e64 v2, v4, v2, s2
	s_delay_alu instid0(VALU_DEP_3)
	v_and_b32_e32 v6, 0xff, v5
.LBB21_181:
	s_or_b32 exec_lo, exec_lo, s3
.LBB21_182:
	s_delay_alu instid0(SALU_CYCLE_1)
	s_or_b32 exec_lo, exec_lo, s4
.LBB21_183:
                                        ; implicit-def: $vgpr3_vgpr4
                                        ; implicit-def: $vgpr5
	s_delay_alu instid0(SALU_CYCLE_1)
	s_mov_b32 s2, exec_lo
	v_cmpx_eq_u32_e32 0, v0
	s_xor_b32 s4, exec_lo, s2
	s_cbranch_execz .LBB21_187
; %bb.184:
	s_waitcnt lgkmcnt(0)
	v_dual_mov_b32 v3, s16 :: v_dual_mov_b32 v4, s17
	v_mov_b32_e32 v5, s18
	s_cmp_eq_u64 s[14:15], 0
	s_cbranch_scc1 .LBB21_186
; %bb.185:
	v_and_b32_e32 v3, 1, v6
	v_cmp_gt_i64_e32 vcc_lo, s[16:17], v[1:2]
	s_bitcmp1_b32 s18, 0
	s_cselect_b32 s3, -1, 0
	s_delay_alu instid0(VALU_DEP_2) | instskip(NEXT) | instid1(VALU_DEP_1)
	v_cmp_eq_u32_e64 s2, 1, v3
	s_and_b32 vcc_lo, s2, vcc_lo
	v_cndmask_b32_e64 v3, s18, 1, s2
	v_cndmask_b32_e32 v7, s16, v1, vcc_lo
	v_cndmask_b32_e32 v4, s17, v2, vcc_lo
	s_delay_alu instid0(VALU_DEP_3) | instskip(NEXT) | instid1(VALU_DEP_3)
	v_cndmask_b32_e64 v5, v6, v3, s3
	v_cndmask_b32_e64 v3, v1, v7, s3
	s_delay_alu instid0(VALU_DEP_3)
	v_cndmask_b32_e64 v4, v2, v4, s3
.LBB21_186:
	s_or_b32 s8, s8, exec_lo
.LBB21_187:
	s_or_b32 exec_lo, exec_lo, s4
	s_branch .LBB21_206
.LBB21_188:
	s_cmp_eq_u32 s19, 1
	s_cbranch_scc0 .LBB21_205
; %bb.189:
	s_mov_b32 s5, 0
	s_lshr_b64 s[2:3], s[14:15], 8
	s_mov_b32 s11, s5
	s_lshl_b32 s4, s10, 8
	s_cmp_lg_u64 s[2:3], s[10:11]
	s_cbranch_scc0 .LBB21_209
; %bb.190:
	s_lshl_b64 s[2:3], s[4:5], 4
	v_lshlrev_b32_e32 v1, 4, v0
	s_add_u32 s2, s12, s2
	s_addc_u32 s3, s13, s3
	s_mov_b32 s6, exec_lo
	s_waitcnt lgkmcnt(1)
	s_clause 0x1
	global_load_u8 v3, v1, s[2:3]
	global_load_b64 v[1:2], v1, s[2:3] offset:8
	s_waitcnt vmcnt(1)
	v_and_b32_e32 v5, 1, v3
	s_waitcnt vmcnt(0)
	v_mov_b32_dpp v3, v1 quad_perm:[1,0,3,2] row_mask:0xf bank_mask:0xf
	s_waitcnt lgkmcnt(0)
	v_mov_b32_dpp v4, v2 quad_perm:[1,0,3,2] row_mask:0xf bank_mask:0xf
	v_mov_b32_dpp v6, v5 quad_perm:[1,0,3,2] row_mask:0xf bank_mask:0xf
	v_cmp_eq_u32_e64 s3, 1, v5
	s_delay_alu instid0(VALU_DEP_2) | instskip(NEXT) | instid1(VALU_DEP_1)
	v_and_b32_e32 v7, 1, v6
	v_cmpx_eq_u32_e32 1, v7
; %bb.191:
	s_delay_alu instid0(VALU_DEP_3) | instskip(SKIP_1) | instid1(VALU_DEP_2)
	v_cndmask_b32_e64 v5, v6, 1, s3
	v_cmp_lt_i64_e32 vcc_lo, v[1:2], v[3:4]
	v_and_b32_e32 v6, 1, v5
	v_and_b32_e32 v5, 0xff, v5
	s_and_b32 vcc_lo, s3, vcc_lo
	s_and_not1_b32 s3, s3, exec_lo
	v_dual_cndmask_b32 v2, v4, v2 :: v_dual_cndmask_b32 v1, v3, v1
	v_cmp_eq_u32_e64 s2, 1, v6
	s_delay_alu instid0(VALU_DEP_1) | instskip(NEXT) | instid1(SALU_CYCLE_1)
	s_and_b32 s2, s2, exec_lo
	s_or_b32 s3, s3, s2
; %bb.192:
	s_or_b32 exec_lo, exec_lo, s6
	v_mov_b32_dpp v6, v5 quad_perm:[2,3,0,1] row_mask:0xf bank_mask:0xf
	v_mov_b32_dpp v3, v1 quad_perm:[2,3,0,1] row_mask:0xf bank_mask:0xf
	;; [unrolled: 1-line block ×3, first 2 shown]
	s_mov_b32 s6, exec_lo
	s_delay_alu instid0(VALU_DEP_3) | instskip(NEXT) | instid1(VALU_DEP_1)
	v_and_b32_e32 v7, 1, v6
	v_cmpx_eq_u32_e32 1, v7
; %bb.193:
	v_cndmask_b32_e64 v5, v6, 1, s3
	v_cmp_lt_i64_e32 vcc_lo, v[1:2], v[3:4]
	s_delay_alu instid0(VALU_DEP_2)
	v_and_b32_e32 v6, 1, v5
	v_and_b32_e32 v5, 0xff, v5
	s_and_b32 vcc_lo, s3, vcc_lo
	s_and_not1_b32 s3, s3, exec_lo
	v_dual_cndmask_b32 v2, v4, v2 :: v_dual_cndmask_b32 v1, v3, v1
	v_cmp_eq_u32_e64 s2, 1, v6
	s_delay_alu instid0(VALU_DEP_1) | instskip(NEXT) | instid1(SALU_CYCLE_1)
	s_and_b32 s2, s2, exec_lo
	s_or_b32 s3, s3, s2
; %bb.194:
	s_or_b32 exec_lo, exec_lo, s6
	v_mov_b32_dpp v6, v5 row_ror:4 row_mask:0xf bank_mask:0xf
	v_mov_b32_dpp v3, v1 row_ror:4 row_mask:0xf bank_mask:0xf
	;; [unrolled: 1-line block ×3, first 2 shown]
	s_mov_b32 s6, exec_lo
	s_delay_alu instid0(VALU_DEP_3) | instskip(NEXT) | instid1(VALU_DEP_1)
	v_and_b32_e32 v7, 1, v6
	v_cmpx_eq_u32_e32 1, v7
; %bb.195:
	v_cndmask_b32_e64 v5, v6, 1, s3
	v_cmp_lt_i64_e32 vcc_lo, v[1:2], v[3:4]
	s_delay_alu instid0(VALU_DEP_2)
	v_and_b32_e32 v6, 1, v5
	v_and_b32_e32 v5, 0xff, v5
	s_and_b32 vcc_lo, s3, vcc_lo
	s_and_not1_b32 s3, s3, exec_lo
	v_dual_cndmask_b32 v2, v4, v2 :: v_dual_cndmask_b32 v1, v3, v1
	v_cmp_eq_u32_e64 s2, 1, v6
	s_delay_alu instid0(VALU_DEP_1) | instskip(NEXT) | instid1(SALU_CYCLE_1)
	s_and_b32 s2, s2, exec_lo
	s_or_b32 s3, s3, s2
; %bb.196:
	s_or_b32 exec_lo, exec_lo, s6
	v_mov_b32_dpp v6, v5 row_ror:8 row_mask:0xf bank_mask:0xf
	v_mov_b32_dpp v3, v1 row_ror:8 row_mask:0xf bank_mask:0xf
	;; [unrolled: 1-line block ×3, first 2 shown]
	s_mov_b32 s6, exec_lo
	s_delay_alu instid0(VALU_DEP_3) | instskip(NEXT) | instid1(VALU_DEP_1)
	v_and_b32_e32 v7, 1, v6
	v_cmpx_eq_u32_e32 1, v7
; %bb.197:
	v_cndmask_b32_e64 v5, v6, 1, s3
	v_cmp_lt_i64_e32 vcc_lo, v[1:2], v[3:4]
	s_delay_alu instid0(VALU_DEP_2)
	v_and_b32_e32 v6, 1, v5
	v_and_b32_e32 v5, 0xff, v5
	s_and_b32 vcc_lo, s3, vcc_lo
	s_and_not1_b32 s3, s3, exec_lo
	v_dual_cndmask_b32 v2, v4, v2 :: v_dual_cndmask_b32 v1, v3, v1
	v_cmp_eq_u32_e64 s2, 1, v6
	s_delay_alu instid0(VALU_DEP_1) | instskip(NEXT) | instid1(SALU_CYCLE_1)
	s_and_b32 s2, s2, exec_lo
	s_or_b32 s3, s3, s2
; %bb.198:
	s_or_b32 exec_lo, exec_lo, s6
	ds_swizzle_b32 v6, v5 offset:swizzle(BROADCAST,32,15)
	ds_swizzle_b32 v3, v1 offset:swizzle(BROADCAST,32,15)
	ds_swizzle_b32 v4, v2 offset:swizzle(BROADCAST,32,15)
	s_mov_b32 s2, exec_lo
	s_waitcnt lgkmcnt(2)
	v_and_b32_e32 v7, 1, v6
	s_delay_alu instid0(VALU_DEP_1)
	v_cmpx_eq_u32_e32 1, v7
	s_cbranch_execz .LBB21_200
; %bb.199:
	s_waitcnt lgkmcnt(0)
	v_cmp_lt_i64_e32 vcc_lo, v[1:2], v[3:4]
	v_and_b32_e32 v5, 0xff, v6
	s_delay_alu instid0(VALU_DEP_1)
	v_cndmask_b32_e64 v5, v5, 1, s3
	s_and_b32 vcc_lo, s3, vcc_lo
	v_dual_cndmask_b32 v1, v3, v1 :: v_dual_cndmask_b32 v2, v4, v2
.LBB21_200:
	s_or_b32 exec_lo, exec_lo, s2
	s_waitcnt lgkmcnt(1)
	v_mov_b32_e32 v3, 0
	s_mov_b32 s2, exec_lo
	ds_bpermute_b32 v6, v3, v5 offset:124
	ds_bpermute_b32 v1, v3, v1 offset:124
	;; [unrolled: 1-line block ×3, first 2 shown]
	v_mbcnt_lo_u32_b32 v3, -1, 0
	s_delay_alu instid0(VALU_DEP_1)
	v_cmpx_eq_u32_e32 0, v3
	s_cbranch_execz .LBB21_202
; %bb.201:
	s_waitcnt lgkmcnt(3)
	v_lshrrev_b32_e32 v4, 1, v0
	s_delay_alu instid0(VALU_DEP_1)
	v_and_b32_e32 v4, 0x70, v4
	s_waitcnt lgkmcnt(2)
	ds_store_b8 v4, v6
	s_waitcnt lgkmcnt(1)
	ds_store_b64 v4, v[1:2] offset:8
.LBB21_202:
	s_or_b32 exec_lo, exec_lo, s2
	s_delay_alu instid0(SALU_CYCLE_1)
	s_mov_b32 s6, exec_lo
	s_waitcnt lgkmcnt(0)
	s_barrier
	buffer_gl0_inv
	v_cmpx_gt_u32_e32 32, v0
	s_cbranch_execz .LBB21_204
; %bb.203:
	v_and_b32_e32 v6, 7, v3
	s_delay_alu instid0(VALU_DEP_1)
	v_lshlrev_b32_e32 v1, 4, v6
	v_cmp_ne_u32_e32 vcc_lo, 7, v6
	ds_load_u8 v7, v1
	ds_load_b64 v[1:2], v1 offset:8
	v_add_co_ci_u32_e32 v4, vcc_lo, 0, v3, vcc_lo
	v_cmp_gt_u32_e32 vcc_lo, 6, v6
	s_delay_alu instid0(VALU_DEP_2)
	v_lshlrev_b32_e32 v5, 2, v4
	v_cndmask_b32_e64 v10, 0, 1, vcc_lo
	s_waitcnt lgkmcnt(1)
	v_and_b32_e32 v4, 0xff, v7
	v_and_b32_e32 v11, 1, v7
	ds_bpermute_b32 v8, v5, v4
	s_waitcnt lgkmcnt(1)
	ds_bpermute_b32 v4, v5, v1
	ds_bpermute_b32 v5, v5, v2
	v_cmp_eq_u32_e64 s3, 1, v11
	s_waitcnt lgkmcnt(2)
	v_and_b32_e32 v9, 1, v8
	s_waitcnt lgkmcnt(0)
	v_cmp_lt_i64_e64 s2, v[4:5], v[1:2]
	s_delay_alu instid0(VALU_DEP_2) | instskip(SKIP_2) | instid1(VALU_DEP_4)
	v_cmp_eq_u32_e32 vcc_lo, 1, v9
	v_lshlrev_b32_e32 v9, 1, v10
	v_cndmask_b32_e64 v7, v7, 1, vcc_lo
	s_and_b32 vcc_lo, vcc_lo, s2
	v_dual_cndmask_b32 v1, v1, v4 :: v_dual_cndmask_b32 v2, v2, v5
	s_delay_alu instid0(VALU_DEP_2) | instskip(SKIP_2) | instid1(VALU_DEP_4)
	v_cndmask_b32_e64 v7, v8, v7, s3
	v_add_lshl_u32 v8, v9, v3, 2
	v_cmp_gt_u32_e32 vcc_lo, 4, v6
	v_cndmask_b32_e64 v1, v4, v1, s3
	v_cndmask_b32_e64 v2, v5, v2, s3
	v_and_b32_e32 v9, 0xff, v7
	v_and_b32_e32 v10, 1, v7
	v_cndmask_b32_e64 v6, 0, 1, vcc_lo
	ds_bpermute_b32 v4, v8, v1
	ds_bpermute_b32 v5, v8, v2
	ds_bpermute_b32 v9, v8, v9
	v_cmp_eq_u32_e64 s3, 1, v10
	s_waitcnt lgkmcnt(1)
	v_cmp_lt_i64_e64 s2, v[4:5], v[1:2]
	s_waitcnt lgkmcnt(0)
	v_and_b32_e32 v8, 1, v9
	s_delay_alu instid0(VALU_DEP_1) | instskip(SKIP_1) | instid1(VALU_DEP_4)
	v_cmp_eq_u32_e32 vcc_lo, 1, v8
	v_cndmask_b32_e64 v7, v7, 1, vcc_lo
	s_and_b32 vcc_lo, vcc_lo, s2
	v_dual_cndmask_b32 v1, v1, v4 :: v_dual_cndmask_b32 v2, v2, v5
	s_delay_alu instid0(VALU_DEP_2) | instskip(NEXT) | instid1(VALU_DEP_2)
	v_cndmask_b32_e64 v7, v9, v7, s3
	v_cndmask_b32_e64 v1, v4, v1, s3
	v_lshlrev_b32_e32 v6, 2, v6
	s_delay_alu instid0(VALU_DEP_4) | instskip(NEXT) | instid1(VALU_DEP_2)
	v_cndmask_b32_e64 v2, v5, v2, s3
	v_add_lshl_u32 v6, v6, v3, 2
	v_and_b32_e32 v3, 0xff, v7
	ds_bpermute_b32 v4, v6, v2
	ds_bpermute_b32 v5, v6, v3
	;; [unrolled: 1-line block ×3, first 2 shown]
	s_waitcnt lgkmcnt(1)
	v_and_b32_e32 v6, 1, v5
	s_waitcnt lgkmcnt(0)
	v_cmp_lt_i64_e32 vcc_lo, v[3:4], v[1:2]
	s_delay_alu instid0(VALU_DEP_2) | instskip(SKIP_1) | instid1(VALU_DEP_2)
	v_cmp_eq_u32_e64 s2, 1, v6
	v_and_b32_e32 v6, 1, v7
	v_cndmask_b32_e64 v7, v7, 1, s2
	s_and_b32 vcc_lo, s2, vcc_lo
	s_delay_alu instid0(VALU_DEP_2) | instskip(SKIP_1) | instid1(VALU_DEP_2)
	v_cmp_eq_u32_e64 s2, 1, v6
	v_dual_cndmask_b32 v1, v1, v3 :: v_dual_cndmask_b32 v2, v2, v4
	v_cndmask_b32_e64 v5, v5, v7, s2
	s_delay_alu instid0(VALU_DEP_2) | instskip(NEXT) | instid1(VALU_DEP_3)
	v_cndmask_b32_e64 v1, v3, v1, s2
	v_cndmask_b32_e64 v2, v4, v2, s2
	s_delay_alu instid0(VALU_DEP_3)
	v_and_b32_e32 v6, 0xff, v5
.LBB21_204:
	s_or_b32 exec_lo, exec_lo, s6
	s_branch .LBB21_233
.LBB21_205:
                                        ; implicit-def: $vgpr3_vgpr4
                                        ; implicit-def: $vgpr5
                                        ; implicit-def: $sgpr10_sgpr11
.LBB21_206:
	s_and_saveexec_b32 s2, s8
	s_cbranch_execz .LBB21_208
.LBB21_207:
	s_load_b64 s[0:1], s[0:1], 0x18
	s_lshl_b64 s[2:3], s[10:11], 4
	v_mov_b32_e32 v0, 0
	s_waitcnt lgkmcnt(0)
	s_add_u32 s0, s0, s2
	s_addc_u32 s1, s1, s3
	s_clause 0x1
	global_store_b8 v0, v5, s[0:1]
	global_store_b64 v0, v[3:4], s[0:1] offset:8
.LBB21_208:
	s_nop 0
	s_sendmsg sendmsg(MSG_DEALLOC_VGPRS)
	s_endpgm
.LBB21_209:
                                        ; implicit-def: $vgpr1_vgpr2
                                        ; implicit-def: $vgpr6
	s_cbranch_execz .LBB21_233
; %bb.210:
	v_mov_b32_e32 v1, 0
	v_dual_mov_b32 v2, 0 :: v_dual_mov_b32 v7, 0
	s_sub_i32 s2, s14, s4
	s_mov_b32 s3, exec_lo
	v_cmpx_gt_u32_e64 s2, v0
; %bb.211:
	s_lshl_b64 s[4:5], s[4:5], 4
	v_lshlrev_b32_e32 v1, 4, v0
	s_add_u32 s4, s12, s4
	s_addc_u32 s5, s13, s5
	s_clause 0x1
	global_load_u8 v7, v1, s[4:5]
	global_load_b64 v[1:2], v1, s[4:5] offset:8
; %bb.212:
	s_or_b32 exec_lo, exec_lo, s3
	s_waitcnt lgkmcnt(2)
	v_mbcnt_lo_u32_b32 v5, -1, 0
	s_waitcnt vmcnt(1)
	v_and_b32_e32 v6, 0xff, v7
	v_and_b32_e32 v8, 0xe0, v0
	s_min_u32 s3, s2, 0x100
	s_mov_b32 s4, exec_lo
	v_cmp_ne_u32_e32 vcc_lo, 31, v5
	v_add_nc_u32_e32 v10, 1, v5
	v_sub_nc_u32_e64 v8, s3, v8 clamp
	s_waitcnt lgkmcnt(1)
	v_add_co_ci_u32_e32 v3, vcc_lo, 0, v5, vcc_lo
	s_waitcnt lgkmcnt(0)
	s_delay_alu instid0(VALU_DEP_1)
	v_lshlrev_b32_e32 v4, 2, v3
	ds_bpermute_b32 v9, v4, v6
	s_waitcnt vmcnt(0)
	ds_bpermute_b32 v3, v4, v1
	ds_bpermute_b32 v4, v4, v2
	v_cmpx_lt_u32_e64 v10, v8
	s_cbranch_execz .LBB21_214
; %bb.213:
	s_waitcnt lgkmcnt(2)
	v_and_b32_e32 v6, 1, v9
	s_waitcnt lgkmcnt(0)
	v_cmp_lt_i64_e32 vcc_lo, v[3:4], v[1:2]
	s_delay_alu instid0(VALU_DEP_2) | instskip(SKIP_1) | instid1(VALU_DEP_2)
	v_cmp_eq_u32_e64 s2, 1, v6
	v_and_b32_e32 v6, 1, v7
	v_cndmask_b32_e64 v7, v7, 1, s2
	s_and_b32 vcc_lo, s2, vcc_lo
	s_delay_alu instid0(VALU_DEP_2) | instskip(SKIP_1) | instid1(VALU_DEP_2)
	v_cmp_eq_u32_e64 s2, 1, v6
	v_dual_cndmask_b32 v1, v1, v3 :: v_dual_cndmask_b32 v2, v2, v4
	v_cndmask_b32_e64 v7, v9, v7, s2
	s_delay_alu instid0(VALU_DEP_2) | instskip(NEXT) | instid1(VALU_DEP_3)
	v_cndmask_b32_e64 v1, v3, v1, s2
	v_cndmask_b32_e64 v2, v4, v2, s2
	s_delay_alu instid0(VALU_DEP_3)
	v_and_b32_e32 v6, 0xff, v7
.LBB21_214:
	s_or_b32 exec_lo, exec_lo, s4
	v_cmp_gt_u32_e32 vcc_lo, 30, v5
	v_add_nc_u32_e32 v10, 2, v5
	s_mov_b32 s4, exec_lo
	s_waitcnt lgkmcnt(1)
	v_cndmask_b32_e64 v3, 0, 1, vcc_lo
	s_delay_alu instid0(VALU_DEP_1) | instskip(SKIP_1) | instid1(VALU_DEP_1)
	v_lshlrev_b32_e32 v3, 1, v3
	s_waitcnt lgkmcnt(0)
	v_add_lshl_u32 v4, v3, v5, 2
	ds_bpermute_b32 v9, v4, v6
	ds_bpermute_b32 v3, v4, v1
	ds_bpermute_b32 v4, v4, v2
	v_cmpx_lt_u32_e64 v10, v8
	s_cbranch_execz .LBB21_216
; %bb.215:
	s_waitcnt lgkmcnt(2)
	v_and_b32_e32 v6, 1, v9
	s_waitcnt lgkmcnt(0)
	v_cmp_lt_i64_e32 vcc_lo, v[3:4], v[1:2]
	s_delay_alu instid0(VALU_DEP_2) | instskip(SKIP_1) | instid1(VALU_DEP_2)
	v_cmp_eq_u32_e64 s2, 1, v6
	v_and_b32_e32 v6, 1, v7
	v_cndmask_b32_e64 v7, v7, 1, s2
	s_and_b32 vcc_lo, s2, vcc_lo
	s_delay_alu instid0(VALU_DEP_2) | instskip(SKIP_1) | instid1(VALU_DEP_2)
	v_cmp_eq_u32_e64 s2, 1, v6
	v_dual_cndmask_b32 v1, v1, v3 :: v_dual_cndmask_b32 v2, v2, v4
	v_cndmask_b32_e64 v7, v9, v7, s2
	s_delay_alu instid0(VALU_DEP_2) | instskip(NEXT) | instid1(VALU_DEP_3)
	v_cndmask_b32_e64 v1, v3, v1, s2
	v_cndmask_b32_e64 v2, v4, v2, s2
	s_delay_alu instid0(VALU_DEP_3)
	v_and_b32_e32 v6, 0xff, v7
.LBB21_216:
	s_or_b32 exec_lo, exec_lo, s4
	v_cmp_gt_u32_e32 vcc_lo, 28, v5
	v_add_nc_u32_e32 v10, 4, v5
	s_mov_b32 s4, exec_lo
	s_waitcnt lgkmcnt(1)
	v_cndmask_b32_e64 v3, 0, 1, vcc_lo
	s_delay_alu instid0(VALU_DEP_1) | instskip(SKIP_1) | instid1(VALU_DEP_1)
	v_lshlrev_b32_e32 v3, 2, v3
	s_waitcnt lgkmcnt(0)
	v_add_lshl_u32 v4, v3, v5, 2
	ds_bpermute_b32 v9, v4, v6
	;; [unrolled: 35-line block ×4, first 2 shown]
	ds_bpermute_b32 v3, v4, v1
	ds_bpermute_b32 v4, v4, v2
	v_cmpx_lt_u32_e64 v10, v8
	s_cbranch_execz .LBB21_222
; %bb.221:
	s_waitcnt lgkmcnt(2)
	v_and_b32_e32 v6, 1, v9
	s_waitcnt lgkmcnt(0)
	v_cmp_lt_i64_e32 vcc_lo, v[3:4], v[1:2]
	s_delay_alu instid0(VALU_DEP_2) | instskip(SKIP_1) | instid1(VALU_DEP_2)
	v_cmp_eq_u32_e64 s2, 1, v6
	v_and_b32_e32 v6, 1, v7
	v_cndmask_b32_e64 v7, v7, 1, s2
	s_and_b32 vcc_lo, s2, vcc_lo
	s_delay_alu instid0(VALU_DEP_2) | instskip(SKIP_1) | instid1(VALU_DEP_2)
	v_cmp_eq_u32_e64 s2, 1, v6
	v_dual_cndmask_b32 v1, v1, v3 :: v_dual_cndmask_b32 v2, v2, v4
	v_cndmask_b32_e64 v7, v9, v7, s2
	s_delay_alu instid0(VALU_DEP_2) | instskip(NEXT) | instid1(VALU_DEP_3)
	v_cndmask_b32_e64 v1, v3, v1, s2
	v_cndmask_b32_e64 v2, v4, v2, s2
	s_delay_alu instid0(VALU_DEP_3)
	v_and_b32_e32 v6, 0xff, v7
.LBB21_222:
	s_or_b32 exec_lo, exec_lo, s4
	s_delay_alu instid0(SALU_CYCLE_1)
	s_mov_b32 s2, exec_lo
	v_cmpx_eq_u32_e32 0, v5
	s_cbranch_execz .LBB21_224
; %bb.223:
	s_waitcnt lgkmcnt(1)
	v_lshrrev_b32_e32 v3, 1, v0
	s_delay_alu instid0(VALU_DEP_1)
	v_and_b32_e32 v3, 0x70, v3
	ds_store_b8 v3, v7 offset:512
	ds_store_b64 v3, v[1:2] offset:520
.LBB21_224:
	s_or_b32 exec_lo, exec_lo, s2
	s_delay_alu instid0(SALU_CYCLE_1)
	s_mov_b32 s4, exec_lo
	s_waitcnt lgkmcnt(0)
	s_barrier
	buffer_gl0_inv
	v_cmpx_gt_u32_e32 8, v0
	s_cbranch_execz .LBB21_232
; %bb.225:
	v_lshlrev_b32_e32 v1, 4, v5
	v_and_b32_e32 v8, 7, v5
	s_add_i32 s3, s3, 31
	s_mov_b32 s5, exec_lo
	s_lshr_b32 s3, s3, 5
	ds_load_u8 v7, v1 offset:512
	ds_load_b64 v[1:2], v1 offset:520
	v_cmp_ne_u32_e32 vcc_lo, 7, v8
	v_add_nc_u32_e32 v10, 1, v8
	v_add_co_ci_u32_e32 v3, vcc_lo, 0, v5, vcc_lo
	s_delay_alu instid0(VALU_DEP_1)
	v_lshlrev_b32_e32 v4, 2, v3
	s_waitcnt lgkmcnt(1)
	v_and_b32_e32 v6, 0xff, v7
	s_waitcnt lgkmcnt(0)
	ds_bpermute_b32 v3, v4, v1
	ds_bpermute_b32 v9, v4, v6
	;; [unrolled: 1-line block ×3, first 2 shown]
	v_cmpx_gt_u32_e64 s3, v10
	s_cbranch_execz .LBB21_227
; %bb.226:
	s_waitcnt lgkmcnt(1)
	v_and_b32_e32 v6, 1, v9
	s_waitcnt lgkmcnt(0)
	v_cmp_lt_i64_e32 vcc_lo, v[3:4], v[1:2]
	s_delay_alu instid0(VALU_DEP_2) | instskip(SKIP_1) | instid1(VALU_DEP_2)
	v_cmp_eq_u32_e64 s2, 1, v6
	v_and_b32_e32 v6, 1, v7
	v_cndmask_b32_e64 v7, v7, 1, s2
	s_and_b32 vcc_lo, s2, vcc_lo
	s_delay_alu instid0(VALU_DEP_2) | instskip(SKIP_1) | instid1(VALU_DEP_2)
	v_cmp_eq_u32_e64 s2, 1, v6
	v_dual_cndmask_b32 v1, v1, v3 :: v_dual_cndmask_b32 v2, v2, v4
	v_cndmask_b32_e64 v7, v9, v7, s2
	s_delay_alu instid0(VALU_DEP_2) | instskip(NEXT) | instid1(VALU_DEP_3)
	v_cndmask_b32_e64 v1, v3, v1, s2
	v_cndmask_b32_e64 v2, v4, v2, s2
	s_delay_alu instid0(VALU_DEP_3)
	v_and_b32_e32 v6, 0xff, v7
.LBB21_227:
	s_or_b32 exec_lo, exec_lo, s5
	v_cmp_gt_u32_e32 vcc_lo, 6, v8
	v_add_nc_u32_e32 v10, 2, v8
	s_mov_b32 s5, exec_lo
	s_waitcnt lgkmcnt(2)
	v_cndmask_b32_e64 v3, 0, 1, vcc_lo
	s_delay_alu instid0(VALU_DEP_1) | instskip(SKIP_1) | instid1(VALU_DEP_1)
	v_lshlrev_b32_e32 v3, 1, v3
	s_waitcnt lgkmcnt(0)
	v_add_lshl_u32 v4, v3, v5, 2
	ds_bpermute_b32 v9, v4, v6
	ds_bpermute_b32 v3, v4, v1
	;; [unrolled: 1-line block ×3, first 2 shown]
	v_cmpx_gt_u32_e64 s3, v10
	s_cbranch_execz .LBB21_229
; %bb.228:
	s_waitcnt lgkmcnt(2)
	v_and_b32_e32 v6, 1, v9
	s_waitcnt lgkmcnt(0)
	v_cmp_lt_i64_e32 vcc_lo, v[3:4], v[1:2]
	s_delay_alu instid0(VALU_DEP_2) | instskip(SKIP_1) | instid1(VALU_DEP_2)
	v_cmp_eq_u32_e64 s2, 1, v6
	v_and_b32_e32 v6, 1, v7
	v_cndmask_b32_e64 v7, v7, 1, s2
	s_and_b32 vcc_lo, s2, vcc_lo
	s_delay_alu instid0(VALU_DEP_2) | instskip(SKIP_1) | instid1(VALU_DEP_2)
	v_cmp_eq_u32_e64 s2, 1, v6
	v_dual_cndmask_b32 v1, v1, v3 :: v_dual_cndmask_b32 v2, v2, v4
	v_cndmask_b32_e64 v7, v9, v7, s2
	s_delay_alu instid0(VALU_DEP_2) | instskip(NEXT) | instid1(VALU_DEP_3)
	v_cndmask_b32_e64 v1, v3, v1, s2
	v_cndmask_b32_e64 v2, v4, v2, s2
	s_delay_alu instid0(VALU_DEP_3)
	v_and_b32_e32 v6, 0xff, v7
.LBB21_229:
	s_or_b32 exec_lo, exec_lo, s5
	v_cmp_gt_u32_e32 vcc_lo, 4, v8
	v_add_nc_u32_e32 v8, 4, v8
	s_waitcnt lgkmcnt(1)
	v_cndmask_b32_e64 v3, 0, 1, vcc_lo
	s_delay_alu instid0(VALU_DEP_2) | instskip(NEXT) | instid1(VALU_DEP_2)
	v_cmp_gt_u32_e32 vcc_lo, s3, v8
	v_lshlrev_b32_e32 v3, 2, v3
	s_waitcnt lgkmcnt(0)
	s_delay_alu instid0(VALU_DEP_1)
	v_add_lshl_u32 v4, v3, v5, 2
	ds_bpermute_b32 v5, v4, v6
	ds_bpermute_b32 v3, v4, v1
	;; [unrolled: 1-line block ×3, first 2 shown]
	s_and_saveexec_b32 s3, vcc_lo
	s_cbranch_execz .LBB21_231
; %bb.230:
	s_waitcnt lgkmcnt(2)
	v_and_b32_e32 v6, 1, v5
	s_waitcnt lgkmcnt(0)
	v_cmp_lt_i64_e32 vcc_lo, v[3:4], v[1:2]
	s_delay_alu instid0(VALU_DEP_2) | instskip(SKIP_1) | instid1(VALU_DEP_2)
	v_cmp_eq_u32_e64 s2, 1, v6
	v_and_b32_e32 v6, 1, v7
	v_cndmask_b32_e64 v7, v7, 1, s2
	s_and_b32 vcc_lo, s2, vcc_lo
	s_delay_alu instid0(VALU_DEP_2) | instskip(SKIP_1) | instid1(VALU_DEP_2)
	v_cmp_eq_u32_e64 s2, 1, v6
	v_dual_cndmask_b32 v1, v1, v3 :: v_dual_cndmask_b32 v2, v2, v4
	v_cndmask_b32_e64 v5, v5, v7, s2
	s_delay_alu instid0(VALU_DEP_2) | instskip(NEXT) | instid1(VALU_DEP_3)
	v_cndmask_b32_e64 v1, v3, v1, s2
	v_cndmask_b32_e64 v2, v4, v2, s2
	s_delay_alu instid0(VALU_DEP_3)
	v_and_b32_e32 v6, 0xff, v5
.LBB21_231:
	s_or_b32 exec_lo, exec_lo, s3
.LBB21_232:
	s_delay_alu instid0(SALU_CYCLE_1)
	s_or_b32 exec_lo, exec_lo, s4
.LBB21_233:
	s_delay_alu instid0(SALU_CYCLE_1)
	s_mov_b32 s4, exec_lo
                                        ; implicit-def: $vgpr3_vgpr4
                                        ; implicit-def: $vgpr5
	v_cmpx_eq_u32_e32 0, v0
	s_cbranch_execz .LBB21_237
; %bb.234:
	s_waitcnt lgkmcnt(0)
	v_dual_mov_b32 v3, s16 :: v_dual_mov_b32 v4, s17
	v_mov_b32_e32 v5, s18
	s_cmp_eq_u64 s[14:15], 0
	s_cbranch_scc1 .LBB21_236
; %bb.235:
	v_and_b32_e32 v0, 1, v6
	v_cmp_gt_i64_e32 vcc_lo, s[16:17], v[1:2]
	s_bitcmp1_b32 s18, 0
	s_cselect_b32 s3, -1, 0
	s_delay_alu instid0(VALU_DEP_2) | instskip(NEXT) | instid1(VALU_DEP_1)
	v_cmp_eq_u32_e64 s2, 1, v0
	s_and_b32 vcc_lo, s2, vcc_lo
	v_cndmask_b32_e64 v0, s18, 1, s2
	v_cndmask_b32_e32 v3, s16, v1, vcc_lo
	v_cndmask_b32_e32 v4, s17, v2, vcc_lo
	s_delay_alu instid0(VALU_DEP_3) | instskip(NEXT) | instid1(VALU_DEP_3)
	v_cndmask_b32_e64 v5, v6, v0, s3
	v_cndmask_b32_e64 v3, v1, v3, s3
	s_delay_alu instid0(VALU_DEP_3)
	v_cndmask_b32_e64 v4, v2, v4, s3
.LBB21_236:
	s_or_b32 s8, s8, exec_lo
.LBB21_237:
	s_or_b32 exec_lo, exec_lo, s4
	s_and_saveexec_b32 s2, s8
	s_cbranch_execnz .LBB21_207
	s_branch .LBB21_208
.LBB21_238:
	v_lshlrev_b32_e32 v3, 4, v25
	s_clause 0x1
	global_load_u8 v18, v3, s[8:9]
	global_load_b64 v[3:4], v3, s[8:9] offset:8
	s_or_b32 exec_lo, exec_lo, s22
	s_and_saveexec_b32 s9, s7
	s_cbranch_execz .LBB21_61
.LBB21_239:
	s_waitcnt vmcnt(1)
	v_and_b32_e32 v25, 1, v23
	s_waitcnt vmcnt(0)
	v_cmp_lt_i64_e64 s7, v[13:14], v[1:2]
	s_delay_alu instid0(VALU_DEP_2) | instskip(SKIP_1) | instid1(VALU_DEP_2)
	v_cmp_eq_u32_e64 s8, 1, v25
	v_and_b32_e32 v25, 1, v17
	s_and_b32 s7, s8, s7
	v_cndmask_b32_e64 v17, v17, 1, s8
	v_cndmask_b32_e64 v1, v1, v13, s7
	;; [unrolled: 1-line block ×3, first 2 shown]
	v_cmp_eq_u32_e64 s7, 1, v25
	s_delay_alu instid0(VALU_DEP_1) | instskip(NEXT) | instid1(VALU_DEP_3)
	v_cndmask_b32_e64 v17, v23, v17, s7
	v_cndmask_b32_e64 v2, v14, v2, s7
	;; [unrolled: 1-line block ×3, first 2 shown]
	s_or_b32 exec_lo, exec_lo, s9
	s_and_saveexec_b32 s8, s6
	s_cbranch_execz .LBB21_62
.LBB21_240:
	s_waitcnt vmcnt(0)
	v_and_b32_e32 v13, 1, v24
	v_cmp_lt_i64_e64 s6, v[15:16], v[1:2]
	s_delay_alu instid0(VALU_DEP_2) | instskip(SKIP_1) | instid1(VALU_DEP_2)
	v_cmp_eq_u32_e64 s7, 1, v13
	v_and_b32_e32 v13, 1, v17
	s_and_b32 s6, s7, s6
	v_cndmask_b32_e64 v14, v17, 1, s7
	v_cndmask_b32_e64 v1, v1, v15, s6
	;; [unrolled: 1-line block ×3, first 2 shown]
	v_cmp_eq_u32_e64 s6, 1, v13
	s_delay_alu instid0(VALU_DEP_1) | instskip(NEXT) | instid1(VALU_DEP_3)
	v_cndmask_b32_e64 v17, v24, v14, s6
	v_cndmask_b32_e64 v2, v16, v2, s6
	;; [unrolled: 1-line block ×3, first 2 shown]
	s_or_b32 exec_lo, exec_lo, s8
	s_and_saveexec_b32 s7, s5
	s_cbranch_execz .LBB21_63
.LBB21_241:
	s_waitcnt vmcnt(0)
	v_and_b32_e32 v13, 1, v21
	v_cmp_lt_i64_e64 s5, v[9:10], v[1:2]
	s_delay_alu instid0(VALU_DEP_2) | instskip(SKIP_1) | instid1(VALU_DEP_2)
	v_cmp_eq_u32_e64 s6, 1, v13
	v_and_b32_e32 v13, 1, v17
	s_and_b32 s5, s6, s5
	v_cndmask_b32_e64 v14, v17, 1, s6
	v_cndmask_b32_e64 v1, v1, v9, s5
	;; [unrolled: 1-line block ×3, first 2 shown]
	v_cmp_eq_u32_e64 s5, 1, v13
	s_delay_alu instid0(VALU_DEP_1) | instskip(NEXT) | instid1(VALU_DEP_3)
	v_cndmask_b32_e64 v17, v21, v14, s5
	v_cndmask_b32_e64 v2, v10, v2, s5
	;; [unrolled: 1-line block ×3, first 2 shown]
	s_or_b32 exec_lo, exec_lo, s7
	s_and_saveexec_b32 s6, s4
	s_cbranch_execz .LBB21_64
.LBB21_242:
	s_waitcnt vmcnt(0)
	v_and_b32_e32 v9, 1, v22
	v_cmp_lt_i64_e64 s4, v[11:12], v[1:2]
	s_delay_alu instid0(VALU_DEP_2) | instskip(SKIP_1) | instid1(VALU_DEP_2)
	v_cmp_eq_u32_e64 s5, 1, v9
	v_and_b32_e32 v9, 1, v17
	s_and_b32 s4, s5, s4
	v_cndmask_b32_e64 v10, v17, 1, s5
	v_cndmask_b32_e64 v1, v1, v11, s4
	;; [unrolled: 1-line block ×3, first 2 shown]
	v_cmp_eq_u32_e64 s4, 1, v9
	s_delay_alu instid0(VALU_DEP_1) | instskip(NEXT) | instid1(VALU_DEP_3)
	v_cndmask_b32_e64 v17, v22, v10, s4
	v_cndmask_b32_e64 v2, v12, v2, s4
	;; [unrolled: 1-line block ×3, first 2 shown]
	s_or_b32 exec_lo, exec_lo, s6
	s_and_saveexec_b32 s5, s3
	s_cbranch_execz .LBB21_65
.LBB21_243:
	s_waitcnt vmcnt(0)
	v_and_b32_e32 v9, 1, v19
	v_cmp_lt_i64_e64 s3, v[5:6], v[1:2]
	s_delay_alu instid0(VALU_DEP_2) | instskip(SKIP_1) | instid1(VALU_DEP_2)
	v_cmp_eq_u32_e64 s4, 1, v9
	v_and_b32_e32 v9, 1, v17
	s_and_b32 s3, s4, s3
	v_cndmask_b32_e64 v10, v17, 1, s4
	v_cndmask_b32_e64 v1, v1, v5, s3
	;; [unrolled: 1-line block ×3, first 2 shown]
	v_cmp_eq_u32_e64 s3, 1, v9
	s_delay_alu instid0(VALU_DEP_1) | instskip(NEXT) | instid1(VALU_DEP_3)
	v_cndmask_b32_e64 v17, v19, v10, s3
	v_cndmask_b32_e64 v2, v6, v2, s3
	;; [unrolled: 1-line block ×3, first 2 shown]
	s_or_b32 exec_lo, exec_lo, s5
	s_and_saveexec_b32 s4, s2
	s_cbranch_execz .LBB21_66
.LBB21_244:
	s_waitcnt vmcnt(0)
	v_and_b32_e32 v5, 1, v20
	v_cmp_lt_i64_e64 s2, v[7:8], v[1:2]
	s_delay_alu instid0(VALU_DEP_2) | instskip(SKIP_1) | instid1(VALU_DEP_2)
	v_cmp_eq_u32_e64 s3, 1, v5
	v_and_b32_e32 v5, 1, v17
	s_and_b32 s2, s3, s2
	v_cndmask_b32_e64 v6, v17, 1, s3
	v_cndmask_b32_e64 v1, v1, v7, s2
	;; [unrolled: 1-line block ×3, first 2 shown]
	v_cmp_eq_u32_e64 s2, 1, v5
	s_delay_alu instid0(VALU_DEP_1) | instskip(NEXT) | instid1(VALU_DEP_3)
	v_cndmask_b32_e64 v17, v20, v6, s2
	v_cndmask_b32_e64 v2, v8, v2, s2
	;; [unrolled: 1-line block ×3, first 2 shown]
	s_or_b32 exec_lo, exec_lo, s4
	s_and_saveexec_b32 s3, vcc_lo
	s_cbranch_execnz .LBB21_67
	s_branch .LBB21_68
.LBB21_245:
	v_lshlrev_b32_e32 v3, 4, v13
	s_clause 0x1
	global_load_u8 v10, v3, s[4:5]
	global_load_b64 v[3:4], v3, s[4:5] offset:8
	s_or_b32 exec_lo, exec_lo, s7
	s_and_saveexec_b32 s5, s3
	s_cbranch_execz .LBB21_104
.LBB21_246:
	s_waitcnt vmcnt(1)
	v_and_b32_e32 v13, 1, v11
	s_waitcnt vmcnt(0)
	v_cmp_lt_i64_e64 s3, v[5:6], v[1:2]
	s_delay_alu instid0(VALU_DEP_2) | instskip(SKIP_1) | instid1(VALU_DEP_2)
	v_cmp_eq_u32_e64 s4, 1, v13
	v_and_b32_e32 v13, 1, v9
	s_and_b32 s3, s4, s3
	v_cndmask_b32_e64 v9, v9, 1, s4
	v_cndmask_b32_e64 v1, v1, v5, s3
	;; [unrolled: 1-line block ×3, first 2 shown]
	v_cmp_eq_u32_e64 s3, 1, v13
	s_delay_alu instid0(VALU_DEP_1) | instskip(NEXT) | instid1(VALU_DEP_3)
	v_cndmask_b32_e64 v9, v11, v9, s3
	v_cndmask_b32_e64 v2, v6, v2, s3
	;; [unrolled: 1-line block ×3, first 2 shown]
	s_or_b32 exec_lo, exec_lo, s5
	s_and_saveexec_b32 s4, s2
	s_cbranch_execz .LBB21_105
.LBB21_247:
	s_waitcnt vmcnt(0)
	v_and_b32_e32 v5, 1, v12
	v_cmp_lt_i64_e64 s2, v[7:8], v[1:2]
	s_delay_alu instid0(VALU_DEP_2) | instskip(SKIP_1) | instid1(VALU_DEP_2)
	v_cmp_eq_u32_e64 s3, 1, v5
	v_and_b32_e32 v5, 1, v9
	s_and_b32 s2, s3, s2
	v_cndmask_b32_e64 v6, v9, 1, s3
	v_cndmask_b32_e64 v1, v1, v7, s2
	;; [unrolled: 1-line block ×3, first 2 shown]
	v_cmp_eq_u32_e64 s2, 1, v5
	s_delay_alu instid0(VALU_DEP_1) | instskip(NEXT) | instid1(VALU_DEP_3)
	v_cndmask_b32_e64 v9, v12, v6, s2
	v_cndmask_b32_e64 v2, v8, v2, s2
	;; [unrolled: 1-line block ×3, first 2 shown]
	s_or_b32 exec_lo, exec_lo, s4
	s_and_saveexec_b32 s3, vcc_lo
	s_cbranch_execnz .LBB21_106
	s_branch .LBB21_107
	.section	.rodata,"a",@progbits
	.p2align	6, 0x0
	.amdhsa_kernel _ZN7rocprim17ROCPRIM_400000_NS6detail17trampoline_kernelINS0_14default_configENS1_22reduce_config_selectorIN6thrust23THRUST_200600_302600_NS5tupleIblNS6_9null_typeES8_S8_S8_S8_S8_S8_S8_EEEEZNS1_11reduce_implILb1ES3_PS9_SC_S9_NS6_11hip_rocprim9__find_if7functorIS9_EEEE10hipError_tPvRmT1_T2_T3_mT4_P12ihipStream_tbEUlT_E1_NS1_11comp_targetILNS1_3genE9ELNS1_11target_archE1100ELNS1_3gpuE3ELNS1_3repE0EEENS1_30default_config_static_selectorELNS0_4arch9wavefront6targetE0EEEvSK_
		.amdhsa_group_segment_fixed_size 640
		.amdhsa_private_segment_fixed_size 0
		.amdhsa_kernarg_size 56
		.amdhsa_user_sgpr_count 15
		.amdhsa_user_sgpr_dispatch_ptr 0
		.amdhsa_user_sgpr_queue_ptr 0
		.amdhsa_user_sgpr_kernarg_segment_ptr 1
		.amdhsa_user_sgpr_dispatch_id 0
		.amdhsa_user_sgpr_private_segment_size 0
		.amdhsa_wavefront_size32 1
		.amdhsa_uses_dynamic_stack 0
		.amdhsa_enable_private_segment 0
		.amdhsa_system_sgpr_workgroup_id_x 1
		.amdhsa_system_sgpr_workgroup_id_y 0
		.amdhsa_system_sgpr_workgroup_id_z 0
		.amdhsa_system_sgpr_workgroup_info 0
		.amdhsa_system_vgpr_workitem_id 0
		.amdhsa_next_free_vgpr 30
		.amdhsa_next_free_sgpr 23
		.amdhsa_reserve_vcc 1
		.amdhsa_float_round_mode_32 0
		.amdhsa_float_round_mode_16_64 0
		.amdhsa_float_denorm_mode_32 3
		.amdhsa_float_denorm_mode_16_64 3
		.amdhsa_dx10_clamp 1
		.amdhsa_ieee_mode 1
		.amdhsa_fp16_overflow 0
		.amdhsa_workgroup_processor_mode 1
		.amdhsa_memory_ordered 1
		.amdhsa_forward_progress 0
		.amdhsa_shared_vgpr_count 0
		.amdhsa_exception_fp_ieee_invalid_op 0
		.amdhsa_exception_fp_denorm_src 0
		.amdhsa_exception_fp_ieee_div_zero 0
		.amdhsa_exception_fp_ieee_overflow 0
		.amdhsa_exception_fp_ieee_underflow 0
		.amdhsa_exception_fp_ieee_inexact 0
		.amdhsa_exception_int_div_zero 0
	.end_amdhsa_kernel
	.section	.text._ZN7rocprim17ROCPRIM_400000_NS6detail17trampoline_kernelINS0_14default_configENS1_22reduce_config_selectorIN6thrust23THRUST_200600_302600_NS5tupleIblNS6_9null_typeES8_S8_S8_S8_S8_S8_S8_EEEEZNS1_11reduce_implILb1ES3_PS9_SC_S9_NS6_11hip_rocprim9__find_if7functorIS9_EEEE10hipError_tPvRmT1_T2_T3_mT4_P12ihipStream_tbEUlT_E1_NS1_11comp_targetILNS1_3genE9ELNS1_11target_archE1100ELNS1_3gpuE3ELNS1_3repE0EEENS1_30default_config_static_selectorELNS0_4arch9wavefront6targetE0EEEvSK_,"axG",@progbits,_ZN7rocprim17ROCPRIM_400000_NS6detail17trampoline_kernelINS0_14default_configENS1_22reduce_config_selectorIN6thrust23THRUST_200600_302600_NS5tupleIblNS6_9null_typeES8_S8_S8_S8_S8_S8_S8_EEEEZNS1_11reduce_implILb1ES3_PS9_SC_S9_NS6_11hip_rocprim9__find_if7functorIS9_EEEE10hipError_tPvRmT1_T2_T3_mT4_P12ihipStream_tbEUlT_E1_NS1_11comp_targetILNS1_3genE9ELNS1_11target_archE1100ELNS1_3gpuE3ELNS1_3repE0EEENS1_30default_config_static_selectorELNS0_4arch9wavefront6targetE0EEEvSK_,comdat
.Lfunc_end21:
	.size	_ZN7rocprim17ROCPRIM_400000_NS6detail17trampoline_kernelINS0_14default_configENS1_22reduce_config_selectorIN6thrust23THRUST_200600_302600_NS5tupleIblNS6_9null_typeES8_S8_S8_S8_S8_S8_S8_EEEEZNS1_11reduce_implILb1ES3_PS9_SC_S9_NS6_11hip_rocprim9__find_if7functorIS9_EEEE10hipError_tPvRmT1_T2_T3_mT4_P12ihipStream_tbEUlT_E1_NS1_11comp_targetILNS1_3genE9ELNS1_11target_archE1100ELNS1_3gpuE3ELNS1_3repE0EEENS1_30default_config_static_selectorELNS0_4arch9wavefront6targetE0EEEvSK_, .Lfunc_end21-_ZN7rocprim17ROCPRIM_400000_NS6detail17trampoline_kernelINS0_14default_configENS1_22reduce_config_selectorIN6thrust23THRUST_200600_302600_NS5tupleIblNS6_9null_typeES8_S8_S8_S8_S8_S8_S8_EEEEZNS1_11reduce_implILb1ES3_PS9_SC_S9_NS6_11hip_rocprim9__find_if7functorIS9_EEEE10hipError_tPvRmT1_T2_T3_mT4_P12ihipStream_tbEUlT_E1_NS1_11comp_targetILNS1_3genE9ELNS1_11target_archE1100ELNS1_3gpuE3ELNS1_3repE0EEENS1_30default_config_static_selectorELNS0_4arch9wavefront6targetE0EEEvSK_
                                        ; -- End function
	.section	.AMDGPU.csdata,"",@progbits
; Kernel info:
; codeLenInByte = 16132
; NumSgprs: 25
; NumVgprs: 30
; ScratchSize: 0
; MemoryBound: 0
; FloatMode: 240
; IeeeMode: 1
; LDSByteSize: 640 bytes/workgroup (compile time only)
; SGPRBlocks: 3
; VGPRBlocks: 3
; NumSGPRsForWavesPerEU: 25
; NumVGPRsForWavesPerEU: 30
; Occupancy: 16
; WaveLimiterHint : 1
; COMPUTE_PGM_RSRC2:SCRATCH_EN: 0
; COMPUTE_PGM_RSRC2:USER_SGPR: 15
; COMPUTE_PGM_RSRC2:TRAP_HANDLER: 0
; COMPUTE_PGM_RSRC2:TGID_X_EN: 1
; COMPUTE_PGM_RSRC2:TGID_Y_EN: 0
; COMPUTE_PGM_RSRC2:TGID_Z_EN: 0
; COMPUTE_PGM_RSRC2:TIDIG_COMP_CNT: 0
	.section	.text._ZN7rocprim17ROCPRIM_400000_NS6detail17trampoline_kernelINS0_14default_configENS1_22reduce_config_selectorIN6thrust23THRUST_200600_302600_NS5tupleIblNS6_9null_typeES8_S8_S8_S8_S8_S8_S8_EEEEZNS1_11reduce_implILb1ES3_PS9_SC_S9_NS6_11hip_rocprim9__find_if7functorIS9_EEEE10hipError_tPvRmT1_T2_T3_mT4_P12ihipStream_tbEUlT_E1_NS1_11comp_targetILNS1_3genE8ELNS1_11target_archE1030ELNS1_3gpuE2ELNS1_3repE0EEENS1_30default_config_static_selectorELNS0_4arch9wavefront6targetE0EEEvSK_,"axG",@progbits,_ZN7rocprim17ROCPRIM_400000_NS6detail17trampoline_kernelINS0_14default_configENS1_22reduce_config_selectorIN6thrust23THRUST_200600_302600_NS5tupleIblNS6_9null_typeES8_S8_S8_S8_S8_S8_S8_EEEEZNS1_11reduce_implILb1ES3_PS9_SC_S9_NS6_11hip_rocprim9__find_if7functorIS9_EEEE10hipError_tPvRmT1_T2_T3_mT4_P12ihipStream_tbEUlT_E1_NS1_11comp_targetILNS1_3genE8ELNS1_11target_archE1030ELNS1_3gpuE2ELNS1_3repE0EEENS1_30default_config_static_selectorELNS0_4arch9wavefront6targetE0EEEvSK_,comdat
	.protected	_ZN7rocprim17ROCPRIM_400000_NS6detail17trampoline_kernelINS0_14default_configENS1_22reduce_config_selectorIN6thrust23THRUST_200600_302600_NS5tupleIblNS6_9null_typeES8_S8_S8_S8_S8_S8_S8_EEEEZNS1_11reduce_implILb1ES3_PS9_SC_S9_NS6_11hip_rocprim9__find_if7functorIS9_EEEE10hipError_tPvRmT1_T2_T3_mT4_P12ihipStream_tbEUlT_E1_NS1_11comp_targetILNS1_3genE8ELNS1_11target_archE1030ELNS1_3gpuE2ELNS1_3repE0EEENS1_30default_config_static_selectorELNS0_4arch9wavefront6targetE0EEEvSK_ ; -- Begin function _ZN7rocprim17ROCPRIM_400000_NS6detail17trampoline_kernelINS0_14default_configENS1_22reduce_config_selectorIN6thrust23THRUST_200600_302600_NS5tupleIblNS6_9null_typeES8_S8_S8_S8_S8_S8_S8_EEEEZNS1_11reduce_implILb1ES3_PS9_SC_S9_NS6_11hip_rocprim9__find_if7functorIS9_EEEE10hipError_tPvRmT1_T2_T3_mT4_P12ihipStream_tbEUlT_E1_NS1_11comp_targetILNS1_3genE8ELNS1_11target_archE1030ELNS1_3gpuE2ELNS1_3repE0EEENS1_30default_config_static_selectorELNS0_4arch9wavefront6targetE0EEEvSK_
	.globl	_ZN7rocprim17ROCPRIM_400000_NS6detail17trampoline_kernelINS0_14default_configENS1_22reduce_config_selectorIN6thrust23THRUST_200600_302600_NS5tupleIblNS6_9null_typeES8_S8_S8_S8_S8_S8_S8_EEEEZNS1_11reduce_implILb1ES3_PS9_SC_S9_NS6_11hip_rocprim9__find_if7functorIS9_EEEE10hipError_tPvRmT1_T2_T3_mT4_P12ihipStream_tbEUlT_E1_NS1_11comp_targetILNS1_3genE8ELNS1_11target_archE1030ELNS1_3gpuE2ELNS1_3repE0EEENS1_30default_config_static_selectorELNS0_4arch9wavefront6targetE0EEEvSK_
	.p2align	8
	.type	_ZN7rocprim17ROCPRIM_400000_NS6detail17trampoline_kernelINS0_14default_configENS1_22reduce_config_selectorIN6thrust23THRUST_200600_302600_NS5tupleIblNS6_9null_typeES8_S8_S8_S8_S8_S8_S8_EEEEZNS1_11reduce_implILb1ES3_PS9_SC_S9_NS6_11hip_rocprim9__find_if7functorIS9_EEEE10hipError_tPvRmT1_T2_T3_mT4_P12ihipStream_tbEUlT_E1_NS1_11comp_targetILNS1_3genE8ELNS1_11target_archE1030ELNS1_3gpuE2ELNS1_3repE0EEENS1_30default_config_static_selectorELNS0_4arch9wavefront6targetE0EEEvSK_,@function
_ZN7rocprim17ROCPRIM_400000_NS6detail17trampoline_kernelINS0_14default_configENS1_22reduce_config_selectorIN6thrust23THRUST_200600_302600_NS5tupleIblNS6_9null_typeES8_S8_S8_S8_S8_S8_S8_EEEEZNS1_11reduce_implILb1ES3_PS9_SC_S9_NS6_11hip_rocprim9__find_if7functorIS9_EEEE10hipError_tPvRmT1_T2_T3_mT4_P12ihipStream_tbEUlT_E1_NS1_11comp_targetILNS1_3genE8ELNS1_11target_archE1030ELNS1_3gpuE2ELNS1_3repE0EEENS1_30default_config_static_selectorELNS0_4arch9wavefront6targetE0EEEvSK_: ; @_ZN7rocprim17ROCPRIM_400000_NS6detail17trampoline_kernelINS0_14default_configENS1_22reduce_config_selectorIN6thrust23THRUST_200600_302600_NS5tupleIblNS6_9null_typeES8_S8_S8_S8_S8_S8_S8_EEEEZNS1_11reduce_implILb1ES3_PS9_SC_S9_NS6_11hip_rocprim9__find_if7functorIS9_EEEE10hipError_tPvRmT1_T2_T3_mT4_P12ihipStream_tbEUlT_E1_NS1_11comp_targetILNS1_3genE8ELNS1_11target_archE1030ELNS1_3gpuE2ELNS1_3repE0EEENS1_30default_config_static_selectorELNS0_4arch9wavefront6targetE0EEEvSK_
; %bb.0:
	.section	.rodata,"a",@progbits
	.p2align	6, 0x0
	.amdhsa_kernel _ZN7rocprim17ROCPRIM_400000_NS6detail17trampoline_kernelINS0_14default_configENS1_22reduce_config_selectorIN6thrust23THRUST_200600_302600_NS5tupleIblNS6_9null_typeES8_S8_S8_S8_S8_S8_S8_EEEEZNS1_11reduce_implILb1ES3_PS9_SC_S9_NS6_11hip_rocprim9__find_if7functorIS9_EEEE10hipError_tPvRmT1_T2_T3_mT4_P12ihipStream_tbEUlT_E1_NS1_11comp_targetILNS1_3genE8ELNS1_11target_archE1030ELNS1_3gpuE2ELNS1_3repE0EEENS1_30default_config_static_selectorELNS0_4arch9wavefront6targetE0EEEvSK_
		.amdhsa_group_segment_fixed_size 0
		.amdhsa_private_segment_fixed_size 0
		.amdhsa_kernarg_size 56
		.amdhsa_user_sgpr_count 15
		.amdhsa_user_sgpr_dispatch_ptr 0
		.amdhsa_user_sgpr_queue_ptr 0
		.amdhsa_user_sgpr_kernarg_segment_ptr 1
		.amdhsa_user_sgpr_dispatch_id 0
		.amdhsa_user_sgpr_private_segment_size 0
		.amdhsa_wavefront_size32 1
		.amdhsa_uses_dynamic_stack 0
		.amdhsa_enable_private_segment 0
		.amdhsa_system_sgpr_workgroup_id_x 1
		.amdhsa_system_sgpr_workgroup_id_y 0
		.amdhsa_system_sgpr_workgroup_id_z 0
		.amdhsa_system_sgpr_workgroup_info 0
		.amdhsa_system_vgpr_workitem_id 0
		.amdhsa_next_free_vgpr 1
		.amdhsa_next_free_sgpr 1
		.amdhsa_reserve_vcc 0
		.amdhsa_float_round_mode_32 0
		.amdhsa_float_round_mode_16_64 0
		.amdhsa_float_denorm_mode_32 3
		.amdhsa_float_denorm_mode_16_64 3
		.amdhsa_dx10_clamp 1
		.amdhsa_ieee_mode 1
		.amdhsa_fp16_overflow 0
		.amdhsa_workgroup_processor_mode 1
		.amdhsa_memory_ordered 1
		.amdhsa_forward_progress 0
		.amdhsa_shared_vgpr_count 0
		.amdhsa_exception_fp_ieee_invalid_op 0
		.amdhsa_exception_fp_denorm_src 0
		.amdhsa_exception_fp_ieee_div_zero 0
		.amdhsa_exception_fp_ieee_overflow 0
		.amdhsa_exception_fp_ieee_underflow 0
		.amdhsa_exception_fp_ieee_inexact 0
		.amdhsa_exception_int_div_zero 0
	.end_amdhsa_kernel
	.section	.text._ZN7rocprim17ROCPRIM_400000_NS6detail17trampoline_kernelINS0_14default_configENS1_22reduce_config_selectorIN6thrust23THRUST_200600_302600_NS5tupleIblNS6_9null_typeES8_S8_S8_S8_S8_S8_S8_EEEEZNS1_11reduce_implILb1ES3_PS9_SC_S9_NS6_11hip_rocprim9__find_if7functorIS9_EEEE10hipError_tPvRmT1_T2_T3_mT4_P12ihipStream_tbEUlT_E1_NS1_11comp_targetILNS1_3genE8ELNS1_11target_archE1030ELNS1_3gpuE2ELNS1_3repE0EEENS1_30default_config_static_selectorELNS0_4arch9wavefront6targetE0EEEvSK_,"axG",@progbits,_ZN7rocprim17ROCPRIM_400000_NS6detail17trampoline_kernelINS0_14default_configENS1_22reduce_config_selectorIN6thrust23THRUST_200600_302600_NS5tupleIblNS6_9null_typeES8_S8_S8_S8_S8_S8_S8_EEEEZNS1_11reduce_implILb1ES3_PS9_SC_S9_NS6_11hip_rocprim9__find_if7functorIS9_EEEE10hipError_tPvRmT1_T2_T3_mT4_P12ihipStream_tbEUlT_E1_NS1_11comp_targetILNS1_3genE8ELNS1_11target_archE1030ELNS1_3gpuE2ELNS1_3repE0EEENS1_30default_config_static_selectorELNS0_4arch9wavefront6targetE0EEEvSK_,comdat
.Lfunc_end22:
	.size	_ZN7rocprim17ROCPRIM_400000_NS6detail17trampoline_kernelINS0_14default_configENS1_22reduce_config_selectorIN6thrust23THRUST_200600_302600_NS5tupleIblNS6_9null_typeES8_S8_S8_S8_S8_S8_S8_EEEEZNS1_11reduce_implILb1ES3_PS9_SC_S9_NS6_11hip_rocprim9__find_if7functorIS9_EEEE10hipError_tPvRmT1_T2_T3_mT4_P12ihipStream_tbEUlT_E1_NS1_11comp_targetILNS1_3genE8ELNS1_11target_archE1030ELNS1_3gpuE2ELNS1_3repE0EEENS1_30default_config_static_selectorELNS0_4arch9wavefront6targetE0EEEvSK_, .Lfunc_end22-_ZN7rocprim17ROCPRIM_400000_NS6detail17trampoline_kernelINS0_14default_configENS1_22reduce_config_selectorIN6thrust23THRUST_200600_302600_NS5tupleIblNS6_9null_typeES8_S8_S8_S8_S8_S8_S8_EEEEZNS1_11reduce_implILb1ES3_PS9_SC_S9_NS6_11hip_rocprim9__find_if7functorIS9_EEEE10hipError_tPvRmT1_T2_T3_mT4_P12ihipStream_tbEUlT_E1_NS1_11comp_targetILNS1_3genE8ELNS1_11target_archE1030ELNS1_3gpuE2ELNS1_3repE0EEENS1_30default_config_static_selectorELNS0_4arch9wavefront6targetE0EEEvSK_
                                        ; -- End function
	.section	.AMDGPU.csdata,"",@progbits
; Kernel info:
; codeLenInByte = 0
; NumSgprs: 0
; NumVgprs: 0
; ScratchSize: 0
; MemoryBound: 0
; FloatMode: 240
; IeeeMode: 1
; LDSByteSize: 0 bytes/workgroup (compile time only)
; SGPRBlocks: 0
; VGPRBlocks: 0
; NumSGPRsForWavesPerEU: 1
; NumVGPRsForWavesPerEU: 1
; Occupancy: 16
; WaveLimiterHint : 0
; COMPUTE_PGM_RSRC2:SCRATCH_EN: 0
; COMPUTE_PGM_RSRC2:USER_SGPR: 15
; COMPUTE_PGM_RSRC2:TRAP_HANDLER: 0
; COMPUTE_PGM_RSRC2:TGID_X_EN: 1
; COMPUTE_PGM_RSRC2:TGID_Y_EN: 0
; COMPUTE_PGM_RSRC2:TGID_Z_EN: 0
; COMPUTE_PGM_RSRC2:TIDIG_COMP_CNT: 0
	.section	.text._ZN7rocprim17ROCPRIM_400000_NS6detail17trampoline_kernelINS0_14default_configENS1_22reduce_config_selectorIN6thrust23THRUST_200600_302600_NS5tupleIblNS6_9null_typeES8_S8_S8_S8_S8_S8_S8_EEEEZNS1_11reduce_implILb1ES3_NS6_12zip_iteratorINS7_INS6_11hip_rocprim26transform_input_iterator_tIbNSD_35transform_pair_of_input_iterators_tIbNS6_6detail15normal_iteratorINS6_10device_ptrIKiEEEESL_NS6_8equal_toIiEEEENSG_9not_fun_tINSD_8identityEEEEENSD_19counting_iterator_tIlEES8_S8_S8_S8_S8_S8_S8_S8_EEEEPS9_S9_NSD_9__find_if7functorIS9_EEEE10hipError_tPvRmT1_T2_T3_mT4_P12ihipStream_tbEUlT_E0_NS1_11comp_targetILNS1_3genE0ELNS1_11target_archE4294967295ELNS1_3gpuE0ELNS1_3repE0EEENS1_30default_config_static_selectorELNS0_4arch9wavefront6targetE0EEEvS14_,"axG",@progbits,_ZN7rocprim17ROCPRIM_400000_NS6detail17trampoline_kernelINS0_14default_configENS1_22reduce_config_selectorIN6thrust23THRUST_200600_302600_NS5tupleIblNS6_9null_typeES8_S8_S8_S8_S8_S8_S8_EEEEZNS1_11reduce_implILb1ES3_NS6_12zip_iteratorINS7_INS6_11hip_rocprim26transform_input_iterator_tIbNSD_35transform_pair_of_input_iterators_tIbNS6_6detail15normal_iteratorINS6_10device_ptrIKiEEEESL_NS6_8equal_toIiEEEENSG_9not_fun_tINSD_8identityEEEEENSD_19counting_iterator_tIlEES8_S8_S8_S8_S8_S8_S8_S8_EEEEPS9_S9_NSD_9__find_if7functorIS9_EEEE10hipError_tPvRmT1_T2_T3_mT4_P12ihipStream_tbEUlT_E0_NS1_11comp_targetILNS1_3genE0ELNS1_11target_archE4294967295ELNS1_3gpuE0ELNS1_3repE0EEENS1_30default_config_static_selectorELNS0_4arch9wavefront6targetE0EEEvS14_,comdat
	.protected	_ZN7rocprim17ROCPRIM_400000_NS6detail17trampoline_kernelINS0_14default_configENS1_22reduce_config_selectorIN6thrust23THRUST_200600_302600_NS5tupleIblNS6_9null_typeES8_S8_S8_S8_S8_S8_S8_EEEEZNS1_11reduce_implILb1ES3_NS6_12zip_iteratorINS7_INS6_11hip_rocprim26transform_input_iterator_tIbNSD_35transform_pair_of_input_iterators_tIbNS6_6detail15normal_iteratorINS6_10device_ptrIKiEEEESL_NS6_8equal_toIiEEEENSG_9not_fun_tINSD_8identityEEEEENSD_19counting_iterator_tIlEES8_S8_S8_S8_S8_S8_S8_S8_EEEEPS9_S9_NSD_9__find_if7functorIS9_EEEE10hipError_tPvRmT1_T2_T3_mT4_P12ihipStream_tbEUlT_E0_NS1_11comp_targetILNS1_3genE0ELNS1_11target_archE4294967295ELNS1_3gpuE0ELNS1_3repE0EEENS1_30default_config_static_selectorELNS0_4arch9wavefront6targetE0EEEvS14_ ; -- Begin function _ZN7rocprim17ROCPRIM_400000_NS6detail17trampoline_kernelINS0_14default_configENS1_22reduce_config_selectorIN6thrust23THRUST_200600_302600_NS5tupleIblNS6_9null_typeES8_S8_S8_S8_S8_S8_S8_EEEEZNS1_11reduce_implILb1ES3_NS6_12zip_iteratorINS7_INS6_11hip_rocprim26transform_input_iterator_tIbNSD_35transform_pair_of_input_iterators_tIbNS6_6detail15normal_iteratorINS6_10device_ptrIKiEEEESL_NS6_8equal_toIiEEEENSG_9not_fun_tINSD_8identityEEEEENSD_19counting_iterator_tIlEES8_S8_S8_S8_S8_S8_S8_S8_EEEEPS9_S9_NSD_9__find_if7functorIS9_EEEE10hipError_tPvRmT1_T2_T3_mT4_P12ihipStream_tbEUlT_E0_NS1_11comp_targetILNS1_3genE0ELNS1_11target_archE4294967295ELNS1_3gpuE0ELNS1_3repE0EEENS1_30default_config_static_selectorELNS0_4arch9wavefront6targetE0EEEvS14_
	.globl	_ZN7rocprim17ROCPRIM_400000_NS6detail17trampoline_kernelINS0_14default_configENS1_22reduce_config_selectorIN6thrust23THRUST_200600_302600_NS5tupleIblNS6_9null_typeES8_S8_S8_S8_S8_S8_S8_EEEEZNS1_11reduce_implILb1ES3_NS6_12zip_iteratorINS7_INS6_11hip_rocprim26transform_input_iterator_tIbNSD_35transform_pair_of_input_iterators_tIbNS6_6detail15normal_iteratorINS6_10device_ptrIKiEEEESL_NS6_8equal_toIiEEEENSG_9not_fun_tINSD_8identityEEEEENSD_19counting_iterator_tIlEES8_S8_S8_S8_S8_S8_S8_S8_EEEEPS9_S9_NSD_9__find_if7functorIS9_EEEE10hipError_tPvRmT1_T2_T3_mT4_P12ihipStream_tbEUlT_E0_NS1_11comp_targetILNS1_3genE0ELNS1_11target_archE4294967295ELNS1_3gpuE0ELNS1_3repE0EEENS1_30default_config_static_selectorELNS0_4arch9wavefront6targetE0EEEvS14_
	.p2align	8
	.type	_ZN7rocprim17ROCPRIM_400000_NS6detail17trampoline_kernelINS0_14default_configENS1_22reduce_config_selectorIN6thrust23THRUST_200600_302600_NS5tupleIblNS6_9null_typeES8_S8_S8_S8_S8_S8_S8_EEEEZNS1_11reduce_implILb1ES3_NS6_12zip_iteratorINS7_INS6_11hip_rocprim26transform_input_iterator_tIbNSD_35transform_pair_of_input_iterators_tIbNS6_6detail15normal_iteratorINS6_10device_ptrIKiEEEESL_NS6_8equal_toIiEEEENSG_9not_fun_tINSD_8identityEEEEENSD_19counting_iterator_tIlEES8_S8_S8_S8_S8_S8_S8_S8_EEEEPS9_S9_NSD_9__find_if7functorIS9_EEEE10hipError_tPvRmT1_T2_T3_mT4_P12ihipStream_tbEUlT_E0_NS1_11comp_targetILNS1_3genE0ELNS1_11target_archE4294967295ELNS1_3gpuE0ELNS1_3repE0EEENS1_30default_config_static_selectorELNS0_4arch9wavefront6targetE0EEEvS14_,@function
_ZN7rocprim17ROCPRIM_400000_NS6detail17trampoline_kernelINS0_14default_configENS1_22reduce_config_selectorIN6thrust23THRUST_200600_302600_NS5tupleIblNS6_9null_typeES8_S8_S8_S8_S8_S8_S8_EEEEZNS1_11reduce_implILb1ES3_NS6_12zip_iteratorINS7_INS6_11hip_rocprim26transform_input_iterator_tIbNSD_35transform_pair_of_input_iterators_tIbNS6_6detail15normal_iteratorINS6_10device_ptrIKiEEEESL_NS6_8equal_toIiEEEENSG_9not_fun_tINSD_8identityEEEEENSD_19counting_iterator_tIlEES8_S8_S8_S8_S8_S8_S8_S8_EEEEPS9_S9_NSD_9__find_if7functorIS9_EEEE10hipError_tPvRmT1_T2_T3_mT4_P12ihipStream_tbEUlT_E0_NS1_11comp_targetILNS1_3genE0ELNS1_11target_archE4294967295ELNS1_3gpuE0ELNS1_3repE0EEENS1_30default_config_static_selectorELNS0_4arch9wavefront6targetE0EEEvS14_: ; @_ZN7rocprim17ROCPRIM_400000_NS6detail17trampoline_kernelINS0_14default_configENS1_22reduce_config_selectorIN6thrust23THRUST_200600_302600_NS5tupleIblNS6_9null_typeES8_S8_S8_S8_S8_S8_S8_EEEEZNS1_11reduce_implILb1ES3_NS6_12zip_iteratorINS7_INS6_11hip_rocprim26transform_input_iterator_tIbNSD_35transform_pair_of_input_iterators_tIbNS6_6detail15normal_iteratorINS6_10device_ptrIKiEEEESL_NS6_8equal_toIiEEEENSG_9not_fun_tINSD_8identityEEEEENSD_19counting_iterator_tIlEES8_S8_S8_S8_S8_S8_S8_S8_EEEEPS9_S9_NSD_9__find_if7functorIS9_EEEE10hipError_tPvRmT1_T2_T3_mT4_P12ihipStream_tbEUlT_E0_NS1_11comp_targetILNS1_3genE0ELNS1_11target_archE4294967295ELNS1_3gpuE0ELNS1_3repE0EEENS1_30default_config_static_selectorELNS0_4arch9wavefront6targetE0EEEvS14_
; %bb.0:
	.section	.rodata,"a",@progbits
	.p2align	6, 0x0
	.amdhsa_kernel _ZN7rocprim17ROCPRIM_400000_NS6detail17trampoline_kernelINS0_14default_configENS1_22reduce_config_selectorIN6thrust23THRUST_200600_302600_NS5tupleIblNS6_9null_typeES8_S8_S8_S8_S8_S8_S8_EEEEZNS1_11reduce_implILb1ES3_NS6_12zip_iteratorINS7_INS6_11hip_rocprim26transform_input_iterator_tIbNSD_35transform_pair_of_input_iterators_tIbNS6_6detail15normal_iteratorINS6_10device_ptrIKiEEEESL_NS6_8equal_toIiEEEENSG_9not_fun_tINSD_8identityEEEEENSD_19counting_iterator_tIlEES8_S8_S8_S8_S8_S8_S8_S8_EEEEPS9_S9_NSD_9__find_if7functorIS9_EEEE10hipError_tPvRmT1_T2_T3_mT4_P12ihipStream_tbEUlT_E0_NS1_11comp_targetILNS1_3genE0ELNS1_11target_archE4294967295ELNS1_3gpuE0ELNS1_3repE0EEENS1_30default_config_static_selectorELNS0_4arch9wavefront6targetE0EEEvS14_
		.amdhsa_group_segment_fixed_size 0
		.amdhsa_private_segment_fixed_size 0
		.amdhsa_kernarg_size 104
		.amdhsa_user_sgpr_count 15
		.amdhsa_user_sgpr_dispatch_ptr 0
		.amdhsa_user_sgpr_queue_ptr 0
		.amdhsa_user_sgpr_kernarg_segment_ptr 1
		.amdhsa_user_sgpr_dispatch_id 0
		.amdhsa_user_sgpr_private_segment_size 0
		.amdhsa_wavefront_size32 1
		.amdhsa_uses_dynamic_stack 0
		.amdhsa_enable_private_segment 0
		.amdhsa_system_sgpr_workgroup_id_x 1
		.amdhsa_system_sgpr_workgroup_id_y 0
		.amdhsa_system_sgpr_workgroup_id_z 0
		.amdhsa_system_sgpr_workgroup_info 0
		.amdhsa_system_vgpr_workitem_id 0
		.amdhsa_next_free_vgpr 1
		.amdhsa_next_free_sgpr 1
		.amdhsa_reserve_vcc 0
		.amdhsa_float_round_mode_32 0
		.amdhsa_float_round_mode_16_64 0
		.amdhsa_float_denorm_mode_32 3
		.amdhsa_float_denorm_mode_16_64 3
		.amdhsa_dx10_clamp 1
		.amdhsa_ieee_mode 1
		.amdhsa_fp16_overflow 0
		.amdhsa_workgroup_processor_mode 1
		.amdhsa_memory_ordered 1
		.amdhsa_forward_progress 0
		.amdhsa_shared_vgpr_count 0
		.amdhsa_exception_fp_ieee_invalid_op 0
		.amdhsa_exception_fp_denorm_src 0
		.amdhsa_exception_fp_ieee_div_zero 0
		.amdhsa_exception_fp_ieee_overflow 0
		.amdhsa_exception_fp_ieee_underflow 0
		.amdhsa_exception_fp_ieee_inexact 0
		.amdhsa_exception_int_div_zero 0
	.end_amdhsa_kernel
	.section	.text._ZN7rocprim17ROCPRIM_400000_NS6detail17trampoline_kernelINS0_14default_configENS1_22reduce_config_selectorIN6thrust23THRUST_200600_302600_NS5tupleIblNS6_9null_typeES8_S8_S8_S8_S8_S8_S8_EEEEZNS1_11reduce_implILb1ES3_NS6_12zip_iteratorINS7_INS6_11hip_rocprim26transform_input_iterator_tIbNSD_35transform_pair_of_input_iterators_tIbNS6_6detail15normal_iteratorINS6_10device_ptrIKiEEEESL_NS6_8equal_toIiEEEENSG_9not_fun_tINSD_8identityEEEEENSD_19counting_iterator_tIlEES8_S8_S8_S8_S8_S8_S8_S8_EEEEPS9_S9_NSD_9__find_if7functorIS9_EEEE10hipError_tPvRmT1_T2_T3_mT4_P12ihipStream_tbEUlT_E0_NS1_11comp_targetILNS1_3genE0ELNS1_11target_archE4294967295ELNS1_3gpuE0ELNS1_3repE0EEENS1_30default_config_static_selectorELNS0_4arch9wavefront6targetE0EEEvS14_,"axG",@progbits,_ZN7rocprim17ROCPRIM_400000_NS6detail17trampoline_kernelINS0_14default_configENS1_22reduce_config_selectorIN6thrust23THRUST_200600_302600_NS5tupleIblNS6_9null_typeES8_S8_S8_S8_S8_S8_S8_EEEEZNS1_11reduce_implILb1ES3_NS6_12zip_iteratorINS7_INS6_11hip_rocprim26transform_input_iterator_tIbNSD_35transform_pair_of_input_iterators_tIbNS6_6detail15normal_iteratorINS6_10device_ptrIKiEEEESL_NS6_8equal_toIiEEEENSG_9not_fun_tINSD_8identityEEEEENSD_19counting_iterator_tIlEES8_S8_S8_S8_S8_S8_S8_S8_EEEEPS9_S9_NSD_9__find_if7functorIS9_EEEE10hipError_tPvRmT1_T2_T3_mT4_P12ihipStream_tbEUlT_E0_NS1_11comp_targetILNS1_3genE0ELNS1_11target_archE4294967295ELNS1_3gpuE0ELNS1_3repE0EEENS1_30default_config_static_selectorELNS0_4arch9wavefront6targetE0EEEvS14_,comdat
.Lfunc_end23:
	.size	_ZN7rocprim17ROCPRIM_400000_NS6detail17trampoline_kernelINS0_14default_configENS1_22reduce_config_selectorIN6thrust23THRUST_200600_302600_NS5tupleIblNS6_9null_typeES8_S8_S8_S8_S8_S8_S8_EEEEZNS1_11reduce_implILb1ES3_NS6_12zip_iteratorINS7_INS6_11hip_rocprim26transform_input_iterator_tIbNSD_35transform_pair_of_input_iterators_tIbNS6_6detail15normal_iteratorINS6_10device_ptrIKiEEEESL_NS6_8equal_toIiEEEENSG_9not_fun_tINSD_8identityEEEEENSD_19counting_iterator_tIlEES8_S8_S8_S8_S8_S8_S8_S8_EEEEPS9_S9_NSD_9__find_if7functorIS9_EEEE10hipError_tPvRmT1_T2_T3_mT4_P12ihipStream_tbEUlT_E0_NS1_11comp_targetILNS1_3genE0ELNS1_11target_archE4294967295ELNS1_3gpuE0ELNS1_3repE0EEENS1_30default_config_static_selectorELNS0_4arch9wavefront6targetE0EEEvS14_, .Lfunc_end23-_ZN7rocprim17ROCPRIM_400000_NS6detail17trampoline_kernelINS0_14default_configENS1_22reduce_config_selectorIN6thrust23THRUST_200600_302600_NS5tupleIblNS6_9null_typeES8_S8_S8_S8_S8_S8_S8_EEEEZNS1_11reduce_implILb1ES3_NS6_12zip_iteratorINS7_INS6_11hip_rocprim26transform_input_iterator_tIbNSD_35transform_pair_of_input_iterators_tIbNS6_6detail15normal_iteratorINS6_10device_ptrIKiEEEESL_NS6_8equal_toIiEEEENSG_9not_fun_tINSD_8identityEEEEENSD_19counting_iterator_tIlEES8_S8_S8_S8_S8_S8_S8_S8_EEEEPS9_S9_NSD_9__find_if7functorIS9_EEEE10hipError_tPvRmT1_T2_T3_mT4_P12ihipStream_tbEUlT_E0_NS1_11comp_targetILNS1_3genE0ELNS1_11target_archE4294967295ELNS1_3gpuE0ELNS1_3repE0EEENS1_30default_config_static_selectorELNS0_4arch9wavefront6targetE0EEEvS14_
                                        ; -- End function
	.section	.AMDGPU.csdata,"",@progbits
; Kernel info:
; codeLenInByte = 0
; NumSgprs: 0
; NumVgprs: 0
; ScratchSize: 0
; MemoryBound: 0
; FloatMode: 240
; IeeeMode: 1
; LDSByteSize: 0 bytes/workgroup (compile time only)
; SGPRBlocks: 0
; VGPRBlocks: 0
; NumSGPRsForWavesPerEU: 1
; NumVGPRsForWavesPerEU: 1
; Occupancy: 16
; WaveLimiterHint : 0
; COMPUTE_PGM_RSRC2:SCRATCH_EN: 0
; COMPUTE_PGM_RSRC2:USER_SGPR: 15
; COMPUTE_PGM_RSRC2:TRAP_HANDLER: 0
; COMPUTE_PGM_RSRC2:TGID_X_EN: 1
; COMPUTE_PGM_RSRC2:TGID_Y_EN: 0
; COMPUTE_PGM_RSRC2:TGID_Z_EN: 0
; COMPUTE_PGM_RSRC2:TIDIG_COMP_CNT: 0
	.section	.text._ZN7rocprim17ROCPRIM_400000_NS6detail17trampoline_kernelINS0_14default_configENS1_22reduce_config_selectorIN6thrust23THRUST_200600_302600_NS5tupleIblNS6_9null_typeES8_S8_S8_S8_S8_S8_S8_EEEEZNS1_11reduce_implILb1ES3_NS6_12zip_iteratorINS7_INS6_11hip_rocprim26transform_input_iterator_tIbNSD_35transform_pair_of_input_iterators_tIbNS6_6detail15normal_iteratorINS6_10device_ptrIKiEEEESL_NS6_8equal_toIiEEEENSG_9not_fun_tINSD_8identityEEEEENSD_19counting_iterator_tIlEES8_S8_S8_S8_S8_S8_S8_S8_EEEEPS9_S9_NSD_9__find_if7functorIS9_EEEE10hipError_tPvRmT1_T2_T3_mT4_P12ihipStream_tbEUlT_E0_NS1_11comp_targetILNS1_3genE5ELNS1_11target_archE942ELNS1_3gpuE9ELNS1_3repE0EEENS1_30default_config_static_selectorELNS0_4arch9wavefront6targetE0EEEvS14_,"axG",@progbits,_ZN7rocprim17ROCPRIM_400000_NS6detail17trampoline_kernelINS0_14default_configENS1_22reduce_config_selectorIN6thrust23THRUST_200600_302600_NS5tupleIblNS6_9null_typeES8_S8_S8_S8_S8_S8_S8_EEEEZNS1_11reduce_implILb1ES3_NS6_12zip_iteratorINS7_INS6_11hip_rocprim26transform_input_iterator_tIbNSD_35transform_pair_of_input_iterators_tIbNS6_6detail15normal_iteratorINS6_10device_ptrIKiEEEESL_NS6_8equal_toIiEEEENSG_9not_fun_tINSD_8identityEEEEENSD_19counting_iterator_tIlEES8_S8_S8_S8_S8_S8_S8_S8_EEEEPS9_S9_NSD_9__find_if7functorIS9_EEEE10hipError_tPvRmT1_T2_T3_mT4_P12ihipStream_tbEUlT_E0_NS1_11comp_targetILNS1_3genE5ELNS1_11target_archE942ELNS1_3gpuE9ELNS1_3repE0EEENS1_30default_config_static_selectorELNS0_4arch9wavefront6targetE0EEEvS14_,comdat
	.protected	_ZN7rocprim17ROCPRIM_400000_NS6detail17trampoline_kernelINS0_14default_configENS1_22reduce_config_selectorIN6thrust23THRUST_200600_302600_NS5tupleIblNS6_9null_typeES8_S8_S8_S8_S8_S8_S8_EEEEZNS1_11reduce_implILb1ES3_NS6_12zip_iteratorINS7_INS6_11hip_rocprim26transform_input_iterator_tIbNSD_35transform_pair_of_input_iterators_tIbNS6_6detail15normal_iteratorINS6_10device_ptrIKiEEEESL_NS6_8equal_toIiEEEENSG_9not_fun_tINSD_8identityEEEEENSD_19counting_iterator_tIlEES8_S8_S8_S8_S8_S8_S8_S8_EEEEPS9_S9_NSD_9__find_if7functorIS9_EEEE10hipError_tPvRmT1_T2_T3_mT4_P12ihipStream_tbEUlT_E0_NS1_11comp_targetILNS1_3genE5ELNS1_11target_archE942ELNS1_3gpuE9ELNS1_3repE0EEENS1_30default_config_static_selectorELNS0_4arch9wavefront6targetE0EEEvS14_ ; -- Begin function _ZN7rocprim17ROCPRIM_400000_NS6detail17trampoline_kernelINS0_14default_configENS1_22reduce_config_selectorIN6thrust23THRUST_200600_302600_NS5tupleIblNS6_9null_typeES8_S8_S8_S8_S8_S8_S8_EEEEZNS1_11reduce_implILb1ES3_NS6_12zip_iteratorINS7_INS6_11hip_rocprim26transform_input_iterator_tIbNSD_35transform_pair_of_input_iterators_tIbNS6_6detail15normal_iteratorINS6_10device_ptrIKiEEEESL_NS6_8equal_toIiEEEENSG_9not_fun_tINSD_8identityEEEEENSD_19counting_iterator_tIlEES8_S8_S8_S8_S8_S8_S8_S8_EEEEPS9_S9_NSD_9__find_if7functorIS9_EEEE10hipError_tPvRmT1_T2_T3_mT4_P12ihipStream_tbEUlT_E0_NS1_11comp_targetILNS1_3genE5ELNS1_11target_archE942ELNS1_3gpuE9ELNS1_3repE0EEENS1_30default_config_static_selectorELNS0_4arch9wavefront6targetE0EEEvS14_
	.globl	_ZN7rocprim17ROCPRIM_400000_NS6detail17trampoline_kernelINS0_14default_configENS1_22reduce_config_selectorIN6thrust23THRUST_200600_302600_NS5tupleIblNS6_9null_typeES8_S8_S8_S8_S8_S8_S8_EEEEZNS1_11reduce_implILb1ES3_NS6_12zip_iteratorINS7_INS6_11hip_rocprim26transform_input_iterator_tIbNSD_35transform_pair_of_input_iterators_tIbNS6_6detail15normal_iteratorINS6_10device_ptrIKiEEEESL_NS6_8equal_toIiEEEENSG_9not_fun_tINSD_8identityEEEEENSD_19counting_iterator_tIlEES8_S8_S8_S8_S8_S8_S8_S8_EEEEPS9_S9_NSD_9__find_if7functorIS9_EEEE10hipError_tPvRmT1_T2_T3_mT4_P12ihipStream_tbEUlT_E0_NS1_11comp_targetILNS1_3genE5ELNS1_11target_archE942ELNS1_3gpuE9ELNS1_3repE0EEENS1_30default_config_static_selectorELNS0_4arch9wavefront6targetE0EEEvS14_
	.p2align	8
	.type	_ZN7rocprim17ROCPRIM_400000_NS6detail17trampoline_kernelINS0_14default_configENS1_22reduce_config_selectorIN6thrust23THRUST_200600_302600_NS5tupleIblNS6_9null_typeES8_S8_S8_S8_S8_S8_S8_EEEEZNS1_11reduce_implILb1ES3_NS6_12zip_iteratorINS7_INS6_11hip_rocprim26transform_input_iterator_tIbNSD_35transform_pair_of_input_iterators_tIbNS6_6detail15normal_iteratorINS6_10device_ptrIKiEEEESL_NS6_8equal_toIiEEEENSG_9not_fun_tINSD_8identityEEEEENSD_19counting_iterator_tIlEES8_S8_S8_S8_S8_S8_S8_S8_EEEEPS9_S9_NSD_9__find_if7functorIS9_EEEE10hipError_tPvRmT1_T2_T3_mT4_P12ihipStream_tbEUlT_E0_NS1_11comp_targetILNS1_3genE5ELNS1_11target_archE942ELNS1_3gpuE9ELNS1_3repE0EEENS1_30default_config_static_selectorELNS0_4arch9wavefront6targetE0EEEvS14_,@function
_ZN7rocprim17ROCPRIM_400000_NS6detail17trampoline_kernelINS0_14default_configENS1_22reduce_config_selectorIN6thrust23THRUST_200600_302600_NS5tupleIblNS6_9null_typeES8_S8_S8_S8_S8_S8_S8_EEEEZNS1_11reduce_implILb1ES3_NS6_12zip_iteratorINS7_INS6_11hip_rocprim26transform_input_iterator_tIbNSD_35transform_pair_of_input_iterators_tIbNS6_6detail15normal_iteratorINS6_10device_ptrIKiEEEESL_NS6_8equal_toIiEEEENSG_9not_fun_tINSD_8identityEEEEENSD_19counting_iterator_tIlEES8_S8_S8_S8_S8_S8_S8_S8_EEEEPS9_S9_NSD_9__find_if7functorIS9_EEEE10hipError_tPvRmT1_T2_T3_mT4_P12ihipStream_tbEUlT_E0_NS1_11comp_targetILNS1_3genE5ELNS1_11target_archE942ELNS1_3gpuE9ELNS1_3repE0EEENS1_30default_config_static_selectorELNS0_4arch9wavefront6targetE0EEEvS14_: ; @_ZN7rocprim17ROCPRIM_400000_NS6detail17trampoline_kernelINS0_14default_configENS1_22reduce_config_selectorIN6thrust23THRUST_200600_302600_NS5tupleIblNS6_9null_typeES8_S8_S8_S8_S8_S8_S8_EEEEZNS1_11reduce_implILb1ES3_NS6_12zip_iteratorINS7_INS6_11hip_rocprim26transform_input_iterator_tIbNSD_35transform_pair_of_input_iterators_tIbNS6_6detail15normal_iteratorINS6_10device_ptrIKiEEEESL_NS6_8equal_toIiEEEENSG_9not_fun_tINSD_8identityEEEEENSD_19counting_iterator_tIlEES8_S8_S8_S8_S8_S8_S8_S8_EEEEPS9_S9_NSD_9__find_if7functorIS9_EEEE10hipError_tPvRmT1_T2_T3_mT4_P12ihipStream_tbEUlT_E0_NS1_11comp_targetILNS1_3genE5ELNS1_11target_archE942ELNS1_3gpuE9ELNS1_3repE0EEENS1_30default_config_static_selectorELNS0_4arch9wavefront6targetE0EEEvS14_
; %bb.0:
	.section	.rodata,"a",@progbits
	.p2align	6, 0x0
	.amdhsa_kernel _ZN7rocprim17ROCPRIM_400000_NS6detail17trampoline_kernelINS0_14default_configENS1_22reduce_config_selectorIN6thrust23THRUST_200600_302600_NS5tupleIblNS6_9null_typeES8_S8_S8_S8_S8_S8_S8_EEEEZNS1_11reduce_implILb1ES3_NS6_12zip_iteratorINS7_INS6_11hip_rocprim26transform_input_iterator_tIbNSD_35transform_pair_of_input_iterators_tIbNS6_6detail15normal_iteratorINS6_10device_ptrIKiEEEESL_NS6_8equal_toIiEEEENSG_9not_fun_tINSD_8identityEEEEENSD_19counting_iterator_tIlEES8_S8_S8_S8_S8_S8_S8_S8_EEEEPS9_S9_NSD_9__find_if7functorIS9_EEEE10hipError_tPvRmT1_T2_T3_mT4_P12ihipStream_tbEUlT_E0_NS1_11comp_targetILNS1_3genE5ELNS1_11target_archE942ELNS1_3gpuE9ELNS1_3repE0EEENS1_30default_config_static_selectorELNS0_4arch9wavefront6targetE0EEEvS14_
		.amdhsa_group_segment_fixed_size 0
		.amdhsa_private_segment_fixed_size 0
		.amdhsa_kernarg_size 104
		.amdhsa_user_sgpr_count 15
		.amdhsa_user_sgpr_dispatch_ptr 0
		.amdhsa_user_sgpr_queue_ptr 0
		.amdhsa_user_sgpr_kernarg_segment_ptr 1
		.amdhsa_user_sgpr_dispatch_id 0
		.amdhsa_user_sgpr_private_segment_size 0
		.amdhsa_wavefront_size32 1
		.amdhsa_uses_dynamic_stack 0
		.amdhsa_enable_private_segment 0
		.amdhsa_system_sgpr_workgroup_id_x 1
		.amdhsa_system_sgpr_workgroup_id_y 0
		.amdhsa_system_sgpr_workgroup_id_z 0
		.amdhsa_system_sgpr_workgroup_info 0
		.amdhsa_system_vgpr_workitem_id 0
		.amdhsa_next_free_vgpr 1
		.amdhsa_next_free_sgpr 1
		.amdhsa_reserve_vcc 0
		.amdhsa_float_round_mode_32 0
		.amdhsa_float_round_mode_16_64 0
		.amdhsa_float_denorm_mode_32 3
		.amdhsa_float_denorm_mode_16_64 3
		.amdhsa_dx10_clamp 1
		.amdhsa_ieee_mode 1
		.amdhsa_fp16_overflow 0
		.amdhsa_workgroup_processor_mode 1
		.amdhsa_memory_ordered 1
		.amdhsa_forward_progress 0
		.amdhsa_shared_vgpr_count 0
		.amdhsa_exception_fp_ieee_invalid_op 0
		.amdhsa_exception_fp_denorm_src 0
		.amdhsa_exception_fp_ieee_div_zero 0
		.amdhsa_exception_fp_ieee_overflow 0
		.amdhsa_exception_fp_ieee_underflow 0
		.amdhsa_exception_fp_ieee_inexact 0
		.amdhsa_exception_int_div_zero 0
	.end_amdhsa_kernel
	.section	.text._ZN7rocprim17ROCPRIM_400000_NS6detail17trampoline_kernelINS0_14default_configENS1_22reduce_config_selectorIN6thrust23THRUST_200600_302600_NS5tupleIblNS6_9null_typeES8_S8_S8_S8_S8_S8_S8_EEEEZNS1_11reduce_implILb1ES3_NS6_12zip_iteratorINS7_INS6_11hip_rocprim26transform_input_iterator_tIbNSD_35transform_pair_of_input_iterators_tIbNS6_6detail15normal_iteratorINS6_10device_ptrIKiEEEESL_NS6_8equal_toIiEEEENSG_9not_fun_tINSD_8identityEEEEENSD_19counting_iterator_tIlEES8_S8_S8_S8_S8_S8_S8_S8_EEEEPS9_S9_NSD_9__find_if7functorIS9_EEEE10hipError_tPvRmT1_T2_T3_mT4_P12ihipStream_tbEUlT_E0_NS1_11comp_targetILNS1_3genE5ELNS1_11target_archE942ELNS1_3gpuE9ELNS1_3repE0EEENS1_30default_config_static_selectorELNS0_4arch9wavefront6targetE0EEEvS14_,"axG",@progbits,_ZN7rocprim17ROCPRIM_400000_NS6detail17trampoline_kernelINS0_14default_configENS1_22reduce_config_selectorIN6thrust23THRUST_200600_302600_NS5tupleIblNS6_9null_typeES8_S8_S8_S8_S8_S8_S8_EEEEZNS1_11reduce_implILb1ES3_NS6_12zip_iteratorINS7_INS6_11hip_rocprim26transform_input_iterator_tIbNSD_35transform_pair_of_input_iterators_tIbNS6_6detail15normal_iteratorINS6_10device_ptrIKiEEEESL_NS6_8equal_toIiEEEENSG_9not_fun_tINSD_8identityEEEEENSD_19counting_iterator_tIlEES8_S8_S8_S8_S8_S8_S8_S8_EEEEPS9_S9_NSD_9__find_if7functorIS9_EEEE10hipError_tPvRmT1_T2_T3_mT4_P12ihipStream_tbEUlT_E0_NS1_11comp_targetILNS1_3genE5ELNS1_11target_archE942ELNS1_3gpuE9ELNS1_3repE0EEENS1_30default_config_static_selectorELNS0_4arch9wavefront6targetE0EEEvS14_,comdat
.Lfunc_end24:
	.size	_ZN7rocprim17ROCPRIM_400000_NS6detail17trampoline_kernelINS0_14default_configENS1_22reduce_config_selectorIN6thrust23THRUST_200600_302600_NS5tupleIblNS6_9null_typeES8_S8_S8_S8_S8_S8_S8_EEEEZNS1_11reduce_implILb1ES3_NS6_12zip_iteratorINS7_INS6_11hip_rocprim26transform_input_iterator_tIbNSD_35transform_pair_of_input_iterators_tIbNS6_6detail15normal_iteratorINS6_10device_ptrIKiEEEESL_NS6_8equal_toIiEEEENSG_9not_fun_tINSD_8identityEEEEENSD_19counting_iterator_tIlEES8_S8_S8_S8_S8_S8_S8_S8_EEEEPS9_S9_NSD_9__find_if7functorIS9_EEEE10hipError_tPvRmT1_T2_T3_mT4_P12ihipStream_tbEUlT_E0_NS1_11comp_targetILNS1_3genE5ELNS1_11target_archE942ELNS1_3gpuE9ELNS1_3repE0EEENS1_30default_config_static_selectorELNS0_4arch9wavefront6targetE0EEEvS14_, .Lfunc_end24-_ZN7rocprim17ROCPRIM_400000_NS6detail17trampoline_kernelINS0_14default_configENS1_22reduce_config_selectorIN6thrust23THRUST_200600_302600_NS5tupleIblNS6_9null_typeES8_S8_S8_S8_S8_S8_S8_EEEEZNS1_11reduce_implILb1ES3_NS6_12zip_iteratorINS7_INS6_11hip_rocprim26transform_input_iterator_tIbNSD_35transform_pair_of_input_iterators_tIbNS6_6detail15normal_iteratorINS6_10device_ptrIKiEEEESL_NS6_8equal_toIiEEEENSG_9not_fun_tINSD_8identityEEEEENSD_19counting_iterator_tIlEES8_S8_S8_S8_S8_S8_S8_S8_EEEEPS9_S9_NSD_9__find_if7functorIS9_EEEE10hipError_tPvRmT1_T2_T3_mT4_P12ihipStream_tbEUlT_E0_NS1_11comp_targetILNS1_3genE5ELNS1_11target_archE942ELNS1_3gpuE9ELNS1_3repE0EEENS1_30default_config_static_selectorELNS0_4arch9wavefront6targetE0EEEvS14_
                                        ; -- End function
	.section	.AMDGPU.csdata,"",@progbits
; Kernel info:
; codeLenInByte = 0
; NumSgprs: 0
; NumVgprs: 0
; ScratchSize: 0
; MemoryBound: 0
; FloatMode: 240
; IeeeMode: 1
; LDSByteSize: 0 bytes/workgroup (compile time only)
; SGPRBlocks: 0
; VGPRBlocks: 0
; NumSGPRsForWavesPerEU: 1
; NumVGPRsForWavesPerEU: 1
; Occupancy: 16
; WaveLimiterHint : 0
; COMPUTE_PGM_RSRC2:SCRATCH_EN: 0
; COMPUTE_PGM_RSRC2:USER_SGPR: 15
; COMPUTE_PGM_RSRC2:TRAP_HANDLER: 0
; COMPUTE_PGM_RSRC2:TGID_X_EN: 1
; COMPUTE_PGM_RSRC2:TGID_Y_EN: 0
; COMPUTE_PGM_RSRC2:TGID_Z_EN: 0
; COMPUTE_PGM_RSRC2:TIDIG_COMP_CNT: 0
	.section	.text._ZN7rocprim17ROCPRIM_400000_NS6detail17trampoline_kernelINS0_14default_configENS1_22reduce_config_selectorIN6thrust23THRUST_200600_302600_NS5tupleIblNS6_9null_typeES8_S8_S8_S8_S8_S8_S8_EEEEZNS1_11reduce_implILb1ES3_NS6_12zip_iteratorINS7_INS6_11hip_rocprim26transform_input_iterator_tIbNSD_35transform_pair_of_input_iterators_tIbNS6_6detail15normal_iteratorINS6_10device_ptrIKiEEEESL_NS6_8equal_toIiEEEENSG_9not_fun_tINSD_8identityEEEEENSD_19counting_iterator_tIlEES8_S8_S8_S8_S8_S8_S8_S8_EEEEPS9_S9_NSD_9__find_if7functorIS9_EEEE10hipError_tPvRmT1_T2_T3_mT4_P12ihipStream_tbEUlT_E0_NS1_11comp_targetILNS1_3genE4ELNS1_11target_archE910ELNS1_3gpuE8ELNS1_3repE0EEENS1_30default_config_static_selectorELNS0_4arch9wavefront6targetE0EEEvS14_,"axG",@progbits,_ZN7rocprim17ROCPRIM_400000_NS6detail17trampoline_kernelINS0_14default_configENS1_22reduce_config_selectorIN6thrust23THRUST_200600_302600_NS5tupleIblNS6_9null_typeES8_S8_S8_S8_S8_S8_S8_EEEEZNS1_11reduce_implILb1ES3_NS6_12zip_iteratorINS7_INS6_11hip_rocprim26transform_input_iterator_tIbNSD_35transform_pair_of_input_iterators_tIbNS6_6detail15normal_iteratorINS6_10device_ptrIKiEEEESL_NS6_8equal_toIiEEEENSG_9not_fun_tINSD_8identityEEEEENSD_19counting_iterator_tIlEES8_S8_S8_S8_S8_S8_S8_S8_EEEEPS9_S9_NSD_9__find_if7functorIS9_EEEE10hipError_tPvRmT1_T2_T3_mT4_P12ihipStream_tbEUlT_E0_NS1_11comp_targetILNS1_3genE4ELNS1_11target_archE910ELNS1_3gpuE8ELNS1_3repE0EEENS1_30default_config_static_selectorELNS0_4arch9wavefront6targetE0EEEvS14_,comdat
	.protected	_ZN7rocprim17ROCPRIM_400000_NS6detail17trampoline_kernelINS0_14default_configENS1_22reduce_config_selectorIN6thrust23THRUST_200600_302600_NS5tupleIblNS6_9null_typeES8_S8_S8_S8_S8_S8_S8_EEEEZNS1_11reduce_implILb1ES3_NS6_12zip_iteratorINS7_INS6_11hip_rocprim26transform_input_iterator_tIbNSD_35transform_pair_of_input_iterators_tIbNS6_6detail15normal_iteratorINS6_10device_ptrIKiEEEESL_NS6_8equal_toIiEEEENSG_9not_fun_tINSD_8identityEEEEENSD_19counting_iterator_tIlEES8_S8_S8_S8_S8_S8_S8_S8_EEEEPS9_S9_NSD_9__find_if7functorIS9_EEEE10hipError_tPvRmT1_T2_T3_mT4_P12ihipStream_tbEUlT_E0_NS1_11comp_targetILNS1_3genE4ELNS1_11target_archE910ELNS1_3gpuE8ELNS1_3repE0EEENS1_30default_config_static_selectorELNS0_4arch9wavefront6targetE0EEEvS14_ ; -- Begin function _ZN7rocprim17ROCPRIM_400000_NS6detail17trampoline_kernelINS0_14default_configENS1_22reduce_config_selectorIN6thrust23THRUST_200600_302600_NS5tupleIblNS6_9null_typeES8_S8_S8_S8_S8_S8_S8_EEEEZNS1_11reduce_implILb1ES3_NS6_12zip_iteratorINS7_INS6_11hip_rocprim26transform_input_iterator_tIbNSD_35transform_pair_of_input_iterators_tIbNS6_6detail15normal_iteratorINS6_10device_ptrIKiEEEESL_NS6_8equal_toIiEEEENSG_9not_fun_tINSD_8identityEEEEENSD_19counting_iterator_tIlEES8_S8_S8_S8_S8_S8_S8_S8_EEEEPS9_S9_NSD_9__find_if7functorIS9_EEEE10hipError_tPvRmT1_T2_T3_mT4_P12ihipStream_tbEUlT_E0_NS1_11comp_targetILNS1_3genE4ELNS1_11target_archE910ELNS1_3gpuE8ELNS1_3repE0EEENS1_30default_config_static_selectorELNS0_4arch9wavefront6targetE0EEEvS14_
	.globl	_ZN7rocprim17ROCPRIM_400000_NS6detail17trampoline_kernelINS0_14default_configENS1_22reduce_config_selectorIN6thrust23THRUST_200600_302600_NS5tupleIblNS6_9null_typeES8_S8_S8_S8_S8_S8_S8_EEEEZNS1_11reduce_implILb1ES3_NS6_12zip_iteratorINS7_INS6_11hip_rocprim26transform_input_iterator_tIbNSD_35transform_pair_of_input_iterators_tIbNS6_6detail15normal_iteratorINS6_10device_ptrIKiEEEESL_NS6_8equal_toIiEEEENSG_9not_fun_tINSD_8identityEEEEENSD_19counting_iterator_tIlEES8_S8_S8_S8_S8_S8_S8_S8_EEEEPS9_S9_NSD_9__find_if7functorIS9_EEEE10hipError_tPvRmT1_T2_T3_mT4_P12ihipStream_tbEUlT_E0_NS1_11comp_targetILNS1_3genE4ELNS1_11target_archE910ELNS1_3gpuE8ELNS1_3repE0EEENS1_30default_config_static_selectorELNS0_4arch9wavefront6targetE0EEEvS14_
	.p2align	8
	.type	_ZN7rocprim17ROCPRIM_400000_NS6detail17trampoline_kernelINS0_14default_configENS1_22reduce_config_selectorIN6thrust23THRUST_200600_302600_NS5tupleIblNS6_9null_typeES8_S8_S8_S8_S8_S8_S8_EEEEZNS1_11reduce_implILb1ES3_NS6_12zip_iteratorINS7_INS6_11hip_rocprim26transform_input_iterator_tIbNSD_35transform_pair_of_input_iterators_tIbNS6_6detail15normal_iteratorINS6_10device_ptrIKiEEEESL_NS6_8equal_toIiEEEENSG_9not_fun_tINSD_8identityEEEEENSD_19counting_iterator_tIlEES8_S8_S8_S8_S8_S8_S8_S8_EEEEPS9_S9_NSD_9__find_if7functorIS9_EEEE10hipError_tPvRmT1_T2_T3_mT4_P12ihipStream_tbEUlT_E0_NS1_11comp_targetILNS1_3genE4ELNS1_11target_archE910ELNS1_3gpuE8ELNS1_3repE0EEENS1_30default_config_static_selectorELNS0_4arch9wavefront6targetE0EEEvS14_,@function
_ZN7rocprim17ROCPRIM_400000_NS6detail17trampoline_kernelINS0_14default_configENS1_22reduce_config_selectorIN6thrust23THRUST_200600_302600_NS5tupleIblNS6_9null_typeES8_S8_S8_S8_S8_S8_S8_EEEEZNS1_11reduce_implILb1ES3_NS6_12zip_iteratorINS7_INS6_11hip_rocprim26transform_input_iterator_tIbNSD_35transform_pair_of_input_iterators_tIbNS6_6detail15normal_iteratorINS6_10device_ptrIKiEEEESL_NS6_8equal_toIiEEEENSG_9not_fun_tINSD_8identityEEEEENSD_19counting_iterator_tIlEES8_S8_S8_S8_S8_S8_S8_S8_EEEEPS9_S9_NSD_9__find_if7functorIS9_EEEE10hipError_tPvRmT1_T2_T3_mT4_P12ihipStream_tbEUlT_E0_NS1_11comp_targetILNS1_3genE4ELNS1_11target_archE910ELNS1_3gpuE8ELNS1_3repE0EEENS1_30default_config_static_selectorELNS0_4arch9wavefront6targetE0EEEvS14_: ; @_ZN7rocprim17ROCPRIM_400000_NS6detail17trampoline_kernelINS0_14default_configENS1_22reduce_config_selectorIN6thrust23THRUST_200600_302600_NS5tupleIblNS6_9null_typeES8_S8_S8_S8_S8_S8_S8_EEEEZNS1_11reduce_implILb1ES3_NS6_12zip_iteratorINS7_INS6_11hip_rocprim26transform_input_iterator_tIbNSD_35transform_pair_of_input_iterators_tIbNS6_6detail15normal_iteratorINS6_10device_ptrIKiEEEESL_NS6_8equal_toIiEEEENSG_9not_fun_tINSD_8identityEEEEENSD_19counting_iterator_tIlEES8_S8_S8_S8_S8_S8_S8_S8_EEEEPS9_S9_NSD_9__find_if7functorIS9_EEEE10hipError_tPvRmT1_T2_T3_mT4_P12ihipStream_tbEUlT_E0_NS1_11comp_targetILNS1_3genE4ELNS1_11target_archE910ELNS1_3gpuE8ELNS1_3repE0EEENS1_30default_config_static_selectorELNS0_4arch9wavefront6targetE0EEEvS14_
; %bb.0:
	.section	.rodata,"a",@progbits
	.p2align	6, 0x0
	.amdhsa_kernel _ZN7rocprim17ROCPRIM_400000_NS6detail17trampoline_kernelINS0_14default_configENS1_22reduce_config_selectorIN6thrust23THRUST_200600_302600_NS5tupleIblNS6_9null_typeES8_S8_S8_S8_S8_S8_S8_EEEEZNS1_11reduce_implILb1ES3_NS6_12zip_iteratorINS7_INS6_11hip_rocprim26transform_input_iterator_tIbNSD_35transform_pair_of_input_iterators_tIbNS6_6detail15normal_iteratorINS6_10device_ptrIKiEEEESL_NS6_8equal_toIiEEEENSG_9not_fun_tINSD_8identityEEEEENSD_19counting_iterator_tIlEES8_S8_S8_S8_S8_S8_S8_S8_EEEEPS9_S9_NSD_9__find_if7functorIS9_EEEE10hipError_tPvRmT1_T2_T3_mT4_P12ihipStream_tbEUlT_E0_NS1_11comp_targetILNS1_3genE4ELNS1_11target_archE910ELNS1_3gpuE8ELNS1_3repE0EEENS1_30default_config_static_selectorELNS0_4arch9wavefront6targetE0EEEvS14_
		.amdhsa_group_segment_fixed_size 0
		.amdhsa_private_segment_fixed_size 0
		.amdhsa_kernarg_size 104
		.amdhsa_user_sgpr_count 15
		.amdhsa_user_sgpr_dispatch_ptr 0
		.amdhsa_user_sgpr_queue_ptr 0
		.amdhsa_user_sgpr_kernarg_segment_ptr 1
		.amdhsa_user_sgpr_dispatch_id 0
		.amdhsa_user_sgpr_private_segment_size 0
		.amdhsa_wavefront_size32 1
		.amdhsa_uses_dynamic_stack 0
		.amdhsa_enable_private_segment 0
		.amdhsa_system_sgpr_workgroup_id_x 1
		.amdhsa_system_sgpr_workgroup_id_y 0
		.amdhsa_system_sgpr_workgroup_id_z 0
		.amdhsa_system_sgpr_workgroup_info 0
		.amdhsa_system_vgpr_workitem_id 0
		.amdhsa_next_free_vgpr 1
		.amdhsa_next_free_sgpr 1
		.amdhsa_reserve_vcc 0
		.amdhsa_float_round_mode_32 0
		.amdhsa_float_round_mode_16_64 0
		.amdhsa_float_denorm_mode_32 3
		.amdhsa_float_denorm_mode_16_64 3
		.amdhsa_dx10_clamp 1
		.amdhsa_ieee_mode 1
		.amdhsa_fp16_overflow 0
		.amdhsa_workgroup_processor_mode 1
		.amdhsa_memory_ordered 1
		.amdhsa_forward_progress 0
		.amdhsa_shared_vgpr_count 0
		.amdhsa_exception_fp_ieee_invalid_op 0
		.amdhsa_exception_fp_denorm_src 0
		.amdhsa_exception_fp_ieee_div_zero 0
		.amdhsa_exception_fp_ieee_overflow 0
		.amdhsa_exception_fp_ieee_underflow 0
		.amdhsa_exception_fp_ieee_inexact 0
		.amdhsa_exception_int_div_zero 0
	.end_amdhsa_kernel
	.section	.text._ZN7rocprim17ROCPRIM_400000_NS6detail17trampoline_kernelINS0_14default_configENS1_22reduce_config_selectorIN6thrust23THRUST_200600_302600_NS5tupleIblNS6_9null_typeES8_S8_S8_S8_S8_S8_S8_EEEEZNS1_11reduce_implILb1ES3_NS6_12zip_iteratorINS7_INS6_11hip_rocprim26transform_input_iterator_tIbNSD_35transform_pair_of_input_iterators_tIbNS6_6detail15normal_iteratorINS6_10device_ptrIKiEEEESL_NS6_8equal_toIiEEEENSG_9not_fun_tINSD_8identityEEEEENSD_19counting_iterator_tIlEES8_S8_S8_S8_S8_S8_S8_S8_EEEEPS9_S9_NSD_9__find_if7functorIS9_EEEE10hipError_tPvRmT1_T2_T3_mT4_P12ihipStream_tbEUlT_E0_NS1_11comp_targetILNS1_3genE4ELNS1_11target_archE910ELNS1_3gpuE8ELNS1_3repE0EEENS1_30default_config_static_selectorELNS0_4arch9wavefront6targetE0EEEvS14_,"axG",@progbits,_ZN7rocprim17ROCPRIM_400000_NS6detail17trampoline_kernelINS0_14default_configENS1_22reduce_config_selectorIN6thrust23THRUST_200600_302600_NS5tupleIblNS6_9null_typeES8_S8_S8_S8_S8_S8_S8_EEEEZNS1_11reduce_implILb1ES3_NS6_12zip_iteratorINS7_INS6_11hip_rocprim26transform_input_iterator_tIbNSD_35transform_pair_of_input_iterators_tIbNS6_6detail15normal_iteratorINS6_10device_ptrIKiEEEESL_NS6_8equal_toIiEEEENSG_9not_fun_tINSD_8identityEEEEENSD_19counting_iterator_tIlEES8_S8_S8_S8_S8_S8_S8_S8_EEEEPS9_S9_NSD_9__find_if7functorIS9_EEEE10hipError_tPvRmT1_T2_T3_mT4_P12ihipStream_tbEUlT_E0_NS1_11comp_targetILNS1_3genE4ELNS1_11target_archE910ELNS1_3gpuE8ELNS1_3repE0EEENS1_30default_config_static_selectorELNS0_4arch9wavefront6targetE0EEEvS14_,comdat
.Lfunc_end25:
	.size	_ZN7rocprim17ROCPRIM_400000_NS6detail17trampoline_kernelINS0_14default_configENS1_22reduce_config_selectorIN6thrust23THRUST_200600_302600_NS5tupleIblNS6_9null_typeES8_S8_S8_S8_S8_S8_S8_EEEEZNS1_11reduce_implILb1ES3_NS6_12zip_iteratorINS7_INS6_11hip_rocprim26transform_input_iterator_tIbNSD_35transform_pair_of_input_iterators_tIbNS6_6detail15normal_iteratorINS6_10device_ptrIKiEEEESL_NS6_8equal_toIiEEEENSG_9not_fun_tINSD_8identityEEEEENSD_19counting_iterator_tIlEES8_S8_S8_S8_S8_S8_S8_S8_EEEEPS9_S9_NSD_9__find_if7functorIS9_EEEE10hipError_tPvRmT1_T2_T3_mT4_P12ihipStream_tbEUlT_E0_NS1_11comp_targetILNS1_3genE4ELNS1_11target_archE910ELNS1_3gpuE8ELNS1_3repE0EEENS1_30default_config_static_selectorELNS0_4arch9wavefront6targetE0EEEvS14_, .Lfunc_end25-_ZN7rocprim17ROCPRIM_400000_NS6detail17trampoline_kernelINS0_14default_configENS1_22reduce_config_selectorIN6thrust23THRUST_200600_302600_NS5tupleIblNS6_9null_typeES8_S8_S8_S8_S8_S8_S8_EEEEZNS1_11reduce_implILb1ES3_NS6_12zip_iteratorINS7_INS6_11hip_rocprim26transform_input_iterator_tIbNSD_35transform_pair_of_input_iterators_tIbNS6_6detail15normal_iteratorINS6_10device_ptrIKiEEEESL_NS6_8equal_toIiEEEENSG_9not_fun_tINSD_8identityEEEEENSD_19counting_iterator_tIlEES8_S8_S8_S8_S8_S8_S8_S8_EEEEPS9_S9_NSD_9__find_if7functorIS9_EEEE10hipError_tPvRmT1_T2_T3_mT4_P12ihipStream_tbEUlT_E0_NS1_11comp_targetILNS1_3genE4ELNS1_11target_archE910ELNS1_3gpuE8ELNS1_3repE0EEENS1_30default_config_static_selectorELNS0_4arch9wavefront6targetE0EEEvS14_
                                        ; -- End function
	.section	.AMDGPU.csdata,"",@progbits
; Kernel info:
; codeLenInByte = 0
; NumSgprs: 0
; NumVgprs: 0
; ScratchSize: 0
; MemoryBound: 0
; FloatMode: 240
; IeeeMode: 1
; LDSByteSize: 0 bytes/workgroup (compile time only)
; SGPRBlocks: 0
; VGPRBlocks: 0
; NumSGPRsForWavesPerEU: 1
; NumVGPRsForWavesPerEU: 1
; Occupancy: 16
; WaveLimiterHint : 0
; COMPUTE_PGM_RSRC2:SCRATCH_EN: 0
; COMPUTE_PGM_RSRC2:USER_SGPR: 15
; COMPUTE_PGM_RSRC2:TRAP_HANDLER: 0
; COMPUTE_PGM_RSRC2:TGID_X_EN: 1
; COMPUTE_PGM_RSRC2:TGID_Y_EN: 0
; COMPUTE_PGM_RSRC2:TGID_Z_EN: 0
; COMPUTE_PGM_RSRC2:TIDIG_COMP_CNT: 0
	.section	.text._ZN7rocprim17ROCPRIM_400000_NS6detail17trampoline_kernelINS0_14default_configENS1_22reduce_config_selectorIN6thrust23THRUST_200600_302600_NS5tupleIblNS6_9null_typeES8_S8_S8_S8_S8_S8_S8_EEEEZNS1_11reduce_implILb1ES3_NS6_12zip_iteratorINS7_INS6_11hip_rocprim26transform_input_iterator_tIbNSD_35transform_pair_of_input_iterators_tIbNS6_6detail15normal_iteratorINS6_10device_ptrIKiEEEESL_NS6_8equal_toIiEEEENSG_9not_fun_tINSD_8identityEEEEENSD_19counting_iterator_tIlEES8_S8_S8_S8_S8_S8_S8_S8_EEEEPS9_S9_NSD_9__find_if7functorIS9_EEEE10hipError_tPvRmT1_T2_T3_mT4_P12ihipStream_tbEUlT_E0_NS1_11comp_targetILNS1_3genE3ELNS1_11target_archE908ELNS1_3gpuE7ELNS1_3repE0EEENS1_30default_config_static_selectorELNS0_4arch9wavefront6targetE0EEEvS14_,"axG",@progbits,_ZN7rocprim17ROCPRIM_400000_NS6detail17trampoline_kernelINS0_14default_configENS1_22reduce_config_selectorIN6thrust23THRUST_200600_302600_NS5tupleIblNS6_9null_typeES8_S8_S8_S8_S8_S8_S8_EEEEZNS1_11reduce_implILb1ES3_NS6_12zip_iteratorINS7_INS6_11hip_rocprim26transform_input_iterator_tIbNSD_35transform_pair_of_input_iterators_tIbNS6_6detail15normal_iteratorINS6_10device_ptrIKiEEEESL_NS6_8equal_toIiEEEENSG_9not_fun_tINSD_8identityEEEEENSD_19counting_iterator_tIlEES8_S8_S8_S8_S8_S8_S8_S8_EEEEPS9_S9_NSD_9__find_if7functorIS9_EEEE10hipError_tPvRmT1_T2_T3_mT4_P12ihipStream_tbEUlT_E0_NS1_11comp_targetILNS1_3genE3ELNS1_11target_archE908ELNS1_3gpuE7ELNS1_3repE0EEENS1_30default_config_static_selectorELNS0_4arch9wavefront6targetE0EEEvS14_,comdat
	.protected	_ZN7rocprim17ROCPRIM_400000_NS6detail17trampoline_kernelINS0_14default_configENS1_22reduce_config_selectorIN6thrust23THRUST_200600_302600_NS5tupleIblNS6_9null_typeES8_S8_S8_S8_S8_S8_S8_EEEEZNS1_11reduce_implILb1ES3_NS6_12zip_iteratorINS7_INS6_11hip_rocprim26transform_input_iterator_tIbNSD_35transform_pair_of_input_iterators_tIbNS6_6detail15normal_iteratorINS6_10device_ptrIKiEEEESL_NS6_8equal_toIiEEEENSG_9not_fun_tINSD_8identityEEEEENSD_19counting_iterator_tIlEES8_S8_S8_S8_S8_S8_S8_S8_EEEEPS9_S9_NSD_9__find_if7functorIS9_EEEE10hipError_tPvRmT1_T2_T3_mT4_P12ihipStream_tbEUlT_E0_NS1_11comp_targetILNS1_3genE3ELNS1_11target_archE908ELNS1_3gpuE7ELNS1_3repE0EEENS1_30default_config_static_selectorELNS0_4arch9wavefront6targetE0EEEvS14_ ; -- Begin function _ZN7rocprim17ROCPRIM_400000_NS6detail17trampoline_kernelINS0_14default_configENS1_22reduce_config_selectorIN6thrust23THRUST_200600_302600_NS5tupleIblNS6_9null_typeES8_S8_S8_S8_S8_S8_S8_EEEEZNS1_11reduce_implILb1ES3_NS6_12zip_iteratorINS7_INS6_11hip_rocprim26transform_input_iterator_tIbNSD_35transform_pair_of_input_iterators_tIbNS6_6detail15normal_iteratorINS6_10device_ptrIKiEEEESL_NS6_8equal_toIiEEEENSG_9not_fun_tINSD_8identityEEEEENSD_19counting_iterator_tIlEES8_S8_S8_S8_S8_S8_S8_S8_EEEEPS9_S9_NSD_9__find_if7functorIS9_EEEE10hipError_tPvRmT1_T2_T3_mT4_P12ihipStream_tbEUlT_E0_NS1_11comp_targetILNS1_3genE3ELNS1_11target_archE908ELNS1_3gpuE7ELNS1_3repE0EEENS1_30default_config_static_selectorELNS0_4arch9wavefront6targetE0EEEvS14_
	.globl	_ZN7rocprim17ROCPRIM_400000_NS6detail17trampoline_kernelINS0_14default_configENS1_22reduce_config_selectorIN6thrust23THRUST_200600_302600_NS5tupleIblNS6_9null_typeES8_S8_S8_S8_S8_S8_S8_EEEEZNS1_11reduce_implILb1ES3_NS6_12zip_iteratorINS7_INS6_11hip_rocprim26transform_input_iterator_tIbNSD_35transform_pair_of_input_iterators_tIbNS6_6detail15normal_iteratorINS6_10device_ptrIKiEEEESL_NS6_8equal_toIiEEEENSG_9not_fun_tINSD_8identityEEEEENSD_19counting_iterator_tIlEES8_S8_S8_S8_S8_S8_S8_S8_EEEEPS9_S9_NSD_9__find_if7functorIS9_EEEE10hipError_tPvRmT1_T2_T3_mT4_P12ihipStream_tbEUlT_E0_NS1_11comp_targetILNS1_3genE3ELNS1_11target_archE908ELNS1_3gpuE7ELNS1_3repE0EEENS1_30default_config_static_selectorELNS0_4arch9wavefront6targetE0EEEvS14_
	.p2align	8
	.type	_ZN7rocprim17ROCPRIM_400000_NS6detail17trampoline_kernelINS0_14default_configENS1_22reduce_config_selectorIN6thrust23THRUST_200600_302600_NS5tupleIblNS6_9null_typeES8_S8_S8_S8_S8_S8_S8_EEEEZNS1_11reduce_implILb1ES3_NS6_12zip_iteratorINS7_INS6_11hip_rocprim26transform_input_iterator_tIbNSD_35transform_pair_of_input_iterators_tIbNS6_6detail15normal_iteratorINS6_10device_ptrIKiEEEESL_NS6_8equal_toIiEEEENSG_9not_fun_tINSD_8identityEEEEENSD_19counting_iterator_tIlEES8_S8_S8_S8_S8_S8_S8_S8_EEEEPS9_S9_NSD_9__find_if7functorIS9_EEEE10hipError_tPvRmT1_T2_T3_mT4_P12ihipStream_tbEUlT_E0_NS1_11comp_targetILNS1_3genE3ELNS1_11target_archE908ELNS1_3gpuE7ELNS1_3repE0EEENS1_30default_config_static_selectorELNS0_4arch9wavefront6targetE0EEEvS14_,@function
_ZN7rocprim17ROCPRIM_400000_NS6detail17trampoline_kernelINS0_14default_configENS1_22reduce_config_selectorIN6thrust23THRUST_200600_302600_NS5tupleIblNS6_9null_typeES8_S8_S8_S8_S8_S8_S8_EEEEZNS1_11reduce_implILb1ES3_NS6_12zip_iteratorINS7_INS6_11hip_rocprim26transform_input_iterator_tIbNSD_35transform_pair_of_input_iterators_tIbNS6_6detail15normal_iteratorINS6_10device_ptrIKiEEEESL_NS6_8equal_toIiEEEENSG_9not_fun_tINSD_8identityEEEEENSD_19counting_iterator_tIlEES8_S8_S8_S8_S8_S8_S8_S8_EEEEPS9_S9_NSD_9__find_if7functorIS9_EEEE10hipError_tPvRmT1_T2_T3_mT4_P12ihipStream_tbEUlT_E0_NS1_11comp_targetILNS1_3genE3ELNS1_11target_archE908ELNS1_3gpuE7ELNS1_3repE0EEENS1_30default_config_static_selectorELNS0_4arch9wavefront6targetE0EEEvS14_: ; @_ZN7rocprim17ROCPRIM_400000_NS6detail17trampoline_kernelINS0_14default_configENS1_22reduce_config_selectorIN6thrust23THRUST_200600_302600_NS5tupleIblNS6_9null_typeES8_S8_S8_S8_S8_S8_S8_EEEEZNS1_11reduce_implILb1ES3_NS6_12zip_iteratorINS7_INS6_11hip_rocprim26transform_input_iterator_tIbNSD_35transform_pair_of_input_iterators_tIbNS6_6detail15normal_iteratorINS6_10device_ptrIKiEEEESL_NS6_8equal_toIiEEEENSG_9not_fun_tINSD_8identityEEEEENSD_19counting_iterator_tIlEES8_S8_S8_S8_S8_S8_S8_S8_EEEEPS9_S9_NSD_9__find_if7functorIS9_EEEE10hipError_tPvRmT1_T2_T3_mT4_P12ihipStream_tbEUlT_E0_NS1_11comp_targetILNS1_3genE3ELNS1_11target_archE908ELNS1_3gpuE7ELNS1_3repE0EEENS1_30default_config_static_selectorELNS0_4arch9wavefront6targetE0EEEvS14_
; %bb.0:
	.section	.rodata,"a",@progbits
	.p2align	6, 0x0
	.amdhsa_kernel _ZN7rocprim17ROCPRIM_400000_NS6detail17trampoline_kernelINS0_14default_configENS1_22reduce_config_selectorIN6thrust23THRUST_200600_302600_NS5tupleIblNS6_9null_typeES8_S8_S8_S8_S8_S8_S8_EEEEZNS1_11reduce_implILb1ES3_NS6_12zip_iteratorINS7_INS6_11hip_rocprim26transform_input_iterator_tIbNSD_35transform_pair_of_input_iterators_tIbNS6_6detail15normal_iteratorINS6_10device_ptrIKiEEEESL_NS6_8equal_toIiEEEENSG_9not_fun_tINSD_8identityEEEEENSD_19counting_iterator_tIlEES8_S8_S8_S8_S8_S8_S8_S8_EEEEPS9_S9_NSD_9__find_if7functorIS9_EEEE10hipError_tPvRmT1_T2_T3_mT4_P12ihipStream_tbEUlT_E0_NS1_11comp_targetILNS1_3genE3ELNS1_11target_archE908ELNS1_3gpuE7ELNS1_3repE0EEENS1_30default_config_static_selectorELNS0_4arch9wavefront6targetE0EEEvS14_
		.amdhsa_group_segment_fixed_size 0
		.amdhsa_private_segment_fixed_size 0
		.amdhsa_kernarg_size 104
		.amdhsa_user_sgpr_count 15
		.amdhsa_user_sgpr_dispatch_ptr 0
		.amdhsa_user_sgpr_queue_ptr 0
		.amdhsa_user_sgpr_kernarg_segment_ptr 1
		.amdhsa_user_sgpr_dispatch_id 0
		.amdhsa_user_sgpr_private_segment_size 0
		.amdhsa_wavefront_size32 1
		.amdhsa_uses_dynamic_stack 0
		.amdhsa_enable_private_segment 0
		.amdhsa_system_sgpr_workgroup_id_x 1
		.amdhsa_system_sgpr_workgroup_id_y 0
		.amdhsa_system_sgpr_workgroup_id_z 0
		.amdhsa_system_sgpr_workgroup_info 0
		.amdhsa_system_vgpr_workitem_id 0
		.amdhsa_next_free_vgpr 1
		.amdhsa_next_free_sgpr 1
		.amdhsa_reserve_vcc 0
		.amdhsa_float_round_mode_32 0
		.amdhsa_float_round_mode_16_64 0
		.amdhsa_float_denorm_mode_32 3
		.amdhsa_float_denorm_mode_16_64 3
		.amdhsa_dx10_clamp 1
		.amdhsa_ieee_mode 1
		.amdhsa_fp16_overflow 0
		.amdhsa_workgroup_processor_mode 1
		.amdhsa_memory_ordered 1
		.amdhsa_forward_progress 0
		.amdhsa_shared_vgpr_count 0
		.amdhsa_exception_fp_ieee_invalid_op 0
		.amdhsa_exception_fp_denorm_src 0
		.amdhsa_exception_fp_ieee_div_zero 0
		.amdhsa_exception_fp_ieee_overflow 0
		.amdhsa_exception_fp_ieee_underflow 0
		.amdhsa_exception_fp_ieee_inexact 0
		.amdhsa_exception_int_div_zero 0
	.end_amdhsa_kernel
	.section	.text._ZN7rocprim17ROCPRIM_400000_NS6detail17trampoline_kernelINS0_14default_configENS1_22reduce_config_selectorIN6thrust23THRUST_200600_302600_NS5tupleIblNS6_9null_typeES8_S8_S8_S8_S8_S8_S8_EEEEZNS1_11reduce_implILb1ES3_NS6_12zip_iteratorINS7_INS6_11hip_rocprim26transform_input_iterator_tIbNSD_35transform_pair_of_input_iterators_tIbNS6_6detail15normal_iteratorINS6_10device_ptrIKiEEEESL_NS6_8equal_toIiEEEENSG_9not_fun_tINSD_8identityEEEEENSD_19counting_iterator_tIlEES8_S8_S8_S8_S8_S8_S8_S8_EEEEPS9_S9_NSD_9__find_if7functorIS9_EEEE10hipError_tPvRmT1_T2_T3_mT4_P12ihipStream_tbEUlT_E0_NS1_11comp_targetILNS1_3genE3ELNS1_11target_archE908ELNS1_3gpuE7ELNS1_3repE0EEENS1_30default_config_static_selectorELNS0_4arch9wavefront6targetE0EEEvS14_,"axG",@progbits,_ZN7rocprim17ROCPRIM_400000_NS6detail17trampoline_kernelINS0_14default_configENS1_22reduce_config_selectorIN6thrust23THRUST_200600_302600_NS5tupleIblNS6_9null_typeES8_S8_S8_S8_S8_S8_S8_EEEEZNS1_11reduce_implILb1ES3_NS6_12zip_iteratorINS7_INS6_11hip_rocprim26transform_input_iterator_tIbNSD_35transform_pair_of_input_iterators_tIbNS6_6detail15normal_iteratorINS6_10device_ptrIKiEEEESL_NS6_8equal_toIiEEEENSG_9not_fun_tINSD_8identityEEEEENSD_19counting_iterator_tIlEES8_S8_S8_S8_S8_S8_S8_S8_EEEEPS9_S9_NSD_9__find_if7functorIS9_EEEE10hipError_tPvRmT1_T2_T3_mT4_P12ihipStream_tbEUlT_E0_NS1_11comp_targetILNS1_3genE3ELNS1_11target_archE908ELNS1_3gpuE7ELNS1_3repE0EEENS1_30default_config_static_selectorELNS0_4arch9wavefront6targetE0EEEvS14_,comdat
.Lfunc_end26:
	.size	_ZN7rocprim17ROCPRIM_400000_NS6detail17trampoline_kernelINS0_14default_configENS1_22reduce_config_selectorIN6thrust23THRUST_200600_302600_NS5tupleIblNS6_9null_typeES8_S8_S8_S8_S8_S8_S8_EEEEZNS1_11reduce_implILb1ES3_NS6_12zip_iteratorINS7_INS6_11hip_rocprim26transform_input_iterator_tIbNSD_35transform_pair_of_input_iterators_tIbNS6_6detail15normal_iteratorINS6_10device_ptrIKiEEEESL_NS6_8equal_toIiEEEENSG_9not_fun_tINSD_8identityEEEEENSD_19counting_iterator_tIlEES8_S8_S8_S8_S8_S8_S8_S8_EEEEPS9_S9_NSD_9__find_if7functorIS9_EEEE10hipError_tPvRmT1_T2_T3_mT4_P12ihipStream_tbEUlT_E0_NS1_11comp_targetILNS1_3genE3ELNS1_11target_archE908ELNS1_3gpuE7ELNS1_3repE0EEENS1_30default_config_static_selectorELNS0_4arch9wavefront6targetE0EEEvS14_, .Lfunc_end26-_ZN7rocprim17ROCPRIM_400000_NS6detail17trampoline_kernelINS0_14default_configENS1_22reduce_config_selectorIN6thrust23THRUST_200600_302600_NS5tupleIblNS6_9null_typeES8_S8_S8_S8_S8_S8_S8_EEEEZNS1_11reduce_implILb1ES3_NS6_12zip_iteratorINS7_INS6_11hip_rocprim26transform_input_iterator_tIbNSD_35transform_pair_of_input_iterators_tIbNS6_6detail15normal_iteratorINS6_10device_ptrIKiEEEESL_NS6_8equal_toIiEEEENSG_9not_fun_tINSD_8identityEEEEENSD_19counting_iterator_tIlEES8_S8_S8_S8_S8_S8_S8_S8_EEEEPS9_S9_NSD_9__find_if7functorIS9_EEEE10hipError_tPvRmT1_T2_T3_mT4_P12ihipStream_tbEUlT_E0_NS1_11comp_targetILNS1_3genE3ELNS1_11target_archE908ELNS1_3gpuE7ELNS1_3repE0EEENS1_30default_config_static_selectorELNS0_4arch9wavefront6targetE0EEEvS14_
                                        ; -- End function
	.section	.AMDGPU.csdata,"",@progbits
; Kernel info:
; codeLenInByte = 0
; NumSgprs: 0
; NumVgprs: 0
; ScratchSize: 0
; MemoryBound: 0
; FloatMode: 240
; IeeeMode: 1
; LDSByteSize: 0 bytes/workgroup (compile time only)
; SGPRBlocks: 0
; VGPRBlocks: 0
; NumSGPRsForWavesPerEU: 1
; NumVGPRsForWavesPerEU: 1
; Occupancy: 16
; WaveLimiterHint : 0
; COMPUTE_PGM_RSRC2:SCRATCH_EN: 0
; COMPUTE_PGM_RSRC2:USER_SGPR: 15
; COMPUTE_PGM_RSRC2:TRAP_HANDLER: 0
; COMPUTE_PGM_RSRC2:TGID_X_EN: 1
; COMPUTE_PGM_RSRC2:TGID_Y_EN: 0
; COMPUTE_PGM_RSRC2:TGID_Z_EN: 0
; COMPUTE_PGM_RSRC2:TIDIG_COMP_CNT: 0
	.section	.text._ZN7rocprim17ROCPRIM_400000_NS6detail17trampoline_kernelINS0_14default_configENS1_22reduce_config_selectorIN6thrust23THRUST_200600_302600_NS5tupleIblNS6_9null_typeES8_S8_S8_S8_S8_S8_S8_EEEEZNS1_11reduce_implILb1ES3_NS6_12zip_iteratorINS7_INS6_11hip_rocprim26transform_input_iterator_tIbNSD_35transform_pair_of_input_iterators_tIbNS6_6detail15normal_iteratorINS6_10device_ptrIKiEEEESL_NS6_8equal_toIiEEEENSG_9not_fun_tINSD_8identityEEEEENSD_19counting_iterator_tIlEES8_S8_S8_S8_S8_S8_S8_S8_EEEEPS9_S9_NSD_9__find_if7functorIS9_EEEE10hipError_tPvRmT1_T2_T3_mT4_P12ihipStream_tbEUlT_E0_NS1_11comp_targetILNS1_3genE2ELNS1_11target_archE906ELNS1_3gpuE6ELNS1_3repE0EEENS1_30default_config_static_selectorELNS0_4arch9wavefront6targetE0EEEvS14_,"axG",@progbits,_ZN7rocprim17ROCPRIM_400000_NS6detail17trampoline_kernelINS0_14default_configENS1_22reduce_config_selectorIN6thrust23THRUST_200600_302600_NS5tupleIblNS6_9null_typeES8_S8_S8_S8_S8_S8_S8_EEEEZNS1_11reduce_implILb1ES3_NS6_12zip_iteratorINS7_INS6_11hip_rocprim26transform_input_iterator_tIbNSD_35transform_pair_of_input_iterators_tIbNS6_6detail15normal_iteratorINS6_10device_ptrIKiEEEESL_NS6_8equal_toIiEEEENSG_9not_fun_tINSD_8identityEEEEENSD_19counting_iterator_tIlEES8_S8_S8_S8_S8_S8_S8_S8_EEEEPS9_S9_NSD_9__find_if7functorIS9_EEEE10hipError_tPvRmT1_T2_T3_mT4_P12ihipStream_tbEUlT_E0_NS1_11comp_targetILNS1_3genE2ELNS1_11target_archE906ELNS1_3gpuE6ELNS1_3repE0EEENS1_30default_config_static_selectorELNS0_4arch9wavefront6targetE0EEEvS14_,comdat
	.protected	_ZN7rocprim17ROCPRIM_400000_NS6detail17trampoline_kernelINS0_14default_configENS1_22reduce_config_selectorIN6thrust23THRUST_200600_302600_NS5tupleIblNS6_9null_typeES8_S8_S8_S8_S8_S8_S8_EEEEZNS1_11reduce_implILb1ES3_NS6_12zip_iteratorINS7_INS6_11hip_rocprim26transform_input_iterator_tIbNSD_35transform_pair_of_input_iterators_tIbNS6_6detail15normal_iteratorINS6_10device_ptrIKiEEEESL_NS6_8equal_toIiEEEENSG_9not_fun_tINSD_8identityEEEEENSD_19counting_iterator_tIlEES8_S8_S8_S8_S8_S8_S8_S8_EEEEPS9_S9_NSD_9__find_if7functorIS9_EEEE10hipError_tPvRmT1_T2_T3_mT4_P12ihipStream_tbEUlT_E0_NS1_11comp_targetILNS1_3genE2ELNS1_11target_archE906ELNS1_3gpuE6ELNS1_3repE0EEENS1_30default_config_static_selectorELNS0_4arch9wavefront6targetE0EEEvS14_ ; -- Begin function _ZN7rocprim17ROCPRIM_400000_NS6detail17trampoline_kernelINS0_14default_configENS1_22reduce_config_selectorIN6thrust23THRUST_200600_302600_NS5tupleIblNS6_9null_typeES8_S8_S8_S8_S8_S8_S8_EEEEZNS1_11reduce_implILb1ES3_NS6_12zip_iteratorINS7_INS6_11hip_rocprim26transform_input_iterator_tIbNSD_35transform_pair_of_input_iterators_tIbNS6_6detail15normal_iteratorINS6_10device_ptrIKiEEEESL_NS6_8equal_toIiEEEENSG_9not_fun_tINSD_8identityEEEEENSD_19counting_iterator_tIlEES8_S8_S8_S8_S8_S8_S8_S8_EEEEPS9_S9_NSD_9__find_if7functorIS9_EEEE10hipError_tPvRmT1_T2_T3_mT4_P12ihipStream_tbEUlT_E0_NS1_11comp_targetILNS1_3genE2ELNS1_11target_archE906ELNS1_3gpuE6ELNS1_3repE0EEENS1_30default_config_static_selectorELNS0_4arch9wavefront6targetE0EEEvS14_
	.globl	_ZN7rocprim17ROCPRIM_400000_NS6detail17trampoline_kernelINS0_14default_configENS1_22reduce_config_selectorIN6thrust23THRUST_200600_302600_NS5tupleIblNS6_9null_typeES8_S8_S8_S8_S8_S8_S8_EEEEZNS1_11reduce_implILb1ES3_NS6_12zip_iteratorINS7_INS6_11hip_rocprim26transform_input_iterator_tIbNSD_35transform_pair_of_input_iterators_tIbNS6_6detail15normal_iteratorINS6_10device_ptrIKiEEEESL_NS6_8equal_toIiEEEENSG_9not_fun_tINSD_8identityEEEEENSD_19counting_iterator_tIlEES8_S8_S8_S8_S8_S8_S8_S8_EEEEPS9_S9_NSD_9__find_if7functorIS9_EEEE10hipError_tPvRmT1_T2_T3_mT4_P12ihipStream_tbEUlT_E0_NS1_11comp_targetILNS1_3genE2ELNS1_11target_archE906ELNS1_3gpuE6ELNS1_3repE0EEENS1_30default_config_static_selectorELNS0_4arch9wavefront6targetE0EEEvS14_
	.p2align	8
	.type	_ZN7rocprim17ROCPRIM_400000_NS6detail17trampoline_kernelINS0_14default_configENS1_22reduce_config_selectorIN6thrust23THRUST_200600_302600_NS5tupleIblNS6_9null_typeES8_S8_S8_S8_S8_S8_S8_EEEEZNS1_11reduce_implILb1ES3_NS6_12zip_iteratorINS7_INS6_11hip_rocprim26transform_input_iterator_tIbNSD_35transform_pair_of_input_iterators_tIbNS6_6detail15normal_iteratorINS6_10device_ptrIKiEEEESL_NS6_8equal_toIiEEEENSG_9not_fun_tINSD_8identityEEEEENSD_19counting_iterator_tIlEES8_S8_S8_S8_S8_S8_S8_S8_EEEEPS9_S9_NSD_9__find_if7functorIS9_EEEE10hipError_tPvRmT1_T2_T3_mT4_P12ihipStream_tbEUlT_E0_NS1_11comp_targetILNS1_3genE2ELNS1_11target_archE906ELNS1_3gpuE6ELNS1_3repE0EEENS1_30default_config_static_selectorELNS0_4arch9wavefront6targetE0EEEvS14_,@function
_ZN7rocprim17ROCPRIM_400000_NS6detail17trampoline_kernelINS0_14default_configENS1_22reduce_config_selectorIN6thrust23THRUST_200600_302600_NS5tupleIblNS6_9null_typeES8_S8_S8_S8_S8_S8_S8_EEEEZNS1_11reduce_implILb1ES3_NS6_12zip_iteratorINS7_INS6_11hip_rocprim26transform_input_iterator_tIbNSD_35transform_pair_of_input_iterators_tIbNS6_6detail15normal_iteratorINS6_10device_ptrIKiEEEESL_NS6_8equal_toIiEEEENSG_9not_fun_tINSD_8identityEEEEENSD_19counting_iterator_tIlEES8_S8_S8_S8_S8_S8_S8_S8_EEEEPS9_S9_NSD_9__find_if7functorIS9_EEEE10hipError_tPvRmT1_T2_T3_mT4_P12ihipStream_tbEUlT_E0_NS1_11comp_targetILNS1_3genE2ELNS1_11target_archE906ELNS1_3gpuE6ELNS1_3repE0EEENS1_30default_config_static_selectorELNS0_4arch9wavefront6targetE0EEEvS14_: ; @_ZN7rocprim17ROCPRIM_400000_NS6detail17trampoline_kernelINS0_14default_configENS1_22reduce_config_selectorIN6thrust23THRUST_200600_302600_NS5tupleIblNS6_9null_typeES8_S8_S8_S8_S8_S8_S8_EEEEZNS1_11reduce_implILb1ES3_NS6_12zip_iteratorINS7_INS6_11hip_rocprim26transform_input_iterator_tIbNSD_35transform_pair_of_input_iterators_tIbNS6_6detail15normal_iteratorINS6_10device_ptrIKiEEEESL_NS6_8equal_toIiEEEENSG_9not_fun_tINSD_8identityEEEEENSD_19counting_iterator_tIlEES8_S8_S8_S8_S8_S8_S8_S8_EEEEPS9_S9_NSD_9__find_if7functorIS9_EEEE10hipError_tPvRmT1_T2_T3_mT4_P12ihipStream_tbEUlT_E0_NS1_11comp_targetILNS1_3genE2ELNS1_11target_archE906ELNS1_3gpuE6ELNS1_3repE0EEENS1_30default_config_static_selectorELNS0_4arch9wavefront6targetE0EEEvS14_
; %bb.0:
	.section	.rodata,"a",@progbits
	.p2align	6, 0x0
	.amdhsa_kernel _ZN7rocprim17ROCPRIM_400000_NS6detail17trampoline_kernelINS0_14default_configENS1_22reduce_config_selectorIN6thrust23THRUST_200600_302600_NS5tupleIblNS6_9null_typeES8_S8_S8_S8_S8_S8_S8_EEEEZNS1_11reduce_implILb1ES3_NS6_12zip_iteratorINS7_INS6_11hip_rocprim26transform_input_iterator_tIbNSD_35transform_pair_of_input_iterators_tIbNS6_6detail15normal_iteratorINS6_10device_ptrIKiEEEESL_NS6_8equal_toIiEEEENSG_9not_fun_tINSD_8identityEEEEENSD_19counting_iterator_tIlEES8_S8_S8_S8_S8_S8_S8_S8_EEEEPS9_S9_NSD_9__find_if7functorIS9_EEEE10hipError_tPvRmT1_T2_T3_mT4_P12ihipStream_tbEUlT_E0_NS1_11comp_targetILNS1_3genE2ELNS1_11target_archE906ELNS1_3gpuE6ELNS1_3repE0EEENS1_30default_config_static_selectorELNS0_4arch9wavefront6targetE0EEEvS14_
		.amdhsa_group_segment_fixed_size 0
		.amdhsa_private_segment_fixed_size 0
		.amdhsa_kernarg_size 104
		.amdhsa_user_sgpr_count 15
		.amdhsa_user_sgpr_dispatch_ptr 0
		.amdhsa_user_sgpr_queue_ptr 0
		.amdhsa_user_sgpr_kernarg_segment_ptr 1
		.amdhsa_user_sgpr_dispatch_id 0
		.amdhsa_user_sgpr_private_segment_size 0
		.amdhsa_wavefront_size32 1
		.amdhsa_uses_dynamic_stack 0
		.amdhsa_enable_private_segment 0
		.amdhsa_system_sgpr_workgroup_id_x 1
		.amdhsa_system_sgpr_workgroup_id_y 0
		.amdhsa_system_sgpr_workgroup_id_z 0
		.amdhsa_system_sgpr_workgroup_info 0
		.amdhsa_system_vgpr_workitem_id 0
		.amdhsa_next_free_vgpr 1
		.amdhsa_next_free_sgpr 1
		.amdhsa_reserve_vcc 0
		.amdhsa_float_round_mode_32 0
		.amdhsa_float_round_mode_16_64 0
		.amdhsa_float_denorm_mode_32 3
		.amdhsa_float_denorm_mode_16_64 3
		.amdhsa_dx10_clamp 1
		.amdhsa_ieee_mode 1
		.amdhsa_fp16_overflow 0
		.amdhsa_workgroup_processor_mode 1
		.amdhsa_memory_ordered 1
		.amdhsa_forward_progress 0
		.amdhsa_shared_vgpr_count 0
		.amdhsa_exception_fp_ieee_invalid_op 0
		.amdhsa_exception_fp_denorm_src 0
		.amdhsa_exception_fp_ieee_div_zero 0
		.amdhsa_exception_fp_ieee_overflow 0
		.amdhsa_exception_fp_ieee_underflow 0
		.amdhsa_exception_fp_ieee_inexact 0
		.amdhsa_exception_int_div_zero 0
	.end_amdhsa_kernel
	.section	.text._ZN7rocprim17ROCPRIM_400000_NS6detail17trampoline_kernelINS0_14default_configENS1_22reduce_config_selectorIN6thrust23THRUST_200600_302600_NS5tupleIblNS6_9null_typeES8_S8_S8_S8_S8_S8_S8_EEEEZNS1_11reduce_implILb1ES3_NS6_12zip_iteratorINS7_INS6_11hip_rocprim26transform_input_iterator_tIbNSD_35transform_pair_of_input_iterators_tIbNS6_6detail15normal_iteratorINS6_10device_ptrIKiEEEESL_NS6_8equal_toIiEEEENSG_9not_fun_tINSD_8identityEEEEENSD_19counting_iterator_tIlEES8_S8_S8_S8_S8_S8_S8_S8_EEEEPS9_S9_NSD_9__find_if7functorIS9_EEEE10hipError_tPvRmT1_T2_T3_mT4_P12ihipStream_tbEUlT_E0_NS1_11comp_targetILNS1_3genE2ELNS1_11target_archE906ELNS1_3gpuE6ELNS1_3repE0EEENS1_30default_config_static_selectorELNS0_4arch9wavefront6targetE0EEEvS14_,"axG",@progbits,_ZN7rocprim17ROCPRIM_400000_NS6detail17trampoline_kernelINS0_14default_configENS1_22reduce_config_selectorIN6thrust23THRUST_200600_302600_NS5tupleIblNS6_9null_typeES8_S8_S8_S8_S8_S8_S8_EEEEZNS1_11reduce_implILb1ES3_NS6_12zip_iteratorINS7_INS6_11hip_rocprim26transform_input_iterator_tIbNSD_35transform_pair_of_input_iterators_tIbNS6_6detail15normal_iteratorINS6_10device_ptrIKiEEEESL_NS6_8equal_toIiEEEENSG_9not_fun_tINSD_8identityEEEEENSD_19counting_iterator_tIlEES8_S8_S8_S8_S8_S8_S8_S8_EEEEPS9_S9_NSD_9__find_if7functorIS9_EEEE10hipError_tPvRmT1_T2_T3_mT4_P12ihipStream_tbEUlT_E0_NS1_11comp_targetILNS1_3genE2ELNS1_11target_archE906ELNS1_3gpuE6ELNS1_3repE0EEENS1_30default_config_static_selectorELNS0_4arch9wavefront6targetE0EEEvS14_,comdat
.Lfunc_end27:
	.size	_ZN7rocprim17ROCPRIM_400000_NS6detail17trampoline_kernelINS0_14default_configENS1_22reduce_config_selectorIN6thrust23THRUST_200600_302600_NS5tupleIblNS6_9null_typeES8_S8_S8_S8_S8_S8_S8_EEEEZNS1_11reduce_implILb1ES3_NS6_12zip_iteratorINS7_INS6_11hip_rocprim26transform_input_iterator_tIbNSD_35transform_pair_of_input_iterators_tIbNS6_6detail15normal_iteratorINS6_10device_ptrIKiEEEESL_NS6_8equal_toIiEEEENSG_9not_fun_tINSD_8identityEEEEENSD_19counting_iterator_tIlEES8_S8_S8_S8_S8_S8_S8_S8_EEEEPS9_S9_NSD_9__find_if7functorIS9_EEEE10hipError_tPvRmT1_T2_T3_mT4_P12ihipStream_tbEUlT_E0_NS1_11comp_targetILNS1_3genE2ELNS1_11target_archE906ELNS1_3gpuE6ELNS1_3repE0EEENS1_30default_config_static_selectorELNS0_4arch9wavefront6targetE0EEEvS14_, .Lfunc_end27-_ZN7rocprim17ROCPRIM_400000_NS6detail17trampoline_kernelINS0_14default_configENS1_22reduce_config_selectorIN6thrust23THRUST_200600_302600_NS5tupleIblNS6_9null_typeES8_S8_S8_S8_S8_S8_S8_EEEEZNS1_11reduce_implILb1ES3_NS6_12zip_iteratorINS7_INS6_11hip_rocprim26transform_input_iterator_tIbNSD_35transform_pair_of_input_iterators_tIbNS6_6detail15normal_iteratorINS6_10device_ptrIKiEEEESL_NS6_8equal_toIiEEEENSG_9not_fun_tINSD_8identityEEEEENSD_19counting_iterator_tIlEES8_S8_S8_S8_S8_S8_S8_S8_EEEEPS9_S9_NSD_9__find_if7functorIS9_EEEE10hipError_tPvRmT1_T2_T3_mT4_P12ihipStream_tbEUlT_E0_NS1_11comp_targetILNS1_3genE2ELNS1_11target_archE906ELNS1_3gpuE6ELNS1_3repE0EEENS1_30default_config_static_selectorELNS0_4arch9wavefront6targetE0EEEvS14_
                                        ; -- End function
	.section	.AMDGPU.csdata,"",@progbits
; Kernel info:
; codeLenInByte = 0
; NumSgprs: 0
; NumVgprs: 0
; ScratchSize: 0
; MemoryBound: 0
; FloatMode: 240
; IeeeMode: 1
; LDSByteSize: 0 bytes/workgroup (compile time only)
; SGPRBlocks: 0
; VGPRBlocks: 0
; NumSGPRsForWavesPerEU: 1
; NumVGPRsForWavesPerEU: 1
; Occupancy: 16
; WaveLimiterHint : 0
; COMPUTE_PGM_RSRC2:SCRATCH_EN: 0
; COMPUTE_PGM_RSRC2:USER_SGPR: 15
; COMPUTE_PGM_RSRC2:TRAP_HANDLER: 0
; COMPUTE_PGM_RSRC2:TGID_X_EN: 1
; COMPUTE_PGM_RSRC2:TGID_Y_EN: 0
; COMPUTE_PGM_RSRC2:TGID_Z_EN: 0
; COMPUTE_PGM_RSRC2:TIDIG_COMP_CNT: 0
	.section	.text._ZN7rocprim17ROCPRIM_400000_NS6detail17trampoline_kernelINS0_14default_configENS1_22reduce_config_selectorIN6thrust23THRUST_200600_302600_NS5tupleIblNS6_9null_typeES8_S8_S8_S8_S8_S8_S8_EEEEZNS1_11reduce_implILb1ES3_NS6_12zip_iteratorINS7_INS6_11hip_rocprim26transform_input_iterator_tIbNSD_35transform_pair_of_input_iterators_tIbNS6_6detail15normal_iteratorINS6_10device_ptrIKiEEEESL_NS6_8equal_toIiEEEENSG_9not_fun_tINSD_8identityEEEEENSD_19counting_iterator_tIlEES8_S8_S8_S8_S8_S8_S8_S8_EEEEPS9_S9_NSD_9__find_if7functorIS9_EEEE10hipError_tPvRmT1_T2_T3_mT4_P12ihipStream_tbEUlT_E0_NS1_11comp_targetILNS1_3genE10ELNS1_11target_archE1201ELNS1_3gpuE5ELNS1_3repE0EEENS1_30default_config_static_selectorELNS0_4arch9wavefront6targetE0EEEvS14_,"axG",@progbits,_ZN7rocprim17ROCPRIM_400000_NS6detail17trampoline_kernelINS0_14default_configENS1_22reduce_config_selectorIN6thrust23THRUST_200600_302600_NS5tupleIblNS6_9null_typeES8_S8_S8_S8_S8_S8_S8_EEEEZNS1_11reduce_implILb1ES3_NS6_12zip_iteratorINS7_INS6_11hip_rocprim26transform_input_iterator_tIbNSD_35transform_pair_of_input_iterators_tIbNS6_6detail15normal_iteratorINS6_10device_ptrIKiEEEESL_NS6_8equal_toIiEEEENSG_9not_fun_tINSD_8identityEEEEENSD_19counting_iterator_tIlEES8_S8_S8_S8_S8_S8_S8_S8_EEEEPS9_S9_NSD_9__find_if7functorIS9_EEEE10hipError_tPvRmT1_T2_T3_mT4_P12ihipStream_tbEUlT_E0_NS1_11comp_targetILNS1_3genE10ELNS1_11target_archE1201ELNS1_3gpuE5ELNS1_3repE0EEENS1_30default_config_static_selectorELNS0_4arch9wavefront6targetE0EEEvS14_,comdat
	.protected	_ZN7rocprim17ROCPRIM_400000_NS6detail17trampoline_kernelINS0_14default_configENS1_22reduce_config_selectorIN6thrust23THRUST_200600_302600_NS5tupleIblNS6_9null_typeES8_S8_S8_S8_S8_S8_S8_EEEEZNS1_11reduce_implILb1ES3_NS6_12zip_iteratorINS7_INS6_11hip_rocprim26transform_input_iterator_tIbNSD_35transform_pair_of_input_iterators_tIbNS6_6detail15normal_iteratorINS6_10device_ptrIKiEEEESL_NS6_8equal_toIiEEEENSG_9not_fun_tINSD_8identityEEEEENSD_19counting_iterator_tIlEES8_S8_S8_S8_S8_S8_S8_S8_EEEEPS9_S9_NSD_9__find_if7functorIS9_EEEE10hipError_tPvRmT1_T2_T3_mT4_P12ihipStream_tbEUlT_E0_NS1_11comp_targetILNS1_3genE10ELNS1_11target_archE1201ELNS1_3gpuE5ELNS1_3repE0EEENS1_30default_config_static_selectorELNS0_4arch9wavefront6targetE0EEEvS14_ ; -- Begin function _ZN7rocprim17ROCPRIM_400000_NS6detail17trampoline_kernelINS0_14default_configENS1_22reduce_config_selectorIN6thrust23THRUST_200600_302600_NS5tupleIblNS6_9null_typeES8_S8_S8_S8_S8_S8_S8_EEEEZNS1_11reduce_implILb1ES3_NS6_12zip_iteratorINS7_INS6_11hip_rocprim26transform_input_iterator_tIbNSD_35transform_pair_of_input_iterators_tIbNS6_6detail15normal_iteratorINS6_10device_ptrIKiEEEESL_NS6_8equal_toIiEEEENSG_9not_fun_tINSD_8identityEEEEENSD_19counting_iterator_tIlEES8_S8_S8_S8_S8_S8_S8_S8_EEEEPS9_S9_NSD_9__find_if7functorIS9_EEEE10hipError_tPvRmT1_T2_T3_mT4_P12ihipStream_tbEUlT_E0_NS1_11comp_targetILNS1_3genE10ELNS1_11target_archE1201ELNS1_3gpuE5ELNS1_3repE0EEENS1_30default_config_static_selectorELNS0_4arch9wavefront6targetE0EEEvS14_
	.globl	_ZN7rocprim17ROCPRIM_400000_NS6detail17trampoline_kernelINS0_14default_configENS1_22reduce_config_selectorIN6thrust23THRUST_200600_302600_NS5tupleIblNS6_9null_typeES8_S8_S8_S8_S8_S8_S8_EEEEZNS1_11reduce_implILb1ES3_NS6_12zip_iteratorINS7_INS6_11hip_rocprim26transform_input_iterator_tIbNSD_35transform_pair_of_input_iterators_tIbNS6_6detail15normal_iteratorINS6_10device_ptrIKiEEEESL_NS6_8equal_toIiEEEENSG_9not_fun_tINSD_8identityEEEEENSD_19counting_iterator_tIlEES8_S8_S8_S8_S8_S8_S8_S8_EEEEPS9_S9_NSD_9__find_if7functorIS9_EEEE10hipError_tPvRmT1_T2_T3_mT4_P12ihipStream_tbEUlT_E0_NS1_11comp_targetILNS1_3genE10ELNS1_11target_archE1201ELNS1_3gpuE5ELNS1_3repE0EEENS1_30default_config_static_selectorELNS0_4arch9wavefront6targetE0EEEvS14_
	.p2align	8
	.type	_ZN7rocprim17ROCPRIM_400000_NS6detail17trampoline_kernelINS0_14default_configENS1_22reduce_config_selectorIN6thrust23THRUST_200600_302600_NS5tupleIblNS6_9null_typeES8_S8_S8_S8_S8_S8_S8_EEEEZNS1_11reduce_implILb1ES3_NS6_12zip_iteratorINS7_INS6_11hip_rocprim26transform_input_iterator_tIbNSD_35transform_pair_of_input_iterators_tIbNS6_6detail15normal_iteratorINS6_10device_ptrIKiEEEESL_NS6_8equal_toIiEEEENSG_9not_fun_tINSD_8identityEEEEENSD_19counting_iterator_tIlEES8_S8_S8_S8_S8_S8_S8_S8_EEEEPS9_S9_NSD_9__find_if7functorIS9_EEEE10hipError_tPvRmT1_T2_T3_mT4_P12ihipStream_tbEUlT_E0_NS1_11comp_targetILNS1_3genE10ELNS1_11target_archE1201ELNS1_3gpuE5ELNS1_3repE0EEENS1_30default_config_static_selectorELNS0_4arch9wavefront6targetE0EEEvS14_,@function
_ZN7rocprim17ROCPRIM_400000_NS6detail17trampoline_kernelINS0_14default_configENS1_22reduce_config_selectorIN6thrust23THRUST_200600_302600_NS5tupleIblNS6_9null_typeES8_S8_S8_S8_S8_S8_S8_EEEEZNS1_11reduce_implILb1ES3_NS6_12zip_iteratorINS7_INS6_11hip_rocprim26transform_input_iterator_tIbNSD_35transform_pair_of_input_iterators_tIbNS6_6detail15normal_iteratorINS6_10device_ptrIKiEEEESL_NS6_8equal_toIiEEEENSG_9not_fun_tINSD_8identityEEEEENSD_19counting_iterator_tIlEES8_S8_S8_S8_S8_S8_S8_S8_EEEEPS9_S9_NSD_9__find_if7functorIS9_EEEE10hipError_tPvRmT1_T2_T3_mT4_P12ihipStream_tbEUlT_E0_NS1_11comp_targetILNS1_3genE10ELNS1_11target_archE1201ELNS1_3gpuE5ELNS1_3repE0EEENS1_30default_config_static_selectorELNS0_4arch9wavefront6targetE0EEEvS14_: ; @_ZN7rocprim17ROCPRIM_400000_NS6detail17trampoline_kernelINS0_14default_configENS1_22reduce_config_selectorIN6thrust23THRUST_200600_302600_NS5tupleIblNS6_9null_typeES8_S8_S8_S8_S8_S8_S8_EEEEZNS1_11reduce_implILb1ES3_NS6_12zip_iteratorINS7_INS6_11hip_rocprim26transform_input_iterator_tIbNSD_35transform_pair_of_input_iterators_tIbNS6_6detail15normal_iteratorINS6_10device_ptrIKiEEEESL_NS6_8equal_toIiEEEENSG_9not_fun_tINSD_8identityEEEEENSD_19counting_iterator_tIlEES8_S8_S8_S8_S8_S8_S8_S8_EEEEPS9_S9_NSD_9__find_if7functorIS9_EEEE10hipError_tPvRmT1_T2_T3_mT4_P12ihipStream_tbEUlT_E0_NS1_11comp_targetILNS1_3genE10ELNS1_11target_archE1201ELNS1_3gpuE5ELNS1_3repE0EEENS1_30default_config_static_selectorELNS0_4arch9wavefront6targetE0EEEvS14_
; %bb.0:
	.section	.rodata,"a",@progbits
	.p2align	6, 0x0
	.amdhsa_kernel _ZN7rocprim17ROCPRIM_400000_NS6detail17trampoline_kernelINS0_14default_configENS1_22reduce_config_selectorIN6thrust23THRUST_200600_302600_NS5tupleIblNS6_9null_typeES8_S8_S8_S8_S8_S8_S8_EEEEZNS1_11reduce_implILb1ES3_NS6_12zip_iteratorINS7_INS6_11hip_rocprim26transform_input_iterator_tIbNSD_35transform_pair_of_input_iterators_tIbNS6_6detail15normal_iteratorINS6_10device_ptrIKiEEEESL_NS6_8equal_toIiEEEENSG_9not_fun_tINSD_8identityEEEEENSD_19counting_iterator_tIlEES8_S8_S8_S8_S8_S8_S8_S8_EEEEPS9_S9_NSD_9__find_if7functorIS9_EEEE10hipError_tPvRmT1_T2_T3_mT4_P12ihipStream_tbEUlT_E0_NS1_11comp_targetILNS1_3genE10ELNS1_11target_archE1201ELNS1_3gpuE5ELNS1_3repE0EEENS1_30default_config_static_selectorELNS0_4arch9wavefront6targetE0EEEvS14_
		.amdhsa_group_segment_fixed_size 0
		.amdhsa_private_segment_fixed_size 0
		.amdhsa_kernarg_size 104
		.amdhsa_user_sgpr_count 15
		.amdhsa_user_sgpr_dispatch_ptr 0
		.amdhsa_user_sgpr_queue_ptr 0
		.amdhsa_user_sgpr_kernarg_segment_ptr 1
		.amdhsa_user_sgpr_dispatch_id 0
		.amdhsa_user_sgpr_private_segment_size 0
		.amdhsa_wavefront_size32 1
		.amdhsa_uses_dynamic_stack 0
		.amdhsa_enable_private_segment 0
		.amdhsa_system_sgpr_workgroup_id_x 1
		.amdhsa_system_sgpr_workgroup_id_y 0
		.amdhsa_system_sgpr_workgroup_id_z 0
		.amdhsa_system_sgpr_workgroup_info 0
		.amdhsa_system_vgpr_workitem_id 0
		.amdhsa_next_free_vgpr 1
		.amdhsa_next_free_sgpr 1
		.amdhsa_reserve_vcc 0
		.amdhsa_float_round_mode_32 0
		.amdhsa_float_round_mode_16_64 0
		.amdhsa_float_denorm_mode_32 3
		.amdhsa_float_denorm_mode_16_64 3
		.amdhsa_dx10_clamp 1
		.amdhsa_ieee_mode 1
		.amdhsa_fp16_overflow 0
		.amdhsa_workgroup_processor_mode 1
		.amdhsa_memory_ordered 1
		.amdhsa_forward_progress 0
		.amdhsa_shared_vgpr_count 0
		.amdhsa_exception_fp_ieee_invalid_op 0
		.amdhsa_exception_fp_denorm_src 0
		.amdhsa_exception_fp_ieee_div_zero 0
		.amdhsa_exception_fp_ieee_overflow 0
		.amdhsa_exception_fp_ieee_underflow 0
		.amdhsa_exception_fp_ieee_inexact 0
		.amdhsa_exception_int_div_zero 0
	.end_amdhsa_kernel
	.section	.text._ZN7rocprim17ROCPRIM_400000_NS6detail17trampoline_kernelINS0_14default_configENS1_22reduce_config_selectorIN6thrust23THRUST_200600_302600_NS5tupleIblNS6_9null_typeES8_S8_S8_S8_S8_S8_S8_EEEEZNS1_11reduce_implILb1ES3_NS6_12zip_iteratorINS7_INS6_11hip_rocprim26transform_input_iterator_tIbNSD_35transform_pair_of_input_iterators_tIbNS6_6detail15normal_iteratorINS6_10device_ptrIKiEEEESL_NS6_8equal_toIiEEEENSG_9not_fun_tINSD_8identityEEEEENSD_19counting_iterator_tIlEES8_S8_S8_S8_S8_S8_S8_S8_EEEEPS9_S9_NSD_9__find_if7functorIS9_EEEE10hipError_tPvRmT1_T2_T3_mT4_P12ihipStream_tbEUlT_E0_NS1_11comp_targetILNS1_3genE10ELNS1_11target_archE1201ELNS1_3gpuE5ELNS1_3repE0EEENS1_30default_config_static_selectorELNS0_4arch9wavefront6targetE0EEEvS14_,"axG",@progbits,_ZN7rocprim17ROCPRIM_400000_NS6detail17trampoline_kernelINS0_14default_configENS1_22reduce_config_selectorIN6thrust23THRUST_200600_302600_NS5tupleIblNS6_9null_typeES8_S8_S8_S8_S8_S8_S8_EEEEZNS1_11reduce_implILb1ES3_NS6_12zip_iteratorINS7_INS6_11hip_rocprim26transform_input_iterator_tIbNSD_35transform_pair_of_input_iterators_tIbNS6_6detail15normal_iteratorINS6_10device_ptrIKiEEEESL_NS6_8equal_toIiEEEENSG_9not_fun_tINSD_8identityEEEEENSD_19counting_iterator_tIlEES8_S8_S8_S8_S8_S8_S8_S8_EEEEPS9_S9_NSD_9__find_if7functorIS9_EEEE10hipError_tPvRmT1_T2_T3_mT4_P12ihipStream_tbEUlT_E0_NS1_11comp_targetILNS1_3genE10ELNS1_11target_archE1201ELNS1_3gpuE5ELNS1_3repE0EEENS1_30default_config_static_selectorELNS0_4arch9wavefront6targetE0EEEvS14_,comdat
.Lfunc_end28:
	.size	_ZN7rocprim17ROCPRIM_400000_NS6detail17trampoline_kernelINS0_14default_configENS1_22reduce_config_selectorIN6thrust23THRUST_200600_302600_NS5tupleIblNS6_9null_typeES8_S8_S8_S8_S8_S8_S8_EEEEZNS1_11reduce_implILb1ES3_NS6_12zip_iteratorINS7_INS6_11hip_rocprim26transform_input_iterator_tIbNSD_35transform_pair_of_input_iterators_tIbNS6_6detail15normal_iteratorINS6_10device_ptrIKiEEEESL_NS6_8equal_toIiEEEENSG_9not_fun_tINSD_8identityEEEEENSD_19counting_iterator_tIlEES8_S8_S8_S8_S8_S8_S8_S8_EEEEPS9_S9_NSD_9__find_if7functorIS9_EEEE10hipError_tPvRmT1_T2_T3_mT4_P12ihipStream_tbEUlT_E0_NS1_11comp_targetILNS1_3genE10ELNS1_11target_archE1201ELNS1_3gpuE5ELNS1_3repE0EEENS1_30default_config_static_selectorELNS0_4arch9wavefront6targetE0EEEvS14_, .Lfunc_end28-_ZN7rocprim17ROCPRIM_400000_NS6detail17trampoline_kernelINS0_14default_configENS1_22reduce_config_selectorIN6thrust23THRUST_200600_302600_NS5tupleIblNS6_9null_typeES8_S8_S8_S8_S8_S8_S8_EEEEZNS1_11reduce_implILb1ES3_NS6_12zip_iteratorINS7_INS6_11hip_rocprim26transform_input_iterator_tIbNSD_35transform_pair_of_input_iterators_tIbNS6_6detail15normal_iteratorINS6_10device_ptrIKiEEEESL_NS6_8equal_toIiEEEENSG_9not_fun_tINSD_8identityEEEEENSD_19counting_iterator_tIlEES8_S8_S8_S8_S8_S8_S8_S8_EEEEPS9_S9_NSD_9__find_if7functorIS9_EEEE10hipError_tPvRmT1_T2_T3_mT4_P12ihipStream_tbEUlT_E0_NS1_11comp_targetILNS1_3genE10ELNS1_11target_archE1201ELNS1_3gpuE5ELNS1_3repE0EEENS1_30default_config_static_selectorELNS0_4arch9wavefront6targetE0EEEvS14_
                                        ; -- End function
	.section	.AMDGPU.csdata,"",@progbits
; Kernel info:
; codeLenInByte = 0
; NumSgprs: 0
; NumVgprs: 0
; ScratchSize: 0
; MemoryBound: 0
; FloatMode: 240
; IeeeMode: 1
; LDSByteSize: 0 bytes/workgroup (compile time only)
; SGPRBlocks: 0
; VGPRBlocks: 0
; NumSGPRsForWavesPerEU: 1
; NumVGPRsForWavesPerEU: 1
; Occupancy: 16
; WaveLimiterHint : 0
; COMPUTE_PGM_RSRC2:SCRATCH_EN: 0
; COMPUTE_PGM_RSRC2:USER_SGPR: 15
; COMPUTE_PGM_RSRC2:TRAP_HANDLER: 0
; COMPUTE_PGM_RSRC2:TGID_X_EN: 1
; COMPUTE_PGM_RSRC2:TGID_Y_EN: 0
; COMPUTE_PGM_RSRC2:TGID_Z_EN: 0
; COMPUTE_PGM_RSRC2:TIDIG_COMP_CNT: 0
	.section	.text._ZN7rocprim17ROCPRIM_400000_NS6detail17trampoline_kernelINS0_14default_configENS1_22reduce_config_selectorIN6thrust23THRUST_200600_302600_NS5tupleIblNS6_9null_typeES8_S8_S8_S8_S8_S8_S8_EEEEZNS1_11reduce_implILb1ES3_NS6_12zip_iteratorINS7_INS6_11hip_rocprim26transform_input_iterator_tIbNSD_35transform_pair_of_input_iterators_tIbNS6_6detail15normal_iteratorINS6_10device_ptrIKiEEEESL_NS6_8equal_toIiEEEENSG_9not_fun_tINSD_8identityEEEEENSD_19counting_iterator_tIlEES8_S8_S8_S8_S8_S8_S8_S8_EEEEPS9_S9_NSD_9__find_if7functorIS9_EEEE10hipError_tPvRmT1_T2_T3_mT4_P12ihipStream_tbEUlT_E0_NS1_11comp_targetILNS1_3genE10ELNS1_11target_archE1200ELNS1_3gpuE4ELNS1_3repE0EEENS1_30default_config_static_selectorELNS0_4arch9wavefront6targetE0EEEvS14_,"axG",@progbits,_ZN7rocprim17ROCPRIM_400000_NS6detail17trampoline_kernelINS0_14default_configENS1_22reduce_config_selectorIN6thrust23THRUST_200600_302600_NS5tupleIblNS6_9null_typeES8_S8_S8_S8_S8_S8_S8_EEEEZNS1_11reduce_implILb1ES3_NS6_12zip_iteratorINS7_INS6_11hip_rocprim26transform_input_iterator_tIbNSD_35transform_pair_of_input_iterators_tIbNS6_6detail15normal_iteratorINS6_10device_ptrIKiEEEESL_NS6_8equal_toIiEEEENSG_9not_fun_tINSD_8identityEEEEENSD_19counting_iterator_tIlEES8_S8_S8_S8_S8_S8_S8_S8_EEEEPS9_S9_NSD_9__find_if7functorIS9_EEEE10hipError_tPvRmT1_T2_T3_mT4_P12ihipStream_tbEUlT_E0_NS1_11comp_targetILNS1_3genE10ELNS1_11target_archE1200ELNS1_3gpuE4ELNS1_3repE0EEENS1_30default_config_static_selectorELNS0_4arch9wavefront6targetE0EEEvS14_,comdat
	.protected	_ZN7rocprim17ROCPRIM_400000_NS6detail17trampoline_kernelINS0_14default_configENS1_22reduce_config_selectorIN6thrust23THRUST_200600_302600_NS5tupleIblNS6_9null_typeES8_S8_S8_S8_S8_S8_S8_EEEEZNS1_11reduce_implILb1ES3_NS6_12zip_iteratorINS7_INS6_11hip_rocprim26transform_input_iterator_tIbNSD_35transform_pair_of_input_iterators_tIbNS6_6detail15normal_iteratorINS6_10device_ptrIKiEEEESL_NS6_8equal_toIiEEEENSG_9not_fun_tINSD_8identityEEEEENSD_19counting_iterator_tIlEES8_S8_S8_S8_S8_S8_S8_S8_EEEEPS9_S9_NSD_9__find_if7functorIS9_EEEE10hipError_tPvRmT1_T2_T3_mT4_P12ihipStream_tbEUlT_E0_NS1_11comp_targetILNS1_3genE10ELNS1_11target_archE1200ELNS1_3gpuE4ELNS1_3repE0EEENS1_30default_config_static_selectorELNS0_4arch9wavefront6targetE0EEEvS14_ ; -- Begin function _ZN7rocprim17ROCPRIM_400000_NS6detail17trampoline_kernelINS0_14default_configENS1_22reduce_config_selectorIN6thrust23THRUST_200600_302600_NS5tupleIblNS6_9null_typeES8_S8_S8_S8_S8_S8_S8_EEEEZNS1_11reduce_implILb1ES3_NS6_12zip_iteratorINS7_INS6_11hip_rocprim26transform_input_iterator_tIbNSD_35transform_pair_of_input_iterators_tIbNS6_6detail15normal_iteratorINS6_10device_ptrIKiEEEESL_NS6_8equal_toIiEEEENSG_9not_fun_tINSD_8identityEEEEENSD_19counting_iterator_tIlEES8_S8_S8_S8_S8_S8_S8_S8_EEEEPS9_S9_NSD_9__find_if7functorIS9_EEEE10hipError_tPvRmT1_T2_T3_mT4_P12ihipStream_tbEUlT_E0_NS1_11comp_targetILNS1_3genE10ELNS1_11target_archE1200ELNS1_3gpuE4ELNS1_3repE0EEENS1_30default_config_static_selectorELNS0_4arch9wavefront6targetE0EEEvS14_
	.globl	_ZN7rocprim17ROCPRIM_400000_NS6detail17trampoline_kernelINS0_14default_configENS1_22reduce_config_selectorIN6thrust23THRUST_200600_302600_NS5tupleIblNS6_9null_typeES8_S8_S8_S8_S8_S8_S8_EEEEZNS1_11reduce_implILb1ES3_NS6_12zip_iteratorINS7_INS6_11hip_rocprim26transform_input_iterator_tIbNSD_35transform_pair_of_input_iterators_tIbNS6_6detail15normal_iteratorINS6_10device_ptrIKiEEEESL_NS6_8equal_toIiEEEENSG_9not_fun_tINSD_8identityEEEEENSD_19counting_iterator_tIlEES8_S8_S8_S8_S8_S8_S8_S8_EEEEPS9_S9_NSD_9__find_if7functorIS9_EEEE10hipError_tPvRmT1_T2_T3_mT4_P12ihipStream_tbEUlT_E0_NS1_11comp_targetILNS1_3genE10ELNS1_11target_archE1200ELNS1_3gpuE4ELNS1_3repE0EEENS1_30default_config_static_selectorELNS0_4arch9wavefront6targetE0EEEvS14_
	.p2align	8
	.type	_ZN7rocprim17ROCPRIM_400000_NS6detail17trampoline_kernelINS0_14default_configENS1_22reduce_config_selectorIN6thrust23THRUST_200600_302600_NS5tupleIblNS6_9null_typeES8_S8_S8_S8_S8_S8_S8_EEEEZNS1_11reduce_implILb1ES3_NS6_12zip_iteratorINS7_INS6_11hip_rocprim26transform_input_iterator_tIbNSD_35transform_pair_of_input_iterators_tIbNS6_6detail15normal_iteratorINS6_10device_ptrIKiEEEESL_NS6_8equal_toIiEEEENSG_9not_fun_tINSD_8identityEEEEENSD_19counting_iterator_tIlEES8_S8_S8_S8_S8_S8_S8_S8_EEEEPS9_S9_NSD_9__find_if7functorIS9_EEEE10hipError_tPvRmT1_T2_T3_mT4_P12ihipStream_tbEUlT_E0_NS1_11comp_targetILNS1_3genE10ELNS1_11target_archE1200ELNS1_3gpuE4ELNS1_3repE0EEENS1_30default_config_static_selectorELNS0_4arch9wavefront6targetE0EEEvS14_,@function
_ZN7rocprim17ROCPRIM_400000_NS6detail17trampoline_kernelINS0_14default_configENS1_22reduce_config_selectorIN6thrust23THRUST_200600_302600_NS5tupleIblNS6_9null_typeES8_S8_S8_S8_S8_S8_S8_EEEEZNS1_11reduce_implILb1ES3_NS6_12zip_iteratorINS7_INS6_11hip_rocprim26transform_input_iterator_tIbNSD_35transform_pair_of_input_iterators_tIbNS6_6detail15normal_iteratorINS6_10device_ptrIKiEEEESL_NS6_8equal_toIiEEEENSG_9not_fun_tINSD_8identityEEEEENSD_19counting_iterator_tIlEES8_S8_S8_S8_S8_S8_S8_S8_EEEEPS9_S9_NSD_9__find_if7functorIS9_EEEE10hipError_tPvRmT1_T2_T3_mT4_P12ihipStream_tbEUlT_E0_NS1_11comp_targetILNS1_3genE10ELNS1_11target_archE1200ELNS1_3gpuE4ELNS1_3repE0EEENS1_30default_config_static_selectorELNS0_4arch9wavefront6targetE0EEEvS14_: ; @_ZN7rocprim17ROCPRIM_400000_NS6detail17trampoline_kernelINS0_14default_configENS1_22reduce_config_selectorIN6thrust23THRUST_200600_302600_NS5tupleIblNS6_9null_typeES8_S8_S8_S8_S8_S8_S8_EEEEZNS1_11reduce_implILb1ES3_NS6_12zip_iteratorINS7_INS6_11hip_rocprim26transform_input_iterator_tIbNSD_35transform_pair_of_input_iterators_tIbNS6_6detail15normal_iteratorINS6_10device_ptrIKiEEEESL_NS6_8equal_toIiEEEENSG_9not_fun_tINSD_8identityEEEEENSD_19counting_iterator_tIlEES8_S8_S8_S8_S8_S8_S8_S8_EEEEPS9_S9_NSD_9__find_if7functorIS9_EEEE10hipError_tPvRmT1_T2_T3_mT4_P12ihipStream_tbEUlT_E0_NS1_11comp_targetILNS1_3genE10ELNS1_11target_archE1200ELNS1_3gpuE4ELNS1_3repE0EEENS1_30default_config_static_selectorELNS0_4arch9wavefront6targetE0EEEvS14_
; %bb.0:
	.section	.rodata,"a",@progbits
	.p2align	6, 0x0
	.amdhsa_kernel _ZN7rocprim17ROCPRIM_400000_NS6detail17trampoline_kernelINS0_14default_configENS1_22reduce_config_selectorIN6thrust23THRUST_200600_302600_NS5tupleIblNS6_9null_typeES8_S8_S8_S8_S8_S8_S8_EEEEZNS1_11reduce_implILb1ES3_NS6_12zip_iteratorINS7_INS6_11hip_rocprim26transform_input_iterator_tIbNSD_35transform_pair_of_input_iterators_tIbNS6_6detail15normal_iteratorINS6_10device_ptrIKiEEEESL_NS6_8equal_toIiEEEENSG_9not_fun_tINSD_8identityEEEEENSD_19counting_iterator_tIlEES8_S8_S8_S8_S8_S8_S8_S8_EEEEPS9_S9_NSD_9__find_if7functorIS9_EEEE10hipError_tPvRmT1_T2_T3_mT4_P12ihipStream_tbEUlT_E0_NS1_11comp_targetILNS1_3genE10ELNS1_11target_archE1200ELNS1_3gpuE4ELNS1_3repE0EEENS1_30default_config_static_selectorELNS0_4arch9wavefront6targetE0EEEvS14_
		.amdhsa_group_segment_fixed_size 0
		.amdhsa_private_segment_fixed_size 0
		.amdhsa_kernarg_size 104
		.amdhsa_user_sgpr_count 15
		.amdhsa_user_sgpr_dispatch_ptr 0
		.amdhsa_user_sgpr_queue_ptr 0
		.amdhsa_user_sgpr_kernarg_segment_ptr 1
		.amdhsa_user_sgpr_dispatch_id 0
		.amdhsa_user_sgpr_private_segment_size 0
		.amdhsa_wavefront_size32 1
		.amdhsa_uses_dynamic_stack 0
		.amdhsa_enable_private_segment 0
		.amdhsa_system_sgpr_workgroup_id_x 1
		.amdhsa_system_sgpr_workgroup_id_y 0
		.amdhsa_system_sgpr_workgroup_id_z 0
		.amdhsa_system_sgpr_workgroup_info 0
		.amdhsa_system_vgpr_workitem_id 0
		.amdhsa_next_free_vgpr 1
		.amdhsa_next_free_sgpr 1
		.amdhsa_reserve_vcc 0
		.amdhsa_float_round_mode_32 0
		.amdhsa_float_round_mode_16_64 0
		.amdhsa_float_denorm_mode_32 3
		.amdhsa_float_denorm_mode_16_64 3
		.amdhsa_dx10_clamp 1
		.amdhsa_ieee_mode 1
		.amdhsa_fp16_overflow 0
		.amdhsa_workgroup_processor_mode 1
		.amdhsa_memory_ordered 1
		.amdhsa_forward_progress 0
		.amdhsa_shared_vgpr_count 0
		.amdhsa_exception_fp_ieee_invalid_op 0
		.amdhsa_exception_fp_denorm_src 0
		.amdhsa_exception_fp_ieee_div_zero 0
		.amdhsa_exception_fp_ieee_overflow 0
		.amdhsa_exception_fp_ieee_underflow 0
		.amdhsa_exception_fp_ieee_inexact 0
		.amdhsa_exception_int_div_zero 0
	.end_amdhsa_kernel
	.section	.text._ZN7rocprim17ROCPRIM_400000_NS6detail17trampoline_kernelINS0_14default_configENS1_22reduce_config_selectorIN6thrust23THRUST_200600_302600_NS5tupleIblNS6_9null_typeES8_S8_S8_S8_S8_S8_S8_EEEEZNS1_11reduce_implILb1ES3_NS6_12zip_iteratorINS7_INS6_11hip_rocprim26transform_input_iterator_tIbNSD_35transform_pair_of_input_iterators_tIbNS6_6detail15normal_iteratorINS6_10device_ptrIKiEEEESL_NS6_8equal_toIiEEEENSG_9not_fun_tINSD_8identityEEEEENSD_19counting_iterator_tIlEES8_S8_S8_S8_S8_S8_S8_S8_EEEEPS9_S9_NSD_9__find_if7functorIS9_EEEE10hipError_tPvRmT1_T2_T3_mT4_P12ihipStream_tbEUlT_E0_NS1_11comp_targetILNS1_3genE10ELNS1_11target_archE1200ELNS1_3gpuE4ELNS1_3repE0EEENS1_30default_config_static_selectorELNS0_4arch9wavefront6targetE0EEEvS14_,"axG",@progbits,_ZN7rocprim17ROCPRIM_400000_NS6detail17trampoline_kernelINS0_14default_configENS1_22reduce_config_selectorIN6thrust23THRUST_200600_302600_NS5tupleIblNS6_9null_typeES8_S8_S8_S8_S8_S8_S8_EEEEZNS1_11reduce_implILb1ES3_NS6_12zip_iteratorINS7_INS6_11hip_rocprim26transform_input_iterator_tIbNSD_35transform_pair_of_input_iterators_tIbNS6_6detail15normal_iteratorINS6_10device_ptrIKiEEEESL_NS6_8equal_toIiEEEENSG_9not_fun_tINSD_8identityEEEEENSD_19counting_iterator_tIlEES8_S8_S8_S8_S8_S8_S8_S8_EEEEPS9_S9_NSD_9__find_if7functorIS9_EEEE10hipError_tPvRmT1_T2_T3_mT4_P12ihipStream_tbEUlT_E0_NS1_11comp_targetILNS1_3genE10ELNS1_11target_archE1200ELNS1_3gpuE4ELNS1_3repE0EEENS1_30default_config_static_selectorELNS0_4arch9wavefront6targetE0EEEvS14_,comdat
.Lfunc_end29:
	.size	_ZN7rocprim17ROCPRIM_400000_NS6detail17trampoline_kernelINS0_14default_configENS1_22reduce_config_selectorIN6thrust23THRUST_200600_302600_NS5tupleIblNS6_9null_typeES8_S8_S8_S8_S8_S8_S8_EEEEZNS1_11reduce_implILb1ES3_NS6_12zip_iteratorINS7_INS6_11hip_rocprim26transform_input_iterator_tIbNSD_35transform_pair_of_input_iterators_tIbNS6_6detail15normal_iteratorINS6_10device_ptrIKiEEEESL_NS6_8equal_toIiEEEENSG_9not_fun_tINSD_8identityEEEEENSD_19counting_iterator_tIlEES8_S8_S8_S8_S8_S8_S8_S8_EEEEPS9_S9_NSD_9__find_if7functorIS9_EEEE10hipError_tPvRmT1_T2_T3_mT4_P12ihipStream_tbEUlT_E0_NS1_11comp_targetILNS1_3genE10ELNS1_11target_archE1200ELNS1_3gpuE4ELNS1_3repE0EEENS1_30default_config_static_selectorELNS0_4arch9wavefront6targetE0EEEvS14_, .Lfunc_end29-_ZN7rocprim17ROCPRIM_400000_NS6detail17trampoline_kernelINS0_14default_configENS1_22reduce_config_selectorIN6thrust23THRUST_200600_302600_NS5tupleIblNS6_9null_typeES8_S8_S8_S8_S8_S8_S8_EEEEZNS1_11reduce_implILb1ES3_NS6_12zip_iteratorINS7_INS6_11hip_rocprim26transform_input_iterator_tIbNSD_35transform_pair_of_input_iterators_tIbNS6_6detail15normal_iteratorINS6_10device_ptrIKiEEEESL_NS6_8equal_toIiEEEENSG_9not_fun_tINSD_8identityEEEEENSD_19counting_iterator_tIlEES8_S8_S8_S8_S8_S8_S8_S8_EEEEPS9_S9_NSD_9__find_if7functorIS9_EEEE10hipError_tPvRmT1_T2_T3_mT4_P12ihipStream_tbEUlT_E0_NS1_11comp_targetILNS1_3genE10ELNS1_11target_archE1200ELNS1_3gpuE4ELNS1_3repE0EEENS1_30default_config_static_selectorELNS0_4arch9wavefront6targetE0EEEvS14_
                                        ; -- End function
	.section	.AMDGPU.csdata,"",@progbits
; Kernel info:
; codeLenInByte = 0
; NumSgprs: 0
; NumVgprs: 0
; ScratchSize: 0
; MemoryBound: 0
; FloatMode: 240
; IeeeMode: 1
; LDSByteSize: 0 bytes/workgroup (compile time only)
; SGPRBlocks: 0
; VGPRBlocks: 0
; NumSGPRsForWavesPerEU: 1
; NumVGPRsForWavesPerEU: 1
; Occupancy: 16
; WaveLimiterHint : 0
; COMPUTE_PGM_RSRC2:SCRATCH_EN: 0
; COMPUTE_PGM_RSRC2:USER_SGPR: 15
; COMPUTE_PGM_RSRC2:TRAP_HANDLER: 0
; COMPUTE_PGM_RSRC2:TGID_X_EN: 1
; COMPUTE_PGM_RSRC2:TGID_Y_EN: 0
; COMPUTE_PGM_RSRC2:TGID_Z_EN: 0
; COMPUTE_PGM_RSRC2:TIDIG_COMP_CNT: 0
	.section	.text._ZN7rocprim17ROCPRIM_400000_NS6detail17trampoline_kernelINS0_14default_configENS1_22reduce_config_selectorIN6thrust23THRUST_200600_302600_NS5tupleIblNS6_9null_typeES8_S8_S8_S8_S8_S8_S8_EEEEZNS1_11reduce_implILb1ES3_NS6_12zip_iteratorINS7_INS6_11hip_rocprim26transform_input_iterator_tIbNSD_35transform_pair_of_input_iterators_tIbNS6_6detail15normal_iteratorINS6_10device_ptrIKiEEEESL_NS6_8equal_toIiEEEENSG_9not_fun_tINSD_8identityEEEEENSD_19counting_iterator_tIlEES8_S8_S8_S8_S8_S8_S8_S8_EEEEPS9_S9_NSD_9__find_if7functorIS9_EEEE10hipError_tPvRmT1_T2_T3_mT4_P12ihipStream_tbEUlT_E0_NS1_11comp_targetILNS1_3genE9ELNS1_11target_archE1100ELNS1_3gpuE3ELNS1_3repE0EEENS1_30default_config_static_selectorELNS0_4arch9wavefront6targetE0EEEvS14_,"axG",@progbits,_ZN7rocprim17ROCPRIM_400000_NS6detail17trampoline_kernelINS0_14default_configENS1_22reduce_config_selectorIN6thrust23THRUST_200600_302600_NS5tupleIblNS6_9null_typeES8_S8_S8_S8_S8_S8_S8_EEEEZNS1_11reduce_implILb1ES3_NS6_12zip_iteratorINS7_INS6_11hip_rocprim26transform_input_iterator_tIbNSD_35transform_pair_of_input_iterators_tIbNS6_6detail15normal_iteratorINS6_10device_ptrIKiEEEESL_NS6_8equal_toIiEEEENSG_9not_fun_tINSD_8identityEEEEENSD_19counting_iterator_tIlEES8_S8_S8_S8_S8_S8_S8_S8_EEEEPS9_S9_NSD_9__find_if7functorIS9_EEEE10hipError_tPvRmT1_T2_T3_mT4_P12ihipStream_tbEUlT_E0_NS1_11comp_targetILNS1_3genE9ELNS1_11target_archE1100ELNS1_3gpuE3ELNS1_3repE0EEENS1_30default_config_static_selectorELNS0_4arch9wavefront6targetE0EEEvS14_,comdat
	.protected	_ZN7rocprim17ROCPRIM_400000_NS6detail17trampoline_kernelINS0_14default_configENS1_22reduce_config_selectorIN6thrust23THRUST_200600_302600_NS5tupleIblNS6_9null_typeES8_S8_S8_S8_S8_S8_S8_EEEEZNS1_11reduce_implILb1ES3_NS6_12zip_iteratorINS7_INS6_11hip_rocprim26transform_input_iterator_tIbNSD_35transform_pair_of_input_iterators_tIbNS6_6detail15normal_iteratorINS6_10device_ptrIKiEEEESL_NS6_8equal_toIiEEEENSG_9not_fun_tINSD_8identityEEEEENSD_19counting_iterator_tIlEES8_S8_S8_S8_S8_S8_S8_S8_EEEEPS9_S9_NSD_9__find_if7functorIS9_EEEE10hipError_tPvRmT1_T2_T3_mT4_P12ihipStream_tbEUlT_E0_NS1_11comp_targetILNS1_3genE9ELNS1_11target_archE1100ELNS1_3gpuE3ELNS1_3repE0EEENS1_30default_config_static_selectorELNS0_4arch9wavefront6targetE0EEEvS14_ ; -- Begin function _ZN7rocprim17ROCPRIM_400000_NS6detail17trampoline_kernelINS0_14default_configENS1_22reduce_config_selectorIN6thrust23THRUST_200600_302600_NS5tupleIblNS6_9null_typeES8_S8_S8_S8_S8_S8_S8_EEEEZNS1_11reduce_implILb1ES3_NS6_12zip_iteratorINS7_INS6_11hip_rocprim26transform_input_iterator_tIbNSD_35transform_pair_of_input_iterators_tIbNS6_6detail15normal_iteratorINS6_10device_ptrIKiEEEESL_NS6_8equal_toIiEEEENSG_9not_fun_tINSD_8identityEEEEENSD_19counting_iterator_tIlEES8_S8_S8_S8_S8_S8_S8_S8_EEEEPS9_S9_NSD_9__find_if7functorIS9_EEEE10hipError_tPvRmT1_T2_T3_mT4_P12ihipStream_tbEUlT_E0_NS1_11comp_targetILNS1_3genE9ELNS1_11target_archE1100ELNS1_3gpuE3ELNS1_3repE0EEENS1_30default_config_static_selectorELNS0_4arch9wavefront6targetE0EEEvS14_
	.globl	_ZN7rocprim17ROCPRIM_400000_NS6detail17trampoline_kernelINS0_14default_configENS1_22reduce_config_selectorIN6thrust23THRUST_200600_302600_NS5tupleIblNS6_9null_typeES8_S8_S8_S8_S8_S8_S8_EEEEZNS1_11reduce_implILb1ES3_NS6_12zip_iteratorINS7_INS6_11hip_rocprim26transform_input_iterator_tIbNSD_35transform_pair_of_input_iterators_tIbNS6_6detail15normal_iteratorINS6_10device_ptrIKiEEEESL_NS6_8equal_toIiEEEENSG_9not_fun_tINSD_8identityEEEEENSD_19counting_iterator_tIlEES8_S8_S8_S8_S8_S8_S8_S8_EEEEPS9_S9_NSD_9__find_if7functorIS9_EEEE10hipError_tPvRmT1_T2_T3_mT4_P12ihipStream_tbEUlT_E0_NS1_11comp_targetILNS1_3genE9ELNS1_11target_archE1100ELNS1_3gpuE3ELNS1_3repE0EEENS1_30default_config_static_selectorELNS0_4arch9wavefront6targetE0EEEvS14_
	.p2align	8
	.type	_ZN7rocprim17ROCPRIM_400000_NS6detail17trampoline_kernelINS0_14default_configENS1_22reduce_config_selectorIN6thrust23THRUST_200600_302600_NS5tupleIblNS6_9null_typeES8_S8_S8_S8_S8_S8_S8_EEEEZNS1_11reduce_implILb1ES3_NS6_12zip_iteratorINS7_INS6_11hip_rocprim26transform_input_iterator_tIbNSD_35transform_pair_of_input_iterators_tIbNS6_6detail15normal_iteratorINS6_10device_ptrIKiEEEESL_NS6_8equal_toIiEEEENSG_9not_fun_tINSD_8identityEEEEENSD_19counting_iterator_tIlEES8_S8_S8_S8_S8_S8_S8_S8_EEEEPS9_S9_NSD_9__find_if7functorIS9_EEEE10hipError_tPvRmT1_T2_T3_mT4_P12ihipStream_tbEUlT_E0_NS1_11comp_targetILNS1_3genE9ELNS1_11target_archE1100ELNS1_3gpuE3ELNS1_3repE0EEENS1_30default_config_static_selectorELNS0_4arch9wavefront6targetE0EEEvS14_,@function
_ZN7rocprim17ROCPRIM_400000_NS6detail17trampoline_kernelINS0_14default_configENS1_22reduce_config_selectorIN6thrust23THRUST_200600_302600_NS5tupleIblNS6_9null_typeES8_S8_S8_S8_S8_S8_S8_EEEEZNS1_11reduce_implILb1ES3_NS6_12zip_iteratorINS7_INS6_11hip_rocprim26transform_input_iterator_tIbNSD_35transform_pair_of_input_iterators_tIbNS6_6detail15normal_iteratorINS6_10device_ptrIKiEEEESL_NS6_8equal_toIiEEEENSG_9not_fun_tINSD_8identityEEEEENSD_19counting_iterator_tIlEES8_S8_S8_S8_S8_S8_S8_S8_EEEEPS9_S9_NSD_9__find_if7functorIS9_EEEE10hipError_tPvRmT1_T2_T3_mT4_P12ihipStream_tbEUlT_E0_NS1_11comp_targetILNS1_3genE9ELNS1_11target_archE1100ELNS1_3gpuE3ELNS1_3repE0EEENS1_30default_config_static_selectorELNS0_4arch9wavefront6targetE0EEEvS14_: ; @_ZN7rocprim17ROCPRIM_400000_NS6detail17trampoline_kernelINS0_14default_configENS1_22reduce_config_selectorIN6thrust23THRUST_200600_302600_NS5tupleIblNS6_9null_typeES8_S8_S8_S8_S8_S8_S8_EEEEZNS1_11reduce_implILb1ES3_NS6_12zip_iteratorINS7_INS6_11hip_rocprim26transform_input_iterator_tIbNSD_35transform_pair_of_input_iterators_tIbNS6_6detail15normal_iteratorINS6_10device_ptrIKiEEEESL_NS6_8equal_toIiEEEENSG_9not_fun_tINSD_8identityEEEEENSD_19counting_iterator_tIlEES8_S8_S8_S8_S8_S8_S8_S8_EEEEPS9_S9_NSD_9__find_if7functorIS9_EEEE10hipError_tPvRmT1_T2_T3_mT4_P12ihipStream_tbEUlT_E0_NS1_11comp_targetILNS1_3genE9ELNS1_11target_archE1100ELNS1_3gpuE3ELNS1_3repE0EEENS1_30default_config_static_selectorELNS0_4arch9wavefront6targetE0EEEvS14_
; %bb.0:
	s_clause 0x1
	s_load_b256 s[4:11], s[0:1], 0x20
	s_load_b128 s[24:27], s[0:1], 0x0
	s_mov_b32 s16, s15
	s_load_b128 s[12:15], s[0:1], 0x40
	s_mov_b32 s23, 0
	v_lshlrev_b32_e32 v9, 2, v0
	s_mov_b32 s17, s23
	s_waitcnt lgkmcnt(0)
	s_lshl_b64 s[2:3], s[6:7], 2
	s_delay_alu instid0(SALU_CYCLE_1)
	s_add_u32 s18, s24, s2
	s_addc_u32 s19, s25, s3
	s_add_u32 s20, s26, s2
	s_addc_u32 s21, s27, s3
	s_lshl_b32 s22, s16, 10
	s_lshr_b64 s[24:25], s[8:9], 10
	s_lshl_b64 s[2:3], s[22:23], 2
	s_delay_alu instid0(SALU_CYCLE_1)
	s_add_u32 s18, s18, s2
	s_addc_u32 s19, s19, s3
	s_add_u32 s20, s20, s2
	s_addc_u32 s21, s21, s3
	;; [unrolled: 2-line block ×4, first 2 shown]
	s_cmp_lg_u64 s[24:25], s[16:17]
	s_cbranch_scc0 .LBB30_16
; %bb.1:
	s_clause 0x7
	global_load_b32 v1, v9, s[20:21] offset:1024
	global_load_b32 v2, v9, s[18:19] offset:1024
	global_load_b32 v3, v9, s[18:19]
	global_load_b32 v4, v9, s[20:21]
	global_load_b32 v5, v9, s[18:19] offset:2048
	global_load_b32 v6, v9, s[20:21] offset:2048
	;; [unrolled: 1-line block ×4, first 2 shown]
	v_mov_b32_e32 v10, 0x100
	s_waitcnt vmcnt(6)
	v_cmp_ne_u32_e32 vcc_lo, v2, v1
	s_waitcnt vmcnt(4)
	v_cmp_ne_u32_e64 s2, v3, v4
	s_waitcnt vmcnt(2)
	v_cmp_ne_u32_e64 s3, v5, v6
	v_cndmask_b32_e32 v1, 0x200, v10, vcc_lo
	s_waitcnt vmcnt(0)
	v_cmp_ne_u32_e64 s4, v8, v7
	s_delay_alu instid0(VALU_DEP_2) | instskip(SKIP_1) | instid1(SALU_CYCLE_1)
	v_cndmask_b32_e64 v1, v1, 0, s2
	s_or_b32 s2, s2, vcc_lo
	s_or_b32 vcc_lo, s2, s3
	v_add_co_u32 v2, s2, s5, v0
	s_delay_alu instid0(VALU_DEP_2) | instskip(SKIP_3) | instid1(VALU_DEP_3)
	v_cndmask_b32_e32 v1, 0x300, v1, vcc_lo
	s_or_b32 s3, vcc_lo, s4
	v_add_co_ci_u32_e64 v3, null, s23, 0, s2
	v_cndmask_b32_e64 v5, 0, 1, s3
	v_add_co_u32 v1, vcc_lo, v2, v1
	s_delay_alu instid0(VALU_DEP_3) | instskip(NEXT) | instid1(VALU_DEP_3)
	v_add_co_ci_u32_e32 v2, vcc_lo, 0, v3, vcc_lo
	v_mov_b32_dpp v6, v5 quad_perm:[1,0,3,2] row_mask:0xf bank_mask:0xf
	s_delay_alu instid0(VALU_DEP_3) | instskip(SKIP_1) | instid1(VALU_DEP_3)
	v_mov_b32_dpp v3, v1 quad_perm:[1,0,3,2] row_mask:0xf bank_mask:0xf
	s_mov_b32 s4, exec_lo
	v_mov_b32_dpp v4, v2 quad_perm:[1,0,3,2] row_mask:0xf bank_mask:0xf
	s_delay_alu instid0(VALU_DEP_3) | instskip(NEXT) | instid1(VALU_DEP_1)
	v_and_b32_e32 v7, 1, v6
	v_cmpx_eq_u32_e32 1, v7
; %bb.2:
	v_cndmask_b32_e64 v5, v6, 1, s3
	s_delay_alu instid0(VALU_DEP_4) | instskip(NEXT) | instid1(VALU_DEP_2)
	v_cmp_lt_i64_e32 vcc_lo, v[1:2], v[3:4]
	v_and_b32_e32 v6, 1, v5
	v_and_b32_e32 v5, 0xff, v5
	s_and_b32 vcc_lo, s3, vcc_lo
	s_and_not1_b32 s3, s3, exec_lo
	v_dual_cndmask_b32 v2, v4, v2 :: v_dual_cndmask_b32 v1, v3, v1
	v_cmp_eq_u32_e64 s2, 1, v6
	s_delay_alu instid0(VALU_DEP_1) | instskip(NEXT) | instid1(SALU_CYCLE_1)
	s_and_b32 s2, s2, exec_lo
	s_or_b32 s3, s3, s2
; %bb.3:
	s_or_b32 exec_lo, exec_lo, s4
	v_mov_b32_dpp v6, v5 quad_perm:[2,3,0,1] row_mask:0xf bank_mask:0xf
	v_mov_b32_dpp v3, v1 quad_perm:[2,3,0,1] row_mask:0xf bank_mask:0xf
	;; [unrolled: 1-line block ×3, first 2 shown]
	s_mov_b32 s4, exec_lo
	s_delay_alu instid0(VALU_DEP_3) | instskip(NEXT) | instid1(VALU_DEP_1)
	v_and_b32_e32 v7, 1, v6
	v_cmpx_eq_u32_e32 1, v7
; %bb.4:
	v_cndmask_b32_e64 v5, v6, 1, s3
	v_cmp_lt_i64_e32 vcc_lo, v[1:2], v[3:4]
	s_delay_alu instid0(VALU_DEP_2)
	v_and_b32_e32 v6, 1, v5
	v_and_b32_e32 v5, 0xff, v5
	s_and_b32 vcc_lo, s3, vcc_lo
	s_and_not1_b32 s3, s3, exec_lo
	v_dual_cndmask_b32 v2, v4, v2 :: v_dual_cndmask_b32 v1, v3, v1
	v_cmp_eq_u32_e64 s2, 1, v6
	s_delay_alu instid0(VALU_DEP_1) | instskip(NEXT) | instid1(SALU_CYCLE_1)
	s_and_b32 s2, s2, exec_lo
	s_or_b32 s3, s3, s2
; %bb.5:
	s_or_b32 exec_lo, exec_lo, s4
	v_mov_b32_dpp v6, v5 row_ror:4 row_mask:0xf bank_mask:0xf
	v_mov_b32_dpp v3, v1 row_ror:4 row_mask:0xf bank_mask:0xf
	;; [unrolled: 1-line block ×3, first 2 shown]
	s_mov_b32 s4, exec_lo
	s_delay_alu instid0(VALU_DEP_3) | instskip(NEXT) | instid1(VALU_DEP_1)
	v_and_b32_e32 v7, 1, v6
	v_cmpx_eq_u32_e32 1, v7
; %bb.6:
	v_cndmask_b32_e64 v5, v6, 1, s3
	v_cmp_lt_i64_e32 vcc_lo, v[1:2], v[3:4]
	s_delay_alu instid0(VALU_DEP_2)
	v_and_b32_e32 v6, 1, v5
	v_and_b32_e32 v5, 0xff, v5
	s_and_b32 vcc_lo, s3, vcc_lo
	s_and_not1_b32 s3, s3, exec_lo
	v_dual_cndmask_b32 v2, v4, v2 :: v_dual_cndmask_b32 v1, v3, v1
	v_cmp_eq_u32_e64 s2, 1, v6
	s_delay_alu instid0(VALU_DEP_1) | instskip(NEXT) | instid1(SALU_CYCLE_1)
	s_and_b32 s2, s2, exec_lo
	s_or_b32 s3, s3, s2
; %bb.7:
	s_or_b32 exec_lo, exec_lo, s4
	v_mov_b32_dpp v6, v5 row_ror:8 row_mask:0xf bank_mask:0xf
	v_mov_b32_dpp v3, v1 row_ror:8 row_mask:0xf bank_mask:0xf
	;; [unrolled: 1-line block ×3, first 2 shown]
	s_mov_b32 s4, exec_lo
	s_delay_alu instid0(VALU_DEP_3) | instskip(NEXT) | instid1(VALU_DEP_1)
	v_and_b32_e32 v7, 1, v6
	v_cmpx_eq_u32_e32 1, v7
; %bb.8:
	v_cndmask_b32_e64 v5, v6, 1, s3
	v_cmp_lt_i64_e32 vcc_lo, v[1:2], v[3:4]
	s_delay_alu instid0(VALU_DEP_2)
	v_and_b32_e32 v6, 1, v5
	v_and_b32_e32 v5, 0xff, v5
	s_and_b32 vcc_lo, s3, vcc_lo
	s_and_not1_b32 s3, s3, exec_lo
	v_dual_cndmask_b32 v2, v4, v2 :: v_dual_cndmask_b32 v1, v3, v1
	v_cmp_eq_u32_e64 s2, 1, v6
	s_delay_alu instid0(VALU_DEP_1) | instskip(NEXT) | instid1(SALU_CYCLE_1)
	s_and_b32 s2, s2, exec_lo
	s_or_b32 s3, s3, s2
; %bb.9:
	s_or_b32 exec_lo, exec_lo, s4
	ds_swizzle_b32 v6, v5 offset:swizzle(BROADCAST,32,15)
	ds_swizzle_b32 v3, v1 offset:swizzle(BROADCAST,32,15)
	;; [unrolled: 1-line block ×3, first 2 shown]
	s_mov_b32 s2, exec_lo
	s_waitcnt lgkmcnt(2)
	v_and_b32_e32 v7, 1, v6
	s_delay_alu instid0(VALU_DEP_1)
	v_cmpx_eq_u32_e32 1, v7
	s_cbranch_execz .LBB30_11
; %bb.10:
	s_waitcnt lgkmcnt(0)
	v_cmp_lt_i64_e32 vcc_lo, v[1:2], v[3:4]
	v_and_b32_e32 v5, 0xff, v6
	s_delay_alu instid0(VALU_DEP_1)
	v_cndmask_b32_e64 v5, v5, 1, s3
	s_and_b32 vcc_lo, s3, vcc_lo
	v_dual_cndmask_b32 v1, v3, v1 :: v_dual_cndmask_b32 v2, v4, v2
.LBB30_11:
	s_or_b32 exec_lo, exec_lo, s2
	s_waitcnt lgkmcnt(1)
	v_mov_b32_e32 v3, 0
	s_mov_b32 s2, exec_lo
	ds_bpermute_b32 v6, v3, v5 offset:124
	ds_bpermute_b32 v1, v3, v1 offset:124
	;; [unrolled: 1-line block ×3, first 2 shown]
	v_mbcnt_lo_u32_b32 v3, -1, 0
	s_delay_alu instid0(VALU_DEP_1)
	v_cmpx_eq_u32_e32 0, v3
	s_cbranch_execz .LBB30_13
; %bb.12:
	s_waitcnt lgkmcnt(3)
	v_lshrrev_b32_e32 v4, 1, v0
	s_delay_alu instid0(VALU_DEP_1)
	v_and_b32_e32 v4, 0x70, v4
	s_waitcnt lgkmcnt(2)
	ds_store_b8 v4, v6
	s_waitcnt lgkmcnt(1)
	ds_store_b64 v4, v[1:2] offset:8
.LBB30_13:
	s_or_b32 exec_lo, exec_lo, s2
	s_delay_alu instid0(SALU_CYCLE_1)
	s_mov_b32 s4, exec_lo
	s_waitcnt lgkmcnt(0)
	s_barrier
	buffer_gl0_inv
	v_cmpx_gt_u32_e32 32, v0
	s_cbranch_execz .LBB30_15
; %bb.14:
	v_and_b32_e32 v6, 7, v3
	s_delay_alu instid0(VALU_DEP_1)
	v_lshlrev_b32_e32 v1, 4, v6
	v_cmp_ne_u32_e32 vcc_lo, 7, v6
	ds_load_u8 v7, v1
	ds_load_b64 v[1:2], v1 offset:8
	v_add_co_ci_u32_e32 v4, vcc_lo, 0, v3, vcc_lo
	v_cmp_gt_u32_e32 vcc_lo, 6, v6
	s_delay_alu instid0(VALU_DEP_2)
	v_lshlrev_b32_e32 v5, 2, v4
	v_cndmask_b32_e64 v11, 0, 1, vcc_lo
	s_waitcnt lgkmcnt(1)
	v_and_b32_e32 v4, 0xff, v7
	v_and_b32_e32 v12, 1, v7
	ds_bpermute_b32 v8, v5, v4
	s_waitcnt lgkmcnt(1)
	ds_bpermute_b32 v4, v5, v1
	ds_bpermute_b32 v5, v5, v2
	v_cmp_eq_u32_e64 s3, 1, v12
	s_waitcnt lgkmcnt(2)
	v_and_b32_e32 v10, 1, v8
	s_waitcnt lgkmcnt(0)
	v_cmp_lt_i64_e64 s2, v[4:5], v[1:2]
	s_delay_alu instid0(VALU_DEP_2) | instskip(SKIP_2) | instid1(VALU_DEP_4)
	v_cmp_eq_u32_e32 vcc_lo, 1, v10
	v_lshlrev_b32_e32 v10, 1, v11
	v_cndmask_b32_e64 v7, v7, 1, vcc_lo
	s_and_b32 vcc_lo, vcc_lo, s2
	v_dual_cndmask_b32 v1, v1, v4 :: v_dual_cndmask_b32 v2, v2, v5
	s_delay_alu instid0(VALU_DEP_2) | instskip(SKIP_2) | instid1(VALU_DEP_4)
	v_cndmask_b32_e64 v7, v8, v7, s3
	v_add_lshl_u32 v8, v10, v3, 2
	v_cmp_gt_u32_e32 vcc_lo, 4, v6
	v_cndmask_b32_e64 v1, v4, v1, s3
	v_cndmask_b32_e64 v2, v5, v2, s3
	v_and_b32_e32 v10, 0xff, v7
	v_cndmask_b32_e64 v6, 0, 1, vcc_lo
	ds_bpermute_b32 v4, v8, v1
	ds_bpermute_b32 v5, v8, v2
	;; [unrolled: 1-line block ×3, first 2 shown]
	v_and_b32_e32 v11, 1, v7
	v_lshlrev_b32_e32 v6, 2, v6
	s_delay_alu instid0(VALU_DEP_1) | instskip(SKIP_4) | instid1(VALU_DEP_1)
	v_add_lshl_u32 v6, v6, v3, 2
	s_waitcnt lgkmcnt(1)
	v_cmp_lt_i64_e64 s2, v[4:5], v[1:2]
	s_waitcnt lgkmcnt(0)
	v_and_b32_e32 v8, 1, v10
	v_cmp_eq_u32_e32 vcc_lo, 1, v8
	v_cndmask_b32_e64 v7, v7, 1, vcc_lo
	s_delay_alu instid0(VALU_DEP_4) | instskip(SKIP_3) | instid1(VALU_DEP_2)
	s_and_b32 vcc_lo, vcc_lo, s2
	v_cndmask_b32_e32 v2, v2, v5, vcc_lo
	v_cmp_eq_u32_e64 s3, 1, v11
	v_cndmask_b32_e32 v1, v1, v4, vcc_lo
	v_cndmask_b32_e64 v7, v10, v7, s3
	s_delay_alu instid0(VALU_DEP_4) | instskip(NEXT) | instid1(VALU_DEP_3)
	v_cndmask_b32_e64 v2, v5, v2, s3
	v_cndmask_b32_e64 v1, v4, v1, s3
	ds_bpermute_b32 v4, v6, v2
	v_and_b32_e32 v3, 0xff, v7
	ds_bpermute_b32 v5, v6, v3
	ds_bpermute_b32 v3, v6, v1
	s_waitcnt lgkmcnt(1)
	v_and_b32_e32 v6, 1, v5
	s_waitcnt lgkmcnt(0)
	v_cmp_lt_i64_e32 vcc_lo, v[3:4], v[1:2]
	s_delay_alu instid0(VALU_DEP_2) | instskip(SKIP_1) | instid1(VALU_DEP_2)
	v_cmp_eq_u32_e64 s2, 1, v6
	v_and_b32_e32 v6, 1, v7
	v_cndmask_b32_e64 v7, v7, 1, s2
	s_and_b32 vcc_lo, s2, vcc_lo
	s_delay_alu instid0(VALU_DEP_2) | instskip(SKIP_1) | instid1(VALU_DEP_2)
	v_cmp_eq_u32_e64 s2, 1, v6
	v_dual_cndmask_b32 v2, v2, v4 :: v_dual_cndmask_b32 v1, v1, v3
	v_cndmask_b32_e64 v5, v5, v7, s2
	s_delay_alu instid0(VALU_DEP_2) | instskip(NEXT) | instid1(VALU_DEP_3)
	v_cndmask_b32_e64 v2, v4, v2, s2
	v_cndmask_b32_e64 v1, v3, v1, s2
	s_delay_alu instid0(VALU_DEP_3)
	v_and_b32_e32 v6, 0xff, v5
.LBB30_15:
	s_or_b32 exec_lo, exec_lo, s4
	s_load_b64 s[6:7], s[0:1], 0x58
	s_branch .LBB30_49
.LBB30_16:
                                        ; implicit-def: $vgpr1_vgpr2
                                        ; implicit-def: $vgpr6
	s_load_b64 s[6:7], s[0:1], 0x58
	s_cbranch_execz .LBB30_49
; %bb.17:
	v_dual_mov_b32 v5, 0 :: v_dual_mov_b32 v12, 0
	v_mov_b32_e32 v6, 0
	s_delay_alu instid0(VALU_DEP_2) | instskip(SKIP_2) | instid1(VALU_DEP_2)
	v_dual_mov_b32 v1, v5 :: v_dual_mov_b32 v10, 0
	s_sub_i32 s22, s8, s22
	s_mov_b32 s2, exec_lo
	v_mov_b32_e32 v2, v6
	v_cmpx_gt_u32_e64 s22, v0
	s_cbranch_execz .LBB30_19
; %bb.18:
	s_clause 0x1
	global_load_b32 v3, v9, s[18:19]
	global_load_b32 v4, v9, s[20:21]
	v_add_co_u32 v1, s3, s5, v0
	s_delay_alu instid0(VALU_DEP_1)
	v_add_co_ci_u32_e64 v2, null, s23, 0, s3
	s_waitcnt vmcnt(0)
	v_cmp_ne_u32_e32 vcc_lo, v3, v4
	v_cndmask_b32_e64 v10, 0, 1, vcc_lo
.LBB30_19:
	s_or_b32 exec_lo, exec_lo, s2
	v_or_b32_e32 v3, 0x100, v0
	s_delay_alu instid0(VALU_DEP_1) | instskip(NEXT) | instid1(VALU_DEP_1)
	v_cmp_gt_u32_e64 s3, s22, v3
	s_and_saveexec_b32 s2, s3
	s_cbranch_execz .LBB30_21
; %bb.20:
	s_clause 0x1
	global_load_b32 v4, v9, s[18:19] offset:1024
	global_load_b32 v7, v9, s[20:21] offset:1024
	v_add_co_u32 v5, s4, s5, v3
	s_delay_alu instid0(VALU_DEP_1)
	v_add_co_ci_u32_e64 v6, null, s23, 0, s4
	s_waitcnt vmcnt(0)
	v_cmp_ne_u32_e32 vcc_lo, v4, v7
	v_cndmask_b32_e64 v12, 0, 1, vcc_lo
.LBB30_21:
	s_or_b32 exec_lo, exec_lo, s2
	v_mov_b32_e32 v3, 0
	v_dual_mov_b32 v4, 0 :: v_dual_mov_b32 v11, 0
	v_or_b32_e32 v14, 0x200, v0
	s_delay_alu instid0(VALU_DEP_2) | instskip(NEXT) | instid1(VALU_DEP_4)
	v_dual_mov_b32 v13, 0 :: v_dual_mov_b32 v8, v4
	v_mov_b32_e32 v7, v3
	s_delay_alu instid0(VALU_DEP_3) | instskip(NEXT) | instid1(VALU_DEP_1)
	v_cmp_gt_u32_e64 s2, s22, v14
	s_and_saveexec_b32 s4, s2
	s_cbranch_execz .LBB30_23
; %bb.22:
	s_clause 0x1
	global_load_b32 v13, v9, s[18:19] offset:2048
	global_load_b32 v15, v9, s[20:21] offset:2048
	v_add_co_u32 v7, s24, s5, v14
	s_delay_alu instid0(VALU_DEP_1)
	v_add_co_ci_u32_e64 v8, null, s23, 0, s24
	s_waitcnt vmcnt(0)
	v_cmp_ne_u32_e32 vcc_lo, v13, v15
	v_cndmask_b32_e64 v13, 0, 1, vcc_lo
.LBB30_23:
	s_or_b32 exec_lo, exec_lo, s4
	v_or_b32_e32 v14, 0x300, v0
	s_delay_alu instid0(VALU_DEP_1)
	v_cmp_gt_u32_e32 vcc_lo, s22, v14
	s_and_saveexec_b32 s24, vcc_lo
	s_cbranch_execnz .LBB30_52
; %bb.24:
	s_or_b32 exec_lo, exec_lo, s24
	s_and_saveexec_b32 s5, s3
	s_cbranch_execnz .LBB30_53
.LBB30_25:
	s_or_b32 exec_lo, exec_lo, s5
	s_and_saveexec_b32 s4, s2
	s_cbranch_execnz .LBB30_54
.LBB30_26:
	s_or_b32 exec_lo, exec_lo, s4
	s_and_saveexec_b32 s3, vcc_lo
.LBB30_27:
	v_and_b32_e32 v5, 1, v11
	v_cmp_lt_i64_e32 vcc_lo, v[3:4], v[1:2]
	s_delay_alu instid0(VALU_DEP_2) | instskip(SKIP_1) | instid1(VALU_DEP_2)
	v_cmp_eq_u32_e64 s2, 1, v5
	v_and_b32_e32 v5, 1, v10
	s_and_b32 vcc_lo, s2, vcc_lo
	v_cndmask_b32_e64 v6, v10, 1, s2
	v_dual_cndmask_b32 v2, v2, v4 :: v_dual_cndmask_b32 v1, v1, v3
	s_delay_alu instid0(VALU_DEP_3) | instskip(NEXT) | instid1(VALU_DEP_3)
	v_cmp_eq_u32_e32 vcc_lo, 1, v5
	v_cndmask_b32_e32 v10, v11, v6, vcc_lo
	s_delay_alu instid0(VALU_DEP_3)
	v_dual_cndmask_b32 v2, v4, v2 :: v_dual_cndmask_b32 v1, v3, v1
.LBB30_28:
	s_or_b32 exec_lo, exec_lo, s3
	v_mbcnt_lo_u32_b32 v5, -1, 0
	v_and_b32_e32 v7, 0xe0, v0
	s_min_u32 s3, s22, 0x100
	v_and_b32_e32 v6, 0xffff, v10
	s_delay_alu instid0(VALU_DEP_3) | instskip(NEXT) | instid1(VALU_DEP_3)
	v_cmp_ne_u32_e32 vcc_lo, 31, v5
	v_sub_nc_u32_e64 v8, s3, v7 clamp
	v_add_nc_u32_e32 v7, 1, v5
	v_add_co_ci_u32_e32 v3, vcc_lo, 0, v5, vcc_lo
	s_delay_alu instid0(VALU_DEP_2) | instskip(NEXT) | instid1(VALU_DEP_2)
	v_cmp_lt_u32_e32 vcc_lo, v7, v8
	v_dual_mov_b32 v7, v6 :: v_dual_lshlrev_b32 v4, 2, v3
	ds_bpermute_b32 v9, v4, v6
	ds_bpermute_b32 v3, v4, v1
	;; [unrolled: 1-line block ×3, first 2 shown]
	s_and_saveexec_b32 s2, vcc_lo
	s_delay_alu instid0(SALU_CYCLE_1)
	s_xor_b32 s4, exec_lo, s2
	s_cbranch_execz .LBB30_30
; %bb.29:
	s_waitcnt lgkmcnt(0)
	v_and_b32_e32 v7, 1, v9
	v_cmp_lt_i64_e32 vcc_lo, v[3:4], v[1:2]
	s_delay_alu instid0(VALU_DEP_2) | instskip(SKIP_1) | instid1(VALU_DEP_2)
	v_cmp_eq_u32_e64 s2, 1, v7
	v_and_b32_e32 v7, 1, v10
	v_cndmask_b32_e64 v6, v6, 1, s2
	s_and_b32 vcc_lo, s2, vcc_lo
	s_delay_alu instid0(VALU_DEP_2) | instskip(SKIP_1) | instid1(VALU_DEP_2)
	v_cmp_eq_u32_e64 s2, 1, v7
	v_dual_cndmask_b32 v2, v2, v4 :: v_dual_cndmask_b32 v1, v1, v3
	v_cndmask_b32_e64 v7, v9, v6, s2
	s_delay_alu instid0(VALU_DEP_2) | instskip(NEXT) | instid1(VALU_DEP_3)
	v_cndmask_b32_e64 v2, v4, v2, s2
	v_cndmask_b32_e64 v1, v3, v1, s2
	s_delay_alu instid0(VALU_DEP_3)
	v_and_b32_e32 v6, 0xff, v7
.LBB30_30:
	s_or_b32 exec_lo, exec_lo, s4
	v_cmp_gt_u32_e32 vcc_lo, 30, v5
	v_add_nc_u32_e32 v10, 2, v5
	s_mov_b32 s4, exec_lo
	s_waitcnt lgkmcnt(0)
	v_cndmask_b32_e64 v3, 0, 1, vcc_lo
	s_delay_alu instid0(VALU_DEP_1) | instskip(NEXT) | instid1(VALU_DEP_1)
	v_lshlrev_b32_e32 v3, 1, v3
	v_add_lshl_u32 v4, v3, v5, 2
	ds_bpermute_b32 v9, v4, v6
	ds_bpermute_b32 v3, v4, v1
	ds_bpermute_b32 v4, v4, v2
	v_cmpx_lt_u32_e64 v10, v8
	s_cbranch_execz .LBB30_32
; %bb.31:
	s_waitcnt lgkmcnt(2)
	v_and_b32_e32 v6, 1, v9
	s_waitcnt lgkmcnt(0)
	v_cmp_lt_i64_e32 vcc_lo, v[3:4], v[1:2]
	s_delay_alu instid0(VALU_DEP_2) | instskip(SKIP_1) | instid1(VALU_DEP_2)
	v_cmp_eq_u32_e64 s2, 1, v6
	v_and_b32_e32 v6, 1, v7
	v_cndmask_b32_e64 v7, v7, 1, s2
	s_and_b32 vcc_lo, s2, vcc_lo
	s_delay_alu instid0(VALU_DEP_2) | instskip(SKIP_1) | instid1(VALU_DEP_2)
	v_cmp_eq_u32_e64 s2, 1, v6
	v_dual_cndmask_b32 v1, v1, v3 :: v_dual_cndmask_b32 v2, v2, v4
	v_cndmask_b32_e64 v7, v9, v7, s2
	s_delay_alu instid0(VALU_DEP_2) | instskip(NEXT) | instid1(VALU_DEP_3)
	v_cndmask_b32_e64 v1, v3, v1, s2
	v_cndmask_b32_e64 v2, v4, v2, s2
	s_delay_alu instid0(VALU_DEP_3)
	v_and_b32_e32 v6, 0xff, v7
.LBB30_32:
	s_or_b32 exec_lo, exec_lo, s4
	v_cmp_gt_u32_e32 vcc_lo, 28, v5
	v_add_nc_u32_e32 v10, 4, v5
	s_mov_b32 s4, exec_lo
	s_waitcnt lgkmcnt(1)
	v_cndmask_b32_e64 v3, 0, 1, vcc_lo
	s_delay_alu instid0(VALU_DEP_1) | instskip(SKIP_1) | instid1(VALU_DEP_1)
	v_lshlrev_b32_e32 v3, 2, v3
	s_waitcnt lgkmcnt(0)
	v_add_lshl_u32 v4, v3, v5, 2
	ds_bpermute_b32 v9, v4, v6
	ds_bpermute_b32 v3, v4, v1
	ds_bpermute_b32 v4, v4, v2
	v_cmpx_lt_u32_e64 v10, v8
	s_cbranch_execz .LBB30_34
; %bb.33:
	s_waitcnt lgkmcnt(2)
	v_and_b32_e32 v6, 1, v9
	s_waitcnt lgkmcnt(0)
	v_cmp_lt_i64_e32 vcc_lo, v[3:4], v[1:2]
	s_delay_alu instid0(VALU_DEP_2) | instskip(SKIP_1) | instid1(VALU_DEP_2)
	v_cmp_eq_u32_e64 s2, 1, v6
	v_and_b32_e32 v6, 1, v7
	v_cndmask_b32_e64 v7, v7, 1, s2
	s_and_b32 vcc_lo, s2, vcc_lo
	s_delay_alu instid0(VALU_DEP_2) | instskip(SKIP_1) | instid1(VALU_DEP_2)
	v_cmp_eq_u32_e64 s2, 1, v6
	v_dual_cndmask_b32 v1, v1, v3 :: v_dual_cndmask_b32 v2, v2, v4
	v_cndmask_b32_e64 v7, v9, v7, s2
	s_delay_alu instid0(VALU_DEP_2) | instskip(NEXT) | instid1(VALU_DEP_3)
	v_cndmask_b32_e64 v1, v3, v1, s2
	v_cndmask_b32_e64 v2, v4, v2, s2
	s_delay_alu instid0(VALU_DEP_3)
	v_and_b32_e32 v6, 0xff, v7
.LBB30_34:
	s_or_b32 exec_lo, exec_lo, s4
	v_cmp_gt_u32_e32 vcc_lo, 24, v5
	v_add_nc_u32_e32 v10, 8, v5
	s_mov_b32 s4, exec_lo
	s_waitcnt lgkmcnt(1)
	v_cndmask_b32_e64 v3, 0, 1, vcc_lo
	s_delay_alu instid0(VALU_DEP_1) | instskip(SKIP_1) | instid1(VALU_DEP_1)
	v_lshlrev_b32_e32 v3, 3, v3
	s_waitcnt lgkmcnt(0)
	v_add_lshl_u32 v4, v3, v5, 2
	ds_bpermute_b32 v9, v4, v6
	ds_bpermute_b32 v3, v4, v1
	ds_bpermute_b32 v4, v4, v2
	v_cmpx_lt_u32_e64 v10, v8
	s_cbranch_execz .LBB30_36
; %bb.35:
	s_waitcnt lgkmcnt(2)
	v_and_b32_e32 v6, 1, v9
	s_waitcnt lgkmcnt(0)
	v_cmp_lt_i64_e32 vcc_lo, v[3:4], v[1:2]
	s_delay_alu instid0(VALU_DEP_2) | instskip(SKIP_1) | instid1(VALU_DEP_2)
	v_cmp_eq_u32_e64 s2, 1, v6
	v_and_b32_e32 v6, 1, v7
	v_cndmask_b32_e64 v7, v7, 1, s2
	s_and_b32 vcc_lo, s2, vcc_lo
	s_delay_alu instid0(VALU_DEP_2) | instskip(SKIP_1) | instid1(VALU_DEP_2)
	v_cmp_eq_u32_e64 s2, 1, v6
	v_dual_cndmask_b32 v1, v1, v3 :: v_dual_cndmask_b32 v2, v2, v4
	v_cndmask_b32_e64 v7, v9, v7, s2
	s_delay_alu instid0(VALU_DEP_2) | instskip(NEXT) | instid1(VALU_DEP_3)
	v_cndmask_b32_e64 v1, v3, v1, s2
	v_cndmask_b32_e64 v2, v4, v2, s2
	s_delay_alu instid0(VALU_DEP_3)
	v_and_b32_e32 v6, 0xff, v7
.LBB30_36:
	s_or_b32 exec_lo, exec_lo, s4
	v_cmp_gt_u32_e32 vcc_lo, 16, v5
	v_add_nc_u32_e32 v10, 16, v5
	s_mov_b32 s4, exec_lo
	s_waitcnt lgkmcnt(1)
	v_cndmask_b32_e64 v3, 0, 1, vcc_lo
	s_delay_alu instid0(VALU_DEP_1) | instskip(SKIP_1) | instid1(VALU_DEP_1)
	v_lshlrev_b32_e32 v3, 4, v3
	s_waitcnt lgkmcnt(0)
	v_add_lshl_u32 v4, v3, v5, 2
	ds_bpermute_b32 v9, v4, v6
	ds_bpermute_b32 v3, v4, v1
	;; [unrolled: 1-line block ×3, first 2 shown]
	v_cmpx_lt_u32_e64 v10, v8
	s_cbranch_execz .LBB30_38
; %bb.37:
	s_waitcnt lgkmcnt(2)
	v_and_b32_e32 v6, 1, v9
	s_waitcnt lgkmcnt(0)
	v_cmp_lt_i64_e32 vcc_lo, v[3:4], v[1:2]
	s_delay_alu instid0(VALU_DEP_2) | instskip(SKIP_1) | instid1(VALU_DEP_2)
	v_cmp_eq_u32_e64 s2, 1, v6
	v_and_b32_e32 v6, 1, v7
	v_cndmask_b32_e64 v7, v7, 1, s2
	s_and_b32 vcc_lo, s2, vcc_lo
	s_delay_alu instid0(VALU_DEP_2) | instskip(SKIP_1) | instid1(VALU_DEP_2)
	v_cmp_eq_u32_e64 s2, 1, v6
	v_dual_cndmask_b32 v1, v1, v3 :: v_dual_cndmask_b32 v2, v2, v4
	v_cndmask_b32_e64 v7, v9, v7, s2
	s_delay_alu instid0(VALU_DEP_2) | instskip(NEXT) | instid1(VALU_DEP_3)
	v_cndmask_b32_e64 v1, v3, v1, s2
	v_cndmask_b32_e64 v2, v4, v2, s2
	s_delay_alu instid0(VALU_DEP_3)
	v_and_b32_e32 v6, 0xff, v7
.LBB30_38:
	s_or_b32 exec_lo, exec_lo, s4
	s_delay_alu instid0(SALU_CYCLE_1)
	s_mov_b32 s2, exec_lo
	v_cmpx_eq_u32_e32 0, v5
	s_cbranch_execz .LBB30_40
; %bb.39:
	s_waitcnt lgkmcnt(1)
	v_lshrrev_b32_e32 v3, 1, v0
	s_delay_alu instid0(VALU_DEP_1)
	v_and_b32_e32 v3, 0x70, v3
	ds_store_b8 v3, v7 offset:128
	ds_store_b64 v3, v[1:2] offset:136
.LBB30_40:
	s_or_b32 exec_lo, exec_lo, s2
	s_delay_alu instid0(SALU_CYCLE_1)
	s_mov_b32 s4, exec_lo
	s_waitcnt lgkmcnt(0)
	s_barrier
	buffer_gl0_inv
	v_cmpx_gt_u32_e32 8, v0
	s_cbranch_execz .LBB30_48
; %bb.41:
	v_lshlrev_b32_e32 v1, 4, v5
	v_and_b32_e32 v8, 7, v5
	s_add_i32 s3, s3, 31
	s_mov_b32 s5, exec_lo
	s_lshr_b32 s3, s3, 5
	ds_load_u8 v7, v1 offset:128
	ds_load_b64 v[1:2], v1 offset:136
	v_cmp_ne_u32_e32 vcc_lo, 7, v8
	v_add_nc_u32_e32 v10, 1, v8
	v_add_co_ci_u32_e32 v3, vcc_lo, 0, v5, vcc_lo
	s_delay_alu instid0(VALU_DEP_1)
	v_lshlrev_b32_e32 v4, 2, v3
	s_waitcnt lgkmcnt(1)
	v_and_b32_e32 v6, 0xff, v7
	s_waitcnt lgkmcnt(0)
	ds_bpermute_b32 v3, v4, v1
	ds_bpermute_b32 v9, v4, v6
	;; [unrolled: 1-line block ×3, first 2 shown]
	v_cmpx_gt_u32_e64 s3, v10
	s_cbranch_execz .LBB30_43
; %bb.42:
	s_waitcnt lgkmcnt(1)
	v_and_b32_e32 v6, 1, v9
	s_waitcnt lgkmcnt(0)
	v_cmp_lt_i64_e32 vcc_lo, v[3:4], v[1:2]
	s_delay_alu instid0(VALU_DEP_2) | instskip(SKIP_1) | instid1(VALU_DEP_2)
	v_cmp_eq_u32_e64 s2, 1, v6
	v_and_b32_e32 v6, 1, v7
	v_cndmask_b32_e64 v7, v7, 1, s2
	s_and_b32 vcc_lo, s2, vcc_lo
	s_delay_alu instid0(VALU_DEP_2) | instskip(SKIP_1) | instid1(VALU_DEP_2)
	v_cmp_eq_u32_e64 s2, 1, v6
	v_dual_cndmask_b32 v1, v1, v3 :: v_dual_cndmask_b32 v2, v2, v4
	v_cndmask_b32_e64 v7, v9, v7, s2
	s_delay_alu instid0(VALU_DEP_2) | instskip(NEXT) | instid1(VALU_DEP_3)
	v_cndmask_b32_e64 v1, v3, v1, s2
	v_cndmask_b32_e64 v2, v4, v2, s2
	s_delay_alu instid0(VALU_DEP_3)
	v_and_b32_e32 v6, 0xff, v7
.LBB30_43:
	s_or_b32 exec_lo, exec_lo, s5
	v_cmp_gt_u32_e32 vcc_lo, 6, v8
	v_add_nc_u32_e32 v10, 2, v8
	s_mov_b32 s5, exec_lo
	s_waitcnt lgkmcnt(2)
	v_cndmask_b32_e64 v3, 0, 1, vcc_lo
	s_delay_alu instid0(VALU_DEP_1) | instskip(SKIP_1) | instid1(VALU_DEP_1)
	v_lshlrev_b32_e32 v3, 1, v3
	s_waitcnt lgkmcnt(0)
	v_add_lshl_u32 v4, v3, v5, 2
	ds_bpermute_b32 v9, v4, v6
	ds_bpermute_b32 v3, v4, v1
	;; [unrolled: 1-line block ×3, first 2 shown]
	v_cmpx_gt_u32_e64 s3, v10
	s_cbranch_execz .LBB30_45
; %bb.44:
	s_waitcnt lgkmcnt(2)
	v_and_b32_e32 v6, 1, v9
	s_waitcnt lgkmcnt(0)
	v_cmp_lt_i64_e32 vcc_lo, v[3:4], v[1:2]
	s_delay_alu instid0(VALU_DEP_2) | instskip(SKIP_1) | instid1(VALU_DEP_2)
	v_cmp_eq_u32_e64 s2, 1, v6
	v_and_b32_e32 v6, 1, v7
	v_cndmask_b32_e64 v7, v7, 1, s2
	s_and_b32 vcc_lo, s2, vcc_lo
	s_delay_alu instid0(VALU_DEP_2) | instskip(SKIP_1) | instid1(VALU_DEP_2)
	v_cmp_eq_u32_e64 s2, 1, v6
	v_dual_cndmask_b32 v1, v1, v3 :: v_dual_cndmask_b32 v2, v2, v4
	v_cndmask_b32_e64 v7, v9, v7, s2
	s_delay_alu instid0(VALU_DEP_2) | instskip(NEXT) | instid1(VALU_DEP_3)
	v_cndmask_b32_e64 v1, v3, v1, s2
	v_cndmask_b32_e64 v2, v4, v2, s2
	s_delay_alu instid0(VALU_DEP_3)
	v_and_b32_e32 v6, 0xff, v7
.LBB30_45:
	s_or_b32 exec_lo, exec_lo, s5
	v_cmp_gt_u32_e32 vcc_lo, 4, v8
	v_add_nc_u32_e32 v8, 4, v8
	s_waitcnt lgkmcnt(1)
	v_cndmask_b32_e64 v3, 0, 1, vcc_lo
	s_delay_alu instid0(VALU_DEP_2) | instskip(NEXT) | instid1(VALU_DEP_2)
	v_cmp_gt_u32_e32 vcc_lo, s3, v8
	v_lshlrev_b32_e32 v3, 2, v3
	s_waitcnt lgkmcnt(0)
	s_delay_alu instid0(VALU_DEP_1)
	v_add_lshl_u32 v4, v3, v5, 2
	ds_bpermute_b32 v5, v4, v6
	ds_bpermute_b32 v3, v4, v1
	;; [unrolled: 1-line block ×3, first 2 shown]
	s_and_saveexec_b32 s3, vcc_lo
	s_cbranch_execz .LBB30_47
; %bb.46:
	s_waitcnt lgkmcnt(2)
	v_and_b32_e32 v6, 1, v5
	s_waitcnt lgkmcnt(0)
	v_cmp_lt_i64_e32 vcc_lo, v[3:4], v[1:2]
	s_delay_alu instid0(VALU_DEP_2) | instskip(SKIP_1) | instid1(VALU_DEP_2)
	v_cmp_eq_u32_e64 s2, 1, v6
	v_and_b32_e32 v6, 1, v7
	v_cndmask_b32_e64 v7, v7, 1, s2
	s_and_b32 vcc_lo, s2, vcc_lo
	s_delay_alu instid0(VALU_DEP_2) | instskip(SKIP_1) | instid1(VALU_DEP_2)
	v_cmp_eq_u32_e64 s2, 1, v6
	v_dual_cndmask_b32 v1, v1, v3 :: v_dual_cndmask_b32 v2, v2, v4
	v_cndmask_b32_e64 v5, v5, v7, s2
	s_delay_alu instid0(VALU_DEP_2) | instskip(NEXT) | instid1(VALU_DEP_3)
	v_cndmask_b32_e64 v1, v3, v1, s2
	v_cndmask_b32_e64 v2, v4, v2, s2
	s_delay_alu instid0(VALU_DEP_3)
	v_and_b32_e32 v6, 0xff, v5
.LBB30_47:
	s_or_b32 exec_lo, exec_lo, s3
.LBB30_48:
	s_delay_alu instid0(SALU_CYCLE_1)
	s_or_b32 exec_lo, exec_lo, s4
.LBB30_49:
	s_load_b32 s0, s[0:1], 0x50
	s_mov_b32 s1, exec_lo
	v_cmpx_eq_u32_e32 0, v0
	s_cbranch_execz .LBB30_51
; %bb.50:
	s_mul_i32 s1, s14, s13
	s_mul_hi_u32 s2, s14, s12
	s_mul_i32 s3, s15, s12
	s_add_i32 s1, s2, s1
	s_mul_i32 s2, s14, s12
	s_add_i32 s3, s1, s3
	v_mov_b32_e32 v0, 0
	s_lshl_b64 s[2:3], s[2:3], 4
	s_delay_alu instid0(SALU_CYCLE_1)
	s_add_u32 s1, s10, s2
	s_addc_u32 s4, s11, s3
	s_cmp_eq_u64 s[8:9], 0
	s_cselect_b32 s5, -1, 0
	s_lshl_b64 s[2:3], s[16:17], 4
	s_waitcnt lgkmcnt(0)
	v_cndmask_b32_e64 v3, v6, s0, s5
	v_cndmask_b32_e64 v2, v2, s7, s5
	;; [unrolled: 1-line block ×3, first 2 shown]
	s_add_u32 s0, s1, s2
	s_addc_u32 s1, s4, s3
	s_clause 0x1
	global_store_b8 v0, v3, s[0:1]
	global_store_b64 v0, v[1:2], s[0:1] offset:8
.LBB30_51:
	s_nop 0
	s_sendmsg sendmsg(MSG_DEALLOC_VGPRS)
	s_endpgm
.LBB30_52:
	s_clause 0x1
	global_load_b32 v11, v9, s[18:19] offset:3072
	global_load_b32 v9, v9, s[20:21] offset:3072
	v_add_co_u32 v3, s4, s5, v14
	s_delay_alu instid0(VALU_DEP_1) | instskip(SKIP_2) | instid1(VALU_DEP_1)
	v_add_co_ci_u32_e64 v4, null, s23, 0, s4
	s_waitcnt vmcnt(0)
	v_cmp_ne_u32_e64 s4, v11, v9
	v_cndmask_b32_e64 v11, 0, 1, s4
	s_or_b32 exec_lo, exec_lo, s24
	s_and_saveexec_b32 s5, s3
	s_cbranch_execz .LBB30_25
.LBB30_53:
	v_and_b32_e32 v9, 1, v12
	v_cmp_lt_i64_e64 s3, v[5:6], v[1:2]
	s_delay_alu instid0(VALU_DEP_2) | instskip(SKIP_1) | instid1(VALU_DEP_2)
	v_cmp_eq_u32_e64 s4, 1, v9
	v_and_b32_e32 v9, 1, v10
	s_and_b32 s3, s4, s3
	v_cndmask_b32_e64 v10, v10, 1, s4
	v_cndmask_b32_e64 v1, v1, v5, s3
	;; [unrolled: 1-line block ×3, first 2 shown]
	v_cmp_eq_u32_e64 s3, 1, v9
	s_delay_alu instid0(VALU_DEP_1) | instskip(NEXT) | instid1(VALU_DEP_3)
	v_cndmask_b32_e64 v10, v12, v10, s3
	v_cndmask_b32_e64 v2, v6, v2, s3
	;; [unrolled: 1-line block ×3, first 2 shown]
	s_or_b32 exec_lo, exec_lo, s5
	s_and_saveexec_b32 s4, s2
	s_cbranch_execz .LBB30_26
.LBB30_54:
	v_and_b32_e32 v5, 1, v13
	v_cmp_lt_i64_e64 s2, v[7:8], v[1:2]
	s_delay_alu instid0(VALU_DEP_2) | instskip(SKIP_1) | instid1(VALU_DEP_2)
	v_cmp_eq_u32_e64 s3, 1, v5
	v_and_b32_e32 v5, 1, v10
	s_and_b32 s2, s3, s2
	v_cndmask_b32_e64 v6, v10, 1, s3
	v_cndmask_b32_e64 v1, v1, v7, s2
	;; [unrolled: 1-line block ×3, first 2 shown]
	v_cmp_eq_u32_e64 s2, 1, v5
	s_delay_alu instid0(VALU_DEP_1) | instskip(NEXT) | instid1(VALU_DEP_3)
	v_cndmask_b32_e64 v10, v13, v6, s2
	v_cndmask_b32_e64 v2, v8, v2, s2
	;; [unrolled: 1-line block ×3, first 2 shown]
	s_or_b32 exec_lo, exec_lo, s4
	s_and_saveexec_b32 s3, vcc_lo
	s_cbranch_execnz .LBB30_27
	s_branch .LBB30_28
	.section	.rodata,"a",@progbits
	.p2align	6, 0x0
	.amdhsa_kernel _ZN7rocprim17ROCPRIM_400000_NS6detail17trampoline_kernelINS0_14default_configENS1_22reduce_config_selectorIN6thrust23THRUST_200600_302600_NS5tupleIblNS6_9null_typeES8_S8_S8_S8_S8_S8_S8_EEEEZNS1_11reduce_implILb1ES3_NS6_12zip_iteratorINS7_INS6_11hip_rocprim26transform_input_iterator_tIbNSD_35transform_pair_of_input_iterators_tIbNS6_6detail15normal_iteratorINS6_10device_ptrIKiEEEESL_NS6_8equal_toIiEEEENSG_9not_fun_tINSD_8identityEEEEENSD_19counting_iterator_tIlEES8_S8_S8_S8_S8_S8_S8_S8_EEEEPS9_S9_NSD_9__find_if7functorIS9_EEEE10hipError_tPvRmT1_T2_T3_mT4_P12ihipStream_tbEUlT_E0_NS1_11comp_targetILNS1_3genE9ELNS1_11target_archE1100ELNS1_3gpuE3ELNS1_3repE0EEENS1_30default_config_static_selectorELNS0_4arch9wavefront6targetE0EEEvS14_
		.amdhsa_group_segment_fixed_size 256
		.amdhsa_private_segment_fixed_size 0
		.amdhsa_kernarg_size 104
		.amdhsa_user_sgpr_count 15
		.amdhsa_user_sgpr_dispatch_ptr 0
		.amdhsa_user_sgpr_queue_ptr 0
		.amdhsa_user_sgpr_kernarg_segment_ptr 1
		.amdhsa_user_sgpr_dispatch_id 0
		.amdhsa_user_sgpr_private_segment_size 0
		.amdhsa_wavefront_size32 1
		.amdhsa_uses_dynamic_stack 0
		.amdhsa_enable_private_segment 0
		.amdhsa_system_sgpr_workgroup_id_x 1
		.amdhsa_system_sgpr_workgroup_id_y 0
		.amdhsa_system_sgpr_workgroup_id_z 0
		.amdhsa_system_sgpr_workgroup_info 0
		.amdhsa_system_vgpr_workitem_id 0
		.amdhsa_next_free_vgpr 16
		.amdhsa_next_free_sgpr 28
		.amdhsa_reserve_vcc 1
		.amdhsa_float_round_mode_32 0
		.amdhsa_float_round_mode_16_64 0
		.amdhsa_float_denorm_mode_32 3
		.amdhsa_float_denorm_mode_16_64 3
		.amdhsa_dx10_clamp 1
		.amdhsa_ieee_mode 1
		.amdhsa_fp16_overflow 0
		.amdhsa_workgroup_processor_mode 1
		.amdhsa_memory_ordered 1
		.amdhsa_forward_progress 0
		.amdhsa_shared_vgpr_count 0
		.amdhsa_exception_fp_ieee_invalid_op 0
		.amdhsa_exception_fp_denorm_src 0
		.amdhsa_exception_fp_ieee_div_zero 0
		.amdhsa_exception_fp_ieee_overflow 0
		.amdhsa_exception_fp_ieee_underflow 0
		.amdhsa_exception_fp_ieee_inexact 0
		.amdhsa_exception_int_div_zero 0
	.end_amdhsa_kernel
	.section	.text._ZN7rocprim17ROCPRIM_400000_NS6detail17trampoline_kernelINS0_14default_configENS1_22reduce_config_selectorIN6thrust23THRUST_200600_302600_NS5tupleIblNS6_9null_typeES8_S8_S8_S8_S8_S8_S8_EEEEZNS1_11reduce_implILb1ES3_NS6_12zip_iteratorINS7_INS6_11hip_rocprim26transform_input_iterator_tIbNSD_35transform_pair_of_input_iterators_tIbNS6_6detail15normal_iteratorINS6_10device_ptrIKiEEEESL_NS6_8equal_toIiEEEENSG_9not_fun_tINSD_8identityEEEEENSD_19counting_iterator_tIlEES8_S8_S8_S8_S8_S8_S8_S8_EEEEPS9_S9_NSD_9__find_if7functorIS9_EEEE10hipError_tPvRmT1_T2_T3_mT4_P12ihipStream_tbEUlT_E0_NS1_11comp_targetILNS1_3genE9ELNS1_11target_archE1100ELNS1_3gpuE3ELNS1_3repE0EEENS1_30default_config_static_selectorELNS0_4arch9wavefront6targetE0EEEvS14_,"axG",@progbits,_ZN7rocprim17ROCPRIM_400000_NS6detail17trampoline_kernelINS0_14default_configENS1_22reduce_config_selectorIN6thrust23THRUST_200600_302600_NS5tupleIblNS6_9null_typeES8_S8_S8_S8_S8_S8_S8_EEEEZNS1_11reduce_implILb1ES3_NS6_12zip_iteratorINS7_INS6_11hip_rocprim26transform_input_iterator_tIbNSD_35transform_pair_of_input_iterators_tIbNS6_6detail15normal_iteratorINS6_10device_ptrIKiEEEESL_NS6_8equal_toIiEEEENSG_9not_fun_tINSD_8identityEEEEENSD_19counting_iterator_tIlEES8_S8_S8_S8_S8_S8_S8_S8_EEEEPS9_S9_NSD_9__find_if7functorIS9_EEEE10hipError_tPvRmT1_T2_T3_mT4_P12ihipStream_tbEUlT_E0_NS1_11comp_targetILNS1_3genE9ELNS1_11target_archE1100ELNS1_3gpuE3ELNS1_3repE0EEENS1_30default_config_static_selectorELNS0_4arch9wavefront6targetE0EEEvS14_,comdat
.Lfunc_end30:
	.size	_ZN7rocprim17ROCPRIM_400000_NS6detail17trampoline_kernelINS0_14default_configENS1_22reduce_config_selectorIN6thrust23THRUST_200600_302600_NS5tupleIblNS6_9null_typeES8_S8_S8_S8_S8_S8_S8_EEEEZNS1_11reduce_implILb1ES3_NS6_12zip_iteratorINS7_INS6_11hip_rocprim26transform_input_iterator_tIbNSD_35transform_pair_of_input_iterators_tIbNS6_6detail15normal_iteratorINS6_10device_ptrIKiEEEESL_NS6_8equal_toIiEEEENSG_9not_fun_tINSD_8identityEEEEENSD_19counting_iterator_tIlEES8_S8_S8_S8_S8_S8_S8_S8_EEEEPS9_S9_NSD_9__find_if7functorIS9_EEEE10hipError_tPvRmT1_T2_T3_mT4_P12ihipStream_tbEUlT_E0_NS1_11comp_targetILNS1_3genE9ELNS1_11target_archE1100ELNS1_3gpuE3ELNS1_3repE0EEENS1_30default_config_static_selectorELNS0_4arch9wavefront6targetE0EEEvS14_, .Lfunc_end30-_ZN7rocprim17ROCPRIM_400000_NS6detail17trampoline_kernelINS0_14default_configENS1_22reduce_config_selectorIN6thrust23THRUST_200600_302600_NS5tupleIblNS6_9null_typeES8_S8_S8_S8_S8_S8_S8_EEEEZNS1_11reduce_implILb1ES3_NS6_12zip_iteratorINS7_INS6_11hip_rocprim26transform_input_iterator_tIbNSD_35transform_pair_of_input_iterators_tIbNS6_6detail15normal_iteratorINS6_10device_ptrIKiEEEESL_NS6_8equal_toIiEEEENSG_9not_fun_tINSD_8identityEEEEENSD_19counting_iterator_tIlEES8_S8_S8_S8_S8_S8_S8_S8_EEEEPS9_S9_NSD_9__find_if7functorIS9_EEEE10hipError_tPvRmT1_T2_T3_mT4_P12ihipStream_tbEUlT_E0_NS1_11comp_targetILNS1_3genE9ELNS1_11target_archE1100ELNS1_3gpuE3ELNS1_3repE0EEENS1_30default_config_static_selectorELNS0_4arch9wavefront6targetE0EEEvS14_
                                        ; -- End function
	.section	.AMDGPU.csdata,"",@progbits
; Kernel info:
; codeLenInByte = 4024
; NumSgprs: 30
; NumVgprs: 16
; ScratchSize: 0
; MemoryBound: 0
; FloatMode: 240
; IeeeMode: 1
; LDSByteSize: 256 bytes/workgroup (compile time only)
; SGPRBlocks: 3
; VGPRBlocks: 1
; NumSGPRsForWavesPerEU: 30
; NumVGPRsForWavesPerEU: 16
; Occupancy: 16
; WaveLimiterHint : 0
; COMPUTE_PGM_RSRC2:SCRATCH_EN: 0
; COMPUTE_PGM_RSRC2:USER_SGPR: 15
; COMPUTE_PGM_RSRC2:TRAP_HANDLER: 0
; COMPUTE_PGM_RSRC2:TGID_X_EN: 1
; COMPUTE_PGM_RSRC2:TGID_Y_EN: 0
; COMPUTE_PGM_RSRC2:TGID_Z_EN: 0
; COMPUTE_PGM_RSRC2:TIDIG_COMP_CNT: 0
	.section	.text._ZN7rocprim17ROCPRIM_400000_NS6detail17trampoline_kernelINS0_14default_configENS1_22reduce_config_selectorIN6thrust23THRUST_200600_302600_NS5tupleIblNS6_9null_typeES8_S8_S8_S8_S8_S8_S8_EEEEZNS1_11reduce_implILb1ES3_NS6_12zip_iteratorINS7_INS6_11hip_rocprim26transform_input_iterator_tIbNSD_35transform_pair_of_input_iterators_tIbNS6_6detail15normal_iteratorINS6_10device_ptrIKiEEEESL_NS6_8equal_toIiEEEENSG_9not_fun_tINSD_8identityEEEEENSD_19counting_iterator_tIlEES8_S8_S8_S8_S8_S8_S8_S8_EEEEPS9_S9_NSD_9__find_if7functorIS9_EEEE10hipError_tPvRmT1_T2_T3_mT4_P12ihipStream_tbEUlT_E0_NS1_11comp_targetILNS1_3genE8ELNS1_11target_archE1030ELNS1_3gpuE2ELNS1_3repE0EEENS1_30default_config_static_selectorELNS0_4arch9wavefront6targetE0EEEvS14_,"axG",@progbits,_ZN7rocprim17ROCPRIM_400000_NS6detail17trampoline_kernelINS0_14default_configENS1_22reduce_config_selectorIN6thrust23THRUST_200600_302600_NS5tupleIblNS6_9null_typeES8_S8_S8_S8_S8_S8_S8_EEEEZNS1_11reduce_implILb1ES3_NS6_12zip_iteratorINS7_INS6_11hip_rocprim26transform_input_iterator_tIbNSD_35transform_pair_of_input_iterators_tIbNS6_6detail15normal_iteratorINS6_10device_ptrIKiEEEESL_NS6_8equal_toIiEEEENSG_9not_fun_tINSD_8identityEEEEENSD_19counting_iterator_tIlEES8_S8_S8_S8_S8_S8_S8_S8_EEEEPS9_S9_NSD_9__find_if7functorIS9_EEEE10hipError_tPvRmT1_T2_T3_mT4_P12ihipStream_tbEUlT_E0_NS1_11comp_targetILNS1_3genE8ELNS1_11target_archE1030ELNS1_3gpuE2ELNS1_3repE0EEENS1_30default_config_static_selectorELNS0_4arch9wavefront6targetE0EEEvS14_,comdat
	.protected	_ZN7rocprim17ROCPRIM_400000_NS6detail17trampoline_kernelINS0_14default_configENS1_22reduce_config_selectorIN6thrust23THRUST_200600_302600_NS5tupleIblNS6_9null_typeES8_S8_S8_S8_S8_S8_S8_EEEEZNS1_11reduce_implILb1ES3_NS6_12zip_iteratorINS7_INS6_11hip_rocprim26transform_input_iterator_tIbNSD_35transform_pair_of_input_iterators_tIbNS6_6detail15normal_iteratorINS6_10device_ptrIKiEEEESL_NS6_8equal_toIiEEEENSG_9not_fun_tINSD_8identityEEEEENSD_19counting_iterator_tIlEES8_S8_S8_S8_S8_S8_S8_S8_EEEEPS9_S9_NSD_9__find_if7functorIS9_EEEE10hipError_tPvRmT1_T2_T3_mT4_P12ihipStream_tbEUlT_E0_NS1_11comp_targetILNS1_3genE8ELNS1_11target_archE1030ELNS1_3gpuE2ELNS1_3repE0EEENS1_30default_config_static_selectorELNS0_4arch9wavefront6targetE0EEEvS14_ ; -- Begin function _ZN7rocprim17ROCPRIM_400000_NS6detail17trampoline_kernelINS0_14default_configENS1_22reduce_config_selectorIN6thrust23THRUST_200600_302600_NS5tupleIblNS6_9null_typeES8_S8_S8_S8_S8_S8_S8_EEEEZNS1_11reduce_implILb1ES3_NS6_12zip_iteratorINS7_INS6_11hip_rocprim26transform_input_iterator_tIbNSD_35transform_pair_of_input_iterators_tIbNS6_6detail15normal_iteratorINS6_10device_ptrIKiEEEESL_NS6_8equal_toIiEEEENSG_9not_fun_tINSD_8identityEEEEENSD_19counting_iterator_tIlEES8_S8_S8_S8_S8_S8_S8_S8_EEEEPS9_S9_NSD_9__find_if7functorIS9_EEEE10hipError_tPvRmT1_T2_T3_mT4_P12ihipStream_tbEUlT_E0_NS1_11comp_targetILNS1_3genE8ELNS1_11target_archE1030ELNS1_3gpuE2ELNS1_3repE0EEENS1_30default_config_static_selectorELNS0_4arch9wavefront6targetE0EEEvS14_
	.globl	_ZN7rocprim17ROCPRIM_400000_NS6detail17trampoline_kernelINS0_14default_configENS1_22reduce_config_selectorIN6thrust23THRUST_200600_302600_NS5tupleIblNS6_9null_typeES8_S8_S8_S8_S8_S8_S8_EEEEZNS1_11reduce_implILb1ES3_NS6_12zip_iteratorINS7_INS6_11hip_rocprim26transform_input_iterator_tIbNSD_35transform_pair_of_input_iterators_tIbNS6_6detail15normal_iteratorINS6_10device_ptrIKiEEEESL_NS6_8equal_toIiEEEENSG_9not_fun_tINSD_8identityEEEEENSD_19counting_iterator_tIlEES8_S8_S8_S8_S8_S8_S8_S8_EEEEPS9_S9_NSD_9__find_if7functorIS9_EEEE10hipError_tPvRmT1_T2_T3_mT4_P12ihipStream_tbEUlT_E0_NS1_11comp_targetILNS1_3genE8ELNS1_11target_archE1030ELNS1_3gpuE2ELNS1_3repE0EEENS1_30default_config_static_selectorELNS0_4arch9wavefront6targetE0EEEvS14_
	.p2align	8
	.type	_ZN7rocprim17ROCPRIM_400000_NS6detail17trampoline_kernelINS0_14default_configENS1_22reduce_config_selectorIN6thrust23THRUST_200600_302600_NS5tupleIblNS6_9null_typeES8_S8_S8_S8_S8_S8_S8_EEEEZNS1_11reduce_implILb1ES3_NS6_12zip_iteratorINS7_INS6_11hip_rocprim26transform_input_iterator_tIbNSD_35transform_pair_of_input_iterators_tIbNS6_6detail15normal_iteratorINS6_10device_ptrIKiEEEESL_NS6_8equal_toIiEEEENSG_9not_fun_tINSD_8identityEEEEENSD_19counting_iterator_tIlEES8_S8_S8_S8_S8_S8_S8_S8_EEEEPS9_S9_NSD_9__find_if7functorIS9_EEEE10hipError_tPvRmT1_T2_T3_mT4_P12ihipStream_tbEUlT_E0_NS1_11comp_targetILNS1_3genE8ELNS1_11target_archE1030ELNS1_3gpuE2ELNS1_3repE0EEENS1_30default_config_static_selectorELNS0_4arch9wavefront6targetE0EEEvS14_,@function
_ZN7rocprim17ROCPRIM_400000_NS6detail17trampoline_kernelINS0_14default_configENS1_22reduce_config_selectorIN6thrust23THRUST_200600_302600_NS5tupleIblNS6_9null_typeES8_S8_S8_S8_S8_S8_S8_EEEEZNS1_11reduce_implILb1ES3_NS6_12zip_iteratorINS7_INS6_11hip_rocprim26transform_input_iterator_tIbNSD_35transform_pair_of_input_iterators_tIbNS6_6detail15normal_iteratorINS6_10device_ptrIKiEEEESL_NS6_8equal_toIiEEEENSG_9not_fun_tINSD_8identityEEEEENSD_19counting_iterator_tIlEES8_S8_S8_S8_S8_S8_S8_S8_EEEEPS9_S9_NSD_9__find_if7functorIS9_EEEE10hipError_tPvRmT1_T2_T3_mT4_P12ihipStream_tbEUlT_E0_NS1_11comp_targetILNS1_3genE8ELNS1_11target_archE1030ELNS1_3gpuE2ELNS1_3repE0EEENS1_30default_config_static_selectorELNS0_4arch9wavefront6targetE0EEEvS14_: ; @_ZN7rocprim17ROCPRIM_400000_NS6detail17trampoline_kernelINS0_14default_configENS1_22reduce_config_selectorIN6thrust23THRUST_200600_302600_NS5tupleIblNS6_9null_typeES8_S8_S8_S8_S8_S8_S8_EEEEZNS1_11reduce_implILb1ES3_NS6_12zip_iteratorINS7_INS6_11hip_rocprim26transform_input_iterator_tIbNSD_35transform_pair_of_input_iterators_tIbNS6_6detail15normal_iteratorINS6_10device_ptrIKiEEEESL_NS6_8equal_toIiEEEENSG_9not_fun_tINSD_8identityEEEEENSD_19counting_iterator_tIlEES8_S8_S8_S8_S8_S8_S8_S8_EEEEPS9_S9_NSD_9__find_if7functorIS9_EEEE10hipError_tPvRmT1_T2_T3_mT4_P12ihipStream_tbEUlT_E0_NS1_11comp_targetILNS1_3genE8ELNS1_11target_archE1030ELNS1_3gpuE2ELNS1_3repE0EEENS1_30default_config_static_selectorELNS0_4arch9wavefront6targetE0EEEvS14_
; %bb.0:
	.section	.rodata,"a",@progbits
	.p2align	6, 0x0
	.amdhsa_kernel _ZN7rocprim17ROCPRIM_400000_NS6detail17trampoline_kernelINS0_14default_configENS1_22reduce_config_selectorIN6thrust23THRUST_200600_302600_NS5tupleIblNS6_9null_typeES8_S8_S8_S8_S8_S8_S8_EEEEZNS1_11reduce_implILb1ES3_NS6_12zip_iteratorINS7_INS6_11hip_rocprim26transform_input_iterator_tIbNSD_35transform_pair_of_input_iterators_tIbNS6_6detail15normal_iteratorINS6_10device_ptrIKiEEEESL_NS6_8equal_toIiEEEENSG_9not_fun_tINSD_8identityEEEEENSD_19counting_iterator_tIlEES8_S8_S8_S8_S8_S8_S8_S8_EEEEPS9_S9_NSD_9__find_if7functorIS9_EEEE10hipError_tPvRmT1_T2_T3_mT4_P12ihipStream_tbEUlT_E0_NS1_11comp_targetILNS1_3genE8ELNS1_11target_archE1030ELNS1_3gpuE2ELNS1_3repE0EEENS1_30default_config_static_selectorELNS0_4arch9wavefront6targetE0EEEvS14_
		.amdhsa_group_segment_fixed_size 0
		.amdhsa_private_segment_fixed_size 0
		.amdhsa_kernarg_size 104
		.amdhsa_user_sgpr_count 15
		.amdhsa_user_sgpr_dispatch_ptr 0
		.amdhsa_user_sgpr_queue_ptr 0
		.amdhsa_user_sgpr_kernarg_segment_ptr 1
		.amdhsa_user_sgpr_dispatch_id 0
		.amdhsa_user_sgpr_private_segment_size 0
		.amdhsa_wavefront_size32 1
		.amdhsa_uses_dynamic_stack 0
		.amdhsa_enable_private_segment 0
		.amdhsa_system_sgpr_workgroup_id_x 1
		.amdhsa_system_sgpr_workgroup_id_y 0
		.amdhsa_system_sgpr_workgroup_id_z 0
		.amdhsa_system_sgpr_workgroup_info 0
		.amdhsa_system_vgpr_workitem_id 0
		.amdhsa_next_free_vgpr 1
		.amdhsa_next_free_sgpr 1
		.amdhsa_reserve_vcc 0
		.amdhsa_float_round_mode_32 0
		.amdhsa_float_round_mode_16_64 0
		.amdhsa_float_denorm_mode_32 3
		.amdhsa_float_denorm_mode_16_64 3
		.amdhsa_dx10_clamp 1
		.amdhsa_ieee_mode 1
		.amdhsa_fp16_overflow 0
		.amdhsa_workgroup_processor_mode 1
		.amdhsa_memory_ordered 1
		.amdhsa_forward_progress 0
		.amdhsa_shared_vgpr_count 0
		.amdhsa_exception_fp_ieee_invalid_op 0
		.amdhsa_exception_fp_denorm_src 0
		.amdhsa_exception_fp_ieee_div_zero 0
		.amdhsa_exception_fp_ieee_overflow 0
		.amdhsa_exception_fp_ieee_underflow 0
		.amdhsa_exception_fp_ieee_inexact 0
		.amdhsa_exception_int_div_zero 0
	.end_amdhsa_kernel
	.section	.text._ZN7rocprim17ROCPRIM_400000_NS6detail17trampoline_kernelINS0_14default_configENS1_22reduce_config_selectorIN6thrust23THRUST_200600_302600_NS5tupleIblNS6_9null_typeES8_S8_S8_S8_S8_S8_S8_EEEEZNS1_11reduce_implILb1ES3_NS6_12zip_iteratorINS7_INS6_11hip_rocprim26transform_input_iterator_tIbNSD_35transform_pair_of_input_iterators_tIbNS6_6detail15normal_iteratorINS6_10device_ptrIKiEEEESL_NS6_8equal_toIiEEEENSG_9not_fun_tINSD_8identityEEEEENSD_19counting_iterator_tIlEES8_S8_S8_S8_S8_S8_S8_S8_EEEEPS9_S9_NSD_9__find_if7functorIS9_EEEE10hipError_tPvRmT1_T2_T3_mT4_P12ihipStream_tbEUlT_E0_NS1_11comp_targetILNS1_3genE8ELNS1_11target_archE1030ELNS1_3gpuE2ELNS1_3repE0EEENS1_30default_config_static_selectorELNS0_4arch9wavefront6targetE0EEEvS14_,"axG",@progbits,_ZN7rocprim17ROCPRIM_400000_NS6detail17trampoline_kernelINS0_14default_configENS1_22reduce_config_selectorIN6thrust23THRUST_200600_302600_NS5tupleIblNS6_9null_typeES8_S8_S8_S8_S8_S8_S8_EEEEZNS1_11reduce_implILb1ES3_NS6_12zip_iteratorINS7_INS6_11hip_rocprim26transform_input_iterator_tIbNSD_35transform_pair_of_input_iterators_tIbNS6_6detail15normal_iteratorINS6_10device_ptrIKiEEEESL_NS6_8equal_toIiEEEENSG_9not_fun_tINSD_8identityEEEEENSD_19counting_iterator_tIlEES8_S8_S8_S8_S8_S8_S8_S8_EEEEPS9_S9_NSD_9__find_if7functorIS9_EEEE10hipError_tPvRmT1_T2_T3_mT4_P12ihipStream_tbEUlT_E0_NS1_11comp_targetILNS1_3genE8ELNS1_11target_archE1030ELNS1_3gpuE2ELNS1_3repE0EEENS1_30default_config_static_selectorELNS0_4arch9wavefront6targetE0EEEvS14_,comdat
.Lfunc_end31:
	.size	_ZN7rocprim17ROCPRIM_400000_NS6detail17trampoline_kernelINS0_14default_configENS1_22reduce_config_selectorIN6thrust23THRUST_200600_302600_NS5tupleIblNS6_9null_typeES8_S8_S8_S8_S8_S8_S8_EEEEZNS1_11reduce_implILb1ES3_NS6_12zip_iteratorINS7_INS6_11hip_rocprim26transform_input_iterator_tIbNSD_35transform_pair_of_input_iterators_tIbNS6_6detail15normal_iteratorINS6_10device_ptrIKiEEEESL_NS6_8equal_toIiEEEENSG_9not_fun_tINSD_8identityEEEEENSD_19counting_iterator_tIlEES8_S8_S8_S8_S8_S8_S8_S8_EEEEPS9_S9_NSD_9__find_if7functorIS9_EEEE10hipError_tPvRmT1_T2_T3_mT4_P12ihipStream_tbEUlT_E0_NS1_11comp_targetILNS1_3genE8ELNS1_11target_archE1030ELNS1_3gpuE2ELNS1_3repE0EEENS1_30default_config_static_selectorELNS0_4arch9wavefront6targetE0EEEvS14_, .Lfunc_end31-_ZN7rocprim17ROCPRIM_400000_NS6detail17trampoline_kernelINS0_14default_configENS1_22reduce_config_selectorIN6thrust23THRUST_200600_302600_NS5tupleIblNS6_9null_typeES8_S8_S8_S8_S8_S8_S8_EEEEZNS1_11reduce_implILb1ES3_NS6_12zip_iteratorINS7_INS6_11hip_rocprim26transform_input_iterator_tIbNSD_35transform_pair_of_input_iterators_tIbNS6_6detail15normal_iteratorINS6_10device_ptrIKiEEEESL_NS6_8equal_toIiEEEENSG_9not_fun_tINSD_8identityEEEEENSD_19counting_iterator_tIlEES8_S8_S8_S8_S8_S8_S8_S8_EEEEPS9_S9_NSD_9__find_if7functorIS9_EEEE10hipError_tPvRmT1_T2_T3_mT4_P12ihipStream_tbEUlT_E0_NS1_11comp_targetILNS1_3genE8ELNS1_11target_archE1030ELNS1_3gpuE2ELNS1_3repE0EEENS1_30default_config_static_selectorELNS0_4arch9wavefront6targetE0EEEvS14_
                                        ; -- End function
	.section	.AMDGPU.csdata,"",@progbits
; Kernel info:
; codeLenInByte = 0
; NumSgprs: 0
; NumVgprs: 0
; ScratchSize: 0
; MemoryBound: 0
; FloatMode: 240
; IeeeMode: 1
; LDSByteSize: 0 bytes/workgroup (compile time only)
; SGPRBlocks: 0
; VGPRBlocks: 0
; NumSGPRsForWavesPerEU: 1
; NumVGPRsForWavesPerEU: 1
; Occupancy: 16
; WaveLimiterHint : 0
; COMPUTE_PGM_RSRC2:SCRATCH_EN: 0
; COMPUTE_PGM_RSRC2:USER_SGPR: 15
; COMPUTE_PGM_RSRC2:TRAP_HANDLER: 0
; COMPUTE_PGM_RSRC2:TGID_X_EN: 1
; COMPUTE_PGM_RSRC2:TGID_Y_EN: 0
; COMPUTE_PGM_RSRC2:TGID_Z_EN: 0
; COMPUTE_PGM_RSRC2:TIDIG_COMP_CNT: 0
	.section	.text._ZN7rocprim17ROCPRIM_400000_NS6detail17trampoline_kernelINS0_14default_configENS1_22reduce_config_selectorIN6thrust23THRUST_200600_302600_NS5tupleIblNS6_9null_typeES8_S8_S8_S8_S8_S8_S8_EEEEZNS1_11reduce_implILb1ES3_NS6_12zip_iteratorINS7_INS6_11hip_rocprim26transform_input_iterator_tIbNSD_35transform_pair_of_input_iterators_tIbNS6_6detail15normal_iteratorINS6_10device_ptrIKiEEEESL_NS6_8equal_toIiEEEENSG_9not_fun_tINSD_8identityEEEEENSD_19counting_iterator_tIlEES8_S8_S8_S8_S8_S8_S8_S8_EEEEPS9_S9_NSD_9__find_if7functorIS9_EEEE10hipError_tPvRmT1_T2_T3_mT4_P12ihipStream_tbEUlT_E1_NS1_11comp_targetILNS1_3genE0ELNS1_11target_archE4294967295ELNS1_3gpuE0ELNS1_3repE0EEENS1_30default_config_static_selectorELNS0_4arch9wavefront6targetE0EEEvS14_,"axG",@progbits,_ZN7rocprim17ROCPRIM_400000_NS6detail17trampoline_kernelINS0_14default_configENS1_22reduce_config_selectorIN6thrust23THRUST_200600_302600_NS5tupleIblNS6_9null_typeES8_S8_S8_S8_S8_S8_S8_EEEEZNS1_11reduce_implILb1ES3_NS6_12zip_iteratorINS7_INS6_11hip_rocprim26transform_input_iterator_tIbNSD_35transform_pair_of_input_iterators_tIbNS6_6detail15normal_iteratorINS6_10device_ptrIKiEEEESL_NS6_8equal_toIiEEEENSG_9not_fun_tINSD_8identityEEEEENSD_19counting_iterator_tIlEES8_S8_S8_S8_S8_S8_S8_S8_EEEEPS9_S9_NSD_9__find_if7functorIS9_EEEE10hipError_tPvRmT1_T2_T3_mT4_P12ihipStream_tbEUlT_E1_NS1_11comp_targetILNS1_3genE0ELNS1_11target_archE4294967295ELNS1_3gpuE0ELNS1_3repE0EEENS1_30default_config_static_selectorELNS0_4arch9wavefront6targetE0EEEvS14_,comdat
	.protected	_ZN7rocprim17ROCPRIM_400000_NS6detail17trampoline_kernelINS0_14default_configENS1_22reduce_config_selectorIN6thrust23THRUST_200600_302600_NS5tupleIblNS6_9null_typeES8_S8_S8_S8_S8_S8_S8_EEEEZNS1_11reduce_implILb1ES3_NS6_12zip_iteratorINS7_INS6_11hip_rocprim26transform_input_iterator_tIbNSD_35transform_pair_of_input_iterators_tIbNS6_6detail15normal_iteratorINS6_10device_ptrIKiEEEESL_NS6_8equal_toIiEEEENSG_9not_fun_tINSD_8identityEEEEENSD_19counting_iterator_tIlEES8_S8_S8_S8_S8_S8_S8_S8_EEEEPS9_S9_NSD_9__find_if7functorIS9_EEEE10hipError_tPvRmT1_T2_T3_mT4_P12ihipStream_tbEUlT_E1_NS1_11comp_targetILNS1_3genE0ELNS1_11target_archE4294967295ELNS1_3gpuE0ELNS1_3repE0EEENS1_30default_config_static_selectorELNS0_4arch9wavefront6targetE0EEEvS14_ ; -- Begin function _ZN7rocprim17ROCPRIM_400000_NS6detail17trampoline_kernelINS0_14default_configENS1_22reduce_config_selectorIN6thrust23THRUST_200600_302600_NS5tupleIblNS6_9null_typeES8_S8_S8_S8_S8_S8_S8_EEEEZNS1_11reduce_implILb1ES3_NS6_12zip_iteratorINS7_INS6_11hip_rocprim26transform_input_iterator_tIbNSD_35transform_pair_of_input_iterators_tIbNS6_6detail15normal_iteratorINS6_10device_ptrIKiEEEESL_NS6_8equal_toIiEEEENSG_9not_fun_tINSD_8identityEEEEENSD_19counting_iterator_tIlEES8_S8_S8_S8_S8_S8_S8_S8_EEEEPS9_S9_NSD_9__find_if7functorIS9_EEEE10hipError_tPvRmT1_T2_T3_mT4_P12ihipStream_tbEUlT_E1_NS1_11comp_targetILNS1_3genE0ELNS1_11target_archE4294967295ELNS1_3gpuE0ELNS1_3repE0EEENS1_30default_config_static_selectorELNS0_4arch9wavefront6targetE0EEEvS14_
	.globl	_ZN7rocprim17ROCPRIM_400000_NS6detail17trampoline_kernelINS0_14default_configENS1_22reduce_config_selectorIN6thrust23THRUST_200600_302600_NS5tupleIblNS6_9null_typeES8_S8_S8_S8_S8_S8_S8_EEEEZNS1_11reduce_implILb1ES3_NS6_12zip_iteratorINS7_INS6_11hip_rocprim26transform_input_iterator_tIbNSD_35transform_pair_of_input_iterators_tIbNS6_6detail15normal_iteratorINS6_10device_ptrIKiEEEESL_NS6_8equal_toIiEEEENSG_9not_fun_tINSD_8identityEEEEENSD_19counting_iterator_tIlEES8_S8_S8_S8_S8_S8_S8_S8_EEEEPS9_S9_NSD_9__find_if7functorIS9_EEEE10hipError_tPvRmT1_T2_T3_mT4_P12ihipStream_tbEUlT_E1_NS1_11comp_targetILNS1_3genE0ELNS1_11target_archE4294967295ELNS1_3gpuE0ELNS1_3repE0EEENS1_30default_config_static_selectorELNS0_4arch9wavefront6targetE0EEEvS14_
	.p2align	8
	.type	_ZN7rocprim17ROCPRIM_400000_NS6detail17trampoline_kernelINS0_14default_configENS1_22reduce_config_selectorIN6thrust23THRUST_200600_302600_NS5tupleIblNS6_9null_typeES8_S8_S8_S8_S8_S8_S8_EEEEZNS1_11reduce_implILb1ES3_NS6_12zip_iteratorINS7_INS6_11hip_rocprim26transform_input_iterator_tIbNSD_35transform_pair_of_input_iterators_tIbNS6_6detail15normal_iteratorINS6_10device_ptrIKiEEEESL_NS6_8equal_toIiEEEENSG_9not_fun_tINSD_8identityEEEEENSD_19counting_iterator_tIlEES8_S8_S8_S8_S8_S8_S8_S8_EEEEPS9_S9_NSD_9__find_if7functorIS9_EEEE10hipError_tPvRmT1_T2_T3_mT4_P12ihipStream_tbEUlT_E1_NS1_11comp_targetILNS1_3genE0ELNS1_11target_archE4294967295ELNS1_3gpuE0ELNS1_3repE0EEENS1_30default_config_static_selectorELNS0_4arch9wavefront6targetE0EEEvS14_,@function
_ZN7rocprim17ROCPRIM_400000_NS6detail17trampoline_kernelINS0_14default_configENS1_22reduce_config_selectorIN6thrust23THRUST_200600_302600_NS5tupleIblNS6_9null_typeES8_S8_S8_S8_S8_S8_S8_EEEEZNS1_11reduce_implILb1ES3_NS6_12zip_iteratorINS7_INS6_11hip_rocprim26transform_input_iterator_tIbNSD_35transform_pair_of_input_iterators_tIbNS6_6detail15normal_iteratorINS6_10device_ptrIKiEEEESL_NS6_8equal_toIiEEEENSG_9not_fun_tINSD_8identityEEEEENSD_19counting_iterator_tIlEES8_S8_S8_S8_S8_S8_S8_S8_EEEEPS9_S9_NSD_9__find_if7functorIS9_EEEE10hipError_tPvRmT1_T2_T3_mT4_P12ihipStream_tbEUlT_E1_NS1_11comp_targetILNS1_3genE0ELNS1_11target_archE4294967295ELNS1_3gpuE0ELNS1_3repE0EEENS1_30default_config_static_selectorELNS0_4arch9wavefront6targetE0EEEvS14_: ; @_ZN7rocprim17ROCPRIM_400000_NS6detail17trampoline_kernelINS0_14default_configENS1_22reduce_config_selectorIN6thrust23THRUST_200600_302600_NS5tupleIblNS6_9null_typeES8_S8_S8_S8_S8_S8_S8_EEEEZNS1_11reduce_implILb1ES3_NS6_12zip_iteratorINS7_INS6_11hip_rocprim26transform_input_iterator_tIbNSD_35transform_pair_of_input_iterators_tIbNS6_6detail15normal_iteratorINS6_10device_ptrIKiEEEESL_NS6_8equal_toIiEEEENSG_9not_fun_tINSD_8identityEEEEENSD_19counting_iterator_tIlEES8_S8_S8_S8_S8_S8_S8_S8_EEEEPS9_S9_NSD_9__find_if7functorIS9_EEEE10hipError_tPvRmT1_T2_T3_mT4_P12ihipStream_tbEUlT_E1_NS1_11comp_targetILNS1_3genE0ELNS1_11target_archE4294967295ELNS1_3gpuE0ELNS1_3repE0EEENS1_30default_config_static_selectorELNS0_4arch9wavefront6targetE0EEEvS14_
; %bb.0:
	.section	.rodata,"a",@progbits
	.p2align	6, 0x0
	.amdhsa_kernel _ZN7rocprim17ROCPRIM_400000_NS6detail17trampoline_kernelINS0_14default_configENS1_22reduce_config_selectorIN6thrust23THRUST_200600_302600_NS5tupleIblNS6_9null_typeES8_S8_S8_S8_S8_S8_S8_EEEEZNS1_11reduce_implILb1ES3_NS6_12zip_iteratorINS7_INS6_11hip_rocprim26transform_input_iterator_tIbNSD_35transform_pair_of_input_iterators_tIbNS6_6detail15normal_iteratorINS6_10device_ptrIKiEEEESL_NS6_8equal_toIiEEEENSG_9not_fun_tINSD_8identityEEEEENSD_19counting_iterator_tIlEES8_S8_S8_S8_S8_S8_S8_S8_EEEEPS9_S9_NSD_9__find_if7functorIS9_EEEE10hipError_tPvRmT1_T2_T3_mT4_P12ihipStream_tbEUlT_E1_NS1_11comp_targetILNS1_3genE0ELNS1_11target_archE4294967295ELNS1_3gpuE0ELNS1_3repE0EEENS1_30default_config_static_selectorELNS0_4arch9wavefront6targetE0EEEvS14_
		.amdhsa_group_segment_fixed_size 0
		.amdhsa_private_segment_fixed_size 0
		.amdhsa_kernarg_size 88
		.amdhsa_user_sgpr_count 15
		.amdhsa_user_sgpr_dispatch_ptr 0
		.amdhsa_user_sgpr_queue_ptr 0
		.amdhsa_user_sgpr_kernarg_segment_ptr 1
		.amdhsa_user_sgpr_dispatch_id 0
		.amdhsa_user_sgpr_private_segment_size 0
		.amdhsa_wavefront_size32 1
		.amdhsa_uses_dynamic_stack 0
		.amdhsa_enable_private_segment 0
		.amdhsa_system_sgpr_workgroup_id_x 1
		.amdhsa_system_sgpr_workgroup_id_y 0
		.amdhsa_system_sgpr_workgroup_id_z 0
		.amdhsa_system_sgpr_workgroup_info 0
		.amdhsa_system_vgpr_workitem_id 0
		.amdhsa_next_free_vgpr 1
		.amdhsa_next_free_sgpr 1
		.amdhsa_reserve_vcc 0
		.amdhsa_float_round_mode_32 0
		.amdhsa_float_round_mode_16_64 0
		.amdhsa_float_denorm_mode_32 3
		.amdhsa_float_denorm_mode_16_64 3
		.amdhsa_dx10_clamp 1
		.amdhsa_ieee_mode 1
		.amdhsa_fp16_overflow 0
		.amdhsa_workgroup_processor_mode 1
		.amdhsa_memory_ordered 1
		.amdhsa_forward_progress 0
		.amdhsa_shared_vgpr_count 0
		.amdhsa_exception_fp_ieee_invalid_op 0
		.amdhsa_exception_fp_denorm_src 0
		.amdhsa_exception_fp_ieee_div_zero 0
		.amdhsa_exception_fp_ieee_overflow 0
		.amdhsa_exception_fp_ieee_underflow 0
		.amdhsa_exception_fp_ieee_inexact 0
		.amdhsa_exception_int_div_zero 0
	.end_amdhsa_kernel
	.section	.text._ZN7rocprim17ROCPRIM_400000_NS6detail17trampoline_kernelINS0_14default_configENS1_22reduce_config_selectorIN6thrust23THRUST_200600_302600_NS5tupleIblNS6_9null_typeES8_S8_S8_S8_S8_S8_S8_EEEEZNS1_11reduce_implILb1ES3_NS6_12zip_iteratorINS7_INS6_11hip_rocprim26transform_input_iterator_tIbNSD_35transform_pair_of_input_iterators_tIbNS6_6detail15normal_iteratorINS6_10device_ptrIKiEEEESL_NS6_8equal_toIiEEEENSG_9not_fun_tINSD_8identityEEEEENSD_19counting_iterator_tIlEES8_S8_S8_S8_S8_S8_S8_S8_EEEEPS9_S9_NSD_9__find_if7functorIS9_EEEE10hipError_tPvRmT1_T2_T3_mT4_P12ihipStream_tbEUlT_E1_NS1_11comp_targetILNS1_3genE0ELNS1_11target_archE4294967295ELNS1_3gpuE0ELNS1_3repE0EEENS1_30default_config_static_selectorELNS0_4arch9wavefront6targetE0EEEvS14_,"axG",@progbits,_ZN7rocprim17ROCPRIM_400000_NS6detail17trampoline_kernelINS0_14default_configENS1_22reduce_config_selectorIN6thrust23THRUST_200600_302600_NS5tupleIblNS6_9null_typeES8_S8_S8_S8_S8_S8_S8_EEEEZNS1_11reduce_implILb1ES3_NS6_12zip_iteratorINS7_INS6_11hip_rocprim26transform_input_iterator_tIbNSD_35transform_pair_of_input_iterators_tIbNS6_6detail15normal_iteratorINS6_10device_ptrIKiEEEESL_NS6_8equal_toIiEEEENSG_9not_fun_tINSD_8identityEEEEENSD_19counting_iterator_tIlEES8_S8_S8_S8_S8_S8_S8_S8_EEEEPS9_S9_NSD_9__find_if7functorIS9_EEEE10hipError_tPvRmT1_T2_T3_mT4_P12ihipStream_tbEUlT_E1_NS1_11comp_targetILNS1_3genE0ELNS1_11target_archE4294967295ELNS1_3gpuE0ELNS1_3repE0EEENS1_30default_config_static_selectorELNS0_4arch9wavefront6targetE0EEEvS14_,comdat
.Lfunc_end32:
	.size	_ZN7rocprim17ROCPRIM_400000_NS6detail17trampoline_kernelINS0_14default_configENS1_22reduce_config_selectorIN6thrust23THRUST_200600_302600_NS5tupleIblNS6_9null_typeES8_S8_S8_S8_S8_S8_S8_EEEEZNS1_11reduce_implILb1ES3_NS6_12zip_iteratorINS7_INS6_11hip_rocprim26transform_input_iterator_tIbNSD_35transform_pair_of_input_iterators_tIbNS6_6detail15normal_iteratorINS6_10device_ptrIKiEEEESL_NS6_8equal_toIiEEEENSG_9not_fun_tINSD_8identityEEEEENSD_19counting_iterator_tIlEES8_S8_S8_S8_S8_S8_S8_S8_EEEEPS9_S9_NSD_9__find_if7functorIS9_EEEE10hipError_tPvRmT1_T2_T3_mT4_P12ihipStream_tbEUlT_E1_NS1_11comp_targetILNS1_3genE0ELNS1_11target_archE4294967295ELNS1_3gpuE0ELNS1_3repE0EEENS1_30default_config_static_selectorELNS0_4arch9wavefront6targetE0EEEvS14_, .Lfunc_end32-_ZN7rocprim17ROCPRIM_400000_NS6detail17trampoline_kernelINS0_14default_configENS1_22reduce_config_selectorIN6thrust23THRUST_200600_302600_NS5tupleIblNS6_9null_typeES8_S8_S8_S8_S8_S8_S8_EEEEZNS1_11reduce_implILb1ES3_NS6_12zip_iteratorINS7_INS6_11hip_rocprim26transform_input_iterator_tIbNSD_35transform_pair_of_input_iterators_tIbNS6_6detail15normal_iteratorINS6_10device_ptrIKiEEEESL_NS6_8equal_toIiEEEENSG_9not_fun_tINSD_8identityEEEEENSD_19counting_iterator_tIlEES8_S8_S8_S8_S8_S8_S8_S8_EEEEPS9_S9_NSD_9__find_if7functorIS9_EEEE10hipError_tPvRmT1_T2_T3_mT4_P12ihipStream_tbEUlT_E1_NS1_11comp_targetILNS1_3genE0ELNS1_11target_archE4294967295ELNS1_3gpuE0ELNS1_3repE0EEENS1_30default_config_static_selectorELNS0_4arch9wavefront6targetE0EEEvS14_
                                        ; -- End function
	.section	.AMDGPU.csdata,"",@progbits
; Kernel info:
; codeLenInByte = 0
; NumSgprs: 0
; NumVgprs: 0
; ScratchSize: 0
; MemoryBound: 0
; FloatMode: 240
; IeeeMode: 1
; LDSByteSize: 0 bytes/workgroup (compile time only)
; SGPRBlocks: 0
; VGPRBlocks: 0
; NumSGPRsForWavesPerEU: 1
; NumVGPRsForWavesPerEU: 1
; Occupancy: 16
; WaveLimiterHint : 0
; COMPUTE_PGM_RSRC2:SCRATCH_EN: 0
; COMPUTE_PGM_RSRC2:USER_SGPR: 15
; COMPUTE_PGM_RSRC2:TRAP_HANDLER: 0
; COMPUTE_PGM_RSRC2:TGID_X_EN: 1
; COMPUTE_PGM_RSRC2:TGID_Y_EN: 0
; COMPUTE_PGM_RSRC2:TGID_Z_EN: 0
; COMPUTE_PGM_RSRC2:TIDIG_COMP_CNT: 0
	.section	.text._ZN7rocprim17ROCPRIM_400000_NS6detail17trampoline_kernelINS0_14default_configENS1_22reduce_config_selectorIN6thrust23THRUST_200600_302600_NS5tupleIblNS6_9null_typeES8_S8_S8_S8_S8_S8_S8_EEEEZNS1_11reduce_implILb1ES3_NS6_12zip_iteratorINS7_INS6_11hip_rocprim26transform_input_iterator_tIbNSD_35transform_pair_of_input_iterators_tIbNS6_6detail15normal_iteratorINS6_10device_ptrIKiEEEESL_NS6_8equal_toIiEEEENSG_9not_fun_tINSD_8identityEEEEENSD_19counting_iterator_tIlEES8_S8_S8_S8_S8_S8_S8_S8_EEEEPS9_S9_NSD_9__find_if7functorIS9_EEEE10hipError_tPvRmT1_T2_T3_mT4_P12ihipStream_tbEUlT_E1_NS1_11comp_targetILNS1_3genE5ELNS1_11target_archE942ELNS1_3gpuE9ELNS1_3repE0EEENS1_30default_config_static_selectorELNS0_4arch9wavefront6targetE0EEEvS14_,"axG",@progbits,_ZN7rocprim17ROCPRIM_400000_NS6detail17trampoline_kernelINS0_14default_configENS1_22reduce_config_selectorIN6thrust23THRUST_200600_302600_NS5tupleIblNS6_9null_typeES8_S8_S8_S8_S8_S8_S8_EEEEZNS1_11reduce_implILb1ES3_NS6_12zip_iteratorINS7_INS6_11hip_rocprim26transform_input_iterator_tIbNSD_35transform_pair_of_input_iterators_tIbNS6_6detail15normal_iteratorINS6_10device_ptrIKiEEEESL_NS6_8equal_toIiEEEENSG_9not_fun_tINSD_8identityEEEEENSD_19counting_iterator_tIlEES8_S8_S8_S8_S8_S8_S8_S8_EEEEPS9_S9_NSD_9__find_if7functorIS9_EEEE10hipError_tPvRmT1_T2_T3_mT4_P12ihipStream_tbEUlT_E1_NS1_11comp_targetILNS1_3genE5ELNS1_11target_archE942ELNS1_3gpuE9ELNS1_3repE0EEENS1_30default_config_static_selectorELNS0_4arch9wavefront6targetE0EEEvS14_,comdat
	.protected	_ZN7rocprim17ROCPRIM_400000_NS6detail17trampoline_kernelINS0_14default_configENS1_22reduce_config_selectorIN6thrust23THRUST_200600_302600_NS5tupleIblNS6_9null_typeES8_S8_S8_S8_S8_S8_S8_EEEEZNS1_11reduce_implILb1ES3_NS6_12zip_iteratorINS7_INS6_11hip_rocprim26transform_input_iterator_tIbNSD_35transform_pair_of_input_iterators_tIbNS6_6detail15normal_iteratorINS6_10device_ptrIKiEEEESL_NS6_8equal_toIiEEEENSG_9not_fun_tINSD_8identityEEEEENSD_19counting_iterator_tIlEES8_S8_S8_S8_S8_S8_S8_S8_EEEEPS9_S9_NSD_9__find_if7functorIS9_EEEE10hipError_tPvRmT1_T2_T3_mT4_P12ihipStream_tbEUlT_E1_NS1_11comp_targetILNS1_3genE5ELNS1_11target_archE942ELNS1_3gpuE9ELNS1_3repE0EEENS1_30default_config_static_selectorELNS0_4arch9wavefront6targetE0EEEvS14_ ; -- Begin function _ZN7rocprim17ROCPRIM_400000_NS6detail17trampoline_kernelINS0_14default_configENS1_22reduce_config_selectorIN6thrust23THRUST_200600_302600_NS5tupleIblNS6_9null_typeES8_S8_S8_S8_S8_S8_S8_EEEEZNS1_11reduce_implILb1ES3_NS6_12zip_iteratorINS7_INS6_11hip_rocprim26transform_input_iterator_tIbNSD_35transform_pair_of_input_iterators_tIbNS6_6detail15normal_iteratorINS6_10device_ptrIKiEEEESL_NS6_8equal_toIiEEEENSG_9not_fun_tINSD_8identityEEEEENSD_19counting_iterator_tIlEES8_S8_S8_S8_S8_S8_S8_S8_EEEEPS9_S9_NSD_9__find_if7functorIS9_EEEE10hipError_tPvRmT1_T2_T3_mT4_P12ihipStream_tbEUlT_E1_NS1_11comp_targetILNS1_3genE5ELNS1_11target_archE942ELNS1_3gpuE9ELNS1_3repE0EEENS1_30default_config_static_selectorELNS0_4arch9wavefront6targetE0EEEvS14_
	.globl	_ZN7rocprim17ROCPRIM_400000_NS6detail17trampoline_kernelINS0_14default_configENS1_22reduce_config_selectorIN6thrust23THRUST_200600_302600_NS5tupleIblNS6_9null_typeES8_S8_S8_S8_S8_S8_S8_EEEEZNS1_11reduce_implILb1ES3_NS6_12zip_iteratorINS7_INS6_11hip_rocprim26transform_input_iterator_tIbNSD_35transform_pair_of_input_iterators_tIbNS6_6detail15normal_iteratorINS6_10device_ptrIKiEEEESL_NS6_8equal_toIiEEEENSG_9not_fun_tINSD_8identityEEEEENSD_19counting_iterator_tIlEES8_S8_S8_S8_S8_S8_S8_S8_EEEEPS9_S9_NSD_9__find_if7functorIS9_EEEE10hipError_tPvRmT1_T2_T3_mT4_P12ihipStream_tbEUlT_E1_NS1_11comp_targetILNS1_3genE5ELNS1_11target_archE942ELNS1_3gpuE9ELNS1_3repE0EEENS1_30default_config_static_selectorELNS0_4arch9wavefront6targetE0EEEvS14_
	.p2align	8
	.type	_ZN7rocprim17ROCPRIM_400000_NS6detail17trampoline_kernelINS0_14default_configENS1_22reduce_config_selectorIN6thrust23THRUST_200600_302600_NS5tupleIblNS6_9null_typeES8_S8_S8_S8_S8_S8_S8_EEEEZNS1_11reduce_implILb1ES3_NS6_12zip_iteratorINS7_INS6_11hip_rocprim26transform_input_iterator_tIbNSD_35transform_pair_of_input_iterators_tIbNS6_6detail15normal_iteratorINS6_10device_ptrIKiEEEESL_NS6_8equal_toIiEEEENSG_9not_fun_tINSD_8identityEEEEENSD_19counting_iterator_tIlEES8_S8_S8_S8_S8_S8_S8_S8_EEEEPS9_S9_NSD_9__find_if7functorIS9_EEEE10hipError_tPvRmT1_T2_T3_mT4_P12ihipStream_tbEUlT_E1_NS1_11comp_targetILNS1_3genE5ELNS1_11target_archE942ELNS1_3gpuE9ELNS1_3repE0EEENS1_30default_config_static_selectorELNS0_4arch9wavefront6targetE0EEEvS14_,@function
_ZN7rocprim17ROCPRIM_400000_NS6detail17trampoline_kernelINS0_14default_configENS1_22reduce_config_selectorIN6thrust23THRUST_200600_302600_NS5tupleIblNS6_9null_typeES8_S8_S8_S8_S8_S8_S8_EEEEZNS1_11reduce_implILb1ES3_NS6_12zip_iteratorINS7_INS6_11hip_rocprim26transform_input_iterator_tIbNSD_35transform_pair_of_input_iterators_tIbNS6_6detail15normal_iteratorINS6_10device_ptrIKiEEEESL_NS6_8equal_toIiEEEENSG_9not_fun_tINSD_8identityEEEEENSD_19counting_iterator_tIlEES8_S8_S8_S8_S8_S8_S8_S8_EEEEPS9_S9_NSD_9__find_if7functorIS9_EEEE10hipError_tPvRmT1_T2_T3_mT4_P12ihipStream_tbEUlT_E1_NS1_11comp_targetILNS1_3genE5ELNS1_11target_archE942ELNS1_3gpuE9ELNS1_3repE0EEENS1_30default_config_static_selectorELNS0_4arch9wavefront6targetE0EEEvS14_: ; @_ZN7rocprim17ROCPRIM_400000_NS6detail17trampoline_kernelINS0_14default_configENS1_22reduce_config_selectorIN6thrust23THRUST_200600_302600_NS5tupleIblNS6_9null_typeES8_S8_S8_S8_S8_S8_S8_EEEEZNS1_11reduce_implILb1ES3_NS6_12zip_iteratorINS7_INS6_11hip_rocprim26transform_input_iterator_tIbNSD_35transform_pair_of_input_iterators_tIbNS6_6detail15normal_iteratorINS6_10device_ptrIKiEEEESL_NS6_8equal_toIiEEEENSG_9not_fun_tINSD_8identityEEEEENSD_19counting_iterator_tIlEES8_S8_S8_S8_S8_S8_S8_S8_EEEEPS9_S9_NSD_9__find_if7functorIS9_EEEE10hipError_tPvRmT1_T2_T3_mT4_P12ihipStream_tbEUlT_E1_NS1_11comp_targetILNS1_3genE5ELNS1_11target_archE942ELNS1_3gpuE9ELNS1_3repE0EEENS1_30default_config_static_selectorELNS0_4arch9wavefront6targetE0EEEvS14_
; %bb.0:
	.section	.rodata,"a",@progbits
	.p2align	6, 0x0
	.amdhsa_kernel _ZN7rocprim17ROCPRIM_400000_NS6detail17trampoline_kernelINS0_14default_configENS1_22reduce_config_selectorIN6thrust23THRUST_200600_302600_NS5tupleIblNS6_9null_typeES8_S8_S8_S8_S8_S8_S8_EEEEZNS1_11reduce_implILb1ES3_NS6_12zip_iteratorINS7_INS6_11hip_rocprim26transform_input_iterator_tIbNSD_35transform_pair_of_input_iterators_tIbNS6_6detail15normal_iteratorINS6_10device_ptrIKiEEEESL_NS6_8equal_toIiEEEENSG_9not_fun_tINSD_8identityEEEEENSD_19counting_iterator_tIlEES8_S8_S8_S8_S8_S8_S8_S8_EEEEPS9_S9_NSD_9__find_if7functorIS9_EEEE10hipError_tPvRmT1_T2_T3_mT4_P12ihipStream_tbEUlT_E1_NS1_11comp_targetILNS1_3genE5ELNS1_11target_archE942ELNS1_3gpuE9ELNS1_3repE0EEENS1_30default_config_static_selectorELNS0_4arch9wavefront6targetE0EEEvS14_
		.amdhsa_group_segment_fixed_size 0
		.amdhsa_private_segment_fixed_size 0
		.amdhsa_kernarg_size 88
		.amdhsa_user_sgpr_count 15
		.amdhsa_user_sgpr_dispatch_ptr 0
		.amdhsa_user_sgpr_queue_ptr 0
		.amdhsa_user_sgpr_kernarg_segment_ptr 1
		.amdhsa_user_sgpr_dispatch_id 0
		.amdhsa_user_sgpr_private_segment_size 0
		.amdhsa_wavefront_size32 1
		.amdhsa_uses_dynamic_stack 0
		.amdhsa_enable_private_segment 0
		.amdhsa_system_sgpr_workgroup_id_x 1
		.amdhsa_system_sgpr_workgroup_id_y 0
		.amdhsa_system_sgpr_workgroup_id_z 0
		.amdhsa_system_sgpr_workgroup_info 0
		.amdhsa_system_vgpr_workitem_id 0
		.amdhsa_next_free_vgpr 1
		.amdhsa_next_free_sgpr 1
		.amdhsa_reserve_vcc 0
		.amdhsa_float_round_mode_32 0
		.amdhsa_float_round_mode_16_64 0
		.amdhsa_float_denorm_mode_32 3
		.amdhsa_float_denorm_mode_16_64 3
		.amdhsa_dx10_clamp 1
		.amdhsa_ieee_mode 1
		.amdhsa_fp16_overflow 0
		.amdhsa_workgroup_processor_mode 1
		.amdhsa_memory_ordered 1
		.amdhsa_forward_progress 0
		.amdhsa_shared_vgpr_count 0
		.amdhsa_exception_fp_ieee_invalid_op 0
		.amdhsa_exception_fp_denorm_src 0
		.amdhsa_exception_fp_ieee_div_zero 0
		.amdhsa_exception_fp_ieee_overflow 0
		.amdhsa_exception_fp_ieee_underflow 0
		.amdhsa_exception_fp_ieee_inexact 0
		.amdhsa_exception_int_div_zero 0
	.end_amdhsa_kernel
	.section	.text._ZN7rocprim17ROCPRIM_400000_NS6detail17trampoline_kernelINS0_14default_configENS1_22reduce_config_selectorIN6thrust23THRUST_200600_302600_NS5tupleIblNS6_9null_typeES8_S8_S8_S8_S8_S8_S8_EEEEZNS1_11reduce_implILb1ES3_NS6_12zip_iteratorINS7_INS6_11hip_rocprim26transform_input_iterator_tIbNSD_35transform_pair_of_input_iterators_tIbNS6_6detail15normal_iteratorINS6_10device_ptrIKiEEEESL_NS6_8equal_toIiEEEENSG_9not_fun_tINSD_8identityEEEEENSD_19counting_iterator_tIlEES8_S8_S8_S8_S8_S8_S8_S8_EEEEPS9_S9_NSD_9__find_if7functorIS9_EEEE10hipError_tPvRmT1_T2_T3_mT4_P12ihipStream_tbEUlT_E1_NS1_11comp_targetILNS1_3genE5ELNS1_11target_archE942ELNS1_3gpuE9ELNS1_3repE0EEENS1_30default_config_static_selectorELNS0_4arch9wavefront6targetE0EEEvS14_,"axG",@progbits,_ZN7rocprim17ROCPRIM_400000_NS6detail17trampoline_kernelINS0_14default_configENS1_22reduce_config_selectorIN6thrust23THRUST_200600_302600_NS5tupleIblNS6_9null_typeES8_S8_S8_S8_S8_S8_S8_EEEEZNS1_11reduce_implILb1ES3_NS6_12zip_iteratorINS7_INS6_11hip_rocprim26transform_input_iterator_tIbNSD_35transform_pair_of_input_iterators_tIbNS6_6detail15normal_iteratorINS6_10device_ptrIKiEEEESL_NS6_8equal_toIiEEEENSG_9not_fun_tINSD_8identityEEEEENSD_19counting_iterator_tIlEES8_S8_S8_S8_S8_S8_S8_S8_EEEEPS9_S9_NSD_9__find_if7functorIS9_EEEE10hipError_tPvRmT1_T2_T3_mT4_P12ihipStream_tbEUlT_E1_NS1_11comp_targetILNS1_3genE5ELNS1_11target_archE942ELNS1_3gpuE9ELNS1_3repE0EEENS1_30default_config_static_selectorELNS0_4arch9wavefront6targetE0EEEvS14_,comdat
.Lfunc_end33:
	.size	_ZN7rocprim17ROCPRIM_400000_NS6detail17trampoline_kernelINS0_14default_configENS1_22reduce_config_selectorIN6thrust23THRUST_200600_302600_NS5tupleIblNS6_9null_typeES8_S8_S8_S8_S8_S8_S8_EEEEZNS1_11reduce_implILb1ES3_NS6_12zip_iteratorINS7_INS6_11hip_rocprim26transform_input_iterator_tIbNSD_35transform_pair_of_input_iterators_tIbNS6_6detail15normal_iteratorINS6_10device_ptrIKiEEEESL_NS6_8equal_toIiEEEENSG_9not_fun_tINSD_8identityEEEEENSD_19counting_iterator_tIlEES8_S8_S8_S8_S8_S8_S8_S8_EEEEPS9_S9_NSD_9__find_if7functorIS9_EEEE10hipError_tPvRmT1_T2_T3_mT4_P12ihipStream_tbEUlT_E1_NS1_11comp_targetILNS1_3genE5ELNS1_11target_archE942ELNS1_3gpuE9ELNS1_3repE0EEENS1_30default_config_static_selectorELNS0_4arch9wavefront6targetE0EEEvS14_, .Lfunc_end33-_ZN7rocprim17ROCPRIM_400000_NS6detail17trampoline_kernelINS0_14default_configENS1_22reduce_config_selectorIN6thrust23THRUST_200600_302600_NS5tupleIblNS6_9null_typeES8_S8_S8_S8_S8_S8_S8_EEEEZNS1_11reduce_implILb1ES3_NS6_12zip_iteratorINS7_INS6_11hip_rocprim26transform_input_iterator_tIbNSD_35transform_pair_of_input_iterators_tIbNS6_6detail15normal_iteratorINS6_10device_ptrIKiEEEESL_NS6_8equal_toIiEEEENSG_9not_fun_tINSD_8identityEEEEENSD_19counting_iterator_tIlEES8_S8_S8_S8_S8_S8_S8_S8_EEEEPS9_S9_NSD_9__find_if7functorIS9_EEEE10hipError_tPvRmT1_T2_T3_mT4_P12ihipStream_tbEUlT_E1_NS1_11comp_targetILNS1_3genE5ELNS1_11target_archE942ELNS1_3gpuE9ELNS1_3repE0EEENS1_30default_config_static_selectorELNS0_4arch9wavefront6targetE0EEEvS14_
                                        ; -- End function
	.section	.AMDGPU.csdata,"",@progbits
; Kernel info:
; codeLenInByte = 0
; NumSgprs: 0
; NumVgprs: 0
; ScratchSize: 0
; MemoryBound: 0
; FloatMode: 240
; IeeeMode: 1
; LDSByteSize: 0 bytes/workgroup (compile time only)
; SGPRBlocks: 0
; VGPRBlocks: 0
; NumSGPRsForWavesPerEU: 1
; NumVGPRsForWavesPerEU: 1
; Occupancy: 16
; WaveLimiterHint : 0
; COMPUTE_PGM_RSRC2:SCRATCH_EN: 0
; COMPUTE_PGM_RSRC2:USER_SGPR: 15
; COMPUTE_PGM_RSRC2:TRAP_HANDLER: 0
; COMPUTE_PGM_RSRC2:TGID_X_EN: 1
; COMPUTE_PGM_RSRC2:TGID_Y_EN: 0
; COMPUTE_PGM_RSRC2:TGID_Z_EN: 0
; COMPUTE_PGM_RSRC2:TIDIG_COMP_CNT: 0
	.section	.text._ZN7rocprim17ROCPRIM_400000_NS6detail17trampoline_kernelINS0_14default_configENS1_22reduce_config_selectorIN6thrust23THRUST_200600_302600_NS5tupleIblNS6_9null_typeES8_S8_S8_S8_S8_S8_S8_EEEEZNS1_11reduce_implILb1ES3_NS6_12zip_iteratorINS7_INS6_11hip_rocprim26transform_input_iterator_tIbNSD_35transform_pair_of_input_iterators_tIbNS6_6detail15normal_iteratorINS6_10device_ptrIKiEEEESL_NS6_8equal_toIiEEEENSG_9not_fun_tINSD_8identityEEEEENSD_19counting_iterator_tIlEES8_S8_S8_S8_S8_S8_S8_S8_EEEEPS9_S9_NSD_9__find_if7functorIS9_EEEE10hipError_tPvRmT1_T2_T3_mT4_P12ihipStream_tbEUlT_E1_NS1_11comp_targetILNS1_3genE4ELNS1_11target_archE910ELNS1_3gpuE8ELNS1_3repE0EEENS1_30default_config_static_selectorELNS0_4arch9wavefront6targetE0EEEvS14_,"axG",@progbits,_ZN7rocprim17ROCPRIM_400000_NS6detail17trampoline_kernelINS0_14default_configENS1_22reduce_config_selectorIN6thrust23THRUST_200600_302600_NS5tupleIblNS6_9null_typeES8_S8_S8_S8_S8_S8_S8_EEEEZNS1_11reduce_implILb1ES3_NS6_12zip_iteratorINS7_INS6_11hip_rocprim26transform_input_iterator_tIbNSD_35transform_pair_of_input_iterators_tIbNS6_6detail15normal_iteratorINS6_10device_ptrIKiEEEESL_NS6_8equal_toIiEEEENSG_9not_fun_tINSD_8identityEEEEENSD_19counting_iterator_tIlEES8_S8_S8_S8_S8_S8_S8_S8_EEEEPS9_S9_NSD_9__find_if7functorIS9_EEEE10hipError_tPvRmT1_T2_T3_mT4_P12ihipStream_tbEUlT_E1_NS1_11comp_targetILNS1_3genE4ELNS1_11target_archE910ELNS1_3gpuE8ELNS1_3repE0EEENS1_30default_config_static_selectorELNS0_4arch9wavefront6targetE0EEEvS14_,comdat
	.protected	_ZN7rocprim17ROCPRIM_400000_NS6detail17trampoline_kernelINS0_14default_configENS1_22reduce_config_selectorIN6thrust23THRUST_200600_302600_NS5tupleIblNS6_9null_typeES8_S8_S8_S8_S8_S8_S8_EEEEZNS1_11reduce_implILb1ES3_NS6_12zip_iteratorINS7_INS6_11hip_rocprim26transform_input_iterator_tIbNSD_35transform_pair_of_input_iterators_tIbNS6_6detail15normal_iteratorINS6_10device_ptrIKiEEEESL_NS6_8equal_toIiEEEENSG_9not_fun_tINSD_8identityEEEEENSD_19counting_iterator_tIlEES8_S8_S8_S8_S8_S8_S8_S8_EEEEPS9_S9_NSD_9__find_if7functorIS9_EEEE10hipError_tPvRmT1_T2_T3_mT4_P12ihipStream_tbEUlT_E1_NS1_11comp_targetILNS1_3genE4ELNS1_11target_archE910ELNS1_3gpuE8ELNS1_3repE0EEENS1_30default_config_static_selectorELNS0_4arch9wavefront6targetE0EEEvS14_ ; -- Begin function _ZN7rocprim17ROCPRIM_400000_NS6detail17trampoline_kernelINS0_14default_configENS1_22reduce_config_selectorIN6thrust23THRUST_200600_302600_NS5tupleIblNS6_9null_typeES8_S8_S8_S8_S8_S8_S8_EEEEZNS1_11reduce_implILb1ES3_NS6_12zip_iteratorINS7_INS6_11hip_rocprim26transform_input_iterator_tIbNSD_35transform_pair_of_input_iterators_tIbNS6_6detail15normal_iteratorINS6_10device_ptrIKiEEEESL_NS6_8equal_toIiEEEENSG_9not_fun_tINSD_8identityEEEEENSD_19counting_iterator_tIlEES8_S8_S8_S8_S8_S8_S8_S8_EEEEPS9_S9_NSD_9__find_if7functorIS9_EEEE10hipError_tPvRmT1_T2_T3_mT4_P12ihipStream_tbEUlT_E1_NS1_11comp_targetILNS1_3genE4ELNS1_11target_archE910ELNS1_3gpuE8ELNS1_3repE0EEENS1_30default_config_static_selectorELNS0_4arch9wavefront6targetE0EEEvS14_
	.globl	_ZN7rocprim17ROCPRIM_400000_NS6detail17trampoline_kernelINS0_14default_configENS1_22reduce_config_selectorIN6thrust23THRUST_200600_302600_NS5tupleIblNS6_9null_typeES8_S8_S8_S8_S8_S8_S8_EEEEZNS1_11reduce_implILb1ES3_NS6_12zip_iteratorINS7_INS6_11hip_rocprim26transform_input_iterator_tIbNSD_35transform_pair_of_input_iterators_tIbNS6_6detail15normal_iteratorINS6_10device_ptrIKiEEEESL_NS6_8equal_toIiEEEENSG_9not_fun_tINSD_8identityEEEEENSD_19counting_iterator_tIlEES8_S8_S8_S8_S8_S8_S8_S8_EEEEPS9_S9_NSD_9__find_if7functorIS9_EEEE10hipError_tPvRmT1_T2_T3_mT4_P12ihipStream_tbEUlT_E1_NS1_11comp_targetILNS1_3genE4ELNS1_11target_archE910ELNS1_3gpuE8ELNS1_3repE0EEENS1_30default_config_static_selectorELNS0_4arch9wavefront6targetE0EEEvS14_
	.p2align	8
	.type	_ZN7rocprim17ROCPRIM_400000_NS6detail17trampoline_kernelINS0_14default_configENS1_22reduce_config_selectorIN6thrust23THRUST_200600_302600_NS5tupleIblNS6_9null_typeES8_S8_S8_S8_S8_S8_S8_EEEEZNS1_11reduce_implILb1ES3_NS6_12zip_iteratorINS7_INS6_11hip_rocprim26transform_input_iterator_tIbNSD_35transform_pair_of_input_iterators_tIbNS6_6detail15normal_iteratorINS6_10device_ptrIKiEEEESL_NS6_8equal_toIiEEEENSG_9not_fun_tINSD_8identityEEEEENSD_19counting_iterator_tIlEES8_S8_S8_S8_S8_S8_S8_S8_EEEEPS9_S9_NSD_9__find_if7functorIS9_EEEE10hipError_tPvRmT1_T2_T3_mT4_P12ihipStream_tbEUlT_E1_NS1_11comp_targetILNS1_3genE4ELNS1_11target_archE910ELNS1_3gpuE8ELNS1_3repE0EEENS1_30default_config_static_selectorELNS0_4arch9wavefront6targetE0EEEvS14_,@function
_ZN7rocprim17ROCPRIM_400000_NS6detail17trampoline_kernelINS0_14default_configENS1_22reduce_config_selectorIN6thrust23THRUST_200600_302600_NS5tupleIblNS6_9null_typeES8_S8_S8_S8_S8_S8_S8_EEEEZNS1_11reduce_implILb1ES3_NS6_12zip_iteratorINS7_INS6_11hip_rocprim26transform_input_iterator_tIbNSD_35transform_pair_of_input_iterators_tIbNS6_6detail15normal_iteratorINS6_10device_ptrIKiEEEESL_NS6_8equal_toIiEEEENSG_9not_fun_tINSD_8identityEEEEENSD_19counting_iterator_tIlEES8_S8_S8_S8_S8_S8_S8_S8_EEEEPS9_S9_NSD_9__find_if7functorIS9_EEEE10hipError_tPvRmT1_T2_T3_mT4_P12ihipStream_tbEUlT_E1_NS1_11comp_targetILNS1_3genE4ELNS1_11target_archE910ELNS1_3gpuE8ELNS1_3repE0EEENS1_30default_config_static_selectorELNS0_4arch9wavefront6targetE0EEEvS14_: ; @_ZN7rocprim17ROCPRIM_400000_NS6detail17trampoline_kernelINS0_14default_configENS1_22reduce_config_selectorIN6thrust23THRUST_200600_302600_NS5tupleIblNS6_9null_typeES8_S8_S8_S8_S8_S8_S8_EEEEZNS1_11reduce_implILb1ES3_NS6_12zip_iteratorINS7_INS6_11hip_rocprim26transform_input_iterator_tIbNSD_35transform_pair_of_input_iterators_tIbNS6_6detail15normal_iteratorINS6_10device_ptrIKiEEEESL_NS6_8equal_toIiEEEENSG_9not_fun_tINSD_8identityEEEEENSD_19counting_iterator_tIlEES8_S8_S8_S8_S8_S8_S8_S8_EEEEPS9_S9_NSD_9__find_if7functorIS9_EEEE10hipError_tPvRmT1_T2_T3_mT4_P12ihipStream_tbEUlT_E1_NS1_11comp_targetILNS1_3genE4ELNS1_11target_archE910ELNS1_3gpuE8ELNS1_3repE0EEENS1_30default_config_static_selectorELNS0_4arch9wavefront6targetE0EEEvS14_
; %bb.0:
	.section	.rodata,"a",@progbits
	.p2align	6, 0x0
	.amdhsa_kernel _ZN7rocprim17ROCPRIM_400000_NS6detail17trampoline_kernelINS0_14default_configENS1_22reduce_config_selectorIN6thrust23THRUST_200600_302600_NS5tupleIblNS6_9null_typeES8_S8_S8_S8_S8_S8_S8_EEEEZNS1_11reduce_implILb1ES3_NS6_12zip_iteratorINS7_INS6_11hip_rocprim26transform_input_iterator_tIbNSD_35transform_pair_of_input_iterators_tIbNS6_6detail15normal_iteratorINS6_10device_ptrIKiEEEESL_NS6_8equal_toIiEEEENSG_9not_fun_tINSD_8identityEEEEENSD_19counting_iterator_tIlEES8_S8_S8_S8_S8_S8_S8_S8_EEEEPS9_S9_NSD_9__find_if7functorIS9_EEEE10hipError_tPvRmT1_T2_T3_mT4_P12ihipStream_tbEUlT_E1_NS1_11comp_targetILNS1_3genE4ELNS1_11target_archE910ELNS1_3gpuE8ELNS1_3repE0EEENS1_30default_config_static_selectorELNS0_4arch9wavefront6targetE0EEEvS14_
		.amdhsa_group_segment_fixed_size 0
		.amdhsa_private_segment_fixed_size 0
		.amdhsa_kernarg_size 88
		.amdhsa_user_sgpr_count 15
		.amdhsa_user_sgpr_dispatch_ptr 0
		.amdhsa_user_sgpr_queue_ptr 0
		.amdhsa_user_sgpr_kernarg_segment_ptr 1
		.amdhsa_user_sgpr_dispatch_id 0
		.amdhsa_user_sgpr_private_segment_size 0
		.amdhsa_wavefront_size32 1
		.amdhsa_uses_dynamic_stack 0
		.amdhsa_enable_private_segment 0
		.amdhsa_system_sgpr_workgroup_id_x 1
		.amdhsa_system_sgpr_workgroup_id_y 0
		.amdhsa_system_sgpr_workgroup_id_z 0
		.amdhsa_system_sgpr_workgroup_info 0
		.amdhsa_system_vgpr_workitem_id 0
		.amdhsa_next_free_vgpr 1
		.amdhsa_next_free_sgpr 1
		.amdhsa_reserve_vcc 0
		.amdhsa_float_round_mode_32 0
		.amdhsa_float_round_mode_16_64 0
		.amdhsa_float_denorm_mode_32 3
		.amdhsa_float_denorm_mode_16_64 3
		.amdhsa_dx10_clamp 1
		.amdhsa_ieee_mode 1
		.amdhsa_fp16_overflow 0
		.amdhsa_workgroup_processor_mode 1
		.amdhsa_memory_ordered 1
		.amdhsa_forward_progress 0
		.amdhsa_shared_vgpr_count 0
		.amdhsa_exception_fp_ieee_invalid_op 0
		.amdhsa_exception_fp_denorm_src 0
		.amdhsa_exception_fp_ieee_div_zero 0
		.amdhsa_exception_fp_ieee_overflow 0
		.amdhsa_exception_fp_ieee_underflow 0
		.amdhsa_exception_fp_ieee_inexact 0
		.amdhsa_exception_int_div_zero 0
	.end_amdhsa_kernel
	.section	.text._ZN7rocprim17ROCPRIM_400000_NS6detail17trampoline_kernelINS0_14default_configENS1_22reduce_config_selectorIN6thrust23THRUST_200600_302600_NS5tupleIblNS6_9null_typeES8_S8_S8_S8_S8_S8_S8_EEEEZNS1_11reduce_implILb1ES3_NS6_12zip_iteratorINS7_INS6_11hip_rocprim26transform_input_iterator_tIbNSD_35transform_pair_of_input_iterators_tIbNS6_6detail15normal_iteratorINS6_10device_ptrIKiEEEESL_NS6_8equal_toIiEEEENSG_9not_fun_tINSD_8identityEEEEENSD_19counting_iterator_tIlEES8_S8_S8_S8_S8_S8_S8_S8_EEEEPS9_S9_NSD_9__find_if7functorIS9_EEEE10hipError_tPvRmT1_T2_T3_mT4_P12ihipStream_tbEUlT_E1_NS1_11comp_targetILNS1_3genE4ELNS1_11target_archE910ELNS1_3gpuE8ELNS1_3repE0EEENS1_30default_config_static_selectorELNS0_4arch9wavefront6targetE0EEEvS14_,"axG",@progbits,_ZN7rocprim17ROCPRIM_400000_NS6detail17trampoline_kernelINS0_14default_configENS1_22reduce_config_selectorIN6thrust23THRUST_200600_302600_NS5tupleIblNS6_9null_typeES8_S8_S8_S8_S8_S8_S8_EEEEZNS1_11reduce_implILb1ES3_NS6_12zip_iteratorINS7_INS6_11hip_rocprim26transform_input_iterator_tIbNSD_35transform_pair_of_input_iterators_tIbNS6_6detail15normal_iteratorINS6_10device_ptrIKiEEEESL_NS6_8equal_toIiEEEENSG_9not_fun_tINSD_8identityEEEEENSD_19counting_iterator_tIlEES8_S8_S8_S8_S8_S8_S8_S8_EEEEPS9_S9_NSD_9__find_if7functorIS9_EEEE10hipError_tPvRmT1_T2_T3_mT4_P12ihipStream_tbEUlT_E1_NS1_11comp_targetILNS1_3genE4ELNS1_11target_archE910ELNS1_3gpuE8ELNS1_3repE0EEENS1_30default_config_static_selectorELNS0_4arch9wavefront6targetE0EEEvS14_,comdat
.Lfunc_end34:
	.size	_ZN7rocprim17ROCPRIM_400000_NS6detail17trampoline_kernelINS0_14default_configENS1_22reduce_config_selectorIN6thrust23THRUST_200600_302600_NS5tupleIblNS6_9null_typeES8_S8_S8_S8_S8_S8_S8_EEEEZNS1_11reduce_implILb1ES3_NS6_12zip_iteratorINS7_INS6_11hip_rocprim26transform_input_iterator_tIbNSD_35transform_pair_of_input_iterators_tIbNS6_6detail15normal_iteratorINS6_10device_ptrIKiEEEESL_NS6_8equal_toIiEEEENSG_9not_fun_tINSD_8identityEEEEENSD_19counting_iterator_tIlEES8_S8_S8_S8_S8_S8_S8_S8_EEEEPS9_S9_NSD_9__find_if7functorIS9_EEEE10hipError_tPvRmT1_T2_T3_mT4_P12ihipStream_tbEUlT_E1_NS1_11comp_targetILNS1_3genE4ELNS1_11target_archE910ELNS1_3gpuE8ELNS1_3repE0EEENS1_30default_config_static_selectorELNS0_4arch9wavefront6targetE0EEEvS14_, .Lfunc_end34-_ZN7rocprim17ROCPRIM_400000_NS6detail17trampoline_kernelINS0_14default_configENS1_22reduce_config_selectorIN6thrust23THRUST_200600_302600_NS5tupleIblNS6_9null_typeES8_S8_S8_S8_S8_S8_S8_EEEEZNS1_11reduce_implILb1ES3_NS6_12zip_iteratorINS7_INS6_11hip_rocprim26transform_input_iterator_tIbNSD_35transform_pair_of_input_iterators_tIbNS6_6detail15normal_iteratorINS6_10device_ptrIKiEEEESL_NS6_8equal_toIiEEEENSG_9not_fun_tINSD_8identityEEEEENSD_19counting_iterator_tIlEES8_S8_S8_S8_S8_S8_S8_S8_EEEEPS9_S9_NSD_9__find_if7functorIS9_EEEE10hipError_tPvRmT1_T2_T3_mT4_P12ihipStream_tbEUlT_E1_NS1_11comp_targetILNS1_3genE4ELNS1_11target_archE910ELNS1_3gpuE8ELNS1_3repE0EEENS1_30default_config_static_selectorELNS0_4arch9wavefront6targetE0EEEvS14_
                                        ; -- End function
	.section	.AMDGPU.csdata,"",@progbits
; Kernel info:
; codeLenInByte = 0
; NumSgprs: 0
; NumVgprs: 0
; ScratchSize: 0
; MemoryBound: 0
; FloatMode: 240
; IeeeMode: 1
; LDSByteSize: 0 bytes/workgroup (compile time only)
; SGPRBlocks: 0
; VGPRBlocks: 0
; NumSGPRsForWavesPerEU: 1
; NumVGPRsForWavesPerEU: 1
; Occupancy: 16
; WaveLimiterHint : 0
; COMPUTE_PGM_RSRC2:SCRATCH_EN: 0
; COMPUTE_PGM_RSRC2:USER_SGPR: 15
; COMPUTE_PGM_RSRC2:TRAP_HANDLER: 0
; COMPUTE_PGM_RSRC2:TGID_X_EN: 1
; COMPUTE_PGM_RSRC2:TGID_Y_EN: 0
; COMPUTE_PGM_RSRC2:TGID_Z_EN: 0
; COMPUTE_PGM_RSRC2:TIDIG_COMP_CNT: 0
	.section	.text._ZN7rocprim17ROCPRIM_400000_NS6detail17trampoline_kernelINS0_14default_configENS1_22reduce_config_selectorIN6thrust23THRUST_200600_302600_NS5tupleIblNS6_9null_typeES8_S8_S8_S8_S8_S8_S8_EEEEZNS1_11reduce_implILb1ES3_NS6_12zip_iteratorINS7_INS6_11hip_rocprim26transform_input_iterator_tIbNSD_35transform_pair_of_input_iterators_tIbNS6_6detail15normal_iteratorINS6_10device_ptrIKiEEEESL_NS6_8equal_toIiEEEENSG_9not_fun_tINSD_8identityEEEEENSD_19counting_iterator_tIlEES8_S8_S8_S8_S8_S8_S8_S8_EEEEPS9_S9_NSD_9__find_if7functorIS9_EEEE10hipError_tPvRmT1_T2_T3_mT4_P12ihipStream_tbEUlT_E1_NS1_11comp_targetILNS1_3genE3ELNS1_11target_archE908ELNS1_3gpuE7ELNS1_3repE0EEENS1_30default_config_static_selectorELNS0_4arch9wavefront6targetE0EEEvS14_,"axG",@progbits,_ZN7rocprim17ROCPRIM_400000_NS6detail17trampoline_kernelINS0_14default_configENS1_22reduce_config_selectorIN6thrust23THRUST_200600_302600_NS5tupleIblNS6_9null_typeES8_S8_S8_S8_S8_S8_S8_EEEEZNS1_11reduce_implILb1ES3_NS6_12zip_iteratorINS7_INS6_11hip_rocprim26transform_input_iterator_tIbNSD_35transform_pair_of_input_iterators_tIbNS6_6detail15normal_iteratorINS6_10device_ptrIKiEEEESL_NS6_8equal_toIiEEEENSG_9not_fun_tINSD_8identityEEEEENSD_19counting_iterator_tIlEES8_S8_S8_S8_S8_S8_S8_S8_EEEEPS9_S9_NSD_9__find_if7functorIS9_EEEE10hipError_tPvRmT1_T2_T3_mT4_P12ihipStream_tbEUlT_E1_NS1_11comp_targetILNS1_3genE3ELNS1_11target_archE908ELNS1_3gpuE7ELNS1_3repE0EEENS1_30default_config_static_selectorELNS0_4arch9wavefront6targetE0EEEvS14_,comdat
	.protected	_ZN7rocprim17ROCPRIM_400000_NS6detail17trampoline_kernelINS0_14default_configENS1_22reduce_config_selectorIN6thrust23THRUST_200600_302600_NS5tupleIblNS6_9null_typeES8_S8_S8_S8_S8_S8_S8_EEEEZNS1_11reduce_implILb1ES3_NS6_12zip_iteratorINS7_INS6_11hip_rocprim26transform_input_iterator_tIbNSD_35transform_pair_of_input_iterators_tIbNS6_6detail15normal_iteratorINS6_10device_ptrIKiEEEESL_NS6_8equal_toIiEEEENSG_9not_fun_tINSD_8identityEEEEENSD_19counting_iterator_tIlEES8_S8_S8_S8_S8_S8_S8_S8_EEEEPS9_S9_NSD_9__find_if7functorIS9_EEEE10hipError_tPvRmT1_T2_T3_mT4_P12ihipStream_tbEUlT_E1_NS1_11comp_targetILNS1_3genE3ELNS1_11target_archE908ELNS1_3gpuE7ELNS1_3repE0EEENS1_30default_config_static_selectorELNS0_4arch9wavefront6targetE0EEEvS14_ ; -- Begin function _ZN7rocprim17ROCPRIM_400000_NS6detail17trampoline_kernelINS0_14default_configENS1_22reduce_config_selectorIN6thrust23THRUST_200600_302600_NS5tupleIblNS6_9null_typeES8_S8_S8_S8_S8_S8_S8_EEEEZNS1_11reduce_implILb1ES3_NS6_12zip_iteratorINS7_INS6_11hip_rocprim26transform_input_iterator_tIbNSD_35transform_pair_of_input_iterators_tIbNS6_6detail15normal_iteratorINS6_10device_ptrIKiEEEESL_NS6_8equal_toIiEEEENSG_9not_fun_tINSD_8identityEEEEENSD_19counting_iterator_tIlEES8_S8_S8_S8_S8_S8_S8_S8_EEEEPS9_S9_NSD_9__find_if7functorIS9_EEEE10hipError_tPvRmT1_T2_T3_mT4_P12ihipStream_tbEUlT_E1_NS1_11comp_targetILNS1_3genE3ELNS1_11target_archE908ELNS1_3gpuE7ELNS1_3repE0EEENS1_30default_config_static_selectorELNS0_4arch9wavefront6targetE0EEEvS14_
	.globl	_ZN7rocprim17ROCPRIM_400000_NS6detail17trampoline_kernelINS0_14default_configENS1_22reduce_config_selectorIN6thrust23THRUST_200600_302600_NS5tupleIblNS6_9null_typeES8_S8_S8_S8_S8_S8_S8_EEEEZNS1_11reduce_implILb1ES3_NS6_12zip_iteratorINS7_INS6_11hip_rocprim26transform_input_iterator_tIbNSD_35transform_pair_of_input_iterators_tIbNS6_6detail15normal_iteratorINS6_10device_ptrIKiEEEESL_NS6_8equal_toIiEEEENSG_9not_fun_tINSD_8identityEEEEENSD_19counting_iterator_tIlEES8_S8_S8_S8_S8_S8_S8_S8_EEEEPS9_S9_NSD_9__find_if7functorIS9_EEEE10hipError_tPvRmT1_T2_T3_mT4_P12ihipStream_tbEUlT_E1_NS1_11comp_targetILNS1_3genE3ELNS1_11target_archE908ELNS1_3gpuE7ELNS1_3repE0EEENS1_30default_config_static_selectorELNS0_4arch9wavefront6targetE0EEEvS14_
	.p2align	8
	.type	_ZN7rocprim17ROCPRIM_400000_NS6detail17trampoline_kernelINS0_14default_configENS1_22reduce_config_selectorIN6thrust23THRUST_200600_302600_NS5tupleIblNS6_9null_typeES8_S8_S8_S8_S8_S8_S8_EEEEZNS1_11reduce_implILb1ES3_NS6_12zip_iteratorINS7_INS6_11hip_rocprim26transform_input_iterator_tIbNSD_35transform_pair_of_input_iterators_tIbNS6_6detail15normal_iteratorINS6_10device_ptrIKiEEEESL_NS6_8equal_toIiEEEENSG_9not_fun_tINSD_8identityEEEEENSD_19counting_iterator_tIlEES8_S8_S8_S8_S8_S8_S8_S8_EEEEPS9_S9_NSD_9__find_if7functorIS9_EEEE10hipError_tPvRmT1_T2_T3_mT4_P12ihipStream_tbEUlT_E1_NS1_11comp_targetILNS1_3genE3ELNS1_11target_archE908ELNS1_3gpuE7ELNS1_3repE0EEENS1_30default_config_static_selectorELNS0_4arch9wavefront6targetE0EEEvS14_,@function
_ZN7rocprim17ROCPRIM_400000_NS6detail17trampoline_kernelINS0_14default_configENS1_22reduce_config_selectorIN6thrust23THRUST_200600_302600_NS5tupleIblNS6_9null_typeES8_S8_S8_S8_S8_S8_S8_EEEEZNS1_11reduce_implILb1ES3_NS6_12zip_iteratorINS7_INS6_11hip_rocprim26transform_input_iterator_tIbNSD_35transform_pair_of_input_iterators_tIbNS6_6detail15normal_iteratorINS6_10device_ptrIKiEEEESL_NS6_8equal_toIiEEEENSG_9not_fun_tINSD_8identityEEEEENSD_19counting_iterator_tIlEES8_S8_S8_S8_S8_S8_S8_S8_EEEEPS9_S9_NSD_9__find_if7functorIS9_EEEE10hipError_tPvRmT1_T2_T3_mT4_P12ihipStream_tbEUlT_E1_NS1_11comp_targetILNS1_3genE3ELNS1_11target_archE908ELNS1_3gpuE7ELNS1_3repE0EEENS1_30default_config_static_selectorELNS0_4arch9wavefront6targetE0EEEvS14_: ; @_ZN7rocprim17ROCPRIM_400000_NS6detail17trampoline_kernelINS0_14default_configENS1_22reduce_config_selectorIN6thrust23THRUST_200600_302600_NS5tupleIblNS6_9null_typeES8_S8_S8_S8_S8_S8_S8_EEEEZNS1_11reduce_implILb1ES3_NS6_12zip_iteratorINS7_INS6_11hip_rocprim26transform_input_iterator_tIbNSD_35transform_pair_of_input_iterators_tIbNS6_6detail15normal_iteratorINS6_10device_ptrIKiEEEESL_NS6_8equal_toIiEEEENSG_9not_fun_tINSD_8identityEEEEENSD_19counting_iterator_tIlEES8_S8_S8_S8_S8_S8_S8_S8_EEEEPS9_S9_NSD_9__find_if7functorIS9_EEEE10hipError_tPvRmT1_T2_T3_mT4_P12ihipStream_tbEUlT_E1_NS1_11comp_targetILNS1_3genE3ELNS1_11target_archE908ELNS1_3gpuE7ELNS1_3repE0EEENS1_30default_config_static_selectorELNS0_4arch9wavefront6targetE0EEEvS14_
; %bb.0:
	.section	.rodata,"a",@progbits
	.p2align	6, 0x0
	.amdhsa_kernel _ZN7rocprim17ROCPRIM_400000_NS6detail17trampoline_kernelINS0_14default_configENS1_22reduce_config_selectorIN6thrust23THRUST_200600_302600_NS5tupleIblNS6_9null_typeES8_S8_S8_S8_S8_S8_S8_EEEEZNS1_11reduce_implILb1ES3_NS6_12zip_iteratorINS7_INS6_11hip_rocprim26transform_input_iterator_tIbNSD_35transform_pair_of_input_iterators_tIbNS6_6detail15normal_iteratorINS6_10device_ptrIKiEEEESL_NS6_8equal_toIiEEEENSG_9not_fun_tINSD_8identityEEEEENSD_19counting_iterator_tIlEES8_S8_S8_S8_S8_S8_S8_S8_EEEEPS9_S9_NSD_9__find_if7functorIS9_EEEE10hipError_tPvRmT1_T2_T3_mT4_P12ihipStream_tbEUlT_E1_NS1_11comp_targetILNS1_3genE3ELNS1_11target_archE908ELNS1_3gpuE7ELNS1_3repE0EEENS1_30default_config_static_selectorELNS0_4arch9wavefront6targetE0EEEvS14_
		.amdhsa_group_segment_fixed_size 0
		.amdhsa_private_segment_fixed_size 0
		.amdhsa_kernarg_size 88
		.amdhsa_user_sgpr_count 15
		.amdhsa_user_sgpr_dispatch_ptr 0
		.amdhsa_user_sgpr_queue_ptr 0
		.amdhsa_user_sgpr_kernarg_segment_ptr 1
		.amdhsa_user_sgpr_dispatch_id 0
		.amdhsa_user_sgpr_private_segment_size 0
		.amdhsa_wavefront_size32 1
		.amdhsa_uses_dynamic_stack 0
		.amdhsa_enable_private_segment 0
		.amdhsa_system_sgpr_workgroup_id_x 1
		.amdhsa_system_sgpr_workgroup_id_y 0
		.amdhsa_system_sgpr_workgroup_id_z 0
		.amdhsa_system_sgpr_workgroup_info 0
		.amdhsa_system_vgpr_workitem_id 0
		.amdhsa_next_free_vgpr 1
		.amdhsa_next_free_sgpr 1
		.amdhsa_reserve_vcc 0
		.amdhsa_float_round_mode_32 0
		.amdhsa_float_round_mode_16_64 0
		.amdhsa_float_denorm_mode_32 3
		.amdhsa_float_denorm_mode_16_64 3
		.amdhsa_dx10_clamp 1
		.amdhsa_ieee_mode 1
		.amdhsa_fp16_overflow 0
		.amdhsa_workgroup_processor_mode 1
		.amdhsa_memory_ordered 1
		.amdhsa_forward_progress 0
		.amdhsa_shared_vgpr_count 0
		.amdhsa_exception_fp_ieee_invalid_op 0
		.amdhsa_exception_fp_denorm_src 0
		.amdhsa_exception_fp_ieee_div_zero 0
		.amdhsa_exception_fp_ieee_overflow 0
		.amdhsa_exception_fp_ieee_underflow 0
		.amdhsa_exception_fp_ieee_inexact 0
		.amdhsa_exception_int_div_zero 0
	.end_amdhsa_kernel
	.section	.text._ZN7rocprim17ROCPRIM_400000_NS6detail17trampoline_kernelINS0_14default_configENS1_22reduce_config_selectorIN6thrust23THRUST_200600_302600_NS5tupleIblNS6_9null_typeES8_S8_S8_S8_S8_S8_S8_EEEEZNS1_11reduce_implILb1ES3_NS6_12zip_iteratorINS7_INS6_11hip_rocprim26transform_input_iterator_tIbNSD_35transform_pair_of_input_iterators_tIbNS6_6detail15normal_iteratorINS6_10device_ptrIKiEEEESL_NS6_8equal_toIiEEEENSG_9not_fun_tINSD_8identityEEEEENSD_19counting_iterator_tIlEES8_S8_S8_S8_S8_S8_S8_S8_EEEEPS9_S9_NSD_9__find_if7functorIS9_EEEE10hipError_tPvRmT1_T2_T3_mT4_P12ihipStream_tbEUlT_E1_NS1_11comp_targetILNS1_3genE3ELNS1_11target_archE908ELNS1_3gpuE7ELNS1_3repE0EEENS1_30default_config_static_selectorELNS0_4arch9wavefront6targetE0EEEvS14_,"axG",@progbits,_ZN7rocprim17ROCPRIM_400000_NS6detail17trampoline_kernelINS0_14default_configENS1_22reduce_config_selectorIN6thrust23THRUST_200600_302600_NS5tupleIblNS6_9null_typeES8_S8_S8_S8_S8_S8_S8_EEEEZNS1_11reduce_implILb1ES3_NS6_12zip_iteratorINS7_INS6_11hip_rocprim26transform_input_iterator_tIbNSD_35transform_pair_of_input_iterators_tIbNS6_6detail15normal_iteratorINS6_10device_ptrIKiEEEESL_NS6_8equal_toIiEEEENSG_9not_fun_tINSD_8identityEEEEENSD_19counting_iterator_tIlEES8_S8_S8_S8_S8_S8_S8_S8_EEEEPS9_S9_NSD_9__find_if7functorIS9_EEEE10hipError_tPvRmT1_T2_T3_mT4_P12ihipStream_tbEUlT_E1_NS1_11comp_targetILNS1_3genE3ELNS1_11target_archE908ELNS1_3gpuE7ELNS1_3repE0EEENS1_30default_config_static_selectorELNS0_4arch9wavefront6targetE0EEEvS14_,comdat
.Lfunc_end35:
	.size	_ZN7rocprim17ROCPRIM_400000_NS6detail17trampoline_kernelINS0_14default_configENS1_22reduce_config_selectorIN6thrust23THRUST_200600_302600_NS5tupleIblNS6_9null_typeES8_S8_S8_S8_S8_S8_S8_EEEEZNS1_11reduce_implILb1ES3_NS6_12zip_iteratorINS7_INS6_11hip_rocprim26transform_input_iterator_tIbNSD_35transform_pair_of_input_iterators_tIbNS6_6detail15normal_iteratorINS6_10device_ptrIKiEEEESL_NS6_8equal_toIiEEEENSG_9not_fun_tINSD_8identityEEEEENSD_19counting_iterator_tIlEES8_S8_S8_S8_S8_S8_S8_S8_EEEEPS9_S9_NSD_9__find_if7functorIS9_EEEE10hipError_tPvRmT1_T2_T3_mT4_P12ihipStream_tbEUlT_E1_NS1_11comp_targetILNS1_3genE3ELNS1_11target_archE908ELNS1_3gpuE7ELNS1_3repE0EEENS1_30default_config_static_selectorELNS0_4arch9wavefront6targetE0EEEvS14_, .Lfunc_end35-_ZN7rocprim17ROCPRIM_400000_NS6detail17trampoline_kernelINS0_14default_configENS1_22reduce_config_selectorIN6thrust23THRUST_200600_302600_NS5tupleIblNS6_9null_typeES8_S8_S8_S8_S8_S8_S8_EEEEZNS1_11reduce_implILb1ES3_NS6_12zip_iteratorINS7_INS6_11hip_rocprim26transform_input_iterator_tIbNSD_35transform_pair_of_input_iterators_tIbNS6_6detail15normal_iteratorINS6_10device_ptrIKiEEEESL_NS6_8equal_toIiEEEENSG_9not_fun_tINSD_8identityEEEEENSD_19counting_iterator_tIlEES8_S8_S8_S8_S8_S8_S8_S8_EEEEPS9_S9_NSD_9__find_if7functorIS9_EEEE10hipError_tPvRmT1_T2_T3_mT4_P12ihipStream_tbEUlT_E1_NS1_11comp_targetILNS1_3genE3ELNS1_11target_archE908ELNS1_3gpuE7ELNS1_3repE0EEENS1_30default_config_static_selectorELNS0_4arch9wavefront6targetE0EEEvS14_
                                        ; -- End function
	.section	.AMDGPU.csdata,"",@progbits
; Kernel info:
; codeLenInByte = 0
; NumSgprs: 0
; NumVgprs: 0
; ScratchSize: 0
; MemoryBound: 0
; FloatMode: 240
; IeeeMode: 1
; LDSByteSize: 0 bytes/workgroup (compile time only)
; SGPRBlocks: 0
; VGPRBlocks: 0
; NumSGPRsForWavesPerEU: 1
; NumVGPRsForWavesPerEU: 1
; Occupancy: 16
; WaveLimiterHint : 0
; COMPUTE_PGM_RSRC2:SCRATCH_EN: 0
; COMPUTE_PGM_RSRC2:USER_SGPR: 15
; COMPUTE_PGM_RSRC2:TRAP_HANDLER: 0
; COMPUTE_PGM_RSRC2:TGID_X_EN: 1
; COMPUTE_PGM_RSRC2:TGID_Y_EN: 0
; COMPUTE_PGM_RSRC2:TGID_Z_EN: 0
; COMPUTE_PGM_RSRC2:TIDIG_COMP_CNT: 0
	.section	.text._ZN7rocprim17ROCPRIM_400000_NS6detail17trampoline_kernelINS0_14default_configENS1_22reduce_config_selectorIN6thrust23THRUST_200600_302600_NS5tupleIblNS6_9null_typeES8_S8_S8_S8_S8_S8_S8_EEEEZNS1_11reduce_implILb1ES3_NS6_12zip_iteratorINS7_INS6_11hip_rocprim26transform_input_iterator_tIbNSD_35transform_pair_of_input_iterators_tIbNS6_6detail15normal_iteratorINS6_10device_ptrIKiEEEESL_NS6_8equal_toIiEEEENSG_9not_fun_tINSD_8identityEEEEENSD_19counting_iterator_tIlEES8_S8_S8_S8_S8_S8_S8_S8_EEEEPS9_S9_NSD_9__find_if7functorIS9_EEEE10hipError_tPvRmT1_T2_T3_mT4_P12ihipStream_tbEUlT_E1_NS1_11comp_targetILNS1_3genE2ELNS1_11target_archE906ELNS1_3gpuE6ELNS1_3repE0EEENS1_30default_config_static_selectorELNS0_4arch9wavefront6targetE0EEEvS14_,"axG",@progbits,_ZN7rocprim17ROCPRIM_400000_NS6detail17trampoline_kernelINS0_14default_configENS1_22reduce_config_selectorIN6thrust23THRUST_200600_302600_NS5tupleIblNS6_9null_typeES8_S8_S8_S8_S8_S8_S8_EEEEZNS1_11reduce_implILb1ES3_NS6_12zip_iteratorINS7_INS6_11hip_rocprim26transform_input_iterator_tIbNSD_35transform_pair_of_input_iterators_tIbNS6_6detail15normal_iteratorINS6_10device_ptrIKiEEEESL_NS6_8equal_toIiEEEENSG_9not_fun_tINSD_8identityEEEEENSD_19counting_iterator_tIlEES8_S8_S8_S8_S8_S8_S8_S8_EEEEPS9_S9_NSD_9__find_if7functorIS9_EEEE10hipError_tPvRmT1_T2_T3_mT4_P12ihipStream_tbEUlT_E1_NS1_11comp_targetILNS1_3genE2ELNS1_11target_archE906ELNS1_3gpuE6ELNS1_3repE0EEENS1_30default_config_static_selectorELNS0_4arch9wavefront6targetE0EEEvS14_,comdat
	.protected	_ZN7rocprim17ROCPRIM_400000_NS6detail17trampoline_kernelINS0_14default_configENS1_22reduce_config_selectorIN6thrust23THRUST_200600_302600_NS5tupleIblNS6_9null_typeES8_S8_S8_S8_S8_S8_S8_EEEEZNS1_11reduce_implILb1ES3_NS6_12zip_iteratorINS7_INS6_11hip_rocprim26transform_input_iterator_tIbNSD_35transform_pair_of_input_iterators_tIbNS6_6detail15normal_iteratorINS6_10device_ptrIKiEEEESL_NS6_8equal_toIiEEEENSG_9not_fun_tINSD_8identityEEEEENSD_19counting_iterator_tIlEES8_S8_S8_S8_S8_S8_S8_S8_EEEEPS9_S9_NSD_9__find_if7functorIS9_EEEE10hipError_tPvRmT1_T2_T3_mT4_P12ihipStream_tbEUlT_E1_NS1_11comp_targetILNS1_3genE2ELNS1_11target_archE906ELNS1_3gpuE6ELNS1_3repE0EEENS1_30default_config_static_selectorELNS0_4arch9wavefront6targetE0EEEvS14_ ; -- Begin function _ZN7rocprim17ROCPRIM_400000_NS6detail17trampoline_kernelINS0_14default_configENS1_22reduce_config_selectorIN6thrust23THRUST_200600_302600_NS5tupleIblNS6_9null_typeES8_S8_S8_S8_S8_S8_S8_EEEEZNS1_11reduce_implILb1ES3_NS6_12zip_iteratorINS7_INS6_11hip_rocprim26transform_input_iterator_tIbNSD_35transform_pair_of_input_iterators_tIbNS6_6detail15normal_iteratorINS6_10device_ptrIKiEEEESL_NS6_8equal_toIiEEEENSG_9not_fun_tINSD_8identityEEEEENSD_19counting_iterator_tIlEES8_S8_S8_S8_S8_S8_S8_S8_EEEEPS9_S9_NSD_9__find_if7functorIS9_EEEE10hipError_tPvRmT1_T2_T3_mT4_P12ihipStream_tbEUlT_E1_NS1_11comp_targetILNS1_3genE2ELNS1_11target_archE906ELNS1_3gpuE6ELNS1_3repE0EEENS1_30default_config_static_selectorELNS0_4arch9wavefront6targetE0EEEvS14_
	.globl	_ZN7rocprim17ROCPRIM_400000_NS6detail17trampoline_kernelINS0_14default_configENS1_22reduce_config_selectorIN6thrust23THRUST_200600_302600_NS5tupleIblNS6_9null_typeES8_S8_S8_S8_S8_S8_S8_EEEEZNS1_11reduce_implILb1ES3_NS6_12zip_iteratorINS7_INS6_11hip_rocprim26transform_input_iterator_tIbNSD_35transform_pair_of_input_iterators_tIbNS6_6detail15normal_iteratorINS6_10device_ptrIKiEEEESL_NS6_8equal_toIiEEEENSG_9not_fun_tINSD_8identityEEEEENSD_19counting_iterator_tIlEES8_S8_S8_S8_S8_S8_S8_S8_EEEEPS9_S9_NSD_9__find_if7functorIS9_EEEE10hipError_tPvRmT1_T2_T3_mT4_P12ihipStream_tbEUlT_E1_NS1_11comp_targetILNS1_3genE2ELNS1_11target_archE906ELNS1_3gpuE6ELNS1_3repE0EEENS1_30default_config_static_selectorELNS0_4arch9wavefront6targetE0EEEvS14_
	.p2align	8
	.type	_ZN7rocprim17ROCPRIM_400000_NS6detail17trampoline_kernelINS0_14default_configENS1_22reduce_config_selectorIN6thrust23THRUST_200600_302600_NS5tupleIblNS6_9null_typeES8_S8_S8_S8_S8_S8_S8_EEEEZNS1_11reduce_implILb1ES3_NS6_12zip_iteratorINS7_INS6_11hip_rocprim26transform_input_iterator_tIbNSD_35transform_pair_of_input_iterators_tIbNS6_6detail15normal_iteratorINS6_10device_ptrIKiEEEESL_NS6_8equal_toIiEEEENSG_9not_fun_tINSD_8identityEEEEENSD_19counting_iterator_tIlEES8_S8_S8_S8_S8_S8_S8_S8_EEEEPS9_S9_NSD_9__find_if7functorIS9_EEEE10hipError_tPvRmT1_T2_T3_mT4_P12ihipStream_tbEUlT_E1_NS1_11comp_targetILNS1_3genE2ELNS1_11target_archE906ELNS1_3gpuE6ELNS1_3repE0EEENS1_30default_config_static_selectorELNS0_4arch9wavefront6targetE0EEEvS14_,@function
_ZN7rocprim17ROCPRIM_400000_NS6detail17trampoline_kernelINS0_14default_configENS1_22reduce_config_selectorIN6thrust23THRUST_200600_302600_NS5tupleIblNS6_9null_typeES8_S8_S8_S8_S8_S8_S8_EEEEZNS1_11reduce_implILb1ES3_NS6_12zip_iteratorINS7_INS6_11hip_rocprim26transform_input_iterator_tIbNSD_35transform_pair_of_input_iterators_tIbNS6_6detail15normal_iteratorINS6_10device_ptrIKiEEEESL_NS6_8equal_toIiEEEENSG_9not_fun_tINSD_8identityEEEEENSD_19counting_iterator_tIlEES8_S8_S8_S8_S8_S8_S8_S8_EEEEPS9_S9_NSD_9__find_if7functorIS9_EEEE10hipError_tPvRmT1_T2_T3_mT4_P12ihipStream_tbEUlT_E1_NS1_11comp_targetILNS1_3genE2ELNS1_11target_archE906ELNS1_3gpuE6ELNS1_3repE0EEENS1_30default_config_static_selectorELNS0_4arch9wavefront6targetE0EEEvS14_: ; @_ZN7rocprim17ROCPRIM_400000_NS6detail17trampoline_kernelINS0_14default_configENS1_22reduce_config_selectorIN6thrust23THRUST_200600_302600_NS5tupleIblNS6_9null_typeES8_S8_S8_S8_S8_S8_S8_EEEEZNS1_11reduce_implILb1ES3_NS6_12zip_iteratorINS7_INS6_11hip_rocprim26transform_input_iterator_tIbNSD_35transform_pair_of_input_iterators_tIbNS6_6detail15normal_iteratorINS6_10device_ptrIKiEEEESL_NS6_8equal_toIiEEEENSG_9not_fun_tINSD_8identityEEEEENSD_19counting_iterator_tIlEES8_S8_S8_S8_S8_S8_S8_S8_EEEEPS9_S9_NSD_9__find_if7functorIS9_EEEE10hipError_tPvRmT1_T2_T3_mT4_P12ihipStream_tbEUlT_E1_NS1_11comp_targetILNS1_3genE2ELNS1_11target_archE906ELNS1_3gpuE6ELNS1_3repE0EEENS1_30default_config_static_selectorELNS0_4arch9wavefront6targetE0EEEvS14_
; %bb.0:
	.section	.rodata,"a",@progbits
	.p2align	6, 0x0
	.amdhsa_kernel _ZN7rocprim17ROCPRIM_400000_NS6detail17trampoline_kernelINS0_14default_configENS1_22reduce_config_selectorIN6thrust23THRUST_200600_302600_NS5tupleIblNS6_9null_typeES8_S8_S8_S8_S8_S8_S8_EEEEZNS1_11reduce_implILb1ES3_NS6_12zip_iteratorINS7_INS6_11hip_rocprim26transform_input_iterator_tIbNSD_35transform_pair_of_input_iterators_tIbNS6_6detail15normal_iteratorINS6_10device_ptrIKiEEEESL_NS6_8equal_toIiEEEENSG_9not_fun_tINSD_8identityEEEEENSD_19counting_iterator_tIlEES8_S8_S8_S8_S8_S8_S8_S8_EEEEPS9_S9_NSD_9__find_if7functorIS9_EEEE10hipError_tPvRmT1_T2_T3_mT4_P12ihipStream_tbEUlT_E1_NS1_11comp_targetILNS1_3genE2ELNS1_11target_archE906ELNS1_3gpuE6ELNS1_3repE0EEENS1_30default_config_static_selectorELNS0_4arch9wavefront6targetE0EEEvS14_
		.amdhsa_group_segment_fixed_size 0
		.amdhsa_private_segment_fixed_size 0
		.amdhsa_kernarg_size 88
		.amdhsa_user_sgpr_count 15
		.amdhsa_user_sgpr_dispatch_ptr 0
		.amdhsa_user_sgpr_queue_ptr 0
		.amdhsa_user_sgpr_kernarg_segment_ptr 1
		.amdhsa_user_sgpr_dispatch_id 0
		.amdhsa_user_sgpr_private_segment_size 0
		.amdhsa_wavefront_size32 1
		.amdhsa_uses_dynamic_stack 0
		.amdhsa_enable_private_segment 0
		.amdhsa_system_sgpr_workgroup_id_x 1
		.amdhsa_system_sgpr_workgroup_id_y 0
		.amdhsa_system_sgpr_workgroup_id_z 0
		.amdhsa_system_sgpr_workgroup_info 0
		.amdhsa_system_vgpr_workitem_id 0
		.amdhsa_next_free_vgpr 1
		.amdhsa_next_free_sgpr 1
		.amdhsa_reserve_vcc 0
		.amdhsa_float_round_mode_32 0
		.amdhsa_float_round_mode_16_64 0
		.amdhsa_float_denorm_mode_32 3
		.amdhsa_float_denorm_mode_16_64 3
		.amdhsa_dx10_clamp 1
		.amdhsa_ieee_mode 1
		.amdhsa_fp16_overflow 0
		.amdhsa_workgroup_processor_mode 1
		.amdhsa_memory_ordered 1
		.amdhsa_forward_progress 0
		.amdhsa_shared_vgpr_count 0
		.amdhsa_exception_fp_ieee_invalid_op 0
		.amdhsa_exception_fp_denorm_src 0
		.amdhsa_exception_fp_ieee_div_zero 0
		.amdhsa_exception_fp_ieee_overflow 0
		.amdhsa_exception_fp_ieee_underflow 0
		.amdhsa_exception_fp_ieee_inexact 0
		.amdhsa_exception_int_div_zero 0
	.end_amdhsa_kernel
	.section	.text._ZN7rocprim17ROCPRIM_400000_NS6detail17trampoline_kernelINS0_14default_configENS1_22reduce_config_selectorIN6thrust23THRUST_200600_302600_NS5tupleIblNS6_9null_typeES8_S8_S8_S8_S8_S8_S8_EEEEZNS1_11reduce_implILb1ES3_NS6_12zip_iteratorINS7_INS6_11hip_rocprim26transform_input_iterator_tIbNSD_35transform_pair_of_input_iterators_tIbNS6_6detail15normal_iteratorINS6_10device_ptrIKiEEEESL_NS6_8equal_toIiEEEENSG_9not_fun_tINSD_8identityEEEEENSD_19counting_iterator_tIlEES8_S8_S8_S8_S8_S8_S8_S8_EEEEPS9_S9_NSD_9__find_if7functorIS9_EEEE10hipError_tPvRmT1_T2_T3_mT4_P12ihipStream_tbEUlT_E1_NS1_11comp_targetILNS1_3genE2ELNS1_11target_archE906ELNS1_3gpuE6ELNS1_3repE0EEENS1_30default_config_static_selectorELNS0_4arch9wavefront6targetE0EEEvS14_,"axG",@progbits,_ZN7rocprim17ROCPRIM_400000_NS6detail17trampoline_kernelINS0_14default_configENS1_22reduce_config_selectorIN6thrust23THRUST_200600_302600_NS5tupleIblNS6_9null_typeES8_S8_S8_S8_S8_S8_S8_EEEEZNS1_11reduce_implILb1ES3_NS6_12zip_iteratorINS7_INS6_11hip_rocprim26transform_input_iterator_tIbNSD_35transform_pair_of_input_iterators_tIbNS6_6detail15normal_iteratorINS6_10device_ptrIKiEEEESL_NS6_8equal_toIiEEEENSG_9not_fun_tINSD_8identityEEEEENSD_19counting_iterator_tIlEES8_S8_S8_S8_S8_S8_S8_S8_EEEEPS9_S9_NSD_9__find_if7functorIS9_EEEE10hipError_tPvRmT1_T2_T3_mT4_P12ihipStream_tbEUlT_E1_NS1_11comp_targetILNS1_3genE2ELNS1_11target_archE906ELNS1_3gpuE6ELNS1_3repE0EEENS1_30default_config_static_selectorELNS0_4arch9wavefront6targetE0EEEvS14_,comdat
.Lfunc_end36:
	.size	_ZN7rocprim17ROCPRIM_400000_NS6detail17trampoline_kernelINS0_14default_configENS1_22reduce_config_selectorIN6thrust23THRUST_200600_302600_NS5tupleIblNS6_9null_typeES8_S8_S8_S8_S8_S8_S8_EEEEZNS1_11reduce_implILb1ES3_NS6_12zip_iteratorINS7_INS6_11hip_rocprim26transform_input_iterator_tIbNSD_35transform_pair_of_input_iterators_tIbNS6_6detail15normal_iteratorINS6_10device_ptrIKiEEEESL_NS6_8equal_toIiEEEENSG_9not_fun_tINSD_8identityEEEEENSD_19counting_iterator_tIlEES8_S8_S8_S8_S8_S8_S8_S8_EEEEPS9_S9_NSD_9__find_if7functorIS9_EEEE10hipError_tPvRmT1_T2_T3_mT4_P12ihipStream_tbEUlT_E1_NS1_11comp_targetILNS1_3genE2ELNS1_11target_archE906ELNS1_3gpuE6ELNS1_3repE0EEENS1_30default_config_static_selectorELNS0_4arch9wavefront6targetE0EEEvS14_, .Lfunc_end36-_ZN7rocprim17ROCPRIM_400000_NS6detail17trampoline_kernelINS0_14default_configENS1_22reduce_config_selectorIN6thrust23THRUST_200600_302600_NS5tupleIblNS6_9null_typeES8_S8_S8_S8_S8_S8_S8_EEEEZNS1_11reduce_implILb1ES3_NS6_12zip_iteratorINS7_INS6_11hip_rocprim26transform_input_iterator_tIbNSD_35transform_pair_of_input_iterators_tIbNS6_6detail15normal_iteratorINS6_10device_ptrIKiEEEESL_NS6_8equal_toIiEEEENSG_9not_fun_tINSD_8identityEEEEENSD_19counting_iterator_tIlEES8_S8_S8_S8_S8_S8_S8_S8_EEEEPS9_S9_NSD_9__find_if7functorIS9_EEEE10hipError_tPvRmT1_T2_T3_mT4_P12ihipStream_tbEUlT_E1_NS1_11comp_targetILNS1_3genE2ELNS1_11target_archE906ELNS1_3gpuE6ELNS1_3repE0EEENS1_30default_config_static_selectorELNS0_4arch9wavefront6targetE0EEEvS14_
                                        ; -- End function
	.section	.AMDGPU.csdata,"",@progbits
; Kernel info:
; codeLenInByte = 0
; NumSgprs: 0
; NumVgprs: 0
; ScratchSize: 0
; MemoryBound: 0
; FloatMode: 240
; IeeeMode: 1
; LDSByteSize: 0 bytes/workgroup (compile time only)
; SGPRBlocks: 0
; VGPRBlocks: 0
; NumSGPRsForWavesPerEU: 1
; NumVGPRsForWavesPerEU: 1
; Occupancy: 16
; WaveLimiterHint : 0
; COMPUTE_PGM_RSRC2:SCRATCH_EN: 0
; COMPUTE_PGM_RSRC2:USER_SGPR: 15
; COMPUTE_PGM_RSRC2:TRAP_HANDLER: 0
; COMPUTE_PGM_RSRC2:TGID_X_EN: 1
; COMPUTE_PGM_RSRC2:TGID_Y_EN: 0
; COMPUTE_PGM_RSRC2:TGID_Z_EN: 0
; COMPUTE_PGM_RSRC2:TIDIG_COMP_CNT: 0
	.section	.text._ZN7rocprim17ROCPRIM_400000_NS6detail17trampoline_kernelINS0_14default_configENS1_22reduce_config_selectorIN6thrust23THRUST_200600_302600_NS5tupleIblNS6_9null_typeES8_S8_S8_S8_S8_S8_S8_EEEEZNS1_11reduce_implILb1ES3_NS6_12zip_iteratorINS7_INS6_11hip_rocprim26transform_input_iterator_tIbNSD_35transform_pair_of_input_iterators_tIbNS6_6detail15normal_iteratorINS6_10device_ptrIKiEEEESL_NS6_8equal_toIiEEEENSG_9not_fun_tINSD_8identityEEEEENSD_19counting_iterator_tIlEES8_S8_S8_S8_S8_S8_S8_S8_EEEEPS9_S9_NSD_9__find_if7functorIS9_EEEE10hipError_tPvRmT1_T2_T3_mT4_P12ihipStream_tbEUlT_E1_NS1_11comp_targetILNS1_3genE10ELNS1_11target_archE1201ELNS1_3gpuE5ELNS1_3repE0EEENS1_30default_config_static_selectorELNS0_4arch9wavefront6targetE0EEEvS14_,"axG",@progbits,_ZN7rocprim17ROCPRIM_400000_NS6detail17trampoline_kernelINS0_14default_configENS1_22reduce_config_selectorIN6thrust23THRUST_200600_302600_NS5tupleIblNS6_9null_typeES8_S8_S8_S8_S8_S8_S8_EEEEZNS1_11reduce_implILb1ES3_NS6_12zip_iteratorINS7_INS6_11hip_rocprim26transform_input_iterator_tIbNSD_35transform_pair_of_input_iterators_tIbNS6_6detail15normal_iteratorINS6_10device_ptrIKiEEEESL_NS6_8equal_toIiEEEENSG_9not_fun_tINSD_8identityEEEEENSD_19counting_iterator_tIlEES8_S8_S8_S8_S8_S8_S8_S8_EEEEPS9_S9_NSD_9__find_if7functorIS9_EEEE10hipError_tPvRmT1_T2_T3_mT4_P12ihipStream_tbEUlT_E1_NS1_11comp_targetILNS1_3genE10ELNS1_11target_archE1201ELNS1_3gpuE5ELNS1_3repE0EEENS1_30default_config_static_selectorELNS0_4arch9wavefront6targetE0EEEvS14_,comdat
	.protected	_ZN7rocprim17ROCPRIM_400000_NS6detail17trampoline_kernelINS0_14default_configENS1_22reduce_config_selectorIN6thrust23THRUST_200600_302600_NS5tupleIblNS6_9null_typeES8_S8_S8_S8_S8_S8_S8_EEEEZNS1_11reduce_implILb1ES3_NS6_12zip_iteratorINS7_INS6_11hip_rocprim26transform_input_iterator_tIbNSD_35transform_pair_of_input_iterators_tIbNS6_6detail15normal_iteratorINS6_10device_ptrIKiEEEESL_NS6_8equal_toIiEEEENSG_9not_fun_tINSD_8identityEEEEENSD_19counting_iterator_tIlEES8_S8_S8_S8_S8_S8_S8_S8_EEEEPS9_S9_NSD_9__find_if7functorIS9_EEEE10hipError_tPvRmT1_T2_T3_mT4_P12ihipStream_tbEUlT_E1_NS1_11comp_targetILNS1_3genE10ELNS1_11target_archE1201ELNS1_3gpuE5ELNS1_3repE0EEENS1_30default_config_static_selectorELNS0_4arch9wavefront6targetE0EEEvS14_ ; -- Begin function _ZN7rocprim17ROCPRIM_400000_NS6detail17trampoline_kernelINS0_14default_configENS1_22reduce_config_selectorIN6thrust23THRUST_200600_302600_NS5tupleIblNS6_9null_typeES8_S8_S8_S8_S8_S8_S8_EEEEZNS1_11reduce_implILb1ES3_NS6_12zip_iteratorINS7_INS6_11hip_rocprim26transform_input_iterator_tIbNSD_35transform_pair_of_input_iterators_tIbNS6_6detail15normal_iteratorINS6_10device_ptrIKiEEEESL_NS6_8equal_toIiEEEENSG_9not_fun_tINSD_8identityEEEEENSD_19counting_iterator_tIlEES8_S8_S8_S8_S8_S8_S8_S8_EEEEPS9_S9_NSD_9__find_if7functorIS9_EEEE10hipError_tPvRmT1_T2_T3_mT4_P12ihipStream_tbEUlT_E1_NS1_11comp_targetILNS1_3genE10ELNS1_11target_archE1201ELNS1_3gpuE5ELNS1_3repE0EEENS1_30default_config_static_selectorELNS0_4arch9wavefront6targetE0EEEvS14_
	.globl	_ZN7rocprim17ROCPRIM_400000_NS6detail17trampoline_kernelINS0_14default_configENS1_22reduce_config_selectorIN6thrust23THRUST_200600_302600_NS5tupleIblNS6_9null_typeES8_S8_S8_S8_S8_S8_S8_EEEEZNS1_11reduce_implILb1ES3_NS6_12zip_iteratorINS7_INS6_11hip_rocprim26transform_input_iterator_tIbNSD_35transform_pair_of_input_iterators_tIbNS6_6detail15normal_iteratorINS6_10device_ptrIKiEEEESL_NS6_8equal_toIiEEEENSG_9not_fun_tINSD_8identityEEEEENSD_19counting_iterator_tIlEES8_S8_S8_S8_S8_S8_S8_S8_EEEEPS9_S9_NSD_9__find_if7functorIS9_EEEE10hipError_tPvRmT1_T2_T3_mT4_P12ihipStream_tbEUlT_E1_NS1_11comp_targetILNS1_3genE10ELNS1_11target_archE1201ELNS1_3gpuE5ELNS1_3repE0EEENS1_30default_config_static_selectorELNS0_4arch9wavefront6targetE0EEEvS14_
	.p2align	8
	.type	_ZN7rocprim17ROCPRIM_400000_NS6detail17trampoline_kernelINS0_14default_configENS1_22reduce_config_selectorIN6thrust23THRUST_200600_302600_NS5tupleIblNS6_9null_typeES8_S8_S8_S8_S8_S8_S8_EEEEZNS1_11reduce_implILb1ES3_NS6_12zip_iteratorINS7_INS6_11hip_rocprim26transform_input_iterator_tIbNSD_35transform_pair_of_input_iterators_tIbNS6_6detail15normal_iteratorINS6_10device_ptrIKiEEEESL_NS6_8equal_toIiEEEENSG_9not_fun_tINSD_8identityEEEEENSD_19counting_iterator_tIlEES8_S8_S8_S8_S8_S8_S8_S8_EEEEPS9_S9_NSD_9__find_if7functorIS9_EEEE10hipError_tPvRmT1_T2_T3_mT4_P12ihipStream_tbEUlT_E1_NS1_11comp_targetILNS1_3genE10ELNS1_11target_archE1201ELNS1_3gpuE5ELNS1_3repE0EEENS1_30default_config_static_selectorELNS0_4arch9wavefront6targetE0EEEvS14_,@function
_ZN7rocprim17ROCPRIM_400000_NS6detail17trampoline_kernelINS0_14default_configENS1_22reduce_config_selectorIN6thrust23THRUST_200600_302600_NS5tupleIblNS6_9null_typeES8_S8_S8_S8_S8_S8_S8_EEEEZNS1_11reduce_implILb1ES3_NS6_12zip_iteratorINS7_INS6_11hip_rocprim26transform_input_iterator_tIbNSD_35transform_pair_of_input_iterators_tIbNS6_6detail15normal_iteratorINS6_10device_ptrIKiEEEESL_NS6_8equal_toIiEEEENSG_9not_fun_tINSD_8identityEEEEENSD_19counting_iterator_tIlEES8_S8_S8_S8_S8_S8_S8_S8_EEEEPS9_S9_NSD_9__find_if7functorIS9_EEEE10hipError_tPvRmT1_T2_T3_mT4_P12ihipStream_tbEUlT_E1_NS1_11comp_targetILNS1_3genE10ELNS1_11target_archE1201ELNS1_3gpuE5ELNS1_3repE0EEENS1_30default_config_static_selectorELNS0_4arch9wavefront6targetE0EEEvS14_: ; @_ZN7rocprim17ROCPRIM_400000_NS6detail17trampoline_kernelINS0_14default_configENS1_22reduce_config_selectorIN6thrust23THRUST_200600_302600_NS5tupleIblNS6_9null_typeES8_S8_S8_S8_S8_S8_S8_EEEEZNS1_11reduce_implILb1ES3_NS6_12zip_iteratorINS7_INS6_11hip_rocprim26transform_input_iterator_tIbNSD_35transform_pair_of_input_iterators_tIbNS6_6detail15normal_iteratorINS6_10device_ptrIKiEEEESL_NS6_8equal_toIiEEEENSG_9not_fun_tINSD_8identityEEEEENSD_19counting_iterator_tIlEES8_S8_S8_S8_S8_S8_S8_S8_EEEEPS9_S9_NSD_9__find_if7functorIS9_EEEE10hipError_tPvRmT1_T2_T3_mT4_P12ihipStream_tbEUlT_E1_NS1_11comp_targetILNS1_3genE10ELNS1_11target_archE1201ELNS1_3gpuE5ELNS1_3repE0EEENS1_30default_config_static_selectorELNS0_4arch9wavefront6targetE0EEEvS14_
; %bb.0:
	.section	.rodata,"a",@progbits
	.p2align	6, 0x0
	.amdhsa_kernel _ZN7rocprim17ROCPRIM_400000_NS6detail17trampoline_kernelINS0_14default_configENS1_22reduce_config_selectorIN6thrust23THRUST_200600_302600_NS5tupleIblNS6_9null_typeES8_S8_S8_S8_S8_S8_S8_EEEEZNS1_11reduce_implILb1ES3_NS6_12zip_iteratorINS7_INS6_11hip_rocprim26transform_input_iterator_tIbNSD_35transform_pair_of_input_iterators_tIbNS6_6detail15normal_iteratorINS6_10device_ptrIKiEEEESL_NS6_8equal_toIiEEEENSG_9not_fun_tINSD_8identityEEEEENSD_19counting_iterator_tIlEES8_S8_S8_S8_S8_S8_S8_S8_EEEEPS9_S9_NSD_9__find_if7functorIS9_EEEE10hipError_tPvRmT1_T2_T3_mT4_P12ihipStream_tbEUlT_E1_NS1_11comp_targetILNS1_3genE10ELNS1_11target_archE1201ELNS1_3gpuE5ELNS1_3repE0EEENS1_30default_config_static_selectorELNS0_4arch9wavefront6targetE0EEEvS14_
		.amdhsa_group_segment_fixed_size 0
		.amdhsa_private_segment_fixed_size 0
		.amdhsa_kernarg_size 88
		.amdhsa_user_sgpr_count 15
		.amdhsa_user_sgpr_dispatch_ptr 0
		.amdhsa_user_sgpr_queue_ptr 0
		.amdhsa_user_sgpr_kernarg_segment_ptr 1
		.amdhsa_user_sgpr_dispatch_id 0
		.amdhsa_user_sgpr_private_segment_size 0
		.amdhsa_wavefront_size32 1
		.amdhsa_uses_dynamic_stack 0
		.amdhsa_enable_private_segment 0
		.amdhsa_system_sgpr_workgroup_id_x 1
		.amdhsa_system_sgpr_workgroup_id_y 0
		.amdhsa_system_sgpr_workgroup_id_z 0
		.amdhsa_system_sgpr_workgroup_info 0
		.amdhsa_system_vgpr_workitem_id 0
		.amdhsa_next_free_vgpr 1
		.amdhsa_next_free_sgpr 1
		.amdhsa_reserve_vcc 0
		.amdhsa_float_round_mode_32 0
		.amdhsa_float_round_mode_16_64 0
		.amdhsa_float_denorm_mode_32 3
		.amdhsa_float_denorm_mode_16_64 3
		.amdhsa_dx10_clamp 1
		.amdhsa_ieee_mode 1
		.amdhsa_fp16_overflow 0
		.amdhsa_workgroup_processor_mode 1
		.amdhsa_memory_ordered 1
		.amdhsa_forward_progress 0
		.amdhsa_shared_vgpr_count 0
		.amdhsa_exception_fp_ieee_invalid_op 0
		.amdhsa_exception_fp_denorm_src 0
		.amdhsa_exception_fp_ieee_div_zero 0
		.amdhsa_exception_fp_ieee_overflow 0
		.amdhsa_exception_fp_ieee_underflow 0
		.amdhsa_exception_fp_ieee_inexact 0
		.amdhsa_exception_int_div_zero 0
	.end_amdhsa_kernel
	.section	.text._ZN7rocprim17ROCPRIM_400000_NS6detail17trampoline_kernelINS0_14default_configENS1_22reduce_config_selectorIN6thrust23THRUST_200600_302600_NS5tupleIblNS6_9null_typeES8_S8_S8_S8_S8_S8_S8_EEEEZNS1_11reduce_implILb1ES3_NS6_12zip_iteratorINS7_INS6_11hip_rocprim26transform_input_iterator_tIbNSD_35transform_pair_of_input_iterators_tIbNS6_6detail15normal_iteratorINS6_10device_ptrIKiEEEESL_NS6_8equal_toIiEEEENSG_9not_fun_tINSD_8identityEEEEENSD_19counting_iterator_tIlEES8_S8_S8_S8_S8_S8_S8_S8_EEEEPS9_S9_NSD_9__find_if7functorIS9_EEEE10hipError_tPvRmT1_T2_T3_mT4_P12ihipStream_tbEUlT_E1_NS1_11comp_targetILNS1_3genE10ELNS1_11target_archE1201ELNS1_3gpuE5ELNS1_3repE0EEENS1_30default_config_static_selectorELNS0_4arch9wavefront6targetE0EEEvS14_,"axG",@progbits,_ZN7rocprim17ROCPRIM_400000_NS6detail17trampoline_kernelINS0_14default_configENS1_22reduce_config_selectorIN6thrust23THRUST_200600_302600_NS5tupleIblNS6_9null_typeES8_S8_S8_S8_S8_S8_S8_EEEEZNS1_11reduce_implILb1ES3_NS6_12zip_iteratorINS7_INS6_11hip_rocprim26transform_input_iterator_tIbNSD_35transform_pair_of_input_iterators_tIbNS6_6detail15normal_iteratorINS6_10device_ptrIKiEEEESL_NS6_8equal_toIiEEEENSG_9not_fun_tINSD_8identityEEEEENSD_19counting_iterator_tIlEES8_S8_S8_S8_S8_S8_S8_S8_EEEEPS9_S9_NSD_9__find_if7functorIS9_EEEE10hipError_tPvRmT1_T2_T3_mT4_P12ihipStream_tbEUlT_E1_NS1_11comp_targetILNS1_3genE10ELNS1_11target_archE1201ELNS1_3gpuE5ELNS1_3repE0EEENS1_30default_config_static_selectorELNS0_4arch9wavefront6targetE0EEEvS14_,comdat
.Lfunc_end37:
	.size	_ZN7rocprim17ROCPRIM_400000_NS6detail17trampoline_kernelINS0_14default_configENS1_22reduce_config_selectorIN6thrust23THRUST_200600_302600_NS5tupleIblNS6_9null_typeES8_S8_S8_S8_S8_S8_S8_EEEEZNS1_11reduce_implILb1ES3_NS6_12zip_iteratorINS7_INS6_11hip_rocprim26transform_input_iterator_tIbNSD_35transform_pair_of_input_iterators_tIbNS6_6detail15normal_iteratorINS6_10device_ptrIKiEEEESL_NS6_8equal_toIiEEEENSG_9not_fun_tINSD_8identityEEEEENSD_19counting_iterator_tIlEES8_S8_S8_S8_S8_S8_S8_S8_EEEEPS9_S9_NSD_9__find_if7functorIS9_EEEE10hipError_tPvRmT1_T2_T3_mT4_P12ihipStream_tbEUlT_E1_NS1_11comp_targetILNS1_3genE10ELNS1_11target_archE1201ELNS1_3gpuE5ELNS1_3repE0EEENS1_30default_config_static_selectorELNS0_4arch9wavefront6targetE0EEEvS14_, .Lfunc_end37-_ZN7rocprim17ROCPRIM_400000_NS6detail17trampoline_kernelINS0_14default_configENS1_22reduce_config_selectorIN6thrust23THRUST_200600_302600_NS5tupleIblNS6_9null_typeES8_S8_S8_S8_S8_S8_S8_EEEEZNS1_11reduce_implILb1ES3_NS6_12zip_iteratorINS7_INS6_11hip_rocprim26transform_input_iterator_tIbNSD_35transform_pair_of_input_iterators_tIbNS6_6detail15normal_iteratorINS6_10device_ptrIKiEEEESL_NS6_8equal_toIiEEEENSG_9not_fun_tINSD_8identityEEEEENSD_19counting_iterator_tIlEES8_S8_S8_S8_S8_S8_S8_S8_EEEEPS9_S9_NSD_9__find_if7functorIS9_EEEE10hipError_tPvRmT1_T2_T3_mT4_P12ihipStream_tbEUlT_E1_NS1_11comp_targetILNS1_3genE10ELNS1_11target_archE1201ELNS1_3gpuE5ELNS1_3repE0EEENS1_30default_config_static_selectorELNS0_4arch9wavefront6targetE0EEEvS14_
                                        ; -- End function
	.section	.AMDGPU.csdata,"",@progbits
; Kernel info:
; codeLenInByte = 0
; NumSgprs: 0
; NumVgprs: 0
; ScratchSize: 0
; MemoryBound: 0
; FloatMode: 240
; IeeeMode: 1
; LDSByteSize: 0 bytes/workgroup (compile time only)
; SGPRBlocks: 0
; VGPRBlocks: 0
; NumSGPRsForWavesPerEU: 1
; NumVGPRsForWavesPerEU: 1
; Occupancy: 16
; WaveLimiterHint : 0
; COMPUTE_PGM_RSRC2:SCRATCH_EN: 0
; COMPUTE_PGM_RSRC2:USER_SGPR: 15
; COMPUTE_PGM_RSRC2:TRAP_HANDLER: 0
; COMPUTE_PGM_RSRC2:TGID_X_EN: 1
; COMPUTE_PGM_RSRC2:TGID_Y_EN: 0
; COMPUTE_PGM_RSRC2:TGID_Z_EN: 0
; COMPUTE_PGM_RSRC2:TIDIG_COMP_CNT: 0
	.section	.text._ZN7rocprim17ROCPRIM_400000_NS6detail17trampoline_kernelINS0_14default_configENS1_22reduce_config_selectorIN6thrust23THRUST_200600_302600_NS5tupleIblNS6_9null_typeES8_S8_S8_S8_S8_S8_S8_EEEEZNS1_11reduce_implILb1ES3_NS6_12zip_iteratorINS7_INS6_11hip_rocprim26transform_input_iterator_tIbNSD_35transform_pair_of_input_iterators_tIbNS6_6detail15normal_iteratorINS6_10device_ptrIKiEEEESL_NS6_8equal_toIiEEEENSG_9not_fun_tINSD_8identityEEEEENSD_19counting_iterator_tIlEES8_S8_S8_S8_S8_S8_S8_S8_EEEEPS9_S9_NSD_9__find_if7functorIS9_EEEE10hipError_tPvRmT1_T2_T3_mT4_P12ihipStream_tbEUlT_E1_NS1_11comp_targetILNS1_3genE10ELNS1_11target_archE1200ELNS1_3gpuE4ELNS1_3repE0EEENS1_30default_config_static_selectorELNS0_4arch9wavefront6targetE0EEEvS14_,"axG",@progbits,_ZN7rocprim17ROCPRIM_400000_NS6detail17trampoline_kernelINS0_14default_configENS1_22reduce_config_selectorIN6thrust23THRUST_200600_302600_NS5tupleIblNS6_9null_typeES8_S8_S8_S8_S8_S8_S8_EEEEZNS1_11reduce_implILb1ES3_NS6_12zip_iteratorINS7_INS6_11hip_rocprim26transform_input_iterator_tIbNSD_35transform_pair_of_input_iterators_tIbNS6_6detail15normal_iteratorINS6_10device_ptrIKiEEEESL_NS6_8equal_toIiEEEENSG_9not_fun_tINSD_8identityEEEEENSD_19counting_iterator_tIlEES8_S8_S8_S8_S8_S8_S8_S8_EEEEPS9_S9_NSD_9__find_if7functorIS9_EEEE10hipError_tPvRmT1_T2_T3_mT4_P12ihipStream_tbEUlT_E1_NS1_11comp_targetILNS1_3genE10ELNS1_11target_archE1200ELNS1_3gpuE4ELNS1_3repE0EEENS1_30default_config_static_selectorELNS0_4arch9wavefront6targetE0EEEvS14_,comdat
	.protected	_ZN7rocprim17ROCPRIM_400000_NS6detail17trampoline_kernelINS0_14default_configENS1_22reduce_config_selectorIN6thrust23THRUST_200600_302600_NS5tupleIblNS6_9null_typeES8_S8_S8_S8_S8_S8_S8_EEEEZNS1_11reduce_implILb1ES3_NS6_12zip_iteratorINS7_INS6_11hip_rocprim26transform_input_iterator_tIbNSD_35transform_pair_of_input_iterators_tIbNS6_6detail15normal_iteratorINS6_10device_ptrIKiEEEESL_NS6_8equal_toIiEEEENSG_9not_fun_tINSD_8identityEEEEENSD_19counting_iterator_tIlEES8_S8_S8_S8_S8_S8_S8_S8_EEEEPS9_S9_NSD_9__find_if7functorIS9_EEEE10hipError_tPvRmT1_T2_T3_mT4_P12ihipStream_tbEUlT_E1_NS1_11comp_targetILNS1_3genE10ELNS1_11target_archE1200ELNS1_3gpuE4ELNS1_3repE0EEENS1_30default_config_static_selectorELNS0_4arch9wavefront6targetE0EEEvS14_ ; -- Begin function _ZN7rocprim17ROCPRIM_400000_NS6detail17trampoline_kernelINS0_14default_configENS1_22reduce_config_selectorIN6thrust23THRUST_200600_302600_NS5tupleIblNS6_9null_typeES8_S8_S8_S8_S8_S8_S8_EEEEZNS1_11reduce_implILb1ES3_NS6_12zip_iteratorINS7_INS6_11hip_rocprim26transform_input_iterator_tIbNSD_35transform_pair_of_input_iterators_tIbNS6_6detail15normal_iteratorINS6_10device_ptrIKiEEEESL_NS6_8equal_toIiEEEENSG_9not_fun_tINSD_8identityEEEEENSD_19counting_iterator_tIlEES8_S8_S8_S8_S8_S8_S8_S8_EEEEPS9_S9_NSD_9__find_if7functorIS9_EEEE10hipError_tPvRmT1_T2_T3_mT4_P12ihipStream_tbEUlT_E1_NS1_11comp_targetILNS1_3genE10ELNS1_11target_archE1200ELNS1_3gpuE4ELNS1_3repE0EEENS1_30default_config_static_selectorELNS0_4arch9wavefront6targetE0EEEvS14_
	.globl	_ZN7rocprim17ROCPRIM_400000_NS6detail17trampoline_kernelINS0_14default_configENS1_22reduce_config_selectorIN6thrust23THRUST_200600_302600_NS5tupleIblNS6_9null_typeES8_S8_S8_S8_S8_S8_S8_EEEEZNS1_11reduce_implILb1ES3_NS6_12zip_iteratorINS7_INS6_11hip_rocprim26transform_input_iterator_tIbNSD_35transform_pair_of_input_iterators_tIbNS6_6detail15normal_iteratorINS6_10device_ptrIKiEEEESL_NS6_8equal_toIiEEEENSG_9not_fun_tINSD_8identityEEEEENSD_19counting_iterator_tIlEES8_S8_S8_S8_S8_S8_S8_S8_EEEEPS9_S9_NSD_9__find_if7functorIS9_EEEE10hipError_tPvRmT1_T2_T3_mT4_P12ihipStream_tbEUlT_E1_NS1_11comp_targetILNS1_3genE10ELNS1_11target_archE1200ELNS1_3gpuE4ELNS1_3repE0EEENS1_30default_config_static_selectorELNS0_4arch9wavefront6targetE0EEEvS14_
	.p2align	8
	.type	_ZN7rocprim17ROCPRIM_400000_NS6detail17trampoline_kernelINS0_14default_configENS1_22reduce_config_selectorIN6thrust23THRUST_200600_302600_NS5tupleIblNS6_9null_typeES8_S8_S8_S8_S8_S8_S8_EEEEZNS1_11reduce_implILb1ES3_NS6_12zip_iteratorINS7_INS6_11hip_rocprim26transform_input_iterator_tIbNSD_35transform_pair_of_input_iterators_tIbNS6_6detail15normal_iteratorINS6_10device_ptrIKiEEEESL_NS6_8equal_toIiEEEENSG_9not_fun_tINSD_8identityEEEEENSD_19counting_iterator_tIlEES8_S8_S8_S8_S8_S8_S8_S8_EEEEPS9_S9_NSD_9__find_if7functorIS9_EEEE10hipError_tPvRmT1_T2_T3_mT4_P12ihipStream_tbEUlT_E1_NS1_11comp_targetILNS1_3genE10ELNS1_11target_archE1200ELNS1_3gpuE4ELNS1_3repE0EEENS1_30default_config_static_selectorELNS0_4arch9wavefront6targetE0EEEvS14_,@function
_ZN7rocprim17ROCPRIM_400000_NS6detail17trampoline_kernelINS0_14default_configENS1_22reduce_config_selectorIN6thrust23THRUST_200600_302600_NS5tupleIblNS6_9null_typeES8_S8_S8_S8_S8_S8_S8_EEEEZNS1_11reduce_implILb1ES3_NS6_12zip_iteratorINS7_INS6_11hip_rocprim26transform_input_iterator_tIbNSD_35transform_pair_of_input_iterators_tIbNS6_6detail15normal_iteratorINS6_10device_ptrIKiEEEESL_NS6_8equal_toIiEEEENSG_9not_fun_tINSD_8identityEEEEENSD_19counting_iterator_tIlEES8_S8_S8_S8_S8_S8_S8_S8_EEEEPS9_S9_NSD_9__find_if7functorIS9_EEEE10hipError_tPvRmT1_T2_T3_mT4_P12ihipStream_tbEUlT_E1_NS1_11comp_targetILNS1_3genE10ELNS1_11target_archE1200ELNS1_3gpuE4ELNS1_3repE0EEENS1_30default_config_static_selectorELNS0_4arch9wavefront6targetE0EEEvS14_: ; @_ZN7rocprim17ROCPRIM_400000_NS6detail17trampoline_kernelINS0_14default_configENS1_22reduce_config_selectorIN6thrust23THRUST_200600_302600_NS5tupleIblNS6_9null_typeES8_S8_S8_S8_S8_S8_S8_EEEEZNS1_11reduce_implILb1ES3_NS6_12zip_iteratorINS7_INS6_11hip_rocprim26transform_input_iterator_tIbNSD_35transform_pair_of_input_iterators_tIbNS6_6detail15normal_iteratorINS6_10device_ptrIKiEEEESL_NS6_8equal_toIiEEEENSG_9not_fun_tINSD_8identityEEEEENSD_19counting_iterator_tIlEES8_S8_S8_S8_S8_S8_S8_S8_EEEEPS9_S9_NSD_9__find_if7functorIS9_EEEE10hipError_tPvRmT1_T2_T3_mT4_P12ihipStream_tbEUlT_E1_NS1_11comp_targetILNS1_3genE10ELNS1_11target_archE1200ELNS1_3gpuE4ELNS1_3repE0EEENS1_30default_config_static_selectorELNS0_4arch9wavefront6targetE0EEEvS14_
; %bb.0:
	.section	.rodata,"a",@progbits
	.p2align	6, 0x0
	.amdhsa_kernel _ZN7rocprim17ROCPRIM_400000_NS6detail17trampoline_kernelINS0_14default_configENS1_22reduce_config_selectorIN6thrust23THRUST_200600_302600_NS5tupleIblNS6_9null_typeES8_S8_S8_S8_S8_S8_S8_EEEEZNS1_11reduce_implILb1ES3_NS6_12zip_iteratorINS7_INS6_11hip_rocprim26transform_input_iterator_tIbNSD_35transform_pair_of_input_iterators_tIbNS6_6detail15normal_iteratorINS6_10device_ptrIKiEEEESL_NS6_8equal_toIiEEEENSG_9not_fun_tINSD_8identityEEEEENSD_19counting_iterator_tIlEES8_S8_S8_S8_S8_S8_S8_S8_EEEEPS9_S9_NSD_9__find_if7functorIS9_EEEE10hipError_tPvRmT1_T2_T3_mT4_P12ihipStream_tbEUlT_E1_NS1_11comp_targetILNS1_3genE10ELNS1_11target_archE1200ELNS1_3gpuE4ELNS1_3repE0EEENS1_30default_config_static_selectorELNS0_4arch9wavefront6targetE0EEEvS14_
		.amdhsa_group_segment_fixed_size 0
		.amdhsa_private_segment_fixed_size 0
		.amdhsa_kernarg_size 88
		.amdhsa_user_sgpr_count 15
		.amdhsa_user_sgpr_dispatch_ptr 0
		.amdhsa_user_sgpr_queue_ptr 0
		.amdhsa_user_sgpr_kernarg_segment_ptr 1
		.amdhsa_user_sgpr_dispatch_id 0
		.amdhsa_user_sgpr_private_segment_size 0
		.amdhsa_wavefront_size32 1
		.amdhsa_uses_dynamic_stack 0
		.amdhsa_enable_private_segment 0
		.amdhsa_system_sgpr_workgroup_id_x 1
		.amdhsa_system_sgpr_workgroup_id_y 0
		.amdhsa_system_sgpr_workgroup_id_z 0
		.amdhsa_system_sgpr_workgroup_info 0
		.amdhsa_system_vgpr_workitem_id 0
		.amdhsa_next_free_vgpr 1
		.amdhsa_next_free_sgpr 1
		.amdhsa_reserve_vcc 0
		.amdhsa_float_round_mode_32 0
		.amdhsa_float_round_mode_16_64 0
		.amdhsa_float_denorm_mode_32 3
		.amdhsa_float_denorm_mode_16_64 3
		.amdhsa_dx10_clamp 1
		.amdhsa_ieee_mode 1
		.amdhsa_fp16_overflow 0
		.amdhsa_workgroup_processor_mode 1
		.amdhsa_memory_ordered 1
		.amdhsa_forward_progress 0
		.amdhsa_shared_vgpr_count 0
		.amdhsa_exception_fp_ieee_invalid_op 0
		.amdhsa_exception_fp_denorm_src 0
		.amdhsa_exception_fp_ieee_div_zero 0
		.amdhsa_exception_fp_ieee_overflow 0
		.amdhsa_exception_fp_ieee_underflow 0
		.amdhsa_exception_fp_ieee_inexact 0
		.amdhsa_exception_int_div_zero 0
	.end_amdhsa_kernel
	.section	.text._ZN7rocprim17ROCPRIM_400000_NS6detail17trampoline_kernelINS0_14default_configENS1_22reduce_config_selectorIN6thrust23THRUST_200600_302600_NS5tupleIblNS6_9null_typeES8_S8_S8_S8_S8_S8_S8_EEEEZNS1_11reduce_implILb1ES3_NS6_12zip_iteratorINS7_INS6_11hip_rocprim26transform_input_iterator_tIbNSD_35transform_pair_of_input_iterators_tIbNS6_6detail15normal_iteratorINS6_10device_ptrIKiEEEESL_NS6_8equal_toIiEEEENSG_9not_fun_tINSD_8identityEEEEENSD_19counting_iterator_tIlEES8_S8_S8_S8_S8_S8_S8_S8_EEEEPS9_S9_NSD_9__find_if7functorIS9_EEEE10hipError_tPvRmT1_T2_T3_mT4_P12ihipStream_tbEUlT_E1_NS1_11comp_targetILNS1_3genE10ELNS1_11target_archE1200ELNS1_3gpuE4ELNS1_3repE0EEENS1_30default_config_static_selectorELNS0_4arch9wavefront6targetE0EEEvS14_,"axG",@progbits,_ZN7rocprim17ROCPRIM_400000_NS6detail17trampoline_kernelINS0_14default_configENS1_22reduce_config_selectorIN6thrust23THRUST_200600_302600_NS5tupleIblNS6_9null_typeES8_S8_S8_S8_S8_S8_S8_EEEEZNS1_11reduce_implILb1ES3_NS6_12zip_iteratorINS7_INS6_11hip_rocprim26transform_input_iterator_tIbNSD_35transform_pair_of_input_iterators_tIbNS6_6detail15normal_iteratorINS6_10device_ptrIKiEEEESL_NS6_8equal_toIiEEEENSG_9not_fun_tINSD_8identityEEEEENSD_19counting_iterator_tIlEES8_S8_S8_S8_S8_S8_S8_S8_EEEEPS9_S9_NSD_9__find_if7functorIS9_EEEE10hipError_tPvRmT1_T2_T3_mT4_P12ihipStream_tbEUlT_E1_NS1_11comp_targetILNS1_3genE10ELNS1_11target_archE1200ELNS1_3gpuE4ELNS1_3repE0EEENS1_30default_config_static_selectorELNS0_4arch9wavefront6targetE0EEEvS14_,comdat
.Lfunc_end38:
	.size	_ZN7rocprim17ROCPRIM_400000_NS6detail17trampoline_kernelINS0_14default_configENS1_22reduce_config_selectorIN6thrust23THRUST_200600_302600_NS5tupleIblNS6_9null_typeES8_S8_S8_S8_S8_S8_S8_EEEEZNS1_11reduce_implILb1ES3_NS6_12zip_iteratorINS7_INS6_11hip_rocprim26transform_input_iterator_tIbNSD_35transform_pair_of_input_iterators_tIbNS6_6detail15normal_iteratorINS6_10device_ptrIKiEEEESL_NS6_8equal_toIiEEEENSG_9not_fun_tINSD_8identityEEEEENSD_19counting_iterator_tIlEES8_S8_S8_S8_S8_S8_S8_S8_EEEEPS9_S9_NSD_9__find_if7functorIS9_EEEE10hipError_tPvRmT1_T2_T3_mT4_P12ihipStream_tbEUlT_E1_NS1_11comp_targetILNS1_3genE10ELNS1_11target_archE1200ELNS1_3gpuE4ELNS1_3repE0EEENS1_30default_config_static_selectorELNS0_4arch9wavefront6targetE0EEEvS14_, .Lfunc_end38-_ZN7rocprim17ROCPRIM_400000_NS6detail17trampoline_kernelINS0_14default_configENS1_22reduce_config_selectorIN6thrust23THRUST_200600_302600_NS5tupleIblNS6_9null_typeES8_S8_S8_S8_S8_S8_S8_EEEEZNS1_11reduce_implILb1ES3_NS6_12zip_iteratorINS7_INS6_11hip_rocprim26transform_input_iterator_tIbNSD_35transform_pair_of_input_iterators_tIbNS6_6detail15normal_iteratorINS6_10device_ptrIKiEEEESL_NS6_8equal_toIiEEEENSG_9not_fun_tINSD_8identityEEEEENSD_19counting_iterator_tIlEES8_S8_S8_S8_S8_S8_S8_S8_EEEEPS9_S9_NSD_9__find_if7functorIS9_EEEE10hipError_tPvRmT1_T2_T3_mT4_P12ihipStream_tbEUlT_E1_NS1_11comp_targetILNS1_3genE10ELNS1_11target_archE1200ELNS1_3gpuE4ELNS1_3repE0EEENS1_30default_config_static_selectorELNS0_4arch9wavefront6targetE0EEEvS14_
                                        ; -- End function
	.section	.AMDGPU.csdata,"",@progbits
; Kernel info:
; codeLenInByte = 0
; NumSgprs: 0
; NumVgprs: 0
; ScratchSize: 0
; MemoryBound: 0
; FloatMode: 240
; IeeeMode: 1
; LDSByteSize: 0 bytes/workgroup (compile time only)
; SGPRBlocks: 0
; VGPRBlocks: 0
; NumSGPRsForWavesPerEU: 1
; NumVGPRsForWavesPerEU: 1
; Occupancy: 16
; WaveLimiterHint : 0
; COMPUTE_PGM_RSRC2:SCRATCH_EN: 0
; COMPUTE_PGM_RSRC2:USER_SGPR: 15
; COMPUTE_PGM_RSRC2:TRAP_HANDLER: 0
; COMPUTE_PGM_RSRC2:TGID_X_EN: 1
; COMPUTE_PGM_RSRC2:TGID_Y_EN: 0
; COMPUTE_PGM_RSRC2:TGID_Z_EN: 0
; COMPUTE_PGM_RSRC2:TIDIG_COMP_CNT: 0
	.section	.text._ZN7rocprim17ROCPRIM_400000_NS6detail17trampoline_kernelINS0_14default_configENS1_22reduce_config_selectorIN6thrust23THRUST_200600_302600_NS5tupleIblNS6_9null_typeES8_S8_S8_S8_S8_S8_S8_EEEEZNS1_11reduce_implILb1ES3_NS6_12zip_iteratorINS7_INS6_11hip_rocprim26transform_input_iterator_tIbNSD_35transform_pair_of_input_iterators_tIbNS6_6detail15normal_iteratorINS6_10device_ptrIKiEEEESL_NS6_8equal_toIiEEEENSG_9not_fun_tINSD_8identityEEEEENSD_19counting_iterator_tIlEES8_S8_S8_S8_S8_S8_S8_S8_EEEEPS9_S9_NSD_9__find_if7functorIS9_EEEE10hipError_tPvRmT1_T2_T3_mT4_P12ihipStream_tbEUlT_E1_NS1_11comp_targetILNS1_3genE9ELNS1_11target_archE1100ELNS1_3gpuE3ELNS1_3repE0EEENS1_30default_config_static_selectorELNS0_4arch9wavefront6targetE0EEEvS14_,"axG",@progbits,_ZN7rocprim17ROCPRIM_400000_NS6detail17trampoline_kernelINS0_14default_configENS1_22reduce_config_selectorIN6thrust23THRUST_200600_302600_NS5tupleIblNS6_9null_typeES8_S8_S8_S8_S8_S8_S8_EEEEZNS1_11reduce_implILb1ES3_NS6_12zip_iteratorINS7_INS6_11hip_rocprim26transform_input_iterator_tIbNSD_35transform_pair_of_input_iterators_tIbNS6_6detail15normal_iteratorINS6_10device_ptrIKiEEEESL_NS6_8equal_toIiEEEENSG_9not_fun_tINSD_8identityEEEEENSD_19counting_iterator_tIlEES8_S8_S8_S8_S8_S8_S8_S8_EEEEPS9_S9_NSD_9__find_if7functorIS9_EEEE10hipError_tPvRmT1_T2_T3_mT4_P12ihipStream_tbEUlT_E1_NS1_11comp_targetILNS1_3genE9ELNS1_11target_archE1100ELNS1_3gpuE3ELNS1_3repE0EEENS1_30default_config_static_selectorELNS0_4arch9wavefront6targetE0EEEvS14_,comdat
	.protected	_ZN7rocprim17ROCPRIM_400000_NS6detail17trampoline_kernelINS0_14default_configENS1_22reduce_config_selectorIN6thrust23THRUST_200600_302600_NS5tupleIblNS6_9null_typeES8_S8_S8_S8_S8_S8_S8_EEEEZNS1_11reduce_implILb1ES3_NS6_12zip_iteratorINS7_INS6_11hip_rocprim26transform_input_iterator_tIbNSD_35transform_pair_of_input_iterators_tIbNS6_6detail15normal_iteratorINS6_10device_ptrIKiEEEESL_NS6_8equal_toIiEEEENSG_9not_fun_tINSD_8identityEEEEENSD_19counting_iterator_tIlEES8_S8_S8_S8_S8_S8_S8_S8_EEEEPS9_S9_NSD_9__find_if7functorIS9_EEEE10hipError_tPvRmT1_T2_T3_mT4_P12ihipStream_tbEUlT_E1_NS1_11comp_targetILNS1_3genE9ELNS1_11target_archE1100ELNS1_3gpuE3ELNS1_3repE0EEENS1_30default_config_static_selectorELNS0_4arch9wavefront6targetE0EEEvS14_ ; -- Begin function _ZN7rocprim17ROCPRIM_400000_NS6detail17trampoline_kernelINS0_14default_configENS1_22reduce_config_selectorIN6thrust23THRUST_200600_302600_NS5tupleIblNS6_9null_typeES8_S8_S8_S8_S8_S8_S8_EEEEZNS1_11reduce_implILb1ES3_NS6_12zip_iteratorINS7_INS6_11hip_rocprim26transform_input_iterator_tIbNSD_35transform_pair_of_input_iterators_tIbNS6_6detail15normal_iteratorINS6_10device_ptrIKiEEEESL_NS6_8equal_toIiEEEENSG_9not_fun_tINSD_8identityEEEEENSD_19counting_iterator_tIlEES8_S8_S8_S8_S8_S8_S8_S8_EEEEPS9_S9_NSD_9__find_if7functorIS9_EEEE10hipError_tPvRmT1_T2_T3_mT4_P12ihipStream_tbEUlT_E1_NS1_11comp_targetILNS1_3genE9ELNS1_11target_archE1100ELNS1_3gpuE3ELNS1_3repE0EEENS1_30default_config_static_selectorELNS0_4arch9wavefront6targetE0EEEvS14_
	.globl	_ZN7rocprim17ROCPRIM_400000_NS6detail17trampoline_kernelINS0_14default_configENS1_22reduce_config_selectorIN6thrust23THRUST_200600_302600_NS5tupleIblNS6_9null_typeES8_S8_S8_S8_S8_S8_S8_EEEEZNS1_11reduce_implILb1ES3_NS6_12zip_iteratorINS7_INS6_11hip_rocprim26transform_input_iterator_tIbNSD_35transform_pair_of_input_iterators_tIbNS6_6detail15normal_iteratorINS6_10device_ptrIKiEEEESL_NS6_8equal_toIiEEEENSG_9not_fun_tINSD_8identityEEEEENSD_19counting_iterator_tIlEES8_S8_S8_S8_S8_S8_S8_S8_EEEEPS9_S9_NSD_9__find_if7functorIS9_EEEE10hipError_tPvRmT1_T2_T3_mT4_P12ihipStream_tbEUlT_E1_NS1_11comp_targetILNS1_3genE9ELNS1_11target_archE1100ELNS1_3gpuE3ELNS1_3repE0EEENS1_30default_config_static_selectorELNS0_4arch9wavefront6targetE0EEEvS14_
	.p2align	8
	.type	_ZN7rocprim17ROCPRIM_400000_NS6detail17trampoline_kernelINS0_14default_configENS1_22reduce_config_selectorIN6thrust23THRUST_200600_302600_NS5tupleIblNS6_9null_typeES8_S8_S8_S8_S8_S8_S8_EEEEZNS1_11reduce_implILb1ES3_NS6_12zip_iteratorINS7_INS6_11hip_rocprim26transform_input_iterator_tIbNSD_35transform_pair_of_input_iterators_tIbNS6_6detail15normal_iteratorINS6_10device_ptrIKiEEEESL_NS6_8equal_toIiEEEENSG_9not_fun_tINSD_8identityEEEEENSD_19counting_iterator_tIlEES8_S8_S8_S8_S8_S8_S8_S8_EEEEPS9_S9_NSD_9__find_if7functorIS9_EEEE10hipError_tPvRmT1_T2_T3_mT4_P12ihipStream_tbEUlT_E1_NS1_11comp_targetILNS1_3genE9ELNS1_11target_archE1100ELNS1_3gpuE3ELNS1_3repE0EEENS1_30default_config_static_selectorELNS0_4arch9wavefront6targetE0EEEvS14_,@function
_ZN7rocprim17ROCPRIM_400000_NS6detail17trampoline_kernelINS0_14default_configENS1_22reduce_config_selectorIN6thrust23THRUST_200600_302600_NS5tupleIblNS6_9null_typeES8_S8_S8_S8_S8_S8_S8_EEEEZNS1_11reduce_implILb1ES3_NS6_12zip_iteratorINS7_INS6_11hip_rocprim26transform_input_iterator_tIbNSD_35transform_pair_of_input_iterators_tIbNS6_6detail15normal_iteratorINS6_10device_ptrIKiEEEESL_NS6_8equal_toIiEEEENSG_9not_fun_tINSD_8identityEEEEENSD_19counting_iterator_tIlEES8_S8_S8_S8_S8_S8_S8_S8_EEEEPS9_S9_NSD_9__find_if7functorIS9_EEEE10hipError_tPvRmT1_T2_T3_mT4_P12ihipStream_tbEUlT_E1_NS1_11comp_targetILNS1_3genE9ELNS1_11target_archE1100ELNS1_3gpuE3ELNS1_3repE0EEENS1_30default_config_static_selectorELNS0_4arch9wavefront6targetE0EEEvS14_: ; @_ZN7rocprim17ROCPRIM_400000_NS6detail17trampoline_kernelINS0_14default_configENS1_22reduce_config_selectorIN6thrust23THRUST_200600_302600_NS5tupleIblNS6_9null_typeES8_S8_S8_S8_S8_S8_S8_EEEEZNS1_11reduce_implILb1ES3_NS6_12zip_iteratorINS7_INS6_11hip_rocprim26transform_input_iterator_tIbNSD_35transform_pair_of_input_iterators_tIbNS6_6detail15normal_iteratorINS6_10device_ptrIKiEEEESL_NS6_8equal_toIiEEEENSG_9not_fun_tINSD_8identityEEEEENSD_19counting_iterator_tIlEES8_S8_S8_S8_S8_S8_S8_S8_EEEEPS9_S9_NSD_9__find_if7functorIS9_EEEE10hipError_tPvRmT1_T2_T3_mT4_P12ihipStream_tbEUlT_E1_NS1_11comp_targetILNS1_3genE9ELNS1_11target_archE1100ELNS1_3gpuE3ELNS1_3repE0EEENS1_30default_config_static_selectorELNS0_4arch9wavefront6targetE0EEEvS14_
; %bb.0:
	s_mov_b32 s10, s15
	s_clause 0x4
	s_load_b32 s25, s[0:1], 0x4
	s_load_b128 s[16:19], s[0:1], 0x8
	s_load_b128 s[12:15], s[0:1], 0x28
	s_load_b32 s24, s[0:1], 0x40
	s_load_b64 s[20:21], s[0:1], 0x48
	s_waitcnt lgkmcnt(0)
	s_cmp_lt_i32 s25, 4
	s_cbranch_scc1 .LBB39_19
; %bb.1:
	s_cmp_gt_i32 s25, 7
	s_cbranch_scc0 .LBB39_20
; %bb.2:
	s_cmp_eq_u32 s25, 8
	s_mov_b32 s27, 0
	s_cbranch_scc0 .LBB39_21
; %bb.3:
	s_mov_b32 s11, 0
	s_lshl_b32 s6, s10, 11
	s_mov_b32 s7, s11
	s_lshr_b64 s[4:5], s[14:15], 11
	s_lshl_b64 s[2:3], s[6:7], 2
	s_delay_alu instid0(SALU_CYCLE_1)
	s_add_u32 s8, s16, s2
	s_addc_u32 s9, s17, s3
	s_add_u32 s22, s18, s2
	s_addc_u32 s23, s19, s3
	;; [unrolled: 2-line block ×3, first 2 shown]
	s_cmp_lg_u64 s[4:5], s[10:11]
	s_cbranch_scc0 .LBB39_40
; %bb.4:
	v_lshlrev_b32_e32 v1, 2, v0
	s_clause 0x7
	global_load_b32 v6, v1, s[8:9]
	global_load_b32 v7, v1, s[8:9] offset:1024
	global_load_b32 v8, v1, s[8:9] offset:2048
	;; [unrolled: 1-line block ×5, first 2 shown]
	global_load_b32 v12, v1, s[22:23]
	global_load_b32 v13, v1, s[8:9] offset:3072
	v_add_co_u32 v3, s2, s8, v1
	s_delay_alu instid0(VALU_DEP_1) | instskip(SKIP_1) | instid1(VALU_DEP_1)
	v_add_co_ci_u32_e64 v4, null, s9, 0, s2
	v_add_co_u32 v2, s2, s22, v1
	v_add_co_ci_u32_e64 v5, null, s23, 0, s2
	s_delay_alu instid0(VALU_DEP_2) | instskip(NEXT) | instid1(VALU_DEP_2)
	v_add_co_u32 v1, vcc_lo, 0x1000, v2
	v_add_co_ci_u32_e32 v2, vcc_lo, 0, v5, vcc_lo
	v_add_co_u32 v3, vcc_lo, 0x1000, v3
	v_add_co_ci_u32_e32 v4, vcc_lo, 0, v4, vcc_lo
	global_load_b32 v5, v[1:2], off
	s_clause 0x1
	global_load_b32 v14, v[3:4], off
	global_load_b32 v15, v[3:4], off offset:1024
	s_clause 0x1
	global_load_b32 v16, v[1:2], off offset:1024
	global_load_b32 v17, v[1:2], off offset:2048
	s_clause 0x1
	global_load_b32 v18, v[3:4], off offset:2048
	global_load_b32 v3, v[3:4], off offset:3072
	;; [unrolled: 1-line block ×3, first 2 shown]
	v_mov_b32_e32 v2, 0x100
	v_mov_b32_e32 v4, 0x300
	s_waitcnt vmcnt(12)
	v_cmp_ne_u32_e32 vcc_lo, v7, v9
	s_waitcnt vmcnt(11)
	v_cmp_ne_u32_e64 s3, v8, v10
	s_waitcnt vmcnt(9)
	v_cmp_ne_u32_e64 s2, v6, v12
	;; [unrolled: 2-line block ×3, first 2 shown]
	v_cndmask_b32_e32 v2, 0x200, v2, vcc_lo
	v_mov_b32_e32 v6, 0x500
	s_delay_alu instid0(VALU_DEP_3) | instskip(NEXT) | instid1(VALU_DEP_3)
	v_cndmask_b32_e64 v4, 0x400, v4, s4
	v_cndmask_b32_e64 v2, v2, 0, s2
	s_or_b32 s2, s2, vcc_lo
	s_delay_alu instid0(SALU_CYCLE_1) | instskip(NEXT) | instid1(SALU_CYCLE_1)
	s_or_b32 s2, s2, s3
	s_or_b32 s4, s2, s4
	s_delay_alu instid0(VALU_DEP_1)
	v_cndmask_b32_e64 v2, v4, v2, s2
	s_waitcnt vmcnt(6)
	v_cmp_ne_u32_e32 vcc_lo, v14, v5
	s_waitcnt vmcnt(4)
	v_cmp_ne_u32_e64 s3, v15, v16
	s_waitcnt vmcnt(2)
	v_cmp_ne_u32_e64 s2, v18, v17
	s_or_b32 vcc_lo, s4, vcc_lo
	s_waitcnt vmcnt(0)
	v_cmp_ne_u32_e64 s4, v3, v1
	v_cndmask_b32_e64 v4, 0x600, v6, s3
	s_or_b32 s3, vcc_lo, s3
	s_delay_alu instid0(VALU_DEP_1) | instskip(SKIP_1) | instid1(SALU_CYCLE_1)
	v_cndmask_b32_e32 v2, v4, v2, vcc_lo
	s_or_b32 vcc_lo, s3, s2
	s_or_b32 s3, vcc_lo, s4
	s_mov_b32 s4, exec_lo
	s_delay_alu instid0(VALU_DEP_1) | instskip(SKIP_3) | instid1(VALU_DEP_3)
	v_cndmask_b32_e32 v1, 0x700, v2, vcc_lo
	v_add_co_u32 v2, s2, s26, v0
	v_cndmask_b32_e64 v5, 0, 1, s3
	v_add_co_ci_u32_e64 v3, null, s28, 0, s2
	v_add_co_u32 v1, vcc_lo, v2, v1
	s_delay_alu instid0(VALU_DEP_3) | instskip(NEXT) | instid1(VALU_DEP_3)
	v_mov_b32_dpp v6, v5 quad_perm:[1,0,3,2] row_mask:0xf bank_mask:0xf
	v_add_co_ci_u32_e32 v2, vcc_lo, 0, v3, vcc_lo
	s_delay_alu instid0(VALU_DEP_3) | instskip(NEXT) | instid1(VALU_DEP_3)
	v_mov_b32_dpp v3, v1 quad_perm:[1,0,3,2] row_mask:0xf bank_mask:0xf
	v_and_b32_e32 v7, 1, v6
	s_delay_alu instid0(VALU_DEP_3) | instskip(NEXT) | instid1(VALU_DEP_2)
	v_mov_b32_dpp v4, v2 quad_perm:[1,0,3,2] row_mask:0xf bank_mask:0xf
	v_cmpx_eq_u32_e32 1, v7
; %bb.5:
	v_cndmask_b32_e64 v5, v6, 1, s3
	s_delay_alu instid0(VALU_DEP_3) | instskip(NEXT) | instid1(VALU_DEP_2)
	v_cmp_lt_i64_e32 vcc_lo, v[1:2], v[3:4]
	v_and_b32_e32 v6, 1, v5
	v_and_b32_e32 v5, 0xff, v5
	s_and_b32 vcc_lo, s3, vcc_lo
	s_and_not1_b32 s3, s3, exec_lo
	v_dual_cndmask_b32 v2, v4, v2 :: v_dual_cndmask_b32 v1, v3, v1
	v_cmp_eq_u32_e64 s2, 1, v6
	s_delay_alu instid0(VALU_DEP_1) | instskip(NEXT) | instid1(SALU_CYCLE_1)
	s_and_b32 s2, s2, exec_lo
	s_or_b32 s3, s3, s2
; %bb.6:
	s_or_b32 exec_lo, exec_lo, s4
	v_mov_b32_dpp v6, v5 quad_perm:[2,3,0,1] row_mask:0xf bank_mask:0xf
	v_mov_b32_dpp v3, v1 quad_perm:[2,3,0,1] row_mask:0xf bank_mask:0xf
	;; [unrolled: 1-line block ×3, first 2 shown]
	s_mov_b32 s4, exec_lo
	s_delay_alu instid0(VALU_DEP_3) | instskip(NEXT) | instid1(VALU_DEP_1)
	v_and_b32_e32 v7, 1, v6
	v_cmpx_eq_u32_e32 1, v7
; %bb.7:
	v_cndmask_b32_e64 v5, v6, 1, s3
	v_cmp_lt_i64_e32 vcc_lo, v[1:2], v[3:4]
	s_delay_alu instid0(VALU_DEP_2)
	v_and_b32_e32 v6, 1, v5
	v_and_b32_e32 v5, 0xff, v5
	s_and_b32 vcc_lo, s3, vcc_lo
	s_and_not1_b32 s3, s3, exec_lo
	v_dual_cndmask_b32 v2, v4, v2 :: v_dual_cndmask_b32 v1, v3, v1
	v_cmp_eq_u32_e64 s2, 1, v6
	s_delay_alu instid0(VALU_DEP_1) | instskip(NEXT) | instid1(SALU_CYCLE_1)
	s_and_b32 s2, s2, exec_lo
	s_or_b32 s3, s3, s2
; %bb.8:
	s_or_b32 exec_lo, exec_lo, s4
	v_mov_b32_dpp v6, v5 row_ror:4 row_mask:0xf bank_mask:0xf
	v_mov_b32_dpp v3, v1 row_ror:4 row_mask:0xf bank_mask:0xf
	;; [unrolled: 1-line block ×3, first 2 shown]
	s_mov_b32 s4, exec_lo
	s_delay_alu instid0(VALU_DEP_3) | instskip(NEXT) | instid1(VALU_DEP_1)
	v_and_b32_e32 v7, 1, v6
	v_cmpx_eq_u32_e32 1, v7
; %bb.9:
	v_cndmask_b32_e64 v5, v6, 1, s3
	v_cmp_lt_i64_e32 vcc_lo, v[1:2], v[3:4]
	s_delay_alu instid0(VALU_DEP_2)
	v_and_b32_e32 v6, 1, v5
	v_and_b32_e32 v5, 0xff, v5
	s_and_b32 vcc_lo, s3, vcc_lo
	s_and_not1_b32 s3, s3, exec_lo
	v_dual_cndmask_b32 v2, v4, v2 :: v_dual_cndmask_b32 v1, v3, v1
	v_cmp_eq_u32_e64 s2, 1, v6
	s_delay_alu instid0(VALU_DEP_1) | instskip(NEXT) | instid1(SALU_CYCLE_1)
	s_and_b32 s2, s2, exec_lo
	s_or_b32 s3, s3, s2
; %bb.10:
	s_or_b32 exec_lo, exec_lo, s4
	v_mov_b32_dpp v6, v5 row_ror:8 row_mask:0xf bank_mask:0xf
	v_mov_b32_dpp v3, v1 row_ror:8 row_mask:0xf bank_mask:0xf
	;; [unrolled: 1-line block ×3, first 2 shown]
	s_mov_b32 s4, exec_lo
	s_delay_alu instid0(VALU_DEP_3) | instskip(NEXT) | instid1(VALU_DEP_1)
	v_and_b32_e32 v7, 1, v6
	v_cmpx_eq_u32_e32 1, v7
; %bb.11:
	v_cndmask_b32_e64 v5, v6, 1, s3
	v_cmp_lt_i64_e32 vcc_lo, v[1:2], v[3:4]
	s_delay_alu instid0(VALU_DEP_2)
	v_and_b32_e32 v6, 1, v5
	v_and_b32_e32 v5, 0xff, v5
	s_and_b32 vcc_lo, s3, vcc_lo
	s_and_not1_b32 s3, s3, exec_lo
	v_dual_cndmask_b32 v2, v4, v2 :: v_dual_cndmask_b32 v1, v3, v1
	v_cmp_eq_u32_e64 s2, 1, v6
	s_delay_alu instid0(VALU_DEP_1) | instskip(NEXT) | instid1(SALU_CYCLE_1)
	s_and_b32 s2, s2, exec_lo
	s_or_b32 s3, s3, s2
; %bb.12:
	s_or_b32 exec_lo, exec_lo, s4
	ds_swizzle_b32 v6, v5 offset:swizzle(BROADCAST,32,15)
	ds_swizzle_b32 v3, v1 offset:swizzle(BROADCAST,32,15)
	ds_swizzle_b32 v4, v2 offset:swizzle(BROADCAST,32,15)
	s_mov_b32 s2, exec_lo
	s_waitcnt lgkmcnt(2)
	v_and_b32_e32 v7, 1, v6
	s_delay_alu instid0(VALU_DEP_1)
	v_cmpx_eq_u32_e32 1, v7
	s_cbranch_execz .LBB39_14
; %bb.13:
	s_waitcnt lgkmcnt(0)
	v_cmp_lt_i64_e32 vcc_lo, v[1:2], v[3:4]
	v_and_b32_e32 v5, 0xff, v6
	s_delay_alu instid0(VALU_DEP_1)
	v_cndmask_b32_e64 v5, v5, 1, s3
	s_and_b32 vcc_lo, s3, vcc_lo
	v_dual_cndmask_b32 v1, v3, v1 :: v_dual_cndmask_b32 v2, v4, v2
.LBB39_14:
	s_or_b32 exec_lo, exec_lo, s2
	s_waitcnt lgkmcnt(1)
	v_mov_b32_e32 v3, 0
	s_mov_b32 s2, exec_lo
	ds_bpermute_b32 v6, v3, v5 offset:124
	ds_bpermute_b32 v1, v3, v1 offset:124
	;; [unrolled: 1-line block ×3, first 2 shown]
	v_mbcnt_lo_u32_b32 v3, -1, 0
	s_delay_alu instid0(VALU_DEP_1)
	v_cmpx_eq_u32_e32 0, v3
	s_cbranch_execz .LBB39_16
; %bb.15:
	s_waitcnt lgkmcnt(3)
	v_lshrrev_b32_e32 v4, 1, v0
	s_delay_alu instid0(VALU_DEP_1)
	v_and_b32_e32 v4, 0x70, v4
	s_waitcnt lgkmcnt(2)
	ds_store_b8 v4, v6 offset:384
	s_waitcnt lgkmcnt(1)
	ds_store_b64 v4, v[1:2] offset:392
.LBB39_16:
	s_or_b32 exec_lo, exec_lo, s2
	s_delay_alu instid0(SALU_CYCLE_1)
	s_mov_b32 s4, exec_lo
	s_waitcnt lgkmcnt(0)
	s_barrier
	buffer_gl0_inv
	v_cmpx_gt_u32_e32 32, v0
	s_cbranch_execz .LBB39_18
; %bb.17:
	v_and_b32_e32 v6, 7, v3
	s_delay_alu instid0(VALU_DEP_1)
	v_lshlrev_b32_e32 v1, 4, v6
	v_cmp_ne_u32_e32 vcc_lo, 7, v6
	ds_load_u8 v7, v1 offset:384
	ds_load_b64 v[1:2], v1 offset:392
	v_add_co_ci_u32_e32 v4, vcc_lo, 0, v3, vcc_lo
	v_cmp_gt_u32_e32 vcc_lo, 6, v6
	s_delay_alu instid0(VALU_DEP_2)
	v_lshlrev_b32_e32 v5, 2, v4
	v_cndmask_b32_e64 v10, 0, 1, vcc_lo
	s_waitcnt lgkmcnt(1)
	v_and_b32_e32 v4, 0xff, v7
	v_and_b32_e32 v11, 1, v7
	ds_bpermute_b32 v8, v5, v4
	s_waitcnt lgkmcnt(1)
	ds_bpermute_b32 v4, v5, v1
	ds_bpermute_b32 v5, v5, v2
	v_cmp_eq_u32_e64 s3, 1, v11
	s_waitcnt lgkmcnt(2)
	v_and_b32_e32 v9, 1, v8
	s_waitcnt lgkmcnt(0)
	v_cmp_lt_i64_e64 s2, v[4:5], v[1:2]
	s_delay_alu instid0(VALU_DEP_2) | instskip(SKIP_2) | instid1(VALU_DEP_4)
	v_cmp_eq_u32_e32 vcc_lo, 1, v9
	v_lshlrev_b32_e32 v9, 1, v10
	v_cndmask_b32_e64 v7, v7, 1, vcc_lo
	s_and_b32 vcc_lo, vcc_lo, s2
	v_dual_cndmask_b32 v1, v1, v4 :: v_dual_cndmask_b32 v2, v2, v5
	s_delay_alu instid0(VALU_DEP_2) | instskip(SKIP_2) | instid1(VALU_DEP_4)
	v_cndmask_b32_e64 v7, v8, v7, s3
	v_add_lshl_u32 v8, v9, v3, 2
	v_cmp_gt_u32_e32 vcc_lo, 4, v6
	v_cndmask_b32_e64 v1, v4, v1, s3
	v_cndmask_b32_e64 v2, v5, v2, s3
	v_and_b32_e32 v9, 0xff, v7
	v_and_b32_e32 v10, 1, v7
	v_cndmask_b32_e64 v6, 0, 1, vcc_lo
	ds_bpermute_b32 v4, v8, v1
	ds_bpermute_b32 v5, v8, v2
	;; [unrolled: 1-line block ×3, first 2 shown]
	v_cmp_eq_u32_e64 s3, 1, v10
	s_waitcnt lgkmcnt(1)
	v_cmp_lt_i64_e64 s2, v[4:5], v[1:2]
	s_waitcnt lgkmcnt(0)
	v_and_b32_e32 v8, 1, v9
	s_delay_alu instid0(VALU_DEP_1) | instskip(SKIP_1) | instid1(VALU_DEP_4)
	v_cmp_eq_u32_e32 vcc_lo, 1, v8
	v_cndmask_b32_e64 v7, v7, 1, vcc_lo
	s_and_b32 vcc_lo, vcc_lo, s2
	v_dual_cndmask_b32 v1, v1, v4 :: v_dual_cndmask_b32 v2, v2, v5
	s_delay_alu instid0(VALU_DEP_2) | instskip(NEXT) | instid1(VALU_DEP_2)
	v_cndmask_b32_e64 v7, v9, v7, s3
	v_cndmask_b32_e64 v1, v4, v1, s3
	v_lshlrev_b32_e32 v6, 2, v6
	s_delay_alu instid0(VALU_DEP_4) | instskip(NEXT) | instid1(VALU_DEP_2)
	v_cndmask_b32_e64 v2, v5, v2, s3
	v_add_lshl_u32 v6, v6, v3, 2
	v_and_b32_e32 v3, 0xff, v7
	ds_bpermute_b32 v4, v6, v2
	ds_bpermute_b32 v5, v6, v3
	;; [unrolled: 1-line block ×3, first 2 shown]
	s_waitcnt lgkmcnt(1)
	v_and_b32_e32 v6, 1, v5
	s_waitcnt lgkmcnt(0)
	v_cmp_lt_i64_e32 vcc_lo, v[3:4], v[1:2]
	s_delay_alu instid0(VALU_DEP_2) | instskip(SKIP_1) | instid1(VALU_DEP_2)
	v_cmp_eq_u32_e64 s2, 1, v6
	v_and_b32_e32 v6, 1, v7
	v_cndmask_b32_e64 v7, v7, 1, s2
	s_and_b32 vcc_lo, s2, vcc_lo
	s_delay_alu instid0(VALU_DEP_2) | instskip(SKIP_1) | instid1(VALU_DEP_2)
	v_cmp_eq_u32_e64 s2, 1, v6
	v_dual_cndmask_b32 v1, v1, v3 :: v_dual_cndmask_b32 v2, v2, v4
	v_cndmask_b32_e64 v5, v5, v7, s2
	s_delay_alu instid0(VALU_DEP_2) | instskip(NEXT) | instid1(VALU_DEP_3)
	v_cndmask_b32_e64 v1, v3, v1, s2
	v_cndmask_b32_e64 v2, v4, v2, s2
	s_delay_alu instid0(VALU_DEP_3)
	v_and_b32_e32 v6, 0xff, v5
.LBB39_18:
	s_or_b32 exec_lo, exec_lo, s4
	s_branch .LBB39_85
.LBB39_19:
	s_mov_b32 s26, 0
                                        ; implicit-def: $vgpr3_vgpr4
                                        ; implicit-def: $vgpr5
	s_cbranch_execnz .LBB39_129
	s_branch .LBB39_200
.LBB39_20:
	s_mov_b32 s27, -1
.LBB39_21:
	s_mov_b32 s26, 0
                                        ; implicit-def: $vgpr3_vgpr4
                                        ; implicit-def: $vgpr5
	s_and_b32 vcc_lo, exec_lo, s27
	s_cbranch_vccz .LBB39_90
.LBB39_22:
	s_cmp_eq_u32 s25, 4
	s_cbranch_scc0 .LBB39_39
; %bb.23:
	s_mov_b32 s11, 0
	s_lshl_b32 s22, s10, 10
	s_mov_b32 s23, s11
	s_lshr_b64 s[28:29], s[14:15], 10
	s_lshl_b64 s[2:3], s[22:23], 2
	s_delay_alu instid0(SALU_CYCLE_1)
	s_add_u32 s6, s16, s2
	s_addc_u32 s7, s17, s3
	s_add_u32 s8, s18, s2
	s_addc_u32 s9, s19, s3
	;; [unrolled: 2-line block ×3, first 2 shown]
	s_cmp_lg_u64 s[28:29], s[10:11]
	s_cbranch_scc0 .LBB39_91
; %bb.24:
	v_mov_b32_e32 v9, 0x100
	v_lshlrev_b32_e32 v1, 2, v0
	global_load_b32 v2, v1, s[8:9] offset:1024
	s_waitcnt lgkmcnt(1)
	global_load_b32 v3, v1, s[6:7] offset:1024
	s_waitcnt lgkmcnt(0)
	s_clause 0x5
	global_load_b32 v4, v1, s[6:7]
	global_load_b32 v5, v1, s[8:9]
	global_load_b32 v6, v1, s[6:7] offset:2048
	global_load_b32 v7, v1, s[8:9] offset:2048
	;; [unrolled: 1-line block ×4, first 2 shown]
	s_waitcnt vmcnt(6)
	v_cmp_ne_u32_e32 vcc_lo, v3, v2
	s_waitcnt vmcnt(4)
	v_cmp_ne_u32_e64 s2, v4, v5
	s_waitcnt vmcnt(2)
	v_cmp_ne_u32_e64 s3, v6, v7
	v_cndmask_b32_e32 v2, 0x200, v9, vcc_lo
	s_waitcnt vmcnt(0)
	v_cmp_ne_u32_e64 s4, v1, v8
	s_delay_alu instid0(VALU_DEP_2) | instskip(SKIP_1) | instid1(SALU_CYCLE_1)
	v_cndmask_b32_e64 v2, v2, 0, s2
	s_or_b32 s2, s2, vcc_lo
	s_or_b32 vcc_lo, s2, s3
	s_delay_alu instid0(VALU_DEP_1) | instskip(SKIP_4) | instid1(VALU_DEP_3)
	v_cndmask_b32_e32 v1, 0x300, v2, vcc_lo
	s_or_b32 s3, vcc_lo, s4
	v_add_co_u32 v2, s2, s5, v0
	v_cndmask_b32_e64 v5, 0, 1, s3
	v_add_co_ci_u32_e64 v3, null, s23, 0, s2
	v_add_co_u32 v1, vcc_lo, v2, v1
	s_delay_alu instid0(VALU_DEP_3) | instskip(NEXT) | instid1(VALU_DEP_3)
	v_mov_b32_dpp v6, v5 quad_perm:[1,0,3,2] row_mask:0xf bank_mask:0xf
	v_add_co_ci_u32_e32 v2, vcc_lo, 0, v3, vcc_lo
	s_delay_alu instid0(VALU_DEP_3) | instskip(SKIP_1) | instid1(VALU_DEP_3)
	v_mov_b32_dpp v3, v1 quad_perm:[1,0,3,2] row_mask:0xf bank_mask:0xf
	s_mov_b32 s4, exec_lo
	v_and_b32_e32 v7, 1, v6
	s_delay_alu instid0(VALU_DEP_3) | instskip(NEXT) | instid1(VALU_DEP_2)
	v_mov_b32_dpp v4, v2 quad_perm:[1,0,3,2] row_mask:0xf bank_mask:0xf
	v_cmpx_eq_u32_e32 1, v7
; %bb.25:
	v_cndmask_b32_e64 v5, v6, 1, s3
	s_delay_alu instid0(VALU_DEP_3) | instskip(NEXT) | instid1(VALU_DEP_2)
	v_cmp_lt_i64_e32 vcc_lo, v[1:2], v[3:4]
	v_and_b32_e32 v6, 1, v5
	v_and_b32_e32 v5, 0xff, v5
	s_and_b32 vcc_lo, s3, vcc_lo
	s_and_not1_b32 s3, s3, exec_lo
	v_dual_cndmask_b32 v2, v4, v2 :: v_dual_cndmask_b32 v1, v3, v1
	v_cmp_eq_u32_e64 s2, 1, v6
	s_delay_alu instid0(VALU_DEP_1) | instskip(NEXT) | instid1(SALU_CYCLE_1)
	s_and_b32 s2, s2, exec_lo
	s_or_b32 s3, s3, s2
; %bb.26:
	s_or_b32 exec_lo, exec_lo, s4
	v_mov_b32_dpp v6, v5 quad_perm:[2,3,0,1] row_mask:0xf bank_mask:0xf
	v_mov_b32_dpp v3, v1 quad_perm:[2,3,0,1] row_mask:0xf bank_mask:0xf
	;; [unrolled: 1-line block ×3, first 2 shown]
	s_mov_b32 s4, exec_lo
	s_delay_alu instid0(VALU_DEP_3) | instskip(NEXT) | instid1(VALU_DEP_1)
	v_and_b32_e32 v7, 1, v6
	v_cmpx_eq_u32_e32 1, v7
; %bb.27:
	v_cndmask_b32_e64 v5, v6, 1, s3
	v_cmp_lt_i64_e32 vcc_lo, v[1:2], v[3:4]
	s_delay_alu instid0(VALU_DEP_2)
	v_and_b32_e32 v6, 1, v5
	v_and_b32_e32 v5, 0xff, v5
	s_and_b32 vcc_lo, s3, vcc_lo
	s_and_not1_b32 s3, s3, exec_lo
	v_dual_cndmask_b32 v2, v4, v2 :: v_dual_cndmask_b32 v1, v3, v1
	v_cmp_eq_u32_e64 s2, 1, v6
	s_delay_alu instid0(VALU_DEP_1) | instskip(NEXT) | instid1(SALU_CYCLE_1)
	s_and_b32 s2, s2, exec_lo
	s_or_b32 s3, s3, s2
; %bb.28:
	s_or_b32 exec_lo, exec_lo, s4
	v_mov_b32_dpp v6, v5 row_ror:4 row_mask:0xf bank_mask:0xf
	v_mov_b32_dpp v3, v1 row_ror:4 row_mask:0xf bank_mask:0xf
	;; [unrolled: 1-line block ×3, first 2 shown]
	s_mov_b32 s4, exec_lo
	s_delay_alu instid0(VALU_DEP_3) | instskip(NEXT) | instid1(VALU_DEP_1)
	v_and_b32_e32 v7, 1, v6
	v_cmpx_eq_u32_e32 1, v7
; %bb.29:
	v_cndmask_b32_e64 v5, v6, 1, s3
	v_cmp_lt_i64_e32 vcc_lo, v[1:2], v[3:4]
	s_delay_alu instid0(VALU_DEP_2)
	v_and_b32_e32 v6, 1, v5
	v_and_b32_e32 v5, 0xff, v5
	s_and_b32 vcc_lo, s3, vcc_lo
	s_and_not1_b32 s3, s3, exec_lo
	v_dual_cndmask_b32 v2, v4, v2 :: v_dual_cndmask_b32 v1, v3, v1
	v_cmp_eq_u32_e64 s2, 1, v6
	s_delay_alu instid0(VALU_DEP_1) | instskip(NEXT) | instid1(SALU_CYCLE_1)
	s_and_b32 s2, s2, exec_lo
	s_or_b32 s3, s3, s2
; %bb.30:
	s_or_b32 exec_lo, exec_lo, s4
	v_mov_b32_dpp v6, v5 row_ror:8 row_mask:0xf bank_mask:0xf
	v_mov_b32_dpp v3, v1 row_ror:8 row_mask:0xf bank_mask:0xf
	;; [unrolled: 1-line block ×3, first 2 shown]
	s_mov_b32 s4, exec_lo
	s_delay_alu instid0(VALU_DEP_3) | instskip(NEXT) | instid1(VALU_DEP_1)
	v_and_b32_e32 v7, 1, v6
	v_cmpx_eq_u32_e32 1, v7
; %bb.31:
	v_cndmask_b32_e64 v5, v6, 1, s3
	v_cmp_lt_i64_e32 vcc_lo, v[1:2], v[3:4]
	s_delay_alu instid0(VALU_DEP_2)
	v_and_b32_e32 v6, 1, v5
	v_and_b32_e32 v5, 0xff, v5
	s_and_b32 vcc_lo, s3, vcc_lo
	s_and_not1_b32 s3, s3, exec_lo
	v_dual_cndmask_b32 v2, v4, v2 :: v_dual_cndmask_b32 v1, v3, v1
	v_cmp_eq_u32_e64 s2, 1, v6
	s_delay_alu instid0(VALU_DEP_1) | instskip(NEXT) | instid1(SALU_CYCLE_1)
	s_and_b32 s2, s2, exec_lo
	s_or_b32 s3, s3, s2
; %bb.32:
	s_or_b32 exec_lo, exec_lo, s4
	ds_swizzle_b32 v6, v5 offset:swizzle(BROADCAST,32,15)
	ds_swizzle_b32 v3, v1 offset:swizzle(BROADCAST,32,15)
	;; [unrolled: 1-line block ×3, first 2 shown]
	s_mov_b32 s2, exec_lo
	s_waitcnt lgkmcnt(2)
	v_and_b32_e32 v7, 1, v6
	s_delay_alu instid0(VALU_DEP_1)
	v_cmpx_eq_u32_e32 1, v7
	s_cbranch_execz .LBB39_34
; %bb.33:
	s_waitcnt lgkmcnt(0)
	v_cmp_lt_i64_e32 vcc_lo, v[1:2], v[3:4]
	v_and_b32_e32 v5, 0xff, v6
	s_delay_alu instid0(VALU_DEP_1)
	v_cndmask_b32_e64 v5, v5, 1, s3
	s_and_b32 vcc_lo, s3, vcc_lo
	v_dual_cndmask_b32 v1, v3, v1 :: v_dual_cndmask_b32 v2, v4, v2
.LBB39_34:
	s_or_b32 exec_lo, exec_lo, s2
	s_waitcnt lgkmcnt(1)
	v_mov_b32_e32 v3, 0
	s_mov_b32 s2, exec_lo
	ds_bpermute_b32 v6, v3, v5 offset:124
	ds_bpermute_b32 v1, v3, v1 offset:124
	;; [unrolled: 1-line block ×3, first 2 shown]
	v_mbcnt_lo_u32_b32 v3, -1, 0
	s_delay_alu instid0(VALU_DEP_1)
	v_cmpx_eq_u32_e32 0, v3
	s_cbranch_execz .LBB39_36
; %bb.35:
	s_waitcnt lgkmcnt(3)
	v_lshrrev_b32_e32 v4, 1, v0
	s_delay_alu instid0(VALU_DEP_1)
	v_and_b32_e32 v4, 0x70, v4
	s_waitcnt lgkmcnt(2)
	ds_store_b8 v4, v6 offset:256
	s_waitcnt lgkmcnt(1)
	ds_store_b64 v4, v[1:2] offset:264
.LBB39_36:
	s_or_b32 exec_lo, exec_lo, s2
	s_delay_alu instid0(SALU_CYCLE_1)
	s_mov_b32 s4, exec_lo
	s_waitcnt lgkmcnt(0)
	s_barrier
	buffer_gl0_inv
	v_cmpx_gt_u32_e32 32, v0
	s_cbranch_execz .LBB39_38
; %bb.37:
	v_and_b32_e32 v6, 7, v3
	s_delay_alu instid0(VALU_DEP_1)
	v_lshlrev_b32_e32 v1, 4, v6
	v_cmp_ne_u32_e32 vcc_lo, 7, v6
	ds_load_u8 v7, v1 offset:256
	ds_load_b64 v[1:2], v1 offset:264
	v_add_co_ci_u32_e32 v4, vcc_lo, 0, v3, vcc_lo
	v_cmp_gt_u32_e32 vcc_lo, 6, v6
	s_delay_alu instid0(VALU_DEP_2)
	v_lshlrev_b32_e32 v5, 2, v4
	v_cndmask_b32_e64 v10, 0, 1, vcc_lo
	s_waitcnt lgkmcnt(1)
	v_and_b32_e32 v4, 0xff, v7
	v_and_b32_e32 v11, 1, v7
	ds_bpermute_b32 v8, v5, v4
	s_waitcnt lgkmcnt(1)
	ds_bpermute_b32 v4, v5, v1
	ds_bpermute_b32 v5, v5, v2
	v_cmp_eq_u32_e64 s3, 1, v11
	s_waitcnt lgkmcnt(2)
	v_and_b32_e32 v9, 1, v8
	s_waitcnt lgkmcnt(0)
	v_cmp_lt_i64_e64 s2, v[4:5], v[1:2]
	s_delay_alu instid0(VALU_DEP_2) | instskip(SKIP_2) | instid1(VALU_DEP_4)
	v_cmp_eq_u32_e32 vcc_lo, 1, v9
	v_lshlrev_b32_e32 v9, 1, v10
	v_cndmask_b32_e64 v7, v7, 1, vcc_lo
	s_and_b32 vcc_lo, vcc_lo, s2
	v_dual_cndmask_b32 v1, v1, v4 :: v_dual_cndmask_b32 v2, v2, v5
	s_delay_alu instid0(VALU_DEP_2) | instskip(SKIP_2) | instid1(VALU_DEP_4)
	v_cndmask_b32_e64 v7, v8, v7, s3
	v_add_lshl_u32 v8, v9, v3, 2
	v_cmp_gt_u32_e32 vcc_lo, 4, v6
	v_cndmask_b32_e64 v1, v4, v1, s3
	v_cndmask_b32_e64 v2, v5, v2, s3
	v_and_b32_e32 v9, 0xff, v7
	v_and_b32_e32 v10, 1, v7
	v_cndmask_b32_e64 v6, 0, 1, vcc_lo
	ds_bpermute_b32 v4, v8, v1
	ds_bpermute_b32 v5, v8, v2
	;; [unrolled: 1-line block ×3, first 2 shown]
	v_cmp_eq_u32_e64 s3, 1, v10
	s_waitcnt lgkmcnt(1)
	v_cmp_lt_i64_e64 s2, v[4:5], v[1:2]
	s_waitcnt lgkmcnt(0)
	v_and_b32_e32 v8, 1, v9
	s_delay_alu instid0(VALU_DEP_1) | instskip(SKIP_1) | instid1(VALU_DEP_4)
	v_cmp_eq_u32_e32 vcc_lo, 1, v8
	v_cndmask_b32_e64 v7, v7, 1, vcc_lo
	s_and_b32 vcc_lo, vcc_lo, s2
	v_dual_cndmask_b32 v1, v1, v4 :: v_dual_cndmask_b32 v2, v2, v5
	s_delay_alu instid0(VALU_DEP_2) | instskip(NEXT) | instid1(VALU_DEP_2)
	v_cndmask_b32_e64 v7, v9, v7, s3
	v_cndmask_b32_e64 v1, v4, v1, s3
	v_lshlrev_b32_e32 v6, 2, v6
	s_delay_alu instid0(VALU_DEP_4) | instskip(NEXT) | instid1(VALU_DEP_2)
	v_cndmask_b32_e64 v2, v5, v2, s3
	v_add_lshl_u32 v6, v6, v3, 2
	v_and_b32_e32 v3, 0xff, v7
	ds_bpermute_b32 v4, v6, v2
	ds_bpermute_b32 v5, v6, v3
	;; [unrolled: 1-line block ×3, first 2 shown]
	s_waitcnt lgkmcnt(1)
	v_and_b32_e32 v6, 1, v5
	s_waitcnt lgkmcnt(0)
	v_cmp_lt_i64_e32 vcc_lo, v[3:4], v[1:2]
	s_delay_alu instid0(VALU_DEP_2) | instskip(SKIP_1) | instid1(VALU_DEP_2)
	v_cmp_eq_u32_e64 s2, 1, v6
	v_and_b32_e32 v6, 1, v7
	v_cndmask_b32_e64 v7, v7, 1, s2
	s_and_b32 vcc_lo, s2, vcc_lo
	s_delay_alu instid0(VALU_DEP_2) | instskip(SKIP_1) | instid1(VALU_DEP_2)
	v_cmp_eq_u32_e64 s2, 1, v6
	v_dual_cndmask_b32 v1, v1, v3 :: v_dual_cndmask_b32 v2, v2, v4
	v_cndmask_b32_e64 v5, v5, v7, s2
	s_delay_alu instid0(VALU_DEP_2) | instskip(NEXT) | instid1(VALU_DEP_3)
	v_cndmask_b32_e64 v1, v3, v1, s2
	v_cndmask_b32_e64 v2, v4, v2, s2
	s_delay_alu instid0(VALU_DEP_3)
	v_and_b32_e32 v6, 0xff, v5
.LBB39_38:
	s_or_b32 exec_lo, exec_lo, s4
	s_branch .LBB39_124
.LBB39_39:
                                        ; implicit-def: $vgpr3_vgpr4
                                        ; implicit-def: $vgpr5
	s_branch .LBB39_200
.LBB39_40:
                                        ; implicit-def: $vgpr1_vgpr2
                                        ; implicit-def: $vgpr6
	s_cbranch_execz .LBB39_85
; %bb.41:
	v_mov_b32_e32 v9, 0
	v_dual_mov_b32 v10, 0 :: v_dual_mov_b32 v21, 0
	s_delay_alu instid0(VALU_DEP_2) | instskip(SKIP_2) | instid1(VALU_DEP_3)
	v_mov_b32_e32 v1, v9
	v_mov_b32_e32 v17, 0
	s_sub_i32 s29, s14, s6
	v_mov_b32_e32 v2, v10
	s_mov_b32 s2, exec_lo
	v_cmpx_gt_u32_e64 s29, v0
	s_cbranch_execz .LBB39_43
; %bb.42:
	v_lshlrev_b32_e32 v1, 2, v0
	s_clause 0x1
	global_load_b32 v3, v1, s[8:9]
	global_load_b32 v4, v1, s[22:23]
	v_add_co_u32 v1, s3, s26, v0
	s_delay_alu instid0(VALU_DEP_1)
	v_add_co_ci_u32_e64 v2, null, s28, 0, s3
	s_waitcnt vmcnt(0)
	v_cmp_ne_u32_e32 vcc_lo, v3, v4
	v_cndmask_b32_e64 v17, 0, 1, vcc_lo
.LBB39_43:
	s_or_b32 exec_lo, exec_lo, s2
	v_or_b32_e32 v3, 0x100, v0
	s_delay_alu instid0(VALU_DEP_1) | instskip(NEXT) | instid1(VALU_DEP_1)
	v_cmp_gt_u32_e64 s7, s29, v3
	s_and_saveexec_b32 s2, s7
	s_cbranch_execz .LBB39_45
; %bb.44:
	v_lshlrev_b32_e32 v4, 2, v0
	v_add_co_u32 v9, s3, s26, v3
	s_delay_alu instid0(VALU_DEP_1)
	v_add_co_ci_u32_e64 v10, null, s28, 0, s3
	s_clause 0x1
	global_load_b32 v5, v4, s[8:9] offset:1024
	global_load_b32 v4, v4, s[22:23] offset:1024
	s_waitcnt vmcnt(0)
	v_cmp_ne_u32_e32 vcc_lo, v5, v4
	v_cndmask_b32_e64 v21, 0, 1, vcc_lo
.LBB39_45:
	s_or_b32 exec_lo, exec_lo, s2
	v_dual_mov_b32 v7, 0 :: v_dual_mov_b32 v20, 0
	v_mov_b32_e32 v8, 0
	v_or_b32_e32 v3, 0x200, v0
	v_mov_b32_e32 v24, 0
	s_delay_alu instid0(VALU_DEP_3) | instskip(NEXT) | instid1(VALU_DEP_3)
	v_dual_mov_b32 v16, v8 :: v_dual_mov_b32 v15, v7
	v_cmp_gt_u32_e64 s6, s29, v3
	s_delay_alu instid0(VALU_DEP_1)
	s_and_saveexec_b32 s2, s6
	s_cbranch_execz .LBB39_47
; %bb.46:
	v_lshlrev_b32_e32 v4, 2, v0
	v_add_co_u32 v15, s3, s26, v3
	s_delay_alu instid0(VALU_DEP_1)
	v_add_co_ci_u32_e64 v16, null, s28, 0, s3
	s_clause 0x1
	global_load_b32 v5, v4, s[8:9] offset:2048
	global_load_b32 v4, v4, s[22:23] offset:2048
	s_waitcnt vmcnt(0)
	v_cmp_ne_u32_e32 vcc_lo, v5, v4
	v_cndmask_b32_e64 v24, 0, 1, vcc_lo
.LBB39_47:
	s_or_b32 exec_lo, exec_lo, s2
	v_or_b32_e32 v3, 0x300, v0
	s_delay_alu instid0(VALU_DEP_1) | instskip(NEXT) | instid1(VALU_DEP_1)
	v_cmp_gt_u32_e64 s5, s29, v3
	s_and_saveexec_b32 s2, s5
	s_cbranch_execz .LBB39_49
; %bb.48:
	v_lshlrev_b32_e32 v4, 2, v0
	v_add_co_u32 v7, s3, s26, v3
	s_delay_alu instid0(VALU_DEP_1)
	v_add_co_ci_u32_e64 v8, null, s28, 0, s3
	s_clause 0x1
	global_load_b32 v5, v4, s[8:9] offset:3072
	global_load_b32 v4, v4, s[22:23] offset:3072
	s_waitcnt vmcnt(0)
	v_cmp_ne_u32_e32 vcc_lo, v5, v4
	v_cndmask_b32_e64 v20, 0, 1, vcc_lo
.LBB39_49:
	s_or_b32 exec_lo, exec_lo, s2
	v_mov_b32_e32 v5, 0
	v_dual_mov_b32 v6, 0 :: v_dual_mov_b32 v19, 0
	v_or_b32_e32 v3, 0x400, v0
	s_delay_alu instid0(VALU_DEP_2) | instskip(NEXT) | instid1(VALU_DEP_4)
	v_dual_mov_b32 v23, 0 :: v_dual_mov_b32 v14, v6
	v_mov_b32_e32 v13, v5
	s_delay_alu instid0(VALU_DEP_3) | instskip(NEXT) | instid1(VALU_DEP_1)
	v_cmp_gt_u32_e64 s4, s29, v3
	s_and_saveexec_b32 s2, s4
	s_cbranch_execz .LBB39_51
; %bb.50:
	v_lshlrev_b32_e32 v4, 2, v3
	v_add_co_u32 v13, s3, s26, v3
	s_delay_alu instid0(VALU_DEP_1)
	v_add_co_ci_u32_e64 v14, null, s28, 0, s3
	s_clause 0x1
	global_load_b32 v11, v4, s[8:9]
	global_load_b32 v4, v4, s[22:23]
	s_waitcnt vmcnt(0)
	v_cmp_ne_u32_e32 vcc_lo, v11, v4
	v_cndmask_b32_e64 v23, 0, 1, vcc_lo
.LBB39_51:
	s_or_b32 exec_lo, exec_lo, s2
	v_or_b32_e32 v3, 0x500, v0
	s_delay_alu instid0(VALU_DEP_1) | instskip(NEXT) | instid1(VALU_DEP_1)
	v_cmp_gt_u32_e64 s3, s29, v3
	s_and_saveexec_b32 s2, s3
	s_cbranch_execz .LBB39_53
; %bb.52:
	v_lshlrev_b32_e32 v4, 2, v3
	v_add_co_u32 v5, s30, s26, v3
	s_delay_alu instid0(VALU_DEP_1)
	v_add_co_ci_u32_e64 v6, null, s28, 0, s30
	s_clause 0x1
	global_load_b32 v11, v4, s[8:9]
	global_load_b32 v4, v4, s[22:23]
	s_waitcnt vmcnt(0)
	v_cmp_ne_u32_e32 vcc_lo, v11, v4
	v_cndmask_b32_e64 v19, 0, 1, vcc_lo
.LBB39_53:
	s_or_b32 exec_lo, exec_lo, s2
	v_dual_mov_b32 v3, 0 :: v_dual_mov_b32 v18, 0
	v_mov_b32_e32 v4, 0
	v_or_b32_e32 v25, 0x600, v0
	v_mov_b32_e32 v22, 0
	s_delay_alu instid0(VALU_DEP_3) | instskip(NEXT) | instid1(VALU_DEP_3)
	v_dual_mov_b32 v12, v4 :: v_dual_mov_b32 v11, v3
	v_cmp_gt_u32_e64 s2, s29, v25
	s_delay_alu instid0(VALU_DEP_1)
	s_and_saveexec_b32 s30, s2
	s_cbranch_execz .LBB39_55
; %bb.54:
	v_lshlrev_b32_e32 v11, 2, v25
	s_clause 0x1
	global_load_b32 v22, v11, s[8:9]
	global_load_b32 v26, v11, s[22:23]
	v_add_co_u32 v11, s31, s26, v25
	s_delay_alu instid0(VALU_DEP_1)
	v_add_co_ci_u32_e64 v12, null, s28, 0, s31
	s_waitcnt vmcnt(0)
	v_cmp_ne_u32_e32 vcc_lo, v22, v26
	v_cndmask_b32_e64 v22, 0, 1, vcc_lo
.LBB39_55:
	s_or_b32 exec_lo, exec_lo, s30
	v_or_b32_e32 v25, 0x700, v0
	s_delay_alu instid0(VALU_DEP_1)
	v_cmp_gt_u32_e32 vcc_lo, s29, v25
	s_and_saveexec_b32 s30, vcc_lo
	s_cbranch_execnz .LBB39_232
; %bb.56:
	s_or_b32 exec_lo, exec_lo, s30
	s_and_saveexec_b32 s9, s7
	s_cbranch_execnz .LBB39_233
.LBB39_57:
	s_or_b32 exec_lo, exec_lo, s9
	s_and_saveexec_b32 s8, s6
	s_cbranch_execnz .LBB39_234
.LBB39_58:
	s_or_b32 exec_lo, exec_lo, s8
	s_and_saveexec_b32 s7, s5
	s_cbranch_execnz .LBB39_235
.LBB39_59:
	s_or_b32 exec_lo, exec_lo, s7
	s_and_saveexec_b32 s6, s4
	s_cbranch_execnz .LBB39_236
.LBB39_60:
	s_or_b32 exec_lo, exec_lo, s6
	s_and_saveexec_b32 s5, s3
	s_cbranch_execnz .LBB39_237
.LBB39_61:
	s_or_b32 exec_lo, exec_lo, s5
	s_and_saveexec_b32 s4, s2
	s_cbranch_execnz .LBB39_238
.LBB39_62:
	s_or_b32 exec_lo, exec_lo, s4
	s_and_saveexec_b32 s3, vcc_lo
.LBB39_63:
	v_and_b32_e32 v5, 1, v18
	v_cmp_lt_i64_e32 vcc_lo, v[3:4], v[1:2]
	s_delay_alu instid0(VALU_DEP_2) | instskip(NEXT) | instid1(VALU_DEP_1)
	v_cmp_eq_u32_e64 s2, 1, v5
	s_and_b32 vcc_lo, s2, vcc_lo
	v_cndmask_b32_e64 v6, v17, 1, s2
	v_dual_cndmask_b32 v2, v2, v4 :: v_dual_and_b32 v5, 1, v17
	v_cndmask_b32_e32 v1, v1, v3, vcc_lo
	s_delay_alu instid0(VALU_DEP_2) | instskip(NEXT) | instid1(VALU_DEP_3)
	v_cmp_eq_u32_e32 vcc_lo, 1, v5
	v_cndmask_b32_e32 v2, v4, v2, vcc_lo
	v_cndmask_b32_e32 v17, v18, v6, vcc_lo
	s_delay_alu instid0(VALU_DEP_4)
	v_cndmask_b32_e32 v1, v3, v1, vcc_lo
.LBB39_64:
	s_or_b32 exec_lo, exec_lo, s3
	v_mbcnt_lo_u32_b32 v5, -1, 0
	v_and_b32_e32 v7, 0xe0, v0
	s_min_u32 s3, s29, 0x100
	v_and_b32_e32 v6, 0xffff, v17
	s_delay_alu instid0(VALU_DEP_3) | instskip(NEXT) | instid1(VALU_DEP_3)
	v_cmp_ne_u32_e32 vcc_lo, 31, v5
	v_sub_nc_u32_e64 v8, s3, v7 clamp
	v_add_nc_u32_e32 v7, 1, v5
	v_add_co_ci_u32_e32 v3, vcc_lo, 0, v5, vcc_lo
	s_delay_alu instid0(VALU_DEP_2) | instskip(NEXT) | instid1(VALU_DEP_2)
	v_cmp_lt_u32_e32 vcc_lo, v7, v8
	v_dual_mov_b32 v7, v6 :: v_dual_lshlrev_b32 v4, 2, v3
	ds_bpermute_b32 v9, v4, v6
	ds_bpermute_b32 v3, v4, v1
	;; [unrolled: 1-line block ×3, first 2 shown]
	s_and_saveexec_b32 s2, vcc_lo
	s_delay_alu instid0(SALU_CYCLE_1)
	s_xor_b32 s4, exec_lo, s2
	s_cbranch_execz .LBB39_66
; %bb.65:
	s_waitcnt lgkmcnt(2)
	v_and_b32_e32 v7, 1, v9
	s_waitcnt lgkmcnt(0)
	v_cmp_lt_i64_e32 vcc_lo, v[3:4], v[1:2]
	s_delay_alu instid0(VALU_DEP_2) | instskip(SKIP_1) | instid1(VALU_DEP_2)
	v_cmp_eq_u32_e64 s2, 1, v7
	v_and_b32_e32 v7, 1, v17
	v_cndmask_b32_e64 v6, v6, 1, s2
	s_and_b32 vcc_lo, s2, vcc_lo
	s_delay_alu instid0(VALU_DEP_2) | instskip(SKIP_1) | instid1(VALU_DEP_2)
	v_cmp_eq_u32_e64 s2, 1, v7
	v_dual_cndmask_b32 v2, v2, v4 :: v_dual_cndmask_b32 v1, v1, v3
	v_cndmask_b32_e64 v7, v9, v6, s2
	s_delay_alu instid0(VALU_DEP_2) | instskip(NEXT) | instid1(VALU_DEP_3)
	v_cndmask_b32_e64 v2, v4, v2, s2
	v_cndmask_b32_e64 v1, v3, v1, s2
	s_delay_alu instid0(VALU_DEP_3)
	v_and_b32_e32 v6, 0xff, v7
.LBB39_66:
	s_or_b32 exec_lo, exec_lo, s4
	v_cmp_gt_u32_e32 vcc_lo, 30, v5
	v_add_nc_u32_e32 v10, 2, v5
	s_mov_b32 s4, exec_lo
	s_waitcnt lgkmcnt(1)
	v_cndmask_b32_e64 v3, 0, 1, vcc_lo
	s_delay_alu instid0(VALU_DEP_1) | instskip(SKIP_1) | instid1(VALU_DEP_1)
	v_lshlrev_b32_e32 v3, 1, v3
	s_waitcnt lgkmcnt(0)
	v_add_lshl_u32 v4, v3, v5, 2
	ds_bpermute_b32 v9, v4, v6
	ds_bpermute_b32 v3, v4, v1
	ds_bpermute_b32 v4, v4, v2
	v_cmpx_lt_u32_e64 v10, v8
	s_cbranch_execz .LBB39_68
; %bb.67:
	s_waitcnt lgkmcnt(2)
	v_and_b32_e32 v6, 1, v9
	s_waitcnt lgkmcnt(0)
	v_cmp_lt_i64_e32 vcc_lo, v[3:4], v[1:2]
	s_delay_alu instid0(VALU_DEP_2) | instskip(SKIP_1) | instid1(VALU_DEP_2)
	v_cmp_eq_u32_e64 s2, 1, v6
	v_and_b32_e32 v6, 1, v7
	v_cndmask_b32_e64 v7, v7, 1, s2
	s_and_b32 vcc_lo, s2, vcc_lo
	s_delay_alu instid0(VALU_DEP_2) | instskip(SKIP_1) | instid1(VALU_DEP_2)
	v_cmp_eq_u32_e64 s2, 1, v6
	v_dual_cndmask_b32 v1, v1, v3 :: v_dual_cndmask_b32 v2, v2, v4
	v_cndmask_b32_e64 v7, v9, v7, s2
	s_delay_alu instid0(VALU_DEP_2) | instskip(NEXT) | instid1(VALU_DEP_3)
	v_cndmask_b32_e64 v1, v3, v1, s2
	v_cndmask_b32_e64 v2, v4, v2, s2
	s_delay_alu instid0(VALU_DEP_3)
	v_and_b32_e32 v6, 0xff, v7
.LBB39_68:
	s_or_b32 exec_lo, exec_lo, s4
	v_cmp_gt_u32_e32 vcc_lo, 28, v5
	v_add_nc_u32_e32 v10, 4, v5
	s_mov_b32 s4, exec_lo
	s_waitcnt lgkmcnt(1)
	v_cndmask_b32_e64 v3, 0, 1, vcc_lo
	s_delay_alu instid0(VALU_DEP_1) | instskip(SKIP_1) | instid1(VALU_DEP_1)
	v_lshlrev_b32_e32 v3, 2, v3
	s_waitcnt lgkmcnt(0)
	v_add_lshl_u32 v4, v3, v5, 2
	ds_bpermute_b32 v9, v4, v6
	ds_bpermute_b32 v3, v4, v1
	ds_bpermute_b32 v4, v4, v2
	v_cmpx_lt_u32_e64 v10, v8
	;; [unrolled: 35-line block ×4, first 2 shown]
	s_cbranch_execz .LBB39_74
; %bb.73:
	s_waitcnt lgkmcnt(2)
	v_and_b32_e32 v6, 1, v9
	s_waitcnt lgkmcnt(0)
	v_cmp_lt_i64_e32 vcc_lo, v[3:4], v[1:2]
	s_delay_alu instid0(VALU_DEP_2) | instskip(SKIP_1) | instid1(VALU_DEP_2)
	v_cmp_eq_u32_e64 s2, 1, v6
	v_and_b32_e32 v6, 1, v7
	v_cndmask_b32_e64 v7, v7, 1, s2
	s_and_b32 vcc_lo, s2, vcc_lo
	s_delay_alu instid0(VALU_DEP_2) | instskip(SKIP_1) | instid1(VALU_DEP_2)
	v_cmp_eq_u32_e64 s2, 1, v6
	v_dual_cndmask_b32 v1, v1, v3 :: v_dual_cndmask_b32 v2, v2, v4
	v_cndmask_b32_e64 v7, v9, v7, s2
	s_delay_alu instid0(VALU_DEP_2) | instskip(NEXT) | instid1(VALU_DEP_3)
	v_cndmask_b32_e64 v1, v3, v1, s2
	v_cndmask_b32_e64 v2, v4, v2, s2
	s_delay_alu instid0(VALU_DEP_3)
	v_and_b32_e32 v6, 0xff, v7
.LBB39_74:
	s_or_b32 exec_lo, exec_lo, s4
	s_delay_alu instid0(SALU_CYCLE_1)
	s_mov_b32 s2, exec_lo
	v_cmpx_eq_u32_e32 0, v5
	s_cbranch_execz .LBB39_76
; %bb.75:
	s_waitcnt lgkmcnt(1)
	v_lshrrev_b32_e32 v3, 1, v0
	s_delay_alu instid0(VALU_DEP_1)
	v_and_b32_e32 v3, 0x70, v3
	ds_store_b8 v3, v7 offset:512
	ds_store_b64 v3, v[1:2] offset:520
.LBB39_76:
	s_or_b32 exec_lo, exec_lo, s2
	s_delay_alu instid0(SALU_CYCLE_1)
	s_mov_b32 s4, exec_lo
	s_waitcnt lgkmcnt(0)
	s_barrier
	buffer_gl0_inv
	v_cmpx_gt_u32_e32 8, v0
	s_cbranch_execz .LBB39_84
; %bb.77:
	v_lshlrev_b32_e32 v1, 4, v5
	v_and_b32_e32 v8, 7, v5
	s_add_i32 s3, s3, 31
	s_mov_b32 s5, exec_lo
	s_lshr_b32 s3, s3, 5
	ds_load_u8 v7, v1 offset:512
	ds_load_b64 v[1:2], v1 offset:520
	v_cmp_ne_u32_e32 vcc_lo, 7, v8
	v_add_nc_u32_e32 v10, 1, v8
	v_add_co_ci_u32_e32 v3, vcc_lo, 0, v5, vcc_lo
	s_delay_alu instid0(VALU_DEP_1)
	v_lshlrev_b32_e32 v4, 2, v3
	s_waitcnt lgkmcnt(1)
	v_and_b32_e32 v6, 0xff, v7
	s_waitcnt lgkmcnt(0)
	ds_bpermute_b32 v3, v4, v1
	ds_bpermute_b32 v9, v4, v6
	;; [unrolled: 1-line block ×3, first 2 shown]
	v_cmpx_gt_u32_e64 s3, v10
	s_cbranch_execz .LBB39_79
; %bb.78:
	s_waitcnt lgkmcnt(1)
	v_and_b32_e32 v6, 1, v9
	s_waitcnt lgkmcnt(0)
	v_cmp_lt_i64_e32 vcc_lo, v[3:4], v[1:2]
	s_delay_alu instid0(VALU_DEP_2) | instskip(SKIP_1) | instid1(VALU_DEP_2)
	v_cmp_eq_u32_e64 s2, 1, v6
	v_and_b32_e32 v6, 1, v7
	v_cndmask_b32_e64 v7, v7, 1, s2
	s_and_b32 vcc_lo, s2, vcc_lo
	s_delay_alu instid0(VALU_DEP_2) | instskip(SKIP_1) | instid1(VALU_DEP_2)
	v_cmp_eq_u32_e64 s2, 1, v6
	v_dual_cndmask_b32 v1, v1, v3 :: v_dual_cndmask_b32 v2, v2, v4
	v_cndmask_b32_e64 v7, v9, v7, s2
	s_delay_alu instid0(VALU_DEP_2) | instskip(NEXT) | instid1(VALU_DEP_3)
	v_cndmask_b32_e64 v1, v3, v1, s2
	v_cndmask_b32_e64 v2, v4, v2, s2
	s_delay_alu instid0(VALU_DEP_3)
	v_and_b32_e32 v6, 0xff, v7
.LBB39_79:
	s_or_b32 exec_lo, exec_lo, s5
	v_cmp_gt_u32_e32 vcc_lo, 6, v8
	v_add_nc_u32_e32 v10, 2, v8
	s_mov_b32 s5, exec_lo
	s_waitcnt lgkmcnt(2)
	v_cndmask_b32_e64 v3, 0, 1, vcc_lo
	s_delay_alu instid0(VALU_DEP_1) | instskip(SKIP_1) | instid1(VALU_DEP_1)
	v_lshlrev_b32_e32 v3, 1, v3
	s_waitcnt lgkmcnt(0)
	v_add_lshl_u32 v4, v3, v5, 2
	ds_bpermute_b32 v9, v4, v6
	ds_bpermute_b32 v3, v4, v1
	;; [unrolled: 1-line block ×3, first 2 shown]
	v_cmpx_gt_u32_e64 s3, v10
	s_cbranch_execz .LBB39_81
; %bb.80:
	s_waitcnt lgkmcnt(2)
	v_and_b32_e32 v6, 1, v9
	s_waitcnt lgkmcnt(0)
	v_cmp_lt_i64_e32 vcc_lo, v[3:4], v[1:2]
	s_delay_alu instid0(VALU_DEP_2) | instskip(SKIP_1) | instid1(VALU_DEP_2)
	v_cmp_eq_u32_e64 s2, 1, v6
	v_and_b32_e32 v6, 1, v7
	v_cndmask_b32_e64 v7, v7, 1, s2
	s_and_b32 vcc_lo, s2, vcc_lo
	s_delay_alu instid0(VALU_DEP_2) | instskip(SKIP_1) | instid1(VALU_DEP_2)
	v_cmp_eq_u32_e64 s2, 1, v6
	v_dual_cndmask_b32 v1, v1, v3 :: v_dual_cndmask_b32 v2, v2, v4
	v_cndmask_b32_e64 v7, v9, v7, s2
	s_delay_alu instid0(VALU_DEP_2) | instskip(NEXT) | instid1(VALU_DEP_3)
	v_cndmask_b32_e64 v1, v3, v1, s2
	v_cndmask_b32_e64 v2, v4, v2, s2
	s_delay_alu instid0(VALU_DEP_3)
	v_and_b32_e32 v6, 0xff, v7
.LBB39_81:
	s_or_b32 exec_lo, exec_lo, s5
	v_cmp_gt_u32_e32 vcc_lo, 4, v8
	v_add_nc_u32_e32 v8, 4, v8
	s_waitcnt lgkmcnt(1)
	v_cndmask_b32_e64 v3, 0, 1, vcc_lo
	s_delay_alu instid0(VALU_DEP_2) | instskip(NEXT) | instid1(VALU_DEP_2)
	v_cmp_gt_u32_e32 vcc_lo, s3, v8
	v_lshlrev_b32_e32 v3, 2, v3
	s_waitcnt lgkmcnt(0)
	s_delay_alu instid0(VALU_DEP_1)
	v_add_lshl_u32 v4, v3, v5, 2
	ds_bpermute_b32 v5, v4, v6
	ds_bpermute_b32 v3, v4, v1
	;; [unrolled: 1-line block ×3, first 2 shown]
	s_and_saveexec_b32 s3, vcc_lo
	s_cbranch_execz .LBB39_83
; %bb.82:
	s_waitcnt lgkmcnt(2)
	v_and_b32_e32 v6, 1, v5
	s_waitcnt lgkmcnt(0)
	v_cmp_lt_i64_e32 vcc_lo, v[3:4], v[1:2]
	s_delay_alu instid0(VALU_DEP_2) | instskip(SKIP_1) | instid1(VALU_DEP_2)
	v_cmp_eq_u32_e64 s2, 1, v6
	v_and_b32_e32 v6, 1, v7
	v_cndmask_b32_e64 v7, v7, 1, s2
	s_and_b32 vcc_lo, s2, vcc_lo
	s_delay_alu instid0(VALU_DEP_2) | instskip(SKIP_1) | instid1(VALU_DEP_2)
	v_cmp_eq_u32_e64 s2, 1, v6
	v_dual_cndmask_b32 v1, v1, v3 :: v_dual_cndmask_b32 v2, v2, v4
	v_cndmask_b32_e64 v5, v5, v7, s2
	s_delay_alu instid0(VALU_DEP_2) | instskip(NEXT) | instid1(VALU_DEP_3)
	v_cndmask_b32_e64 v1, v3, v1, s2
	v_cndmask_b32_e64 v2, v4, v2, s2
	s_delay_alu instid0(VALU_DEP_3)
	v_and_b32_e32 v6, 0xff, v5
.LBB39_83:
	s_or_b32 exec_lo, exec_lo, s3
.LBB39_84:
	s_delay_alu instid0(SALU_CYCLE_1)
	s_or_b32 exec_lo, exec_lo, s4
.LBB39_85:
	s_mov_b32 s26, 0
                                        ; implicit-def: $vgpr3_vgpr4
                                        ; implicit-def: $vgpr5
	s_mov_b32 s2, exec_lo
	v_cmpx_eq_u32_e32 0, v0
	s_xor_b32 s4, exec_lo, s2
	s_cbranch_execz .LBB39_89
; %bb.86:
	s_waitcnt lgkmcnt(0)
	v_dual_mov_b32 v3, s20 :: v_dual_mov_b32 v4, s21
	v_mov_b32_e32 v5, s24
	s_cmp_eq_u64 s[14:15], 0
	s_cbranch_scc1 .LBB39_88
; %bb.87:
	v_and_b32_e32 v3, 1, v6
	v_cmp_gt_i64_e32 vcc_lo, s[20:21], v[1:2]
	s_bitcmp1_b32 s24, 0
	s_cselect_b32 s3, -1, 0
	s_delay_alu instid0(VALU_DEP_2) | instskip(NEXT) | instid1(VALU_DEP_1)
	v_cmp_eq_u32_e64 s2, 1, v3
	s_and_b32 vcc_lo, s2, vcc_lo
	v_cndmask_b32_e64 v3, s24, 1, s2
	v_cndmask_b32_e32 v7, s20, v1, vcc_lo
	v_cndmask_b32_e32 v4, s21, v2, vcc_lo
	s_delay_alu instid0(VALU_DEP_3) | instskip(NEXT) | instid1(VALU_DEP_3)
	v_cndmask_b32_e64 v5, v6, v3, s3
	v_cndmask_b32_e64 v3, v1, v7, s3
	s_delay_alu instid0(VALU_DEP_3)
	v_cndmask_b32_e64 v4, v2, v4, s3
.LBB39_88:
	s_mov_b32 s26, exec_lo
.LBB39_89:
	s_or_b32 exec_lo, exec_lo, s4
	s_delay_alu instid0(SALU_CYCLE_1)
	s_and_b32 vcc_lo, exec_lo, s27
	s_cbranch_vccnz .LBB39_22
.LBB39_90:
	s_branch .LBB39_200
.LBB39_91:
                                        ; implicit-def: $vgpr1_vgpr2
                                        ; implicit-def: $vgpr6
	s_cbranch_execz .LBB39_124
; %bb.92:
	s_waitcnt lgkmcnt(2)
	v_mov_b32_e32 v5, 0
	v_dual_mov_b32 v6, 0 :: v_dual_mov_b32 v11, 0
	s_delay_alu instid0(VALU_DEP_2) | instskip(SKIP_2) | instid1(VALU_DEP_3)
	v_mov_b32_e32 v1, v5
	v_mov_b32_e32 v9, 0
	s_sub_i32 s22, s14, s22
	v_mov_b32_e32 v2, v6
	s_mov_b32 s2, exec_lo
	v_cmpx_gt_u32_e64 s22, v0
	s_cbranch_execz .LBB39_94
; %bb.93:
	v_lshlrev_b32_e32 v1, 2, v0
	s_waitcnt lgkmcnt(1)
	global_load_b32 v3, v1, s[6:7]
	s_waitcnt lgkmcnt(0)
	global_load_b32 v4, v1, s[8:9]
	v_add_co_u32 v1, s3, s5, v0
	s_delay_alu instid0(VALU_DEP_1)
	v_add_co_ci_u32_e64 v2, null, s23, 0, s3
	s_waitcnt vmcnt(0)
	v_cmp_ne_u32_e32 vcc_lo, v3, v4
	v_cndmask_b32_e64 v9, 0, 1, vcc_lo
.LBB39_94:
	s_or_b32 exec_lo, exec_lo, s2
	s_waitcnt lgkmcnt(1)
	v_or_b32_e32 v3, 0x100, v0
	s_delay_alu instid0(VALU_DEP_1) | instskip(NEXT) | instid1(VALU_DEP_1)
	v_cmp_gt_u32_e64 s3, s22, v3
	s_and_saveexec_b32 s2, s3
	s_cbranch_execz .LBB39_96
; %bb.95:
	s_waitcnt lgkmcnt(0)
	v_lshlrev_b32_e32 v4, 2, v0
	v_add_co_u32 v5, s4, s5, v3
	s_delay_alu instid0(VALU_DEP_1)
	v_add_co_ci_u32_e64 v6, null, s23, 0, s4
	s_clause 0x1
	global_load_b32 v7, v4, s[6:7] offset:1024
	global_load_b32 v4, v4, s[8:9] offset:1024
	s_waitcnt vmcnt(0)
	v_cmp_ne_u32_e32 vcc_lo, v7, v4
	v_cndmask_b32_e64 v11, 0, 1, vcc_lo
.LBB39_96:
	s_or_b32 exec_lo, exec_lo, s2
	s_waitcnt lgkmcnt(0)
	v_dual_mov_b32 v3, 0 :: v_dual_mov_b32 v10, 0
	v_mov_b32_e32 v4, 0
	v_or_b32_e32 v13, 0x200, v0
	v_mov_b32_e32 v12, 0
	s_delay_alu instid0(VALU_DEP_3) | instskip(NEXT) | instid1(VALU_DEP_3)
	v_dual_mov_b32 v8, v4 :: v_dual_mov_b32 v7, v3
	v_cmp_gt_u32_e64 s2, s22, v13
	s_delay_alu instid0(VALU_DEP_1)
	s_and_saveexec_b32 s4, s2
	s_cbranch_execz .LBB39_98
; %bb.97:
	v_lshlrev_b32_e32 v7, 2, v0
	s_clause 0x1
	global_load_b32 v12, v7, s[6:7] offset:2048
	global_load_b32 v14, v7, s[8:9] offset:2048
	v_add_co_u32 v7, s27, s5, v13
	s_delay_alu instid0(VALU_DEP_1)
	v_add_co_ci_u32_e64 v8, null, s23, 0, s27
	s_waitcnt vmcnt(0)
	v_cmp_ne_u32_e32 vcc_lo, v12, v14
	v_cndmask_b32_e64 v12, 0, 1, vcc_lo
.LBB39_98:
	s_or_b32 exec_lo, exec_lo, s4
	v_or_b32_e32 v13, 0x300, v0
	s_delay_alu instid0(VALU_DEP_1)
	v_cmp_gt_u32_e32 vcc_lo, s22, v13
	s_and_saveexec_b32 s27, vcc_lo
	s_cbranch_execnz .LBB39_239
; %bb.99:
	s_or_b32 exec_lo, exec_lo, s27
	s_and_saveexec_b32 s5, s3
	s_cbranch_execnz .LBB39_240
.LBB39_100:
	s_or_b32 exec_lo, exec_lo, s5
	s_and_saveexec_b32 s4, s2
	s_cbranch_execnz .LBB39_241
.LBB39_101:
	s_or_b32 exec_lo, exec_lo, s4
	s_and_saveexec_b32 s3, vcc_lo
.LBB39_102:
	v_and_b32_e32 v5, 1, v10
	v_cmp_lt_i64_e32 vcc_lo, v[3:4], v[1:2]
	s_delay_alu instid0(VALU_DEP_2) | instskip(NEXT) | instid1(VALU_DEP_1)
	v_cmp_eq_u32_e64 s2, 1, v5
	s_and_b32 vcc_lo, s2, vcc_lo
	v_cndmask_b32_e64 v6, v9, 1, s2
	v_dual_cndmask_b32 v2, v2, v4 :: v_dual_and_b32 v5, 1, v9
	v_cndmask_b32_e32 v1, v1, v3, vcc_lo
	s_delay_alu instid0(VALU_DEP_2) | instskip(NEXT) | instid1(VALU_DEP_3)
	v_cmp_eq_u32_e32 vcc_lo, 1, v5
	v_cndmask_b32_e32 v2, v4, v2, vcc_lo
	v_cndmask_b32_e32 v9, v10, v6, vcc_lo
	s_delay_alu instid0(VALU_DEP_4)
	v_cndmask_b32_e32 v1, v3, v1, vcc_lo
.LBB39_103:
	s_or_b32 exec_lo, exec_lo, s3
	v_mbcnt_lo_u32_b32 v5, -1, 0
	v_and_b32_e32 v7, 0xe0, v0
	s_min_u32 s3, s22, 0x100
	v_and_b32_e32 v6, 0xffff, v9
	s_delay_alu instid0(VALU_DEP_3) | instskip(NEXT) | instid1(VALU_DEP_3)
	v_cmp_ne_u32_e32 vcc_lo, 31, v5
	v_sub_nc_u32_e64 v8, s3, v7 clamp
	v_add_nc_u32_e32 v7, 1, v5
	v_add_co_ci_u32_e32 v3, vcc_lo, 0, v5, vcc_lo
	s_delay_alu instid0(VALU_DEP_2) | instskip(NEXT) | instid1(VALU_DEP_2)
	v_cmp_lt_u32_e32 vcc_lo, v7, v8
	v_dual_mov_b32 v7, v6 :: v_dual_lshlrev_b32 v4, 2, v3
	ds_bpermute_b32 v10, v4, v6
	ds_bpermute_b32 v3, v4, v1
	;; [unrolled: 1-line block ×3, first 2 shown]
	s_and_saveexec_b32 s2, vcc_lo
	s_delay_alu instid0(SALU_CYCLE_1)
	s_xor_b32 s4, exec_lo, s2
	s_cbranch_execz .LBB39_105
; %bb.104:
	s_waitcnt lgkmcnt(2)
	v_and_b32_e32 v7, 1, v10
	s_waitcnt lgkmcnt(0)
	v_cmp_lt_i64_e32 vcc_lo, v[3:4], v[1:2]
	s_delay_alu instid0(VALU_DEP_2) | instskip(SKIP_1) | instid1(VALU_DEP_2)
	v_cmp_eq_u32_e64 s2, 1, v7
	v_and_b32_e32 v7, 1, v9
	v_cndmask_b32_e64 v6, v6, 1, s2
	s_and_b32 vcc_lo, s2, vcc_lo
	s_delay_alu instid0(VALU_DEP_2) | instskip(SKIP_1) | instid1(VALU_DEP_2)
	v_cmp_eq_u32_e64 s2, 1, v7
	v_dual_cndmask_b32 v2, v2, v4 :: v_dual_cndmask_b32 v1, v1, v3
	v_cndmask_b32_e64 v7, v10, v6, s2
	s_delay_alu instid0(VALU_DEP_2) | instskip(NEXT) | instid1(VALU_DEP_3)
	v_cndmask_b32_e64 v2, v4, v2, s2
	v_cndmask_b32_e64 v1, v3, v1, s2
	s_delay_alu instid0(VALU_DEP_3)
	v_and_b32_e32 v6, 0xff, v7
.LBB39_105:
	s_or_b32 exec_lo, exec_lo, s4
	v_cmp_gt_u32_e32 vcc_lo, 30, v5
	s_waitcnt lgkmcnt(2)
	v_add_nc_u32_e32 v10, 2, v5
	s_mov_b32 s4, exec_lo
	s_waitcnt lgkmcnt(1)
	v_cndmask_b32_e64 v3, 0, 1, vcc_lo
	s_delay_alu instid0(VALU_DEP_1) | instskip(SKIP_1) | instid1(VALU_DEP_1)
	v_lshlrev_b32_e32 v3, 1, v3
	s_waitcnt lgkmcnt(0)
	v_add_lshl_u32 v4, v3, v5, 2
	ds_bpermute_b32 v9, v4, v6
	ds_bpermute_b32 v3, v4, v1
	ds_bpermute_b32 v4, v4, v2
	v_cmpx_lt_u32_e64 v10, v8
	s_cbranch_execz .LBB39_107
; %bb.106:
	s_waitcnt lgkmcnt(2)
	v_and_b32_e32 v6, 1, v9
	s_waitcnt lgkmcnt(0)
	v_cmp_lt_i64_e32 vcc_lo, v[3:4], v[1:2]
	s_delay_alu instid0(VALU_DEP_2) | instskip(SKIP_1) | instid1(VALU_DEP_2)
	v_cmp_eq_u32_e64 s2, 1, v6
	v_and_b32_e32 v6, 1, v7
	v_cndmask_b32_e64 v7, v7, 1, s2
	s_and_b32 vcc_lo, s2, vcc_lo
	s_delay_alu instid0(VALU_DEP_2) | instskip(SKIP_1) | instid1(VALU_DEP_2)
	v_cmp_eq_u32_e64 s2, 1, v6
	v_dual_cndmask_b32 v1, v1, v3 :: v_dual_cndmask_b32 v2, v2, v4
	v_cndmask_b32_e64 v7, v9, v7, s2
	s_delay_alu instid0(VALU_DEP_2) | instskip(NEXT) | instid1(VALU_DEP_3)
	v_cndmask_b32_e64 v1, v3, v1, s2
	v_cndmask_b32_e64 v2, v4, v2, s2
	s_delay_alu instid0(VALU_DEP_3)
	v_and_b32_e32 v6, 0xff, v7
.LBB39_107:
	s_or_b32 exec_lo, exec_lo, s4
	v_cmp_gt_u32_e32 vcc_lo, 28, v5
	v_add_nc_u32_e32 v10, 4, v5
	s_mov_b32 s4, exec_lo
	s_waitcnt lgkmcnt(1)
	v_cndmask_b32_e64 v3, 0, 1, vcc_lo
	s_delay_alu instid0(VALU_DEP_1) | instskip(SKIP_1) | instid1(VALU_DEP_1)
	v_lshlrev_b32_e32 v3, 2, v3
	s_waitcnt lgkmcnt(0)
	v_add_lshl_u32 v4, v3, v5, 2
	ds_bpermute_b32 v9, v4, v6
	ds_bpermute_b32 v3, v4, v1
	ds_bpermute_b32 v4, v4, v2
	v_cmpx_lt_u32_e64 v10, v8
	s_cbranch_execz .LBB39_109
; %bb.108:
	s_waitcnt lgkmcnt(2)
	v_and_b32_e32 v6, 1, v9
	s_waitcnt lgkmcnt(0)
	v_cmp_lt_i64_e32 vcc_lo, v[3:4], v[1:2]
	s_delay_alu instid0(VALU_DEP_2) | instskip(SKIP_1) | instid1(VALU_DEP_2)
	v_cmp_eq_u32_e64 s2, 1, v6
	v_and_b32_e32 v6, 1, v7
	v_cndmask_b32_e64 v7, v7, 1, s2
	s_and_b32 vcc_lo, s2, vcc_lo
	s_delay_alu instid0(VALU_DEP_2) | instskip(SKIP_1) | instid1(VALU_DEP_2)
	v_cmp_eq_u32_e64 s2, 1, v6
	v_dual_cndmask_b32 v1, v1, v3 :: v_dual_cndmask_b32 v2, v2, v4
	v_cndmask_b32_e64 v7, v9, v7, s2
	s_delay_alu instid0(VALU_DEP_2) | instskip(NEXT) | instid1(VALU_DEP_3)
	v_cndmask_b32_e64 v1, v3, v1, s2
	v_cndmask_b32_e64 v2, v4, v2, s2
	s_delay_alu instid0(VALU_DEP_3)
	v_and_b32_e32 v6, 0xff, v7
.LBB39_109:
	s_or_b32 exec_lo, exec_lo, s4
	v_cmp_gt_u32_e32 vcc_lo, 24, v5
	;; [unrolled: 35-line block ×3, first 2 shown]
	v_add_nc_u32_e32 v10, 16, v5
	s_mov_b32 s4, exec_lo
	s_waitcnt lgkmcnt(1)
	v_cndmask_b32_e64 v3, 0, 1, vcc_lo
	s_delay_alu instid0(VALU_DEP_1) | instskip(SKIP_1) | instid1(VALU_DEP_1)
	v_lshlrev_b32_e32 v3, 4, v3
	s_waitcnt lgkmcnt(0)
	v_add_lshl_u32 v4, v3, v5, 2
	ds_bpermute_b32 v9, v4, v6
	ds_bpermute_b32 v3, v4, v1
	;; [unrolled: 1-line block ×3, first 2 shown]
	v_cmpx_lt_u32_e64 v10, v8
	s_cbranch_execz .LBB39_113
; %bb.112:
	s_waitcnt lgkmcnt(2)
	v_and_b32_e32 v6, 1, v9
	s_waitcnt lgkmcnt(0)
	v_cmp_lt_i64_e32 vcc_lo, v[3:4], v[1:2]
	s_delay_alu instid0(VALU_DEP_2) | instskip(SKIP_1) | instid1(VALU_DEP_2)
	v_cmp_eq_u32_e64 s2, 1, v6
	v_and_b32_e32 v6, 1, v7
	v_cndmask_b32_e64 v7, v7, 1, s2
	s_and_b32 vcc_lo, s2, vcc_lo
	s_delay_alu instid0(VALU_DEP_2) | instskip(SKIP_1) | instid1(VALU_DEP_2)
	v_cmp_eq_u32_e64 s2, 1, v6
	v_dual_cndmask_b32 v1, v1, v3 :: v_dual_cndmask_b32 v2, v2, v4
	v_cndmask_b32_e64 v7, v9, v7, s2
	s_delay_alu instid0(VALU_DEP_2) | instskip(NEXT) | instid1(VALU_DEP_3)
	v_cndmask_b32_e64 v1, v3, v1, s2
	v_cndmask_b32_e64 v2, v4, v2, s2
	s_delay_alu instid0(VALU_DEP_3)
	v_and_b32_e32 v6, 0xff, v7
.LBB39_113:
	s_or_b32 exec_lo, exec_lo, s4
	s_delay_alu instid0(SALU_CYCLE_1)
	s_mov_b32 s2, exec_lo
	v_cmpx_eq_u32_e32 0, v5
	s_cbranch_execz .LBB39_115
; %bb.114:
	s_waitcnt lgkmcnt(1)
	v_lshrrev_b32_e32 v3, 1, v0
	s_delay_alu instid0(VALU_DEP_1)
	v_and_b32_e32 v3, 0x70, v3
	ds_store_b8 v3, v7 offset:512
	ds_store_b64 v3, v[1:2] offset:520
.LBB39_115:
	s_or_b32 exec_lo, exec_lo, s2
	s_delay_alu instid0(SALU_CYCLE_1)
	s_mov_b32 s4, exec_lo
	s_waitcnt lgkmcnt(0)
	s_barrier
	buffer_gl0_inv
	v_cmpx_gt_u32_e32 8, v0
	s_cbranch_execz .LBB39_123
; %bb.116:
	v_lshlrev_b32_e32 v1, 4, v5
	v_and_b32_e32 v8, 7, v5
	s_add_i32 s3, s3, 31
	s_mov_b32 s5, exec_lo
	s_lshr_b32 s3, s3, 5
	ds_load_u8 v7, v1 offset:512
	ds_load_b64 v[1:2], v1 offset:520
	v_cmp_ne_u32_e32 vcc_lo, 7, v8
	v_add_nc_u32_e32 v10, 1, v8
	v_add_co_ci_u32_e32 v3, vcc_lo, 0, v5, vcc_lo
	s_delay_alu instid0(VALU_DEP_1)
	v_lshlrev_b32_e32 v4, 2, v3
	s_waitcnt lgkmcnt(1)
	v_and_b32_e32 v6, 0xff, v7
	s_waitcnt lgkmcnt(0)
	ds_bpermute_b32 v3, v4, v1
	ds_bpermute_b32 v9, v4, v6
	;; [unrolled: 1-line block ×3, first 2 shown]
	v_cmpx_gt_u32_e64 s3, v10
	s_cbranch_execz .LBB39_118
; %bb.117:
	s_waitcnt lgkmcnt(1)
	v_and_b32_e32 v6, 1, v9
	s_waitcnt lgkmcnt(0)
	v_cmp_lt_i64_e32 vcc_lo, v[3:4], v[1:2]
	s_delay_alu instid0(VALU_DEP_2) | instskip(SKIP_1) | instid1(VALU_DEP_2)
	v_cmp_eq_u32_e64 s2, 1, v6
	v_and_b32_e32 v6, 1, v7
	v_cndmask_b32_e64 v7, v7, 1, s2
	s_and_b32 vcc_lo, s2, vcc_lo
	s_delay_alu instid0(VALU_DEP_2) | instskip(SKIP_1) | instid1(VALU_DEP_2)
	v_cmp_eq_u32_e64 s2, 1, v6
	v_dual_cndmask_b32 v1, v1, v3 :: v_dual_cndmask_b32 v2, v2, v4
	v_cndmask_b32_e64 v7, v9, v7, s2
	s_delay_alu instid0(VALU_DEP_2) | instskip(NEXT) | instid1(VALU_DEP_3)
	v_cndmask_b32_e64 v1, v3, v1, s2
	v_cndmask_b32_e64 v2, v4, v2, s2
	s_delay_alu instid0(VALU_DEP_3)
	v_and_b32_e32 v6, 0xff, v7
.LBB39_118:
	s_or_b32 exec_lo, exec_lo, s5
	v_cmp_gt_u32_e32 vcc_lo, 6, v8
	v_add_nc_u32_e32 v10, 2, v8
	s_mov_b32 s5, exec_lo
	s_waitcnt lgkmcnt(2)
	v_cndmask_b32_e64 v3, 0, 1, vcc_lo
	s_delay_alu instid0(VALU_DEP_1) | instskip(SKIP_1) | instid1(VALU_DEP_1)
	v_lshlrev_b32_e32 v3, 1, v3
	s_waitcnt lgkmcnt(0)
	v_add_lshl_u32 v4, v3, v5, 2
	ds_bpermute_b32 v9, v4, v6
	ds_bpermute_b32 v3, v4, v1
	;; [unrolled: 1-line block ×3, first 2 shown]
	v_cmpx_gt_u32_e64 s3, v10
	s_cbranch_execz .LBB39_120
; %bb.119:
	s_waitcnt lgkmcnt(2)
	v_and_b32_e32 v6, 1, v9
	s_waitcnt lgkmcnt(0)
	v_cmp_lt_i64_e32 vcc_lo, v[3:4], v[1:2]
	s_delay_alu instid0(VALU_DEP_2) | instskip(SKIP_1) | instid1(VALU_DEP_2)
	v_cmp_eq_u32_e64 s2, 1, v6
	v_and_b32_e32 v6, 1, v7
	v_cndmask_b32_e64 v7, v7, 1, s2
	s_and_b32 vcc_lo, s2, vcc_lo
	s_delay_alu instid0(VALU_DEP_2) | instskip(SKIP_1) | instid1(VALU_DEP_2)
	v_cmp_eq_u32_e64 s2, 1, v6
	v_dual_cndmask_b32 v1, v1, v3 :: v_dual_cndmask_b32 v2, v2, v4
	v_cndmask_b32_e64 v7, v9, v7, s2
	s_delay_alu instid0(VALU_DEP_2) | instskip(NEXT) | instid1(VALU_DEP_3)
	v_cndmask_b32_e64 v1, v3, v1, s2
	v_cndmask_b32_e64 v2, v4, v2, s2
	s_delay_alu instid0(VALU_DEP_3)
	v_and_b32_e32 v6, 0xff, v7
.LBB39_120:
	s_or_b32 exec_lo, exec_lo, s5
	v_cmp_gt_u32_e32 vcc_lo, 4, v8
	v_add_nc_u32_e32 v8, 4, v8
	s_waitcnt lgkmcnt(1)
	v_cndmask_b32_e64 v3, 0, 1, vcc_lo
	s_delay_alu instid0(VALU_DEP_2) | instskip(NEXT) | instid1(VALU_DEP_2)
	v_cmp_gt_u32_e32 vcc_lo, s3, v8
	v_lshlrev_b32_e32 v3, 2, v3
	s_waitcnt lgkmcnt(0)
	s_delay_alu instid0(VALU_DEP_1)
	v_add_lshl_u32 v4, v3, v5, 2
	ds_bpermute_b32 v5, v4, v6
	ds_bpermute_b32 v3, v4, v1
	;; [unrolled: 1-line block ×3, first 2 shown]
	s_and_saveexec_b32 s3, vcc_lo
	s_cbranch_execz .LBB39_122
; %bb.121:
	s_waitcnt lgkmcnt(2)
	v_and_b32_e32 v6, 1, v5
	s_waitcnt lgkmcnt(0)
	v_cmp_lt_i64_e32 vcc_lo, v[3:4], v[1:2]
	s_delay_alu instid0(VALU_DEP_2) | instskip(SKIP_1) | instid1(VALU_DEP_2)
	v_cmp_eq_u32_e64 s2, 1, v6
	v_and_b32_e32 v6, 1, v7
	v_cndmask_b32_e64 v7, v7, 1, s2
	s_and_b32 vcc_lo, s2, vcc_lo
	s_delay_alu instid0(VALU_DEP_2) | instskip(SKIP_1) | instid1(VALU_DEP_2)
	v_cmp_eq_u32_e64 s2, 1, v6
	v_dual_cndmask_b32 v1, v1, v3 :: v_dual_cndmask_b32 v2, v2, v4
	v_cndmask_b32_e64 v5, v5, v7, s2
	s_delay_alu instid0(VALU_DEP_2) | instskip(NEXT) | instid1(VALU_DEP_3)
	v_cndmask_b32_e64 v1, v3, v1, s2
	v_cndmask_b32_e64 v2, v4, v2, s2
	s_delay_alu instid0(VALU_DEP_3)
	v_and_b32_e32 v6, 0xff, v5
.LBB39_122:
	s_or_b32 exec_lo, exec_lo, s3
.LBB39_123:
	s_delay_alu instid0(SALU_CYCLE_1)
	s_or_b32 exec_lo, exec_lo, s4
.LBB39_124:
                                        ; implicit-def: $vgpr3_vgpr4
                                        ; implicit-def: $vgpr5
	s_delay_alu instid0(SALU_CYCLE_1)
	s_mov_b32 s2, exec_lo
	v_cmpx_eq_u32_e32 0, v0
	s_xor_b32 s4, exec_lo, s2
	s_cbranch_execz .LBB39_128
; %bb.125:
	s_waitcnt lgkmcnt(0)
	v_dual_mov_b32 v3, s20 :: v_dual_mov_b32 v4, s21
	v_mov_b32_e32 v5, s24
	s_cmp_eq_u64 s[14:15], 0
	s_cbranch_scc1 .LBB39_127
; %bb.126:
	v_and_b32_e32 v3, 1, v6
	v_cmp_gt_i64_e32 vcc_lo, s[20:21], v[1:2]
	s_bitcmp1_b32 s24, 0
	s_cselect_b32 s3, -1, 0
	s_delay_alu instid0(VALU_DEP_2) | instskip(NEXT) | instid1(VALU_DEP_1)
	v_cmp_eq_u32_e64 s2, 1, v3
	s_and_b32 vcc_lo, s2, vcc_lo
	v_cndmask_b32_e64 v3, s24, 1, s2
	v_cndmask_b32_e32 v7, s20, v1, vcc_lo
	v_cndmask_b32_e32 v4, s21, v2, vcc_lo
	s_delay_alu instid0(VALU_DEP_3) | instskip(NEXT) | instid1(VALU_DEP_3)
	v_cndmask_b32_e64 v5, v6, v3, s3
	v_cndmask_b32_e64 v3, v1, v7, s3
	s_delay_alu instid0(VALU_DEP_3)
	v_cndmask_b32_e64 v4, v2, v4, s3
.LBB39_127:
	s_or_b32 s26, s26, exec_lo
.LBB39_128:
	s_or_b32 exec_lo, exec_lo, s4
	s_branch .LBB39_200
.LBB39_129:
	s_cmp_gt_i32 s25, 1
	s_cbranch_scc0 .LBB39_147
; %bb.130:
	s_cmp_eq_u32 s25, 2
	s_cbranch_scc0 .LBB39_148
; %bb.131:
	s_mov_b32 s11, 0
	s_lshl_b32 s8, s10, 9
	s_mov_b32 s9, s11
	s_lshr_b64 s[28:29], s[14:15], 9
	s_lshl_b64 s[2:3], s[8:9], 2
	s_delay_alu instid0(SALU_CYCLE_1)
	s_add_u32 s4, s16, s2
	s_addc_u32 s5, s17, s3
	s_add_u32 s6, s18, s2
	s_addc_u32 s7, s19, s3
	s_add_u32 s9, s12, s8
	s_addc_u32 s22, s13, 0
	s_cmp_lg_u64 s[28:29], s[10:11]
	s_cbranch_scc0 .LBB39_149
; %bb.132:
	v_lshlrev_b32_e32 v1, 2, v0
	v_add_co_u32 v7, s2, s9, v0
	s_waitcnt lgkmcnt(2)
	v_add_co_ci_u32_e64 v5, null, s22, 0, s2
	global_load_b32 v2, v1, s[6:7] offset:1024
	s_waitcnt lgkmcnt(1)
	global_load_b32 v3, v1, s[6:7]
	s_waitcnt lgkmcnt(0)
	s_clause 0x1
	global_load_b32 v4, v1, s[4:5] offset:1024
	global_load_b32 v1, v1, s[4:5]
	v_add_co_u32 v8, vcc_lo, 0x100, v7
	v_add_co_ci_u32_e32 v6, vcc_lo, 0, v5, vcc_lo
	s_mov_b32 s23, exec_lo
	s_waitcnt vmcnt(1)
	v_cmp_ne_u32_e32 vcc_lo, v4, v2
	s_waitcnt vmcnt(0)
	v_cmp_ne_u32_e64 s2, v1, v3
	s_delay_alu instid0(VALU_DEP_1) | instskip(SKIP_3) | instid1(VALU_DEP_3)
	s_or_b32 s3, s2, vcc_lo
	v_cndmask_b32_e64 v2, v6, v5, s2
	v_cndmask_b32_e64 v5, 0, 1, s3
	;; [unrolled: 1-line block ×3, first 2 shown]
	v_mov_b32_dpp v4, v2 quad_perm:[1,0,3,2] row_mask:0xf bank_mask:0xf
	s_delay_alu instid0(VALU_DEP_3) | instskip(NEXT) | instid1(VALU_DEP_3)
	v_mov_b32_dpp v6, v5 quad_perm:[1,0,3,2] row_mask:0xf bank_mask:0xf
	v_mov_b32_dpp v3, v1 quad_perm:[1,0,3,2] row_mask:0xf bank_mask:0xf
	s_delay_alu instid0(VALU_DEP_2) | instskip(NEXT) | instid1(VALU_DEP_1)
	v_and_b32_e32 v7, 1, v6
	v_cmpx_eq_u32_e32 1, v7
; %bb.133:
	v_cndmask_b32_e64 v5, v6, 1, s3
	s_delay_alu instid0(VALU_DEP_4) | instskip(NEXT) | instid1(VALU_DEP_2)
	v_cmp_lt_i64_e32 vcc_lo, v[1:2], v[3:4]
	v_and_b32_e32 v6, 1, v5
	v_and_b32_e32 v5, 0xff, v5
	s_and_b32 vcc_lo, s3, vcc_lo
	s_and_not1_b32 s3, s3, exec_lo
	v_dual_cndmask_b32 v2, v4, v2 :: v_dual_cndmask_b32 v1, v3, v1
	v_cmp_eq_u32_e64 s2, 1, v6
	s_delay_alu instid0(VALU_DEP_1) | instskip(NEXT) | instid1(SALU_CYCLE_1)
	s_and_b32 s2, s2, exec_lo
	s_or_b32 s3, s3, s2
; %bb.134:
	s_or_b32 exec_lo, exec_lo, s23
	v_mov_b32_dpp v6, v5 quad_perm:[2,3,0,1] row_mask:0xf bank_mask:0xf
	v_mov_b32_dpp v3, v1 quad_perm:[2,3,0,1] row_mask:0xf bank_mask:0xf
	;; [unrolled: 1-line block ×3, first 2 shown]
	s_mov_b32 s23, exec_lo
	s_delay_alu instid0(VALU_DEP_3) | instskip(NEXT) | instid1(VALU_DEP_1)
	v_and_b32_e32 v7, 1, v6
	v_cmpx_eq_u32_e32 1, v7
; %bb.135:
	v_cndmask_b32_e64 v5, v6, 1, s3
	v_cmp_lt_i64_e32 vcc_lo, v[1:2], v[3:4]
	s_delay_alu instid0(VALU_DEP_2)
	v_and_b32_e32 v6, 1, v5
	v_and_b32_e32 v5, 0xff, v5
	s_and_b32 vcc_lo, s3, vcc_lo
	s_and_not1_b32 s3, s3, exec_lo
	v_dual_cndmask_b32 v2, v4, v2 :: v_dual_cndmask_b32 v1, v3, v1
	v_cmp_eq_u32_e64 s2, 1, v6
	s_delay_alu instid0(VALU_DEP_1) | instskip(NEXT) | instid1(SALU_CYCLE_1)
	s_and_b32 s2, s2, exec_lo
	s_or_b32 s3, s3, s2
; %bb.136:
	s_or_b32 exec_lo, exec_lo, s23
	v_mov_b32_dpp v6, v5 row_ror:4 row_mask:0xf bank_mask:0xf
	v_mov_b32_dpp v3, v1 row_ror:4 row_mask:0xf bank_mask:0xf
	;; [unrolled: 1-line block ×3, first 2 shown]
	s_mov_b32 s23, exec_lo
	s_delay_alu instid0(VALU_DEP_3) | instskip(NEXT) | instid1(VALU_DEP_1)
	v_and_b32_e32 v7, 1, v6
	v_cmpx_eq_u32_e32 1, v7
; %bb.137:
	v_cndmask_b32_e64 v5, v6, 1, s3
	v_cmp_lt_i64_e32 vcc_lo, v[1:2], v[3:4]
	s_delay_alu instid0(VALU_DEP_2)
	v_and_b32_e32 v6, 1, v5
	v_and_b32_e32 v5, 0xff, v5
	s_and_b32 vcc_lo, s3, vcc_lo
	s_and_not1_b32 s3, s3, exec_lo
	v_dual_cndmask_b32 v2, v4, v2 :: v_dual_cndmask_b32 v1, v3, v1
	v_cmp_eq_u32_e64 s2, 1, v6
	s_delay_alu instid0(VALU_DEP_1) | instskip(NEXT) | instid1(SALU_CYCLE_1)
	s_and_b32 s2, s2, exec_lo
	s_or_b32 s3, s3, s2
; %bb.138:
	s_or_b32 exec_lo, exec_lo, s23
	v_mov_b32_dpp v6, v5 row_ror:8 row_mask:0xf bank_mask:0xf
	v_mov_b32_dpp v3, v1 row_ror:8 row_mask:0xf bank_mask:0xf
	;; [unrolled: 1-line block ×3, first 2 shown]
	s_mov_b32 s23, exec_lo
	s_delay_alu instid0(VALU_DEP_3) | instskip(NEXT) | instid1(VALU_DEP_1)
	v_and_b32_e32 v7, 1, v6
	v_cmpx_eq_u32_e32 1, v7
; %bb.139:
	v_cndmask_b32_e64 v5, v6, 1, s3
	v_cmp_lt_i64_e32 vcc_lo, v[1:2], v[3:4]
	s_delay_alu instid0(VALU_DEP_2)
	v_and_b32_e32 v6, 1, v5
	v_and_b32_e32 v5, 0xff, v5
	s_and_b32 vcc_lo, s3, vcc_lo
	s_and_not1_b32 s3, s3, exec_lo
	v_dual_cndmask_b32 v2, v4, v2 :: v_dual_cndmask_b32 v1, v3, v1
	v_cmp_eq_u32_e64 s2, 1, v6
	s_delay_alu instid0(VALU_DEP_1) | instskip(NEXT) | instid1(SALU_CYCLE_1)
	s_and_b32 s2, s2, exec_lo
	s_or_b32 s3, s3, s2
; %bb.140:
	s_or_b32 exec_lo, exec_lo, s23
	ds_swizzle_b32 v6, v5 offset:swizzle(BROADCAST,32,15)
	ds_swizzle_b32 v3, v1 offset:swizzle(BROADCAST,32,15)
	;; [unrolled: 1-line block ×3, first 2 shown]
	s_mov_b32 s2, exec_lo
	s_waitcnt lgkmcnt(2)
	v_and_b32_e32 v7, 1, v6
	s_delay_alu instid0(VALU_DEP_1)
	v_cmpx_eq_u32_e32 1, v7
	s_cbranch_execz .LBB39_142
; %bb.141:
	s_waitcnt lgkmcnt(0)
	v_cmp_lt_i64_e32 vcc_lo, v[1:2], v[3:4]
	v_and_b32_e32 v5, 0xff, v6
	s_delay_alu instid0(VALU_DEP_1)
	v_cndmask_b32_e64 v5, v5, 1, s3
	s_and_b32 vcc_lo, s3, vcc_lo
	v_dual_cndmask_b32 v1, v3, v1 :: v_dual_cndmask_b32 v2, v4, v2
.LBB39_142:
	s_or_b32 exec_lo, exec_lo, s2
	s_waitcnt lgkmcnt(1)
	v_mov_b32_e32 v3, 0
	s_mov_b32 s2, exec_lo
	ds_bpermute_b32 v6, v3, v5 offset:124
	ds_bpermute_b32 v1, v3, v1 offset:124
	;; [unrolled: 1-line block ×3, first 2 shown]
	v_mbcnt_lo_u32_b32 v3, -1, 0
	s_delay_alu instid0(VALU_DEP_1)
	v_cmpx_eq_u32_e32 0, v3
	s_cbranch_execz .LBB39_144
; %bb.143:
	s_waitcnt lgkmcnt(3)
	v_lshrrev_b32_e32 v4, 1, v0
	s_delay_alu instid0(VALU_DEP_1)
	v_and_b32_e32 v4, 0x70, v4
	s_waitcnt lgkmcnt(2)
	ds_store_b8 v4, v6 offset:128
	s_waitcnt lgkmcnt(1)
	ds_store_b64 v4, v[1:2] offset:136
.LBB39_144:
	s_or_b32 exec_lo, exec_lo, s2
	s_delay_alu instid0(SALU_CYCLE_1)
	s_mov_b32 s23, exec_lo
	s_waitcnt lgkmcnt(0)
	s_barrier
	buffer_gl0_inv
	v_cmpx_gt_u32_e32 32, v0
	s_cbranch_execz .LBB39_146
; %bb.145:
	v_and_b32_e32 v6, 7, v3
	s_delay_alu instid0(VALU_DEP_1)
	v_lshlrev_b32_e32 v1, 4, v6
	v_cmp_ne_u32_e32 vcc_lo, 7, v6
	ds_load_u8 v7, v1 offset:128
	ds_load_b64 v[1:2], v1 offset:136
	v_add_co_ci_u32_e32 v4, vcc_lo, 0, v3, vcc_lo
	v_cmp_gt_u32_e32 vcc_lo, 6, v6
	s_delay_alu instid0(VALU_DEP_2)
	v_lshlrev_b32_e32 v5, 2, v4
	v_cndmask_b32_e64 v10, 0, 1, vcc_lo
	s_waitcnt lgkmcnt(1)
	v_and_b32_e32 v4, 0xff, v7
	v_and_b32_e32 v11, 1, v7
	ds_bpermute_b32 v8, v5, v4
	s_waitcnt lgkmcnt(1)
	ds_bpermute_b32 v4, v5, v1
	ds_bpermute_b32 v5, v5, v2
	v_cmp_eq_u32_e64 s3, 1, v11
	s_waitcnt lgkmcnt(2)
	v_and_b32_e32 v9, 1, v8
	s_waitcnt lgkmcnt(0)
	v_cmp_lt_i64_e64 s2, v[4:5], v[1:2]
	s_delay_alu instid0(VALU_DEP_2) | instskip(SKIP_2) | instid1(VALU_DEP_4)
	v_cmp_eq_u32_e32 vcc_lo, 1, v9
	v_lshlrev_b32_e32 v9, 1, v10
	v_cndmask_b32_e64 v7, v7, 1, vcc_lo
	s_and_b32 vcc_lo, vcc_lo, s2
	v_dual_cndmask_b32 v1, v1, v4 :: v_dual_cndmask_b32 v2, v2, v5
	s_delay_alu instid0(VALU_DEP_2) | instskip(SKIP_2) | instid1(VALU_DEP_4)
	v_cndmask_b32_e64 v7, v8, v7, s3
	v_add_lshl_u32 v8, v9, v3, 2
	v_cmp_gt_u32_e32 vcc_lo, 4, v6
	v_cndmask_b32_e64 v1, v4, v1, s3
	v_cndmask_b32_e64 v2, v5, v2, s3
	v_and_b32_e32 v9, 0xff, v7
	v_and_b32_e32 v10, 1, v7
	v_cndmask_b32_e64 v6, 0, 1, vcc_lo
	ds_bpermute_b32 v4, v8, v1
	ds_bpermute_b32 v5, v8, v2
	;; [unrolled: 1-line block ×3, first 2 shown]
	v_cmp_eq_u32_e64 s3, 1, v10
	s_waitcnt lgkmcnt(1)
	v_cmp_lt_i64_e64 s2, v[4:5], v[1:2]
	s_waitcnt lgkmcnt(0)
	v_and_b32_e32 v8, 1, v9
	s_delay_alu instid0(VALU_DEP_1) | instskip(SKIP_1) | instid1(VALU_DEP_4)
	v_cmp_eq_u32_e32 vcc_lo, 1, v8
	v_cndmask_b32_e64 v7, v7, 1, vcc_lo
	s_and_b32 vcc_lo, vcc_lo, s2
	v_dual_cndmask_b32 v1, v1, v4 :: v_dual_cndmask_b32 v2, v2, v5
	s_delay_alu instid0(VALU_DEP_2) | instskip(NEXT) | instid1(VALU_DEP_2)
	v_cndmask_b32_e64 v7, v9, v7, s3
	v_cndmask_b32_e64 v1, v4, v1, s3
	v_lshlrev_b32_e32 v6, 2, v6
	s_delay_alu instid0(VALU_DEP_4) | instskip(NEXT) | instid1(VALU_DEP_2)
	v_cndmask_b32_e64 v2, v5, v2, s3
	v_add_lshl_u32 v6, v6, v3, 2
	v_and_b32_e32 v3, 0xff, v7
	ds_bpermute_b32 v4, v6, v2
	ds_bpermute_b32 v5, v6, v3
	;; [unrolled: 1-line block ×3, first 2 shown]
	s_waitcnt lgkmcnt(1)
	v_and_b32_e32 v6, 1, v5
	s_waitcnt lgkmcnt(0)
	v_cmp_lt_i64_e32 vcc_lo, v[3:4], v[1:2]
	s_delay_alu instid0(VALU_DEP_2) | instskip(SKIP_1) | instid1(VALU_DEP_2)
	v_cmp_eq_u32_e64 s2, 1, v6
	v_and_b32_e32 v6, 1, v7
	v_cndmask_b32_e64 v7, v7, 1, s2
	s_and_b32 vcc_lo, s2, vcc_lo
	s_delay_alu instid0(VALU_DEP_2) | instskip(SKIP_1) | instid1(VALU_DEP_2)
	v_cmp_eq_u32_e64 s2, 1, v6
	v_dual_cndmask_b32 v1, v1, v3 :: v_dual_cndmask_b32 v2, v2, v4
	v_cndmask_b32_e64 v5, v5, v7, s2
	s_delay_alu instid0(VALU_DEP_2) | instskip(NEXT) | instid1(VALU_DEP_3)
	v_cndmask_b32_e64 v1, v3, v1, s2
	v_cndmask_b32_e64 v2, v4, v2, s2
	s_delay_alu instid0(VALU_DEP_3)
	v_and_b32_e32 v6, 0xff, v5
.LBB39_146:
	s_or_b32 exec_lo, exec_lo, s23
	s_branch .LBB39_177
.LBB39_147:
                                        ; implicit-def: $vgpr3_vgpr4
                                        ; implicit-def: $vgpr5
	s_cbranch_execnz .LBB39_182
	s_branch .LBB39_200
.LBB39_148:
                                        ; implicit-def: $vgpr3_vgpr4
                                        ; implicit-def: $vgpr5
	s_branch .LBB39_200
.LBB39_149:
                                        ; implicit-def: $vgpr1_vgpr2
                                        ; implicit-def: $vgpr6
	s_cbranch_execz .LBB39_177
; %bb.150:
	s_waitcnt lgkmcnt(0)
	v_mov_b32_e32 v3, 0
	v_dual_mov_b32 v4, 0 :: v_dual_mov_b32 v5, 0
	s_delay_alu instid0(VALU_DEP_2) | instskip(SKIP_2) | instid1(VALU_DEP_3)
	v_mov_b32_e32 v1, v3
	v_mov_b32_e32 v7, 0
	s_sub_i32 s3, s14, s8
	v_mov_b32_e32 v2, v4
	s_mov_b32 s2, exec_lo
	v_cmpx_gt_u32_e64 s3, v0
	s_cbranch_execz .LBB39_152
; %bb.151:
	v_lshlrev_b32_e32 v1, 2, v0
	s_clause 0x1
	global_load_b32 v6, v1, s[4:5]
	global_load_b32 v7, v1, s[6:7]
	v_add_co_u32 v1, s8, s9, v0
	s_delay_alu instid0(VALU_DEP_1)
	v_add_co_ci_u32_e64 v2, null, s22, 0, s8
	s_waitcnt vmcnt(0)
	v_cmp_ne_u32_e32 vcc_lo, v6, v7
	v_cndmask_b32_e64 v7, 0, 1, vcc_lo
.LBB39_152:
	s_or_b32 exec_lo, exec_lo, s2
	v_or_b32_e32 v6, 0x100, v0
	s_delay_alu instid0(VALU_DEP_1)
	v_cmp_gt_u32_e32 vcc_lo, s3, v6
	s_and_saveexec_b32 s8, vcc_lo
	s_cbranch_execz .LBB39_154
; %bb.153:
	v_lshlrev_b32_e32 v3, 2, v0
	s_clause 0x1
	global_load_b32 v5, v3, s[4:5] offset:1024
	global_load_b32 v8, v3, s[6:7] offset:1024
	v_add_co_u32 v3, s2, s9, v6
	s_delay_alu instid0(VALU_DEP_1) | instskip(SKIP_2) | instid1(VALU_DEP_1)
	v_add_co_ci_u32_e64 v4, null, s22, 0, s2
	s_waitcnt vmcnt(0)
	v_cmp_ne_u32_e64 s2, v5, v8
	v_cndmask_b32_e64 v5, 0, 1, s2
.LBB39_154:
	s_or_b32 exec_lo, exec_lo, s8
	s_and_saveexec_b32 s4, vcc_lo
; %bb.155:
	s_delay_alu instid0(VALU_DEP_1) | instskip(SKIP_1) | instid1(VALU_DEP_2)
	v_and_b32_e32 v6, 1, v5
	v_cmp_lt_i64_e32 vcc_lo, v[3:4], v[1:2]
	v_cmp_eq_u32_e64 s2, 1, v6
	s_delay_alu instid0(VALU_DEP_1) | instskip(SKIP_4) | instid1(VALU_DEP_3)
	s_and_b32 vcc_lo, s2, vcc_lo
	v_cndmask_b32_e32 v1, v1, v3, vcc_lo
	v_and_b32_e32 v6, 1, v7
	v_cndmask_b32_e64 v7, v7, 1, s2
	v_cndmask_b32_e32 v2, v2, v4, vcc_lo
	v_cmp_eq_u32_e32 vcc_lo, 1, v6
	s_delay_alu instid0(VALU_DEP_2)
	v_dual_cndmask_b32 v7, v5, v7 :: v_dual_cndmask_b32 v2, v4, v2
	v_cndmask_b32_e32 v1, v3, v1, vcc_lo
; %bb.156:
	s_or_b32 exec_lo, exec_lo, s4
	v_mbcnt_lo_u32_b32 v5, -1, 0
	s_delay_alu instid0(VALU_DEP_3)
	v_and_b32_e32 v6, 0xffff, v7
	v_and_b32_e32 v8, 0xe0, v0
	s_min_u32 s3, s3, 0x100
	s_mov_b32 s4, exec_lo
	v_cmp_ne_u32_e32 vcc_lo, 31, v5
	v_add_nc_u32_e32 v10, 1, v5
	v_sub_nc_u32_e64 v8, s3, v8 clamp
	v_add_co_ci_u32_e32 v3, vcc_lo, 0, v5, vcc_lo
	s_delay_alu instid0(VALU_DEP_1)
	v_lshlrev_b32_e32 v4, 2, v3
	ds_bpermute_b32 v9, v4, v6
	ds_bpermute_b32 v3, v4, v1
	ds_bpermute_b32 v4, v4, v2
	v_cmpx_lt_u32_e64 v10, v8
	s_cbranch_execz .LBB39_158
; %bb.157:
	s_waitcnt lgkmcnt(2)
	v_and_b32_e32 v6, 1, v9
	s_waitcnt lgkmcnt(0)
	v_cmp_lt_i64_e32 vcc_lo, v[3:4], v[1:2]
	s_delay_alu instid0(VALU_DEP_2) | instskip(SKIP_1) | instid1(VALU_DEP_2)
	v_cmp_eq_u32_e64 s2, 1, v6
	v_and_b32_e32 v6, 1, v7
	v_cndmask_b32_e64 v7, v7, 1, s2
	s_and_b32 vcc_lo, s2, vcc_lo
	s_delay_alu instid0(VALU_DEP_2) | instskip(SKIP_1) | instid1(VALU_DEP_2)
	v_cmp_eq_u32_e64 s2, 1, v6
	v_dual_cndmask_b32 v1, v1, v3 :: v_dual_cndmask_b32 v2, v2, v4
	v_cndmask_b32_e64 v7, v9, v7, s2
	s_delay_alu instid0(VALU_DEP_2) | instskip(NEXT) | instid1(VALU_DEP_3)
	v_cndmask_b32_e64 v1, v3, v1, s2
	v_cndmask_b32_e64 v2, v4, v2, s2
	s_delay_alu instid0(VALU_DEP_3)
	v_and_b32_e32 v6, 0xff, v7
.LBB39_158:
	s_or_b32 exec_lo, exec_lo, s4
	v_cmp_gt_u32_e32 vcc_lo, 30, v5
	v_add_nc_u32_e32 v10, 2, v5
	s_mov_b32 s4, exec_lo
	s_waitcnt lgkmcnt(1)
	v_cndmask_b32_e64 v3, 0, 1, vcc_lo
	s_delay_alu instid0(VALU_DEP_1) | instskip(SKIP_1) | instid1(VALU_DEP_1)
	v_lshlrev_b32_e32 v3, 1, v3
	s_waitcnt lgkmcnt(0)
	v_add_lshl_u32 v4, v3, v5, 2
	ds_bpermute_b32 v9, v4, v6
	ds_bpermute_b32 v3, v4, v1
	ds_bpermute_b32 v4, v4, v2
	v_cmpx_lt_u32_e64 v10, v8
	s_cbranch_execz .LBB39_160
; %bb.159:
	s_waitcnt lgkmcnt(2)
	v_and_b32_e32 v6, 1, v9
	s_waitcnt lgkmcnt(0)
	v_cmp_lt_i64_e32 vcc_lo, v[3:4], v[1:2]
	s_delay_alu instid0(VALU_DEP_2) | instskip(SKIP_1) | instid1(VALU_DEP_2)
	v_cmp_eq_u32_e64 s2, 1, v6
	v_and_b32_e32 v6, 1, v7
	v_cndmask_b32_e64 v7, v7, 1, s2
	s_and_b32 vcc_lo, s2, vcc_lo
	s_delay_alu instid0(VALU_DEP_2) | instskip(SKIP_1) | instid1(VALU_DEP_2)
	v_cmp_eq_u32_e64 s2, 1, v6
	v_dual_cndmask_b32 v1, v1, v3 :: v_dual_cndmask_b32 v2, v2, v4
	v_cndmask_b32_e64 v7, v9, v7, s2
	s_delay_alu instid0(VALU_DEP_2) | instskip(NEXT) | instid1(VALU_DEP_3)
	v_cndmask_b32_e64 v1, v3, v1, s2
	v_cndmask_b32_e64 v2, v4, v2, s2
	s_delay_alu instid0(VALU_DEP_3)
	v_and_b32_e32 v6, 0xff, v7
.LBB39_160:
	s_or_b32 exec_lo, exec_lo, s4
	v_cmp_gt_u32_e32 vcc_lo, 28, v5
	v_add_nc_u32_e32 v10, 4, v5
	s_mov_b32 s4, exec_lo
	s_waitcnt lgkmcnt(1)
	v_cndmask_b32_e64 v3, 0, 1, vcc_lo
	s_delay_alu instid0(VALU_DEP_1) | instskip(SKIP_1) | instid1(VALU_DEP_1)
	v_lshlrev_b32_e32 v3, 2, v3
	s_waitcnt lgkmcnt(0)
	v_add_lshl_u32 v4, v3, v5, 2
	;; [unrolled: 35-line block ×4, first 2 shown]
	ds_bpermute_b32 v9, v4, v6
	ds_bpermute_b32 v3, v4, v1
	;; [unrolled: 1-line block ×3, first 2 shown]
	v_cmpx_lt_u32_e64 v10, v8
	s_cbranch_execz .LBB39_166
; %bb.165:
	s_waitcnt lgkmcnt(2)
	v_and_b32_e32 v6, 1, v9
	s_waitcnt lgkmcnt(0)
	v_cmp_lt_i64_e32 vcc_lo, v[3:4], v[1:2]
	s_delay_alu instid0(VALU_DEP_2) | instskip(SKIP_1) | instid1(VALU_DEP_2)
	v_cmp_eq_u32_e64 s2, 1, v6
	v_and_b32_e32 v6, 1, v7
	v_cndmask_b32_e64 v7, v7, 1, s2
	s_and_b32 vcc_lo, s2, vcc_lo
	s_delay_alu instid0(VALU_DEP_2) | instskip(SKIP_1) | instid1(VALU_DEP_2)
	v_cmp_eq_u32_e64 s2, 1, v6
	v_dual_cndmask_b32 v1, v1, v3 :: v_dual_cndmask_b32 v2, v2, v4
	v_cndmask_b32_e64 v7, v9, v7, s2
	s_delay_alu instid0(VALU_DEP_2) | instskip(NEXT) | instid1(VALU_DEP_3)
	v_cndmask_b32_e64 v1, v3, v1, s2
	v_cndmask_b32_e64 v2, v4, v2, s2
	s_delay_alu instid0(VALU_DEP_3)
	v_and_b32_e32 v6, 0xff, v7
.LBB39_166:
	s_or_b32 exec_lo, exec_lo, s4
	s_delay_alu instid0(SALU_CYCLE_1)
	s_mov_b32 s2, exec_lo
	v_cmpx_eq_u32_e32 0, v5
	s_cbranch_execz .LBB39_168
; %bb.167:
	s_waitcnt lgkmcnt(1)
	v_lshrrev_b32_e32 v3, 1, v0
	s_delay_alu instid0(VALU_DEP_1)
	v_and_b32_e32 v3, 0x70, v3
	ds_store_b8 v3, v7 offset:512
	ds_store_b64 v3, v[1:2] offset:520
.LBB39_168:
	s_or_b32 exec_lo, exec_lo, s2
	s_delay_alu instid0(SALU_CYCLE_1)
	s_mov_b32 s4, exec_lo
	s_waitcnt lgkmcnt(0)
	s_barrier
	buffer_gl0_inv
	v_cmpx_gt_u32_e32 8, v0
	s_cbranch_execz .LBB39_176
; %bb.169:
	v_lshlrev_b32_e32 v1, 4, v5
	v_and_b32_e32 v8, 7, v5
	s_add_i32 s3, s3, 31
	s_mov_b32 s5, exec_lo
	s_lshr_b32 s3, s3, 5
	ds_load_u8 v7, v1 offset:512
	ds_load_b64 v[1:2], v1 offset:520
	v_cmp_ne_u32_e32 vcc_lo, 7, v8
	v_add_nc_u32_e32 v10, 1, v8
	v_add_co_ci_u32_e32 v3, vcc_lo, 0, v5, vcc_lo
	s_delay_alu instid0(VALU_DEP_1)
	v_lshlrev_b32_e32 v4, 2, v3
	s_waitcnt lgkmcnt(1)
	v_and_b32_e32 v6, 0xff, v7
	s_waitcnt lgkmcnt(0)
	ds_bpermute_b32 v3, v4, v1
	ds_bpermute_b32 v9, v4, v6
	;; [unrolled: 1-line block ×3, first 2 shown]
	v_cmpx_gt_u32_e64 s3, v10
	s_cbranch_execz .LBB39_171
; %bb.170:
	s_waitcnt lgkmcnt(1)
	v_and_b32_e32 v6, 1, v9
	s_waitcnt lgkmcnt(0)
	v_cmp_lt_i64_e32 vcc_lo, v[3:4], v[1:2]
	s_delay_alu instid0(VALU_DEP_2) | instskip(SKIP_1) | instid1(VALU_DEP_2)
	v_cmp_eq_u32_e64 s2, 1, v6
	v_and_b32_e32 v6, 1, v7
	v_cndmask_b32_e64 v7, v7, 1, s2
	s_and_b32 vcc_lo, s2, vcc_lo
	s_delay_alu instid0(VALU_DEP_2) | instskip(SKIP_1) | instid1(VALU_DEP_2)
	v_cmp_eq_u32_e64 s2, 1, v6
	v_dual_cndmask_b32 v1, v1, v3 :: v_dual_cndmask_b32 v2, v2, v4
	v_cndmask_b32_e64 v7, v9, v7, s2
	s_delay_alu instid0(VALU_DEP_2) | instskip(NEXT) | instid1(VALU_DEP_3)
	v_cndmask_b32_e64 v1, v3, v1, s2
	v_cndmask_b32_e64 v2, v4, v2, s2
	s_delay_alu instid0(VALU_DEP_3)
	v_and_b32_e32 v6, 0xff, v7
.LBB39_171:
	s_or_b32 exec_lo, exec_lo, s5
	v_cmp_gt_u32_e32 vcc_lo, 6, v8
	v_add_nc_u32_e32 v10, 2, v8
	s_mov_b32 s5, exec_lo
	s_waitcnt lgkmcnt(2)
	v_cndmask_b32_e64 v3, 0, 1, vcc_lo
	s_delay_alu instid0(VALU_DEP_1) | instskip(SKIP_1) | instid1(VALU_DEP_1)
	v_lshlrev_b32_e32 v3, 1, v3
	s_waitcnt lgkmcnt(0)
	v_add_lshl_u32 v4, v3, v5, 2
	ds_bpermute_b32 v9, v4, v6
	ds_bpermute_b32 v3, v4, v1
	;; [unrolled: 1-line block ×3, first 2 shown]
	v_cmpx_gt_u32_e64 s3, v10
	s_cbranch_execz .LBB39_173
; %bb.172:
	s_waitcnt lgkmcnt(2)
	v_and_b32_e32 v6, 1, v9
	s_waitcnt lgkmcnt(0)
	v_cmp_lt_i64_e32 vcc_lo, v[3:4], v[1:2]
	s_delay_alu instid0(VALU_DEP_2) | instskip(SKIP_1) | instid1(VALU_DEP_2)
	v_cmp_eq_u32_e64 s2, 1, v6
	v_and_b32_e32 v6, 1, v7
	v_cndmask_b32_e64 v7, v7, 1, s2
	s_and_b32 vcc_lo, s2, vcc_lo
	s_delay_alu instid0(VALU_DEP_2) | instskip(SKIP_1) | instid1(VALU_DEP_2)
	v_cmp_eq_u32_e64 s2, 1, v6
	v_dual_cndmask_b32 v1, v1, v3 :: v_dual_cndmask_b32 v2, v2, v4
	v_cndmask_b32_e64 v7, v9, v7, s2
	s_delay_alu instid0(VALU_DEP_2) | instskip(NEXT) | instid1(VALU_DEP_3)
	v_cndmask_b32_e64 v1, v3, v1, s2
	v_cndmask_b32_e64 v2, v4, v2, s2
	s_delay_alu instid0(VALU_DEP_3)
	v_and_b32_e32 v6, 0xff, v7
.LBB39_173:
	s_or_b32 exec_lo, exec_lo, s5
	v_cmp_gt_u32_e32 vcc_lo, 4, v8
	v_add_nc_u32_e32 v8, 4, v8
	s_waitcnt lgkmcnt(1)
	v_cndmask_b32_e64 v3, 0, 1, vcc_lo
	s_delay_alu instid0(VALU_DEP_2) | instskip(NEXT) | instid1(VALU_DEP_2)
	v_cmp_gt_u32_e32 vcc_lo, s3, v8
	v_lshlrev_b32_e32 v3, 2, v3
	s_waitcnt lgkmcnt(0)
	s_delay_alu instid0(VALU_DEP_1)
	v_add_lshl_u32 v4, v3, v5, 2
	ds_bpermute_b32 v5, v4, v6
	ds_bpermute_b32 v3, v4, v1
	;; [unrolled: 1-line block ×3, first 2 shown]
	s_and_saveexec_b32 s3, vcc_lo
	s_cbranch_execz .LBB39_175
; %bb.174:
	s_waitcnt lgkmcnt(2)
	v_and_b32_e32 v6, 1, v5
	s_waitcnt lgkmcnt(0)
	v_cmp_lt_i64_e32 vcc_lo, v[3:4], v[1:2]
	s_delay_alu instid0(VALU_DEP_2) | instskip(SKIP_1) | instid1(VALU_DEP_2)
	v_cmp_eq_u32_e64 s2, 1, v6
	v_and_b32_e32 v6, 1, v7
	v_cndmask_b32_e64 v7, v7, 1, s2
	s_and_b32 vcc_lo, s2, vcc_lo
	s_delay_alu instid0(VALU_DEP_2) | instskip(SKIP_1) | instid1(VALU_DEP_2)
	v_cmp_eq_u32_e64 s2, 1, v6
	v_dual_cndmask_b32 v1, v1, v3 :: v_dual_cndmask_b32 v2, v2, v4
	v_cndmask_b32_e64 v5, v5, v7, s2
	s_delay_alu instid0(VALU_DEP_2) | instskip(NEXT) | instid1(VALU_DEP_3)
	v_cndmask_b32_e64 v1, v3, v1, s2
	v_cndmask_b32_e64 v2, v4, v2, s2
	s_delay_alu instid0(VALU_DEP_3)
	v_and_b32_e32 v6, 0xff, v5
.LBB39_175:
	s_or_b32 exec_lo, exec_lo, s3
.LBB39_176:
	s_delay_alu instid0(SALU_CYCLE_1)
	s_or_b32 exec_lo, exec_lo, s4
.LBB39_177:
                                        ; implicit-def: $vgpr3_vgpr4
                                        ; implicit-def: $vgpr5
	s_delay_alu instid0(SALU_CYCLE_1)
	s_mov_b32 s2, exec_lo
	v_cmpx_eq_u32_e32 0, v0
	s_xor_b32 s4, exec_lo, s2
	s_cbranch_execz .LBB39_181
; %bb.178:
	s_waitcnt lgkmcnt(0)
	v_dual_mov_b32 v3, s20 :: v_dual_mov_b32 v4, s21
	v_mov_b32_e32 v5, s24
	s_cmp_eq_u64 s[14:15], 0
	s_cbranch_scc1 .LBB39_180
; %bb.179:
	v_and_b32_e32 v3, 1, v6
	v_cmp_gt_i64_e32 vcc_lo, s[20:21], v[1:2]
	s_bitcmp1_b32 s24, 0
	s_cselect_b32 s3, -1, 0
	s_delay_alu instid0(VALU_DEP_2) | instskip(NEXT) | instid1(VALU_DEP_1)
	v_cmp_eq_u32_e64 s2, 1, v3
	s_and_b32 vcc_lo, s2, vcc_lo
	v_cndmask_b32_e64 v3, s24, 1, s2
	v_cndmask_b32_e32 v7, s20, v1, vcc_lo
	v_cndmask_b32_e32 v4, s21, v2, vcc_lo
	s_delay_alu instid0(VALU_DEP_3) | instskip(NEXT) | instid1(VALU_DEP_3)
	v_cndmask_b32_e64 v5, v6, v3, s3
	v_cndmask_b32_e64 v3, v1, v7, s3
	s_delay_alu instid0(VALU_DEP_3)
	v_cndmask_b32_e64 v4, v2, v4, s3
.LBB39_180:
	s_or_b32 s26, s26, exec_lo
.LBB39_181:
	s_or_b32 exec_lo, exec_lo, s4
	s_branch .LBB39_200
.LBB39_182:
	s_cmp_eq_u32 s25, 1
	s_cbranch_scc0 .LBB39_199
; %bb.183:
	s_mov_b32 s5, 0
	s_lshr_b64 s[2:3], s[14:15], 8
	s_mov_b32 s11, s5
	s_lshl_b32 s4, s10, 8
	s_cmp_lg_u64 s[2:3], s[10:11]
	s_cbranch_scc0 .LBB39_203
; %bb.184:
	s_lshl_b64 s[2:3], s[4:5], 2
	v_lshlrev_b32_e32 v1, 2, v0
	s_add_u32 s6, s16, s2
	s_addc_u32 s7, s17, s3
	s_add_u32 s2, s18, s2
	s_addc_u32 s3, s19, s3
	s_clause 0x1
	global_load_b32 v2, v1, s[6:7]
	global_load_b32 v1, v1, s[2:3]
	s_add_u32 s2, s12, s4
	s_addc_u32 s3, s13, 0
	s_waitcnt vmcnt(0)
	v_cmp_ne_u32_e32 vcc_lo, v2, v1
	v_cndmask_b32_e64 v1, 0, 1, vcc_lo
	v_cndmask_b32_e64 v6, 0, 1, vcc_lo
	s_waitcnt lgkmcnt(2)
	s_delay_alu instid0(VALU_DEP_2) | instskip(SKIP_1) | instid1(VALU_DEP_1)
	v_mov_b32_dpp v5, v1 quad_perm:[1,0,3,2] row_mask:0xf bank_mask:0xf
	v_add_co_u32 v1, s2, s2, v0
	v_add_co_ci_u32_e64 v2, null, s3, 0, s2
	s_delay_alu instid0(VALU_DEP_3) | instskip(SKIP_1) | instid1(VALU_DEP_3)
	v_and_b32_e32 v7, 1, v5
	s_waitcnt lgkmcnt(1)
	v_mov_b32_dpp v3, v1 quad_perm:[1,0,3,2] row_mask:0xf bank_mask:0xf
	s_mov_b32 s3, exec_lo
	s_waitcnt lgkmcnt(0)
	v_mov_b32_dpp v4, v2 quad_perm:[1,0,3,2] row_mask:0xf bank_mask:0xf
	v_cmpx_eq_u32_e32 1, v7
; %bb.185:
	s_delay_alu instid0(VALU_DEP_2) | instskip(SKIP_1) | instid1(VALU_DEP_2)
	v_cmp_lt_i64_e64 s2, v[1:2], v[3:4]
	v_cndmask_b32_e64 v6, v5, 1, vcc_lo
	s_and_b32 vcc_lo, vcc_lo, s2
	v_dual_cndmask_b32 v2, v4, v2 :: v_dual_cndmask_b32 v1, v3, v1
; %bb.186:
	s_or_b32 exec_lo, exec_lo, s3
	s_delay_alu instid0(VALU_DEP_2) | instskip(SKIP_1) | instid1(VALU_DEP_3)
	v_and_b32_e32 v5, 0xff, v6
	v_and_b32_e32 v6, 1, v6
	v_mov_b32_dpp v3, v1 quad_perm:[2,3,0,1] row_mask:0xf bank_mask:0xf
	v_mov_b32_dpp v4, v2 quad_perm:[2,3,0,1] row_mask:0xf bank_mask:0xf
	s_mov_b32 s6, exec_lo
	v_mov_b32_dpp v7, v5 quad_perm:[2,3,0,1] row_mask:0xf bank_mask:0xf
	v_cmp_eq_u32_e64 s3, 1, v6
	s_delay_alu instid0(VALU_DEP_2) | instskip(NEXT) | instid1(VALU_DEP_1)
	v_and_b32_e32 v8, 1, v7
	v_cmpx_eq_u32_e32 1, v8
; %bb.187:
	s_delay_alu instid0(VALU_DEP_3) | instskip(SKIP_1) | instid1(VALU_DEP_2)
	v_cndmask_b32_e64 v5, v7, 1, s3
	v_cmp_lt_i64_e32 vcc_lo, v[1:2], v[3:4]
	v_and_b32_e32 v6, 1, v5
	v_and_b32_e32 v5, 0xff, v5
	s_and_b32 vcc_lo, s3, vcc_lo
	s_and_not1_b32 s3, s3, exec_lo
	v_dual_cndmask_b32 v2, v4, v2 :: v_dual_cndmask_b32 v1, v3, v1
	v_cmp_eq_u32_e64 s2, 1, v6
	s_delay_alu instid0(VALU_DEP_1) | instskip(NEXT) | instid1(SALU_CYCLE_1)
	s_and_b32 s2, s2, exec_lo
	s_or_b32 s3, s3, s2
; %bb.188:
	s_or_b32 exec_lo, exec_lo, s6
	v_mov_b32_dpp v6, v5 row_ror:4 row_mask:0xf bank_mask:0xf
	v_mov_b32_dpp v3, v1 row_ror:4 row_mask:0xf bank_mask:0xf
	;; [unrolled: 1-line block ×3, first 2 shown]
	s_mov_b32 s6, exec_lo
	s_delay_alu instid0(VALU_DEP_3) | instskip(NEXT) | instid1(VALU_DEP_1)
	v_and_b32_e32 v7, 1, v6
	v_cmpx_eq_u32_e32 1, v7
; %bb.189:
	v_cndmask_b32_e64 v5, v6, 1, s3
	v_cmp_lt_i64_e32 vcc_lo, v[1:2], v[3:4]
	s_delay_alu instid0(VALU_DEP_2)
	v_and_b32_e32 v6, 1, v5
	v_and_b32_e32 v5, 0xff, v5
	s_and_b32 vcc_lo, s3, vcc_lo
	s_and_not1_b32 s3, s3, exec_lo
	v_dual_cndmask_b32 v2, v4, v2 :: v_dual_cndmask_b32 v1, v3, v1
	v_cmp_eq_u32_e64 s2, 1, v6
	s_delay_alu instid0(VALU_DEP_1) | instskip(NEXT) | instid1(SALU_CYCLE_1)
	s_and_b32 s2, s2, exec_lo
	s_or_b32 s3, s3, s2
; %bb.190:
	s_or_b32 exec_lo, exec_lo, s6
	v_mov_b32_dpp v6, v5 row_ror:8 row_mask:0xf bank_mask:0xf
	v_mov_b32_dpp v3, v1 row_ror:8 row_mask:0xf bank_mask:0xf
	;; [unrolled: 1-line block ×3, first 2 shown]
	s_mov_b32 s6, exec_lo
	s_delay_alu instid0(VALU_DEP_3) | instskip(NEXT) | instid1(VALU_DEP_1)
	v_and_b32_e32 v7, 1, v6
	v_cmpx_eq_u32_e32 1, v7
; %bb.191:
	v_cndmask_b32_e64 v5, v6, 1, s3
	v_cmp_lt_i64_e32 vcc_lo, v[1:2], v[3:4]
	s_delay_alu instid0(VALU_DEP_2)
	v_and_b32_e32 v6, 1, v5
	v_and_b32_e32 v5, 0xff, v5
	s_and_b32 vcc_lo, s3, vcc_lo
	s_and_not1_b32 s3, s3, exec_lo
	v_dual_cndmask_b32 v2, v4, v2 :: v_dual_cndmask_b32 v1, v3, v1
	v_cmp_eq_u32_e64 s2, 1, v6
	s_delay_alu instid0(VALU_DEP_1) | instskip(NEXT) | instid1(SALU_CYCLE_1)
	s_and_b32 s2, s2, exec_lo
	s_or_b32 s3, s3, s2
; %bb.192:
	s_or_b32 exec_lo, exec_lo, s6
	ds_swizzle_b32 v6, v5 offset:swizzle(BROADCAST,32,15)
	ds_swizzle_b32 v3, v1 offset:swizzle(BROADCAST,32,15)
	;; [unrolled: 1-line block ×3, first 2 shown]
	s_mov_b32 s2, exec_lo
	s_waitcnt lgkmcnt(2)
	v_and_b32_e32 v7, 1, v6
	s_delay_alu instid0(VALU_DEP_1)
	v_cmpx_eq_u32_e32 1, v7
	s_cbranch_execz .LBB39_194
; %bb.193:
	s_waitcnt lgkmcnt(0)
	v_cmp_lt_i64_e32 vcc_lo, v[1:2], v[3:4]
	v_and_b32_e32 v5, 0xff, v6
	s_delay_alu instid0(VALU_DEP_1)
	v_cndmask_b32_e64 v5, v5, 1, s3
	s_and_b32 vcc_lo, s3, vcc_lo
	v_dual_cndmask_b32 v1, v3, v1 :: v_dual_cndmask_b32 v2, v4, v2
.LBB39_194:
	s_or_b32 exec_lo, exec_lo, s2
	s_waitcnt lgkmcnt(1)
	v_mov_b32_e32 v3, 0
	s_mov_b32 s2, exec_lo
	ds_bpermute_b32 v6, v3, v5 offset:124
	ds_bpermute_b32 v1, v3, v1 offset:124
	;; [unrolled: 1-line block ×3, first 2 shown]
	v_mbcnt_lo_u32_b32 v3, -1, 0
	s_delay_alu instid0(VALU_DEP_1)
	v_cmpx_eq_u32_e32 0, v3
	s_cbranch_execz .LBB39_196
; %bb.195:
	s_waitcnt lgkmcnt(3)
	v_lshrrev_b32_e32 v4, 1, v0
	s_delay_alu instid0(VALU_DEP_1)
	v_and_b32_e32 v4, 0x70, v4
	s_waitcnt lgkmcnt(2)
	ds_store_b8 v4, v6
	s_waitcnt lgkmcnt(1)
	ds_store_b64 v4, v[1:2] offset:8
.LBB39_196:
	s_or_b32 exec_lo, exec_lo, s2
	s_delay_alu instid0(SALU_CYCLE_1)
	s_mov_b32 s6, exec_lo
	s_waitcnt lgkmcnt(0)
	s_barrier
	buffer_gl0_inv
	v_cmpx_gt_u32_e32 32, v0
	s_cbranch_execz .LBB39_198
; %bb.197:
	v_and_b32_e32 v6, 7, v3
	s_delay_alu instid0(VALU_DEP_1)
	v_lshlrev_b32_e32 v1, 4, v6
	v_cmp_ne_u32_e32 vcc_lo, 7, v6
	ds_load_u8 v7, v1
	ds_load_b64 v[1:2], v1 offset:8
	v_add_co_ci_u32_e32 v4, vcc_lo, 0, v3, vcc_lo
	v_cmp_gt_u32_e32 vcc_lo, 6, v6
	s_delay_alu instid0(VALU_DEP_2)
	v_lshlrev_b32_e32 v5, 2, v4
	v_cndmask_b32_e64 v10, 0, 1, vcc_lo
	s_waitcnt lgkmcnt(1)
	v_and_b32_e32 v4, 0xff, v7
	v_and_b32_e32 v11, 1, v7
	ds_bpermute_b32 v8, v5, v4
	s_waitcnt lgkmcnt(1)
	ds_bpermute_b32 v4, v5, v1
	ds_bpermute_b32 v5, v5, v2
	v_cmp_eq_u32_e64 s3, 1, v11
	s_waitcnt lgkmcnt(2)
	v_and_b32_e32 v9, 1, v8
	s_waitcnt lgkmcnt(0)
	v_cmp_lt_i64_e64 s2, v[4:5], v[1:2]
	s_delay_alu instid0(VALU_DEP_2) | instskip(SKIP_2) | instid1(VALU_DEP_4)
	v_cmp_eq_u32_e32 vcc_lo, 1, v9
	v_lshlrev_b32_e32 v9, 1, v10
	v_cndmask_b32_e64 v7, v7, 1, vcc_lo
	s_and_b32 vcc_lo, vcc_lo, s2
	v_dual_cndmask_b32 v1, v1, v4 :: v_dual_cndmask_b32 v2, v2, v5
	s_delay_alu instid0(VALU_DEP_2) | instskip(SKIP_2) | instid1(VALU_DEP_4)
	v_cndmask_b32_e64 v7, v8, v7, s3
	v_add_lshl_u32 v8, v9, v3, 2
	v_cmp_gt_u32_e32 vcc_lo, 4, v6
	v_cndmask_b32_e64 v1, v4, v1, s3
	v_cndmask_b32_e64 v2, v5, v2, s3
	v_and_b32_e32 v9, 0xff, v7
	v_and_b32_e32 v10, 1, v7
	v_cndmask_b32_e64 v6, 0, 1, vcc_lo
	ds_bpermute_b32 v4, v8, v1
	ds_bpermute_b32 v5, v8, v2
	ds_bpermute_b32 v9, v8, v9
	v_cmp_eq_u32_e64 s3, 1, v10
	s_waitcnt lgkmcnt(1)
	v_cmp_lt_i64_e64 s2, v[4:5], v[1:2]
	s_waitcnt lgkmcnt(0)
	v_and_b32_e32 v8, 1, v9
	s_delay_alu instid0(VALU_DEP_1) | instskip(SKIP_1) | instid1(VALU_DEP_4)
	v_cmp_eq_u32_e32 vcc_lo, 1, v8
	v_cndmask_b32_e64 v7, v7, 1, vcc_lo
	s_and_b32 vcc_lo, vcc_lo, s2
	v_dual_cndmask_b32 v1, v1, v4 :: v_dual_cndmask_b32 v2, v2, v5
	s_delay_alu instid0(VALU_DEP_2) | instskip(NEXT) | instid1(VALU_DEP_2)
	v_cndmask_b32_e64 v7, v9, v7, s3
	v_cndmask_b32_e64 v1, v4, v1, s3
	v_lshlrev_b32_e32 v6, 2, v6
	s_delay_alu instid0(VALU_DEP_4) | instskip(NEXT) | instid1(VALU_DEP_2)
	v_cndmask_b32_e64 v2, v5, v2, s3
	v_add_lshl_u32 v6, v6, v3, 2
	v_and_b32_e32 v3, 0xff, v7
	ds_bpermute_b32 v4, v6, v2
	ds_bpermute_b32 v5, v6, v3
	;; [unrolled: 1-line block ×3, first 2 shown]
	s_waitcnt lgkmcnt(1)
	v_and_b32_e32 v6, 1, v5
	s_waitcnt lgkmcnt(0)
	v_cmp_lt_i64_e32 vcc_lo, v[3:4], v[1:2]
	s_delay_alu instid0(VALU_DEP_2) | instskip(SKIP_1) | instid1(VALU_DEP_2)
	v_cmp_eq_u32_e64 s2, 1, v6
	v_and_b32_e32 v6, 1, v7
	v_cndmask_b32_e64 v7, v7, 1, s2
	s_and_b32 vcc_lo, s2, vcc_lo
	s_delay_alu instid0(VALU_DEP_2) | instskip(SKIP_1) | instid1(VALU_DEP_2)
	v_cmp_eq_u32_e64 s2, 1, v6
	v_dual_cndmask_b32 v1, v1, v3 :: v_dual_cndmask_b32 v2, v2, v4
	v_cndmask_b32_e64 v5, v5, v7, s2
	s_delay_alu instid0(VALU_DEP_2) | instskip(NEXT) | instid1(VALU_DEP_3)
	v_cndmask_b32_e64 v1, v3, v1, s2
	v_cndmask_b32_e64 v2, v4, v2, s2
	s_delay_alu instid0(VALU_DEP_3)
	v_and_b32_e32 v6, 0xff, v5
.LBB39_198:
	s_or_b32 exec_lo, exec_lo, s6
	s_branch .LBB39_227
.LBB39_199:
                                        ; implicit-def: $vgpr3_vgpr4
                                        ; implicit-def: $vgpr5
                                        ; implicit-def: $sgpr10_sgpr11
.LBB39_200:
	s_and_saveexec_b32 s2, s26
	s_cbranch_execz .LBB39_202
.LBB39_201:
	s_load_b64 s[0:1], s[0:1], 0x38
	s_lshl_b64 s[2:3], s[10:11], 4
	v_mov_b32_e32 v0, 0
	s_waitcnt lgkmcnt(0)
	s_add_u32 s0, s0, s2
	s_addc_u32 s1, s1, s3
	s_clause 0x1
	global_store_b8 v0, v5, s[0:1]
	global_store_b64 v0, v[3:4], s[0:1] offset:8
.LBB39_202:
	s_nop 0
	s_sendmsg sendmsg(MSG_DEALLOC_VGPRS)
	s_endpgm
.LBB39_203:
                                        ; implicit-def: $vgpr1_vgpr2
                                        ; implicit-def: $vgpr6
	s_cbranch_execz .LBB39_227
; %bb.204:
	v_mov_b32_e32 v1, 0
	v_dual_mov_b32 v2, 0 :: v_dual_mov_b32 v7, 0
	s_sub_i32 s2, s14, s4
	s_mov_b32 s3, exec_lo
	v_cmpx_gt_u32_e64 s2, v0
	s_cbranch_execz .LBB39_206
; %bb.205:
	s_lshl_b64 s[6:7], s[4:5], 2
	v_lshlrev_b32_e32 v1, 2, v0
	s_add_u32 s8, s18, s6
	s_addc_u32 s9, s19, s7
	s_add_u32 s6, s16, s6
	s_addc_u32 s7, s17, s7
	s_add_u32 s4, s12, s4
	s_waitcnt lgkmcnt(1)
	global_load_b32 v3, v1, s[6:7]
	s_waitcnt lgkmcnt(0)
	global_load_b32 v4, v1, s[8:9]
	s_addc_u32 s5, s13, 0
	v_add_co_u32 v1, s4, s4, v0
	s_delay_alu instid0(VALU_DEP_1)
	v_add_co_ci_u32_e64 v2, null, s5, 0, s4
	s_waitcnt vmcnt(0)
	v_cmp_ne_u32_e32 vcc_lo, v3, v4
	v_cndmask_b32_e64 v7, 0, 1, vcc_lo
.LBB39_206:
	s_or_b32 exec_lo, exec_lo, s3
	s_waitcnt lgkmcnt(2)
	v_mbcnt_lo_u32_b32 v5, -1, 0
	s_delay_alu instid0(VALU_DEP_2)
	v_and_b32_e32 v6, 0xffff, v7
	v_and_b32_e32 v8, 0xe0, v0
	s_min_u32 s3, s2, 0x100
	s_mov_b32 s4, exec_lo
	v_cmp_ne_u32_e32 vcc_lo, 31, v5
	v_add_nc_u32_e32 v10, 1, v5
	v_sub_nc_u32_e64 v8, s3, v8 clamp
	s_waitcnt lgkmcnt(1)
	v_add_co_ci_u32_e32 v3, vcc_lo, 0, v5, vcc_lo
	s_waitcnt lgkmcnt(0)
	s_delay_alu instid0(VALU_DEP_1)
	v_lshlrev_b32_e32 v4, 2, v3
	ds_bpermute_b32 v9, v4, v6
	ds_bpermute_b32 v3, v4, v1
	ds_bpermute_b32 v4, v4, v2
	v_cmpx_lt_u32_e64 v10, v8
	s_cbranch_execz .LBB39_208
; %bb.207:
	s_waitcnt lgkmcnt(2)
	v_and_b32_e32 v6, 1, v9
	s_waitcnt lgkmcnt(0)
	v_cmp_lt_i64_e32 vcc_lo, v[3:4], v[1:2]
	s_delay_alu instid0(VALU_DEP_2) | instskip(SKIP_1) | instid1(VALU_DEP_2)
	v_cmp_eq_u32_e64 s2, 1, v6
	v_and_b32_e32 v6, 1, v7
	v_cndmask_b32_e64 v7, v7, 1, s2
	s_and_b32 vcc_lo, s2, vcc_lo
	s_delay_alu instid0(VALU_DEP_2) | instskip(SKIP_1) | instid1(VALU_DEP_2)
	v_cmp_eq_u32_e64 s2, 1, v6
	v_dual_cndmask_b32 v1, v1, v3 :: v_dual_cndmask_b32 v2, v2, v4
	v_cndmask_b32_e64 v7, v9, v7, s2
	s_delay_alu instid0(VALU_DEP_2) | instskip(NEXT) | instid1(VALU_DEP_3)
	v_cndmask_b32_e64 v1, v3, v1, s2
	v_cndmask_b32_e64 v2, v4, v2, s2
	s_delay_alu instid0(VALU_DEP_3)
	v_and_b32_e32 v6, 0xff, v7
.LBB39_208:
	s_or_b32 exec_lo, exec_lo, s4
	v_cmp_gt_u32_e32 vcc_lo, 30, v5
	v_add_nc_u32_e32 v10, 2, v5
	s_mov_b32 s4, exec_lo
	s_waitcnt lgkmcnt(1)
	v_cndmask_b32_e64 v3, 0, 1, vcc_lo
	s_delay_alu instid0(VALU_DEP_1) | instskip(SKIP_1) | instid1(VALU_DEP_1)
	v_lshlrev_b32_e32 v3, 1, v3
	s_waitcnt lgkmcnt(0)
	v_add_lshl_u32 v4, v3, v5, 2
	ds_bpermute_b32 v9, v4, v6
	ds_bpermute_b32 v3, v4, v1
	ds_bpermute_b32 v4, v4, v2
	v_cmpx_lt_u32_e64 v10, v8
	s_cbranch_execz .LBB39_210
; %bb.209:
	s_waitcnt lgkmcnt(2)
	v_and_b32_e32 v6, 1, v9
	s_waitcnt lgkmcnt(0)
	v_cmp_lt_i64_e32 vcc_lo, v[3:4], v[1:2]
	s_delay_alu instid0(VALU_DEP_2) | instskip(SKIP_1) | instid1(VALU_DEP_2)
	v_cmp_eq_u32_e64 s2, 1, v6
	v_and_b32_e32 v6, 1, v7
	v_cndmask_b32_e64 v7, v7, 1, s2
	s_and_b32 vcc_lo, s2, vcc_lo
	s_delay_alu instid0(VALU_DEP_2) | instskip(SKIP_1) | instid1(VALU_DEP_2)
	v_cmp_eq_u32_e64 s2, 1, v6
	v_dual_cndmask_b32 v1, v1, v3 :: v_dual_cndmask_b32 v2, v2, v4
	v_cndmask_b32_e64 v7, v9, v7, s2
	s_delay_alu instid0(VALU_DEP_2) | instskip(NEXT) | instid1(VALU_DEP_3)
	v_cndmask_b32_e64 v1, v3, v1, s2
	v_cndmask_b32_e64 v2, v4, v2, s2
	s_delay_alu instid0(VALU_DEP_3)
	v_and_b32_e32 v6, 0xff, v7
.LBB39_210:
	s_or_b32 exec_lo, exec_lo, s4
	v_cmp_gt_u32_e32 vcc_lo, 28, v5
	v_add_nc_u32_e32 v10, 4, v5
	s_mov_b32 s4, exec_lo
	s_waitcnt lgkmcnt(1)
	v_cndmask_b32_e64 v3, 0, 1, vcc_lo
	s_delay_alu instid0(VALU_DEP_1) | instskip(SKIP_1) | instid1(VALU_DEP_1)
	v_lshlrev_b32_e32 v3, 2, v3
	s_waitcnt lgkmcnt(0)
	v_add_lshl_u32 v4, v3, v5, 2
	;; [unrolled: 35-line block ×4, first 2 shown]
	ds_bpermute_b32 v9, v4, v6
	ds_bpermute_b32 v3, v4, v1
	;; [unrolled: 1-line block ×3, first 2 shown]
	v_cmpx_lt_u32_e64 v10, v8
	s_cbranch_execz .LBB39_216
; %bb.215:
	s_waitcnt lgkmcnt(2)
	v_and_b32_e32 v6, 1, v9
	s_waitcnt lgkmcnt(0)
	v_cmp_lt_i64_e32 vcc_lo, v[3:4], v[1:2]
	s_delay_alu instid0(VALU_DEP_2) | instskip(SKIP_1) | instid1(VALU_DEP_2)
	v_cmp_eq_u32_e64 s2, 1, v6
	v_and_b32_e32 v6, 1, v7
	v_cndmask_b32_e64 v7, v7, 1, s2
	s_and_b32 vcc_lo, s2, vcc_lo
	s_delay_alu instid0(VALU_DEP_2) | instskip(SKIP_1) | instid1(VALU_DEP_2)
	v_cmp_eq_u32_e64 s2, 1, v6
	v_dual_cndmask_b32 v1, v1, v3 :: v_dual_cndmask_b32 v2, v2, v4
	v_cndmask_b32_e64 v7, v9, v7, s2
	s_delay_alu instid0(VALU_DEP_2) | instskip(NEXT) | instid1(VALU_DEP_3)
	v_cndmask_b32_e64 v1, v3, v1, s2
	v_cndmask_b32_e64 v2, v4, v2, s2
	s_delay_alu instid0(VALU_DEP_3)
	v_and_b32_e32 v6, 0xff, v7
.LBB39_216:
	s_or_b32 exec_lo, exec_lo, s4
	s_delay_alu instid0(SALU_CYCLE_1)
	s_mov_b32 s2, exec_lo
	v_cmpx_eq_u32_e32 0, v5
	s_cbranch_execz .LBB39_218
; %bb.217:
	s_waitcnt lgkmcnt(1)
	v_lshrrev_b32_e32 v3, 1, v0
	s_delay_alu instid0(VALU_DEP_1)
	v_and_b32_e32 v3, 0x70, v3
	ds_store_b8 v3, v7 offset:512
	ds_store_b64 v3, v[1:2] offset:520
.LBB39_218:
	s_or_b32 exec_lo, exec_lo, s2
	s_delay_alu instid0(SALU_CYCLE_1)
	s_mov_b32 s4, exec_lo
	s_waitcnt lgkmcnt(0)
	s_barrier
	buffer_gl0_inv
	v_cmpx_gt_u32_e32 8, v0
	s_cbranch_execz .LBB39_226
; %bb.219:
	v_lshlrev_b32_e32 v1, 4, v5
	v_and_b32_e32 v8, 7, v5
	s_add_i32 s3, s3, 31
	s_mov_b32 s5, exec_lo
	s_lshr_b32 s3, s3, 5
	ds_load_u8 v7, v1 offset:512
	ds_load_b64 v[1:2], v1 offset:520
	v_cmp_ne_u32_e32 vcc_lo, 7, v8
	v_add_nc_u32_e32 v10, 1, v8
	v_add_co_ci_u32_e32 v3, vcc_lo, 0, v5, vcc_lo
	s_delay_alu instid0(VALU_DEP_1)
	v_lshlrev_b32_e32 v4, 2, v3
	s_waitcnt lgkmcnt(1)
	v_and_b32_e32 v6, 0xff, v7
	s_waitcnt lgkmcnt(0)
	ds_bpermute_b32 v3, v4, v1
	ds_bpermute_b32 v9, v4, v6
	;; [unrolled: 1-line block ×3, first 2 shown]
	v_cmpx_gt_u32_e64 s3, v10
	s_cbranch_execz .LBB39_221
; %bb.220:
	s_waitcnt lgkmcnt(1)
	v_and_b32_e32 v6, 1, v9
	s_waitcnt lgkmcnt(0)
	v_cmp_lt_i64_e32 vcc_lo, v[3:4], v[1:2]
	s_delay_alu instid0(VALU_DEP_2) | instskip(SKIP_1) | instid1(VALU_DEP_2)
	v_cmp_eq_u32_e64 s2, 1, v6
	v_and_b32_e32 v6, 1, v7
	v_cndmask_b32_e64 v7, v7, 1, s2
	s_and_b32 vcc_lo, s2, vcc_lo
	s_delay_alu instid0(VALU_DEP_2) | instskip(SKIP_1) | instid1(VALU_DEP_2)
	v_cmp_eq_u32_e64 s2, 1, v6
	v_dual_cndmask_b32 v1, v1, v3 :: v_dual_cndmask_b32 v2, v2, v4
	v_cndmask_b32_e64 v7, v9, v7, s2
	s_delay_alu instid0(VALU_DEP_2) | instskip(NEXT) | instid1(VALU_DEP_3)
	v_cndmask_b32_e64 v1, v3, v1, s2
	v_cndmask_b32_e64 v2, v4, v2, s2
	s_delay_alu instid0(VALU_DEP_3)
	v_and_b32_e32 v6, 0xff, v7
.LBB39_221:
	s_or_b32 exec_lo, exec_lo, s5
	v_cmp_gt_u32_e32 vcc_lo, 6, v8
	v_add_nc_u32_e32 v10, 2, v8
	s_mov_b32 s5, exec_lo
	s_waitcnt lgkmcnt(2)
	v_cndmask_b32_e64 v3, 0, 1, vcc_lo
	s_delay_alu instid0(VALU_DEP_1) | instskip(SKIP_1) | instid1(VALU_DEP_1)
	v_lshlrev_b32_e32 v3, 1, v3
	s_waitcnt lgkmcnt(0)
	v_add_lshl_u32 v4, v3, v5, 2
	ds_bpermute_b32 v9, v4, v6
	ds_bpermute_b32 v3, v4, v1
	;; [unrolled: 1-line block ×3, first 2 shown]
	v_cmpx_gt_u32_e64 s3, v10
	s_cbranch_execz .LBB39_223
; %bb.222:
	s_waitcnt lgkmcnt(2)
	v_and_b32_e32 v6, 1, v9
	s_waitcnt lgkmcnt(0)
	v_cmp_lt_i64_e32 vcc_lo, v[3:4], v[1:2]
	s_delay_alu instid0(VALU_DEP_2) | instskip(SKIP_1) | instid1(VALU_DEP_2)
	v_cmp_eq_u32_e64 s2, 1, v6
	v_and_b32_e32 v6, 1, v7
	v_cndmask_b32_e64 v7, v7, 1, s2
	s_and_b32 vcc_lo, s2, vcc_lo
	s_delay_alu instid0(VALU_DEP_2) | instskip(SKIP_1) | instid1(VALU_DEP_2)
	v_cmp_eq_u32_e64 s2, 1, v6
	v_dual_cndmask_b32 v1, v1, v3 :: v_dual_cndmask_b32 v2, v2, v4
	v_cndmask_b32_e64 v7, v9, v7, s2
	s_delay_alu instid0(VALU_DEP_2) | instskip(NEXT) | instid1(VALU_DEP_3)
	v_cndmask_b32_e64 v1, v3, v1, s2
	v_cndmask_b32_e64 v2, v4, v2, s2
	s_delay_alu instid0(VALU_DEP_3)
	v_and_b32_e32 v6, 0xff, v7
.LBB39_223:
	s_or_b32 exec_lo, exec_lo, s5
	v_cmp_gt_u32_e32 vcc_lo, 4, v8
	v_add_nc_u32_e32 v8, 4, v8
	s_waitcnt lgkmcnt(1)
	v_cndmask_b32_e64 v3, 0, 1, vcc_lo
	s_delay_alu instid0(VALU_DEP_2) | instskip(NEXT) | instid1(VALU_DEP_2)
	v_cmp_gt_u32_e32 vcc_lo, s3, v8
	v_lshlrev_b32_e32 v3, 2, v3
	s_waitcnt lgkmcnt(0)
	s_delay_alu instid0(VALU_DEP_1)
	v_add_lshl_u32 v4, v3, v5, 2
	ds_bpermute_b32 v5, v4, v6
	ds_bpermute_b32 v3, v4, v1
	;; [unrolled: 1-line block ×3, first 2 shown]
	s_and_saveexec_b32 s3, vcc_lo
	s_cbranch_execz .LBB39_225
; %bb.224:
	s_waitcnt lgkmcnt(2)
	v_and_b32_e32 v6, 1, v5
	s_waitcnt lgkmcnt(0)
	v_cmp_lt_i64_e32 vcc_lo, v[3:4], v[1:2]
	s_delay_alu instid0(VALU_DEP_2) | instskip(SKIP_1) | instid1(VALU_DEP_2)
	v_cmp_eq_u32_e64 s2, 1, v6
	v_and_b32_e32 v6, 1, v7
	v_cndmask_b32_e64 v7, v7, 1, s2
	s_and_b32 vcc_lo, s2, vcc_lo
	s_delay_alu instid0(VALU_DEP_2) | instskip(SKIP_1) | instid1(VALU_DEP_2)
	v_cmp_eq_u32_e64 s2, 1, v6
	v_dual_cndmask_b32 v1, v1, v3 :: v_dual_cndmask_b32 v2, v2, v4
	v_cndmask_b32_e64 v5, v5, v7, s2
	s_delay_alu instid0(VALU_DEP_2) | instskip(NEXT) | instid1(VALU_DEP_3)
	v_cndmask_b32_e64 v1, v3, v1, s2
	v_cndmask_b32_e64 v2, v4, v2, s2
	s_delay_alu instid0(VALU_DEP_3)
	v_and_b32_e32 v6, 0xff, v5
.LBB39_225:
	s_or_b32 exec_lo, exec_lo, s3
.LBB39_226:
	s_delay_alu instid0(SALU_CYCLE_1)
	s_or_b32 exec_lo, exec_lo, s4
.LBB39_227:
	s_delay_alu instid0(SALU_CYCLE_1)
	s_mov_b32 s4, exec_lo
                                        ; implicit-def: $vgpr3_vgpr4
                                        ; implicit-def: $vgpr5
	v_cmpx_eq_u32_e32 0, v0
	s_cbranch_execz .LBB39_231
; %bb.228:
	s_waitcnt lgkmcnt(0)
	v_dual_mov_b32 v3, s20 :: v_dual_mov_b32 v4, s21
	v_mov_b32_e32 v5, s24
	s_cmp_eq_u64 s[14:15], 0
	s_cbranch_scc1 .LBB39_230
; %bb.229:
	v_and_b32_e32 v0, 1, v6
	v_cmp_gt_i64_e32 vcc_lo, s[20:21], v[1:2]
	s_bitcmp1_b32 s24, 0
	s_cselect_b32 s3, -1, 0
	s_delay_alu instid0(VALU_DEP_2) | instskip(NEXT) | instid1(VALU_DEP_1)
	v_cmp_eq_u32_e64 s2, 1, v0
	s_and_b32 vcc_lo, s2, vcc_lo
	v_cndmask_b32_e64 v0, s24, 1, s2
	v_cndmask_b32_e32 v3, s20, v1, vcc_lo
	v_cndmask_b32_e32 v4, s21, v2, vcc_lo
	s_delay_alu instid0(VALU_DEP_3) | instskip(NEXT) | instid1(VALU_DEP_3)
	v_cndmask_b32_e64 v5, v6, v0, s3
	v_cndmask_b32_e64 v3, v1, v3, s3
	s_delay_alu instid0(VALU_DEP_3)
	v_cndmask_b32_e64 v4, v2, v4, s3
.LBB39_230:
	s_or_b32 s26, s26, exec_lo
.LBB39_231:
	s_or_b32 exec_lo, exec_lo, s4
	s_and_saveexec_b32 s2, s26
	s_cbranch_execnz .LBB39_201
	s_branch .LBB39_202
.LBB39_232:
	v_lshlrev_b32_e32 v3, 2, v25
	s_clause 0x1
	global_load_b32 v18, v3, s[8:9]
	global_load_b32 v26, v3, s[22:23]
	v_add_co_u32 v3, s8, s26, v25
	s_delay_alu instid0(VALU_DEP_1) | instskip(SKIP_2) | instid1(VALU_DEP_1)
	v_add_co_ci_u32_e64 v4, null, s28, 0, s8
	s_waitcnt vmcnt(0)
	v_cmp_ne_u32_e64 s8, v18, v26
	v_cndmask_b32_e64 v18, 0, 1, s8
	s_or_b32 exec_lo, exec_lo, s30
	s_and_saveexec_b32 s9, s7
	s_cbranch_execz .LBB39_57
.LBB39_233:
	v_and_b32_e32 v25, 1, v21
	v_cmp_lt_i64_e64 s7, v[9:10], v[1:2]
	s_delay_alu instid0(VALU_DEP_2) | instskip(SKIP_1) | instid1(VALU_DEP_2)
	v_cmp_eq_u32_e64 s8, 1, v25
	v_and_b32_e32 v25, 1, v17
	s_and_b32 s7, s8, s7
	v_cndmask_b32_e64 v17, v17, 1, s8
	v_cndmask_b32_e64 v1, v1, v9, s7
	;; [unrolled: 1-line block ×3, first 2 shown]
	v_cmp_eq_u32_e64 s7, 1, v25
	s_delay_alu instid0(VALU_DEP_1) | instskip(NEXT) | instid1(VALU_DEP_3)
	v_cndmask_b32_e64 v17, v21, v17, s7
	v_cndmask_b32_e64 v2, v10, v2, s7
	;; [unrolled: 1-line block ×3, first 2 shown]
	s_or_b32 exec_lo, exec_lo, s9
	s_and_saveexec_b32 s8, s6
	s_cbranch_execz .LBB39_58
.LBB39_234:
	v_and_b32_e32 v9, 1, v24
	v_cmp_lt_i64_e64 s6, v[15:16], v[1:2]
	s_delay_alu instid0(VALU_DEP_2) | instskip(SKIP_1) | instid1(VALU_DEP_2)
	v_cmp_eq_u32_e64 s7, 1, v9
	v_and_b32_e32 v9, 1, v17
	s_and_b32 s6, s7, s6
	v_cndmask_b32_e64 v10, v17, 1, s7
	v_cndmask_b32_e64 v1, v1, v15, s6
	v_cndmask_b32_e64 v2, v2, v16, s6
	v_cmp_eq_u32_e64 s6, 1, v9
	s_delay_alu instid0(VALU_DEP_1) | instskip(NEXT) | instid1(VALU_DEP_3)
	v_cndmask_b32_e64 v17, v24, v10, s6
	v_cndmask_b32_e64 v2, v16, v2, s6
	;; [unrolled: 1-line block ×3, first 2 shown]
	s_or_b32 exec_lo, exec_lo, s8
	s_and_saveexec_b32 s7, s5
	s_cbranch_execz .LBB39_59
.LBB39_235:
	v_and_b32_e32 v9, 1, v20
	v_cmp_lt_i64_e64 s5, v[7:8], v[1:2]
	s_delay_alu instid0(VALU_DEP_2) | instskip(SKIP_1) | instid1(VALU_DEP_2)
	v_cmp_eq_u32_e64 s6, 1, v9
	v_and_b32_e32 v9, 1, v17
	s_and_b32 s5, s6, s5
	v_cndmask_b32_e64 v10, v17, 1, s6
	v_cndmask_b32_e64 v1, v1, v7, s5
	;; [unrolled: 1-line block ×3, first 2 shown]
	v_cmp_eq_u32_e64 s5, 1, v9
	s_delay_alu instid0(VALU_DEP_1) | instskip(NEXT) | instid1(VALU_DEP_3)
	v_cndmask_b32_e64 v17, v20, v10, s5
	v_cndmask_b32_e64 v2, v8, v2, s5
	;; [unrolled: 1-line block ×3, first 2 shown]
	s_or_b32 exec_lo, exec_lo, s7
	s_and_saveexec_b32 s6, s4
	s_cbranch_execz .LBB39_60
.LBB39_236:
	v_and_b32_e32 v7, 1, v23
	v_cmp_lt_i64_e64 s4, v[13:14], v[1:2]
	s_delay_alu instid0(VALU_DEP_2) | instskip(SKIP_1) | instid1(VALU_DEP_2)
	v_cmp_eq_u32_e64 s5, 1, v7
	v_and_b32_e32 v7, 1, v17
	s_and_b32 s4, s5, s4
	v_cndmask_b32_e64 v8, v17, 1, s5
	v_cndmask_b32_e64 v1, v1, v13, s4
	;; [unrolled: 1-line block ×3, first 2 shown]
	v_cmp_eq_u32_e64 s4, 1, v7
	s_delay_alu instid0(VALU_DEP_1) | instskip(NEXT) | instid1(VALU_DEP_3)
	v_cndmask_b32_e64 v17, v23, v8, s4
	v_cndmask_b32_e64 v2, v14, v2, s4
	;; [unrolled: 1-line block ×3, first 2 shown]
	s_or_b32 exec_lo, exec_lo, s6
	s_and_saveexec_b32 s5, s3
	s_cbranch_execz .LBB39_61
.LBB39_237:
	v_and_b32_e32 v7, 1, v19
	v_cmp_lt_i64_e64 s3, v[5:6], v[1:2]
	s_delay_alu instid0(VALU_DEP_2) | instskip(SKIP_1) | instid1(VALU_DEP_2)
	v_cmp_eq_u32_e64 s4, 1, v7
	v_and_b32_e32 v7, 1, v17
	s_and_b32 s3, s4, s3
	v_cndmask_b32_e64 v8, v17, 1, s4
	v_cndmask_b32_e64 v1, v1, v5, s3
	v_cndmask_b32_e64 v2, v2, v6, s3
	v_cmp_eq_u32_e64 s3, 1, v7
	s_delay_alu instid0(VALU_DEP_1) | instskip(NEXT) | instid1(VALU_DEP_3)
	v_cndmask_b32_e64 v17, v19, v8, s3
	v_cndmask_b32_e64 v2, v6, v2, s3
	v_cndmask_b32_e64 v1, v5, v1, s3
	s_or_b32 exec_lo, exec_lo, s5
	s_and_saveexec_b32 s4, s2
	s_cbranch_execz .LBB39_62
.LBB39_238:
	v_and_b32_e32 v5, 1, v22
	v_cmp_lt_i64_e64 s2, v[11:12], v[1:2]
	s_delay_alu instid0(VALU_DEP_2) | instskip(SKIP_1) | instid1(VALU_DEP_2)
	v_cmp_eq_u32_e64 s3, 1, v5
	v_and_b32_e32 v5, 1, v17
	s_and_b32 s2, s3, s2
	v_cndmask_b32_e64 v6, v17, 1, s3
	v_cndmask_b32_e64 v1, v1, v11, s2
	;; [unrolled: 1-line block ×3, first 2 shown]
	v_cmp_eq_u32_e64 s2, 1, v5
	s_delay_alu instid0(VALU_DEP_1) | instskip(NEXT) | instid1(VALU_DEP_3)
	v_cndmask_b32_e64 v17, v22, v6, s2
	v_cndmask_b32_e64 v2, v12, v2, s2
	;; [unrolled: 1-line block ×3, first 2 shown]
	s_or_b32 exec_lo, exec_lo, s4
	s_and_saveexec_b32 s3, vcc_lo
	s_cbranch_execnz .LBB39_63
	s_branch .LBB39_64
.LBB39_239:
	v_lshlrev_b32_e32 v3, 2, v0
	s_clause 0x1
	global_load_b32 v10, v3, s[6:7] offset:3072
	global_load_b32 v14, v3, s[8:9] offset:3072
	v_add_co_u32 v3, s4, s5, v13
	s_delay_alu instid0(VALU_DEP_1) | instskip(SKIP_2) | instid1(VALU_DEP_1)
	v_add_co_ci_u32_e64 v4, null, s23, 0, s4
	s_waitcnt vmcnt(0)
	v_cmp_ne_u32_e64 s4, v10, v14
	v_cndmask_b32_e64 v10, 0, 1, s4
	s_or_b32 exec_lo, exec_lo, s27
	s_and_saveexec_b32 s5, s3
	s_cbranch_execz .LBB39_100
.LBB39_240:
	v_and_b32_e32 v13, 1, v11
	v_cmp_lt_i64_e64 s3, v[5:6], v[1:2]
	s_delay_alu instid0(VALU_DEP_2) | instskip(SKIP_1) | instid1(VALU_DEP_2)
	v_cmp_eq_u32_e64 s4, 1, v13
	v_and_b32_e32 v13, 1, v9
	s_and_b32 s3, s4, s3
	v_cndmask_b32_e64 v9, v9, 1, s4
	v_cndmask_b32_e64 v1, v1, v5, s3
	;; [unrolled: 1-line block ×3, first 2 shown]
	v_cmp_eq_u32_e64 s3, 1, v13
	s_delay_alu instid0(VALU_DEP_1) | instskip(NEXT) | instid1(VALU_DEP_3)
	v_cndmask_b32_e64 v9, v11, v9, s3
	v_cndmask_b32_e64 v2, v6, v2, s3
	;; [unrolled: 1-line block ×3, first 2 shown]
	s_or_b32 exec_lo, exec_lo, s5
	s_and_saveexec_b32 s4, s2
	s_cbranch_execz .LBB39_101
.LBB39_241:
	v_and_b32_e32 v5, 1, v12
	v_cmp_lt_i64_e64 s2, v[7:8], v[1:2]
	s_delay_alu instid0(VALU_DEP_2) | instskip(SKIP_1) | instid1(VALU_DEP_2)
	v_cmp_eq_u32_e64 s3, 1, v5
	v_and_b32_e32 v5, 1, v9
	s_and_b32 s2, s3, s2
	v_cndmask_b32_e64 v6, v9, 1, s3
	v_cndmask_b32_e64 v1, v1, v7, s2
	;; [unrolled: 1-line block ×3, first 2 shown]
	v_cmp_eq_u32_e64 s2, 1, v5
	s_delay_alu instid0(VALU_DEP_1) | instskip(NEXT) | instid1(VALU_DEP_3)
	v_cndmask_b32_e64 v9, v12, v6, s2
	v_cndmask_b32_e64 v2, v8, v2, s2
	;; [unrolled: 1-line block ×3, first 2 shown]
	s_or_b32 exec_lo, exec_lo, s4
	s_and_saveexec_b32 s3, vcc_lo
	s_cbranch_execnz .LBB39_102
	s_branch .LBB39_103
	.section	.rodata,"a",@progbits
	.p2align	6, 0x0
	.amdhsa_kernel _ZN7rocprim17ROCPRIM_400000_NS6detail17trampoline_kernelINS0_14default_configENS1_22reduce_config_selectorIN6thrust23THRUST_200600_302600_NS5tupleIblNS6_9null_typeES8_S8_S8_S8_S8_S8_S8_EEEEZNS1_11reduce_implILb1ES3_NS6_12zip_iteratorINS7_INS6_11hip_rocprim26transform_input_iterator_tIbNSD_35transform_pair_of_input_iterators_tIbNS6_6detail15normal_iteratorINS6_10device_ptrIKiEEEESL_NS6_8equal_toIiEEEENSG_9not_fun_tINSD_8identityEEEEENSD_19counting_iterator_tIlEES8_S8_S8_S8_S8_S8_S8_S8_EEEEPS9_S9_NSD_9__find_if7functorIS9_EEEE10hipError_tPvRmT1_T2_T3_mT4_P12ihipStream_tbEUlT_E1_NS1_11comp_targetILNS1_3genE9ELNS1_11target_archE1100ELNS1_3gpuE3ELNS1_3repE0EEENS1_30default_config_static_selectorELNS0_4arch9wavefront6targetE0EEEvS14_
		.amdhsa_group_segment_fixed_size 640
		.amdhsa_private_segment_fixed_size 0
		.amdhsa_kernarg_size 88
		.amdhsa_user_sgpr_count 15
		.amdhsa_user_sgpr_dispatch_ptr 0
		.amdhsa_user_sgpr_queue_ptr 0
		.amdhsa_user_sgpr_kernarg_segment_ptr 1
		.amdhsa_user_sgpr_dispatch_id 0
		.amdhsa_user_sgpr_private_segment_size 0
		.amdhsa_wavefront_size32 1
		.amdhsa_uses_dynamic_stack 0
		.amdhsa_enable_private_segment 0
		.amdhsa_system_sgpr_workgroup_id_x 1
		.amdhsa_system_sgpr_workgroup_id_y 0
		.amdhsa_system_sgpr_workgroup_id_z 0
		.amdhsa_system_sgpr_workgroup_info 0
		.amdhsa_system_vgpr_workitem_id 0
		.amdhsa_next_free_vgpr 27
		.amdhsa_next_free_sgpr 32
		.amdhsa_reserve_vcc 1
		.amdhsa_float_round_mode_32 0
		.amdhsa_float_round_mode_16_64 0
		.amdhsa_float_denorm_mode_32 3
		.amdhsa_float_denorm_mode_16_64 3
		.amdhsa_dx10_clamp 1
		.amdhsa_ieee_mode 1
		.amdhsa_fp16_overflow 0
		.amdhsa_workgroup_processor_mode 1
		.amdhsa_memory_ordered 1
		.amdhsa_forward_progress 0
		.amdhsa_shared_vgpr_count 0
		.amdhsa_exception_fp_ieee_invalid_op 0
		.amdhsa_exception_fp_denorm_src 0
		.amdhsa_exception_fp_ieee_div_zero 0
		.amdhsa_exception_fp_ieee_overflow 0
		.amdhsa_exception_fp_ieee_underflow 0
		.amdhsa_exception_fp_ieee_inexact 0
		.amdhsa_exception_int_div_zero 0
	.end_amdhsa_kernel
	.section	.text._ZN7rocprim17ROCPRIM_400000_NS6detail17trampoline_kernelINS0_14default_configENS1_22reduce_config_selectorIN6thrust23THRUST_200600_302600_NS5tupleIblNS6_9null_typeES8_S8_S8_S8_S8_S8_S8_EEEEZNS1_11reduce_implILb1ES3_NS6_12zip_iteratorINS7_INS6_11hip_rocprim26transform_input_iterator_tIbNSD_35transform_pair_of_input_iterators_tIbNS6_6detail15normal_iteratorINS6_10device_ptrIKiEEEESL_NS6_8equal_toIiEEEENSG_9not_fun_tINSD_8identityEEEEENSD_19counting_iterator_tIlEES8_S8_S8_S8_S8_S8_S8_S8_EEEEPS9_S9_NSD_9__find_if7functorIS9_EEEE10hipError_tPvRmT1_T2_T3_mT4_P12ihipStream_tbEUlT_E1_NS1_11comp_targetILNS1_3genE9ELNS1_11target_archE1100ELNS1_3gpuE3ELNS1_3repE0EEENS1_30default_config_static_selectorELNS0_4arch9wavefront6targetE0EEEvS14_,"axG",@progbits,_ZN7rocprim17ROCPRIM_400000_NS6detail17trampoline_kernelINS0_14default_configENS1_22reduce_config_selectorIN6thrust23THRUST_200600_302600_NS5tupleIblNS6_9null_typeES8_S8_S8_S8_S8_S8_S8_EEEEZNS1_11reduce_implILb1ES3_NS6_12zip_iteratorINS7_INS6_11hip_rocprim26transform_input_iterator_tIbNSD_35transform_pair_of_input_iterators_tIbNS6_6detail15normal_iteratorINS6_10device_ptrIKiEEEESL_NS6_8equal_toIiEEEENSG_9not_fun_tINSD_8identityEEEEENSD_19counting_iterator_tIlEES8_S8_S8_S8_S8_S8_S8_S8_EEEEPS9_S9_NSD_9__find_if7functorIS9_EEEE10hipError_tPvRmT1_T2_T3_mT4_P12ihipStream_tbEUlT_E1_NS1_11comp_targetILNS1_3genE9ELNS1_11target_archE1100ELNS1_3gpuE3ELNS1_3repE0EEENS1_30default_config_static_selectorELNS0_4arch9wavefront6targetE0EEEvS14_,comdat
.Lfunc_end39:
	.size	_ZN7rocprim17ROCPRIM_400000_NS6detail17trampoline_kernelINS0_14default_configENS1_22reduce_config_selectorIN6thrust23THRUST_200600_302600_NS5tupleIblNS6_9null_typeES8_S8_S8_S8_S8_S8_S8_EEEEZNS1_11reduce_implILb1ES3_NS6_12zip_iteratorINS7_INS6_11hip_rocprim26transform_input_iterator_tIbNSD_35transform_pair_of_input_iterators_tIbNS6_6detail15normal_iteratorINS6_10device_ptrIKiEEEESL_NS6_8equal_toIiEEEENSG_9not_fun_tINSD_8identityEEEEENSD_19counting_iterator_tIlEES8_S8_S8_S8_S8_S8_S8_S8_EEEEPS9_S9_NSD_9__find_if7functorIS9_EEEE10hipError_tPvRmT1_T2_T3_mT4_P12ihipStream_tbEUlT_E1_NS1_11comp_targetILNS1_3genE9ELNS1_11target_archE1100ELNS1_3gpuE3ELNS1_3repE0EEENS1_30default_config_static_selectorELNS0_4arch9wavefront6targetE0EEEvS14_, .Lfunc_end39-_ZN7rocprim17ROCPRIM_400000_NS6detail17trampoline_kernelINS0_14default_configENS1_22reduce_config_selectorIN6thrust23THRUST_200600_302600_NS5tupleIblNS6_9null_typeES8_S8_S8_S8_S8_S8_S8_EEEEZNS1_11reduce_implILb1ES3_NS6_12zip_iteratorINS7_INS6_11hip_rocprim26transform_input_iterator_tIbNSD_35transform_pair_of_input_iterators_tIbNS6_6detail15normal_iteratorINS6_10device_ptrIKiEEEESL_NS6_8equal_toIiEEEENSG_9not_fun_tINSD_8identityEEEEENSD_19counting_iterator_tIlEES8_S8_S8_S8_S8_S8_S8_S8_EEEEPS9_S9_NSD_9__find_if7functorIS9_EEEE10hipError_tPvRmT1_T2_T3_mT4_P12ihipStream_tbEUlT_E1_NS1_11comp_targetILNS1_3genE9ELNS1_11target_archE1100ELNS1_3gpuE3ELNS1_3repE0EEENS1_30default_config_static_selectorELNS0_4arch9wavefront6targetE0EEEvS14_
                                        ; -- End function
	.section	.AMDGPU.csdata,"",@progbits
; Kernel info:
; codeLenInByte = 15968
; NumSgprs: 34
; NumVgprs: 27
; ScratchSize: 0
; MemoryBound: 0
; FloatMode: 240
; IeeeMode: 1
; LDSByteSize: 640 bytes/workgroup (compile time only)
; SGPRBlocks: 4
; VGPRBlocks: 3
; NumSGPRsForWavesPerEU: 34
; NumVGPRsForWavesPerEU: 27
; Occupancy: 16
; WaveLimiterHint : 0
; COMPUTE_PGM_RSRC2:SCRATCH_EN: 0
; COMPUTE_PGM_RSRC2:USER_SGPR: 15
; COMPUTE_PGM_RSRC2:TRAP_HANDLER: 0
; COMPUTE_PGM_RSRC2:TGID_X_EN: 1
; COMPUTE_PGM_RSRC2:TGID_Y_EN: 0
; COMPUTE_PGM_RSRC2:TGID_Z_EN: 0
; COMPUTE_PGM_RSRC2:TIDIG_COMP_CNT: 0
	.section	.text._ZN7rocprim17ROCPRIM_400000_NS6detail17trampoline_kernelINS0_14default_configENS1_22reduce_config_selectorIN6thrust23THRUST_200600_302600_NS5tupleIblNS6_9null_typeES8_S8_S8_S8_S8_S8_S8_EEEEZNS1_11reduce_implILb1ES3_NS6_12zip_iteratorINS7_INS6_11hip_rocprim26transform_input_iterator_tIbNSD_35transform_pair_of_input_iterators_tIbNS6_6detail15normal_iteratorINS6_10device_ptrIKiEEEESL_NS6_8equal_toIiEEEENSG_9not_fun_tINSD_8identityEEEEENSD_19counting_iterator_tIlEES8_S8_S8_S8_S8_S8_S8_S8_EEEEPS9_S9_NSD_9__find_if7functorIS9_EEEE10hipError_tPvRmT1_T2_T3_mT4_P12ihipStream_tbEUlT_E1_NS1_11comp_targetILNS1_3genE8ELNS1_11target_archE1030ELNS1_3gpuE2ELNS1_3repE0EEENS1_30default_config_static_selectorELNS0_4arch9wavefront6targetE0EEEvS14_,"axG",@progbits,_ZN7rocprim17ROCPRIM_400000_NS6detail17trampoline_kernelINS0_14default_configENS1_22reduce_config_selectorIN6thrust23THRUST_200600_302600_NS5tupleIblNS6_9null_typeES8_S8_S8_S8_S8_S8_S8_EEEEZNS1_11reduce_implILb1ES3_NS6_12zip_iteratorINS7_INS6_11hip_rocprim26transform_input_iterator_tIbNSD_35transform_pair_of_input_iterators_tIbNS6_6detail15normal_iteratorINS6_10device_ptrIKiEEEESL_NS6_8equal_toIiEEEENSG_9not_fun_tINSD_8identityEEEEENSD_19counting_iterator_tIlEES8_S8_S8_S8_S8_S8_S8_S8_EEEEPS9_S9_NSD_9__find_if7functorIS9_EEEE10hipError_tPvRmT1_T2_T3_mT4_P12ihipStream_tbEUlT_E1_NS1_11comp_targetILNS1_3genE8ELNS1_11target_archE1030ELNS1_3gpuE2ELNS1_3repE0EEENS1_30default_config_static_selectorELNS0_4arch9wavefront6targetE0EEEvS14_,comdat
	.protected	_ZN7rocprim17ROCPRIM_400000_NS6detail17trampoline_kernelINS0_14default_configENS1_22reduce_config_selectorIN6thrust23THRUST_200600_302600_NS5tupleIblNS6_9null_typeES8_S8_S8_S8_S8_S8_S8_EEEEZNS1_11reduce_implILb1ES3_NS6_12zip_iteratorINS7_INS6_11hip_rocprim26transform_input_iterator_tIbNSD_35transform_pair_of_input_iterators_tIbNS6_6detail15normal_iteratorINS6_10device_ptrIKiEEEESL_NS6_8equal_toIiEEEENSG_9not_fun_tINSD_8identityEEEEENSD_19counting_iterator_tIlEES8_S8_S8_S8_S8_S8_S8_S8_EEEEPS9_S9_NSD_9__find_if7functorIS9_EEEE10hipError_tPvRmT1_T2_T3_mT4_P12ihipStream_tbEUlT_E1_NS1_11comp_targetILNS1_3genE8ELNS1_11target_archE1030ELNS1_3gpuE2ELNS1_3repE0EEENS1_30default_config_static_selectorELNS0_4arch9wavefront6targetE0EEEvS14_ ; -- Begin function _ZN7rocprim17ROCPRIM_400000_NS6detail17trampoline_kernelINS0_14default_configENS1_22reduce_config_selectorIN6thrust23THRUST_200600_302600_NS5tupleIblNS6_9null_typeES8_S8_S8_S8_S8_S8_S8_EEEEZNS1_11reduce_implILb1ES3_NS6_12zip_iteratorINS7_INS6_11hip_rocprim26transform_input_iterator_tIbNSD_35transform_pair_of_input_iterators_tIbNS6_6detail15normal_iteratorINS6_10device_ptrIKiEEEESL_NS6_8equal_toIiEEEENSG_9not_fun_tINSD_8identityEEEEENSD_19counting_iterator_tIlEES8_S8_S8_S8_S8_S8_S8_S8_EEEEPS9_S9_NSD_9__find_if7functorIS9_EEEE10hipError_tPvRmT1_T2_T3_mT4_P12ihipStream_tbEUlT_E1_NS1_11comp_targetILNS1_3genE8ELNS1_11target_archE1030ELNS1_3gpuE2ELNS1_3repE0EEENS1_30default_config_static_selectorELNS0_4arch9wavefront6targetE0EEEvS14_
	.globl	_ZN7rocprim17ROCPRIM_400000_NS6detail17trampoline_kernelINS0_14default_configENS1_22reduce_config_selectorIN6thrust23THRUST_200600_302600_NS5tupleIblNS6_9null_typeES8_S8_S8_S8_S8_S8_S8_EEEEZNS1_11reduce_implILb1ES3_NS6_12zip_iteratorINS7_INS6_11hip_rocprim26transform_input_iterator_tIbNSD_35transform_pair_of_input_iterators_tIbNS6_6detail15normal_iteratorINS6_10device_ptrIKiEEEESL_NS6_8equal_toIiEEEENSG_9not_fun_tINSD_8identityEEEEENSD_19counting_iterator_tIlEES8_S8_S8_S8_S8_S8_S8_S8_EEEEPS9_S9_NSD_9__find_if7functorIS9_EEEE10hipError_tPvRmT1_T2_T3_mT4_P12ihipStream_tbEUlT_E1_NS1_11comp_targetILNS1_3genE8ELNS1_11target_archE1030ELNS1_3gpuE2ELNS1_3repE0EEENS1_30default_config_static_selectorELNS0_4arch9wavefront6targetE0EEEvS14_
	.p2align	8
	.type	_ZN7rocprim17ROCPRIM_400000_NS6detail17trampoline_kernelINS0_14default_configENS1_22reduce_config_selectorIN6thrust23THRUST_200600_302600_NS5tupleIblNS6_9null_typeES8_S8_S8_S8_S8_S8_S8_EEEEZNS1_11reduce_implILb1ES3_NS6_12zip_iteratorINS7_INS6_11hip_rocprim26transform_input_iterator_tIbNSD_35transform_pair_of_input_iterators_tIbNS6_6detail15normal_iteratorINS6_10device_ptrIKiEEEESL_NS6_8equal_toIiEEEENSG_9not_fun_tINSD_8identityEEEEENSD_19counting_iterator_tIlEES8_S8_S8_S8_S8_S8_S8_S8_EEEEPS9_S9_NSD_9__find_if7functorIS9_EEEE10hipError_tPvRmT1_T2_T3_mT4_P12ihipStream_tbEUlT_E1_NS1_11comp_targetILNS1_3genE8ELNS1_11target_archE1030ELNS1_3gpuE2ELNS1_3repE0EEENS1_30default_config_static_selectorELNS0_4arch9wavefront6targetE0EEEvS14_,@function
_ZN7rocprim17ROCPRIM_400000_NS6detail17trampoline_kernelINS0_14default_configENS1_22reduce_config_selectorIN6thrust23THRUST_200600_302600_NS5tupleIblNS6_9null_typeES8_S8_S8_S8_S8_S8_S8_EEEEZNS1_11reduce_implILb1ES3_NS6_12zip_iteratorINS7_INS6_11hip_rocprim26transform_input_iterator_tIbNSD_35transform_pair_of_input_iterators_tIbNS6_6detail15normal_iteratorINS6_10device_ptrIKiEEEESL_NS6_8equal_toIiEEEENSG_9not_fun_tINSD_8identityEEEEENSD_19counting_iterator_tIlEES8_S8_S8_S8_S8_S8_S8_S8_EEEEPS9_S9_NSD_9__find_if7functorIS9_EEEE10hipError_tPvRmT1_T2_T3_mT4_P12ihipStream_tbEUlT_E1_NS1_11comp_targetILNS1_3genE8ELNS1_11target_archE1030ELNS1_3gpuE2ELNS1_3repE0EEENS1_30default_config_static_selectorELNS0_4arch9wavefront6targetE0EEEvS14_: ; @_ZN7rocprim17ROCPRIM_400000_NS6detail17trampoline_kernelINS0_14default_configENS1_22reduce_config_selectorIN6thrust23THRUST_200600_302600_NS5tupleIblNS6_9null_typeES8_S8_S8_S8_S8_S8_S8_EEEEZNS1_11reduce_implILb1ES3_NS6_12zip_iteratorINS7_INS6_11hip_rocprim26transform_input_iterator_tIbNSD_35transform_pair_of_input_iterators_tIbNS6_6detail15normal_iteratorINS6_10device_ptrIKiEEEESL_NS6_8equal_toIiEEEENSG_9not_fun_tINSD_8identityEEEEENSD_19counting_iterator_tIlEES8_S8_S8_S8_S8_S8_S8_S8_EEEEPS9_S9_NSD_9__find_if7functorIS9_EEEE10hipError_tPvRmT1_T2_T3_mT4_P12ihipStream_tbEUlT_E1_NS1_11comp_targetILNS1_3genE8ELNS1_11target_archE1030ELNS1_3gpuE2ELNS1_3repE0EEENS1_30default_config_static_selectorELNS0_4arch9wavefront6targetE0EEEvS14_
; %bb.0:
	.section	.rodata,"a",@progbits
	.p2align	6, 0x0
	.amdhsa_kernel _ZN7rocprim17ROCPRIM_400000_NS6detail17trampoline_kernelINS0_14default_configENS1_22reduce_config_selectorIN6thrust23THRUST_200600_302600_NS5tupleIblNS6_9null_typeES8_S8_S8_S8_S8_S8_S8_EEEEZNS1_11reduce_implILb1ES3_NS6_12zip_iteratorINS7_INS6_11hip_rocprim26transform_input_iterator_tIbNSD_35transform_pair_of_input_iterators_tIbNS6_6detail15normal_iteratorINS6_10device_ptrIKiEEEESL_NS6_8equal_toIiEEEENSG_9not_fun_tINSD_8identityEEEEENSD_19counting_iterator_tIlEES8_S8_S8_S8_S8_S8_S8_S8_EEEEPS9_S9_NSD_9__find_if7functorIS9_EEEE10hipError_tPvRmT1_T2_T3_mT4_P12ihipStream_tbEUlT_E1_NS1_11comp_targetILNS1_3genE8ELNS1_11target_archE1030ELNS1_3gpuE2ELNS1_3repE0EEENS1_30default_config_static_selectorELNS0_4arch9wavefront6targetE0EEEvS14_
		.amdhsa_group_segment_fixed_size 0
		.amdhsa_private_segment_fixed_size 0
		.amdhsa_kernarg_size 88
		.amdhsa_user_sgpr_count 15
		.amdhsa_user_sgpr_dispatch_ptr 0
		.amdhsa_user_sgpr_queue_ptr 0
		.amdhsa_user_sgpr_kernarg_segment_ptr 1
		.amdhsa_user_sgpr_dispatch_id 0
		.amdhsa_user_sgpr_private_segment_size 0
		.amdhsa_wavefront_size32 1
		.amdhsa_uses_dynamic_stack 0
		.amdhsa_enable_private_segment 0
		.amdhsa_system_sgpr_workgroup_id_x 1
		.amdhsa_system_sgpr_workgroup_id_y 0
		.amdhsa_system_sgpr_workgroup_id_z 0
		.amdhsa_system_sgpr_workgroup_info 0
		.amdhsa_system_vgpr_workitem_id 0
		.amdhsa_next_free_vgpr 1
		.amdhsa_next_free_sgpr 1
		.amdhsa_reserve_vcc 0
		.amdhsa_float_round_mode_32 0
		.amdhsa_float_round_mode_16_64 0
		.amdhsa_float_denorm_mode_32 3
		.amdhsa_float_denorm_mode_16_64 3
		.amdhsa_dx10_clamp 1
		.amdhsa_ieee_mode 1
		.amdhsa_fp16_overflow 0
		.amdhsa_workgroup_processor_mode 1
		.amdhsa_memory_ordered 1
		.amdhsa_forward_progress 0
		.amdhsa_shared_vgpr_count 0
		.amdhsa_exception_fp_ieee_invalid_op 0
		.amdhsa_exception_fp_denorm_src 0
		.amdhsa_exception_fp_ieee_div_zero 0
		.amdhsa_exception_fp_ieee_overflow 0
		.amdhsa_exception_fp_ieee_underflow 0
		.amdhsa_exception_fp_ieee_inexact 0
		.amdhsa_exception_int_div_zero 0
	.end_amdhsa_kernel
	.section	.text._ZN7rocprim17ROCPRIM_400000_NS6detail17trampoline_kernelINS0_14default_configENS1_22reduce_config_selectorIN6thrust23THRUST_200600_302600_NS5tupleIblNS6_9null_typeES8_S8_S8_S8_S8_S8_S8_EEEEZNS1_11reduce_implILb1ES3_NS6_12zip_iteratorINS7_INS6_11hip_rocprim26transform_input_iterator_tIbNSD_35transform_pair_of_input_iterators_tIbNS6_6detail15normal_iteratorINS6_10device_ptrIKiEEEESL_NS6_8equal_toIiEEEENSG_9not_fun_tINSD_8identityEEEEENSD_19counting_iterator_tIlEES8_S8_S8_S8_S8_S8_S8_S8_EEEEPS9_S9_NSD_9__find_if7functorIS9_EEEE10hipError_tPvRmT1_T2_T3_mT4_P12ihipStream_tbEUlT_E1_NS1_11comp_targetILNS1_3genE8ELNS1_11target_archE1030ELNS1_3gpuE2ELNS1_3repE0EEENS1_30default_config_static_selectorELNS0_4arch9wavefront6targetE0EEEvS14_,"axG",@progbits,_ZN7rocprim17ROCPRIM_400000_NS6detail17trampoline_kernelINS0_14default_configENS1_22reduce_config_selectorIN6thrust23THRUST_200600_302600_NS5tupleIblNS6_9null_typeES8_S8_S8_S8_S8_S8_S8_EEEEZNS1_11reduce_implILb1ES3_NS6_12zip_iteratorINS7_INS6_11hip_rocprim26transform_input_iterator_tIbNSD_35transform_pair_of_input_iterators_tIbNS6_6detail15normal_iteratorINS6_10device_ptrIKiEEEESL_NS6_8equal_toIiEEEENSG_9not_fun_tINSD_8identityEEEEENSD_19counting_iterator_tIlEES8_S8_S8_S8_S8_S8_S8_S8_EEEEPS9_S9_NSD_9__find_if7functorIS9_EEEE10hipError_tPvRmT1_T2_T3_mT4_P12ihipStream_tbEUlT_E1_NS1_11comp_targetILNS1_3genE8ELNS1_11target_archE1030ELNS1_3gpuE2ELNS1_3repE0EEENS1_30default_config_static_selectorELNS0_4arch9wavefront6targetE0EEEvS14_,comdat
.Lfunc_end40:
	.size	_ZN7rocprim17ROCPRIM_400000_NS6detail17trampoline_kernelINS0_14default_configENS1_22reduce_config_selectorIN6thrust23THRUST_200600_302600_NS5tupleIblNS6_9null_typeES8_S8_S8_S8_S8_S8_S8_EEEEZNS1_11reduce_implILb1ES3_NS6_12zip_iteratorINS7_INS6_11hip_rocprim26transform_input_iterator_tIbNSD_35transform_pair_of_input_iterators_tIbNS6_6detail15normal_iteratorINS6_10device_ptrIKiEEEESL_NS6_8equal_toIiEEEENSG_9not_fun_tINSD_8identityEEEEENSD_19counting_iterator_tIlEES8_S8_S8_S8_S8_S8_S8_S8_EEEEPS9_S9_NSD_9__find_if7functorIS9_EEEE10hipError_tPvRmT1_T2_T3_mT4_P12ihipStream_tbEUlT_E1_NS1_11comp_targetILNS1_3genE8ELNS1_11target_archE1030ELNS1_3gpuE2ELNS1_3repE0EEENS1_30default_config_static_selectorELNS0_4arch9wavefront6targetE0EEEvS14_, .Lfunc_end40-_ZN7rocprim17ROCPRIM_400000_NS6detail17trampoline_kernelINS0_14default_configENS1_22reduce_config_selectorIN6thrust23THRUST_200600_302600_NS5tupleIblNS6_9null_typeES8_S8_S8_S8_S8_S8_S8_EEEEZNS1_11reduce_implILb1ES3_NS6_12zip_iteratorINS7_INS6_11hip_rocprim26transform_input_iterator_tIbNSD_35transform_pair_of_input_iterators_tIbNS6_6detail15normal_iteratorINS6_10device_ptrIKiEEEESL_NS6_8equal_toIiEEEENSG_9not_fun_tINSD_8identityEEEEENSD_19counting_iterator_tIlEES8_S8_S8_S8_S8_S8_S8_S8_EEEEPS9_S9_NSD_9__find_if7functorIS9_EEEE10hipError_tPvRmT1_T2_T3_mT4_P12ihipStream_tbEUlT_E1_NS1_11comp_targetILNS1_3genE8ELNS1_11target_archE1030ELNS1_3gpuE2ELNS1_3repE0EEENS1_30default_config_static_selectorELNS0_4arch9wavefront6targetE0EEEvS14_
                                        ; -- End function
	.section	.AMDGPU.csdata,"",@progbits
; Kernel info:
; codeLenInByte = 0
; NumSgprs: 0
; NumVgprs: 0
; ScratchSize: 0
; MemoryBound: 0
; FloatMode: 240
; IeeeMode: 1
; LDSByteSize: 0 bytes/workgroup (compile time only)
; SGPRBlocks: 0
; VGPRBlocks: 0
; NumSGPRsForWavesPerEU: 1
; NumVGPRsForWavesPerEU: 1
; Occupancy: 16
; WaveLimiterHint : 0
; COMPUTE_PGM_RSRC2:SCRATCH_EN: 0
; COMPUTE_PGM_RSRC2:USER_SGPR: 15
; COMPUTE_PGM_RSRC2:TRAP_HANDLER: 0
; COMPUTE_PGM_RSRC2:TGID_X_EN: 1
; COMPUTE_PGM_RSRC2:TGID_Y_EN: 0
; COMPUTE_PGM_RSRC2:TGID_Z_EN: 0
; COMPUTE_PGM_RSRC2:TIDIG_COMP_CNT: 0
	.section	.text._ZN6thrust23THRUST_200600_302600_NS11hip_rocprim14__parallel_for6kernelILj256ENS1_10for_each_fINS0_7pointerINS0_5tupleIblNS0_9null_typeES7_S7_S7_S7_S7_S7_S7_EENS1_3tagENS0_11use_defaultESA_EENS0_6detail16wrapped_functionINSC_23allocator_traits_detail24construct1_via_allocatorINSC_18no_throw_allocatorINSC_19temporary_allocatorIS8_S9_EEEEEEvEEEEmLj1EEEvT0_T1_SO_,"axG",@progbits,_ZN6thrust23THRUST_200600_302600_NS11hip_rocprim14__parallel_for6kernelILj256ENS1_10for_each_fINS0_7pointerINS0_5tupleIblNS0_9null_typeES7_S7_S7_S7_S7_S7_S7_EENS1_3tagENS0_11use_defaultESA_EENS0_6detail16wrapped_functionINSC_23allocator_traits_detail24construct1_via_allocatorINSC_18no_throw_allocatorINSC_19temporary_allocatorIS8_S9_EEEEEEvEEEEmLj1EEEvT0_T1_SO_,comdat
	.protected	_ZN6thrust23THRUST_200600_302600_NS11hip_rocprim14__parallel_for6kernelILj256ENS1_10for_each_fINS0_7pointerINS0_5tupleIblNS0_9null_typeES7_S7_S7_S7_S7_S7_S7_EENS1_3tagENS0_11use_defaultESA_EENS0_6detail16wrapped_functionINSC_23allocator_traits_detail24construct1_via_allocatorINSC_18no_throw_allocatorINSC_19temporary_allocatorIS8_S9_EEEEEEvEEEEmLj1EEEvT0_T1_SO_ ; -- Begin function _ZN6thrust23THRUST_200600_302600_NS11hip_rocprim14__parallel_for6kernelILj256ENS1_10for_each_fINS0_7pointerINS0_5tupleIblNS0_9null_typeES7_S7_S7_S7_S7_S7_S7_EENS1_3tagENS0_11use_defaultESA_EENS0_6detail16wrapped_functionINSC_23allocator_traits_detail24construct1_via_allocatorINSC_18no_throw_allocatorINSC_19temporary_allocatorIS8_S9_EEEEEEvEEEEmLj1EEEvT0_T1_SO_
	.globl	_ZN6thrust23THRUST_200600_302600_NS11hip_rocprim14__parallel_for6kernelILj256ENS1_10for_each_fINS0_7pointerINS0_5tupleIblNS0_9null_typeES7_S7_S7_S7_S7_S7_S7_EENS1_3tagENS0_11use_defaultESA_EENS0_6detail16wrapped_functionINSC_23allocator_traits_detail24construct1_via_allocatorINSC_18no_throw_allocatorINSC_19temporary_allocatorIS8_S9_EEEEEEvEEEEmLj1EEEvT0_T1_SO_
	.p2align	8
	.type	_ZN6thrust23THRUST_200600_302600_NS11hip_rocprim14__parallel_for6kernelILj256ENS1_10for_each_fINS0_7pointerINS0_5tupleIblNS0_9null_typeES7_S7_S7_S7_S7_S7_S7_EENS1_3tagENS0_11use_defaultESA_EENS0_6detail16wrapped_functionINSC_23allocator_traits_detail24construct1_via_allocatorINSC_18no_throw_allocatorINSC_19temporary_allocatorIS8_S9_EEEEEEvEEEEmLj1EEEvT0_T1_SO_,@function
_ZN6thrust23THRUST_200600_302600_NS11hip_rocprim14__parallel_for6kernelILj256ENS1_10for_each_fINS0_7pointerINS0_5tupleIblNS0_9null_typeES7_S7_S7_S7_S7_S7_S7_EENS1_3tagENS0_11use_defaultESA_EENS0_6detail16wrapped_functionINSC_23allocator_traits_detail24construct1_via_allocatorINSC_18no_throw_allocatorINSC_19temporary_allocatorIS8_S9_EEEEEEvEEEEmLj1EEEvT0_T1_SO_: ; @_ZN6thrust23THRUST_200600_302600_NS11hip_rocprim14__parallel_for6kernelILj256ENS1_10for_each_fINS0_7pointerINS0_5tupleIblNS0_9null_typeES7_S7_S7_S7_S7_S7_S7_EENS1_3tagENS0_11use_defaultESA_EENS0_6detail16wrapped_functionINSC_23allocator_traits_detail24construct1_via_allocatorINSC_18no_throw_allocatorINSC_19temporary_allocatorIS8_S9_EEEEEEvEEEEmLj1EEEvT0_T1_SO_
; %bb.0:
	s_clause 0x1
	s_load_b128 s[4:7], s[0:1], 0x10
	s_load_b64 s[0:1], s[0:1], 0x0
	s_lshl_b32 s2, s15, 8
	s_waitcnt lgkmcnt(0)
	s_add_u32 s2, s2, s6
	s_addc_u32 s3, 0, s7
	s_sub_u32 s4, s4, s2
	s_subb_u32 s5, s5, s3
	s_delay_alu instid0(SALU_CYCLE_1) | instskip(NEXT) | instid1(VALU_DEP_1)
	v_cmp_gt_u64_e64 s5, 0x100, s[4:5]
	s_and_b32 vcc_lo, exec_lo, s5
	s_mov_b32 s5, 0
	s_cbranch_vccz .LBB41_4
; %bb.1:
	v_cmp_gt_u32_e32 vcc_lo, s4, v0
	s_mov_b32 s4, 0
                                        ; implicit-def: $vgpr1_vgpr2
	s_and_saveexec_b32 s6, vcc_lo
	s_delay_alu instid0(SALU_CYCLE_1)
	s_xor_b32 s6, exec_lo, s6
; %bb.2:
	v_lshlrev_b32_e32 v1, 4, v0
	s_lshl_b64 s[8:9], s[2:3], 4
	s_mov_b32 s5, exec_lo
	s_add_u32 s7, s0, s8
	s_addc_u32 s8, s1, s9
	v_add_co_u32 v1, s7, s7, v1
	s_delay_alu instid0(VALU_DEP_1)
	v_add_co_ci_u32_e64 v2, null, s8, 0, s7
; %bb.3:
	s_or_b32 exec_lo, exec_lo, s6
	s_delay_alu instid0(SALU_CYCLE_1)
	s_and_b32 vcc_lo, exec_lo, s4
	s_cbranch_vccnz .LBB41_5
	s_branch .LBB41_6
.LBB41_4:
                                        ; implicit-def: $vgpr1_vgpr2
	s_cbranch_execz .LBB41_6
.LBB41_5:
	v_lshlrev_b32_e32 v0, 4, v0
	s_lshl_b64 s[2:3], s[2:3], 4
	s_delay_alu instid0(SALU_CYCLE_1) | instskip(SKIP_1) | instid1(VALU_DEP_1)
	s_add_u32 s0, s0, s2
	s_addc_u32 s1, s1, s3
	v_add_co_u32 v1, s0, s0, v0
	s_delay_alu instid0(VALU_DEP_1)
	v_add_co_ci_u32_e64 v2, null, s1, 0, s0
	s_or_b32 s5, s5, exec_lo
.LBB41_6:
	s_delay_alu instid0(SALU_CYCLE_1)
	s_and_saveexec_b32 s0, s5
	s_cbranch_execnz .LBB41_8
; %bb.7:
	s_endpgm
.LBB41_8:
	v_mov_b32_e32 v3, 0
	s_delay_alu instid0(VALU_DEP_1)
	v_mov_b32_e32 v4, v3
	s_clause 0x1
	flat_store_b8 v[1:2], v3
	flat_store_b64 v[1:2], v[3:4] offset:8
	s_endpgm
	.section	.rodata,"a",@progbits
	.p2align	6, 0x0
	.amdhsa_kernel _ZN6thrust23THRUST_200600_302600_NS11hip_rocprim14__parallel_for6kernelILj256ENS1_10for_each_fINS0_7pointerINS0_5tupleIblNS0_9null_typeES7_S7_S7_S7_S7_S7_S7_EENS1_3tagENS0_11use_defaultESA_EENS0_6detail16wrapped_functionINSC_23allocator_traits_detail24construct1_via_allocatorINSC_18no_throw_allocatorINSC_19temporary_allocatorIS8_S9_EEEEEEvEEEEmLj1EEEvT0_T1_SO_
		.amdhsa_group_segment_fixed_size 0
		.amdhsa_private_segment_fixed_size 0
		.amdhsa_kernarg_size 32
		.amdhsa_user_sgpr_count 15
		.amdhsa_user_sgpr_dispatch_ptr 0
		.amdhsa_user_sgpr_queue_ptr 0
		.amdhsa_user_sgpr_kernarg_segment_ptr 1
		.amdhsa_user_sgpr_dispatch_id 0
		.amdhsa_user_sgpr_private_segment_size 0
		.amdhsa_wavefront_size32 1
		.amdhsa_uses_dynamic_stack 0
		.amdhsa_enable_private_segment 0
		.amdhsa_system_sgpr_workgroup_id_x 1
		.amdhsa_system_sgpr_workgroup_id_y 0
		.amdhsa_system_sgpr_workgroup_id_z 0
		.amdhsa_system_sgpr_workgroup_info 0
		.amdhsa_system_vgpr_workitem_id 0
		.amdhsa_next_free_vgpr 5
		.amdhsa_next_free_sgpr 16
		.amdhsa_reserve_vcc 1
		.amdhsa_float_round_mode_32 0
		.amdhsa_float_round_mode_16_64 0
		.amdhsa_float_denorm_mode_32 3
		.amdhsa_float_denorm_mode_16_64 3
		.amdhsa_dx10_clamp 1
		.amdhsa_ieee_mode 1
		.amdhsa_fp16_overflow 0
		.amdhsa_workgroup_processor_mode 1
		.amdhsa_memory_ordered 1
		.amdhsa_forward_progress 0
		.amdhsa_shared_vgpr_count 0
		.amdhsa_exception_fp_ieee_invalid_op 0
		.amdhsa_exception_fp_denorm_src 0
		.amdhsa_exception_fp_ieee_div_zero 0
		.amdhsa_exception_fp_ieee_overflow 0
		.amdhsa_exception_fp_ieee_underflow 0
		.amdhsa_exception_fp_ieee_inexact 0
		.amdhsa_exception_int_div_zero 0
	.end_amdhsa_kernel
	.section	.text._ZN6thrust23THRUST_200600_302600_NS11hip_rocprim14__parallel_for6kernelILj256ENS1_10for_each_fINS0_7pointerINS0_5tupleIblNS0_9null_typeES7_S7_S7_S7_S7_S7_S7_EENS1_3tagENS0_11use_defaultESA_EENS0_6detail16wrapped_functionINSC_23allocator_traits_detail24construct1_via_allocatorINSC_18no_throw_allocatorINSC_19temporary_allocatorIS8_S9_EEEEEEvEEEEmLj1EEEvT0_T1_SO_,"axG",@progbits,_ZN6thrust23THRUST_200600_302600_NS11hip_rocprim14__parallel_for6kernelILj256ENS1_10for_each_fINS0_7pointerINS0_5tupleIblNS0_9null_typeES7_S7_S7_S7_S7_S7_S7_EENS1_3tagENS0_11use_defaultESA_EENS0_6detail16wrapped_functionINSC_23allocator_traits_detail24construct1_via_allocatorINSC_18no_throw_allocatorINSC_19temporary_allocatorIS8_S9_EEEEEEvEEEEmLj1EEEvT0_T1_SO_,comdat
.Lfunc_end41:
	.size	_ZN6thrust23THRUST_200600_302600_NS11hip_rocprim14__parallel_for6kernelILj256ENS1_10for_each_fINS0_7pointerINS0_5tupleIblNS0_9null_typeES7_S7_S7_S7_S7_S7_S7_EENS1_3tagENS0_11use_defaultESA_EENS0_6detail16wrapped_functionINSC_23allocator_traits_detail24construct1_via_allocatorINSC_18no_throw_allocatorINSC_19temporary_allocatorIS8_S9_EEEEEEvEEEEmLj1EEEvT0_T1_SO_, .Lfunc_end41-_ZN6thrust23THRUST_200600_302600_NS11hip_rocprim14__parallel_for6kernelILj256ENS1_10for_each_fINS0_7pointerINS0_5tupleIblNS0_9null_typeES7_S7_S7_S7_S7_S7_S7_EENS1_3tagENS0_11use_defaultESA_EENS0_6detail16wrapped_functionINSC_23allocator_traits_detail24construct1_via_allocatorINSC_18no_throw_allocatorINSC_19temporary_allocatorIS8_S9_EEEEEEvEEEEmLj1EEEvT0_T1_SO_
                                        ; -- End function
	.section	.AMDGPU.csdata,"",@progbits
; Kernel info:
; codeLenInByte = 252
; NumSgprs: 18
; NumVgprs: 5
; ScratchSize: 0
; MemoryBound: 0
; FloatMode: 240
; IeeeMode: 1
; LDSByteSize: 0 bytes/workgroup (compile time only)
; SGPRBlocks: 2
; VGPRBlocks: 0
; NumSGPRsForWavesPerEU: 18
; NumVGPRsForWavesPerEU: 5
; Occupancy: 16
; WaveLimiterHint : 0
; COMPUTE_PGM_RSRC2:SCRATCH_EN: 0
; COMPUTE_PGM_RSRC2:USER_SGPR: 15
; COMPUTE_PGM_RSRC2:TRAP_HANDLER: 0
; COMPUTE_PGM_RSRC2:TGID_X_EN: 1
; COMPUTE_PGM_RSRC2:TGID_Y_EN: 0
; COMPUTE_PGM_RSRC2:TGID_Z_EN: 0
; COMPUTE_PGM_RSRC2:TIDIG_COMP_CNT: 0
	.section	.text._ZN6thrust23THRUST_200600_302600_NS11hip_rocprim14__parallel_for6kernelILj256ENS1_10for_each_fINS0_7pointerINS0_5tupleIblNS0_9null_typeES7_S7_S7_S7_S7_S7_S7_EENS1_3tagENS0_11use_defaultESA_EENS0_6detail16wrapped_functionINSC_23allocator_traits_detail5gozerEvEEEElLj1EEEvT0_T1_SJ_,"axG",@progbits,_ZN6thrust23THRUST_200600_302600_NS11hip_rocprim14__parallel_for6kernelILj256ENS1_10for_each_fINS0_7pointerINS0_5tupleIblNS0_9null_typeES7_S7_S7_S7_S7_S7_S7_EENS1_3tagENS0_11use_defaultESA_EENS0_6detail16wrapped_functionINSC_23allocator_traits_detail5gozerEvEEEElLj1EEEvT0_T1_SJ_,comdat
	.protected	_ZN6thrust23THRUST_200600_302600_NS11hip_rocprim14__parallel_for6kernelILj256ENS1_10for_each_fINS0_7pointerINS0_5tupleIblNS0_9null_typeES7_S7_S7_S7_S7_S7_S7_EENS1_3tagENS0_11use_defaultESA_EENS0_6detail16wrapped_functionINSC_23allocator_traits_detail5gozerEvEEEElLj1EEEvT0_T1_SJ_ ; -- Begin function _ZN6thrust23THRUST_200600_302600_NS11hip_rocprim14__parallel_for6kernelILj256ENS1_10for_each_fINS0_7pointerINS0_5tupleIblNS0_9null_typeES7_S7_S7_S7_S7_S7_S7_EENS1_3tagENS0_11use_defaultESA_EENS0_6detail16wrapped_functionINSC_23allocator_traits_detail5gozerEvEEEElLj1EEEvT0_T1_SJ_
	.globl	_ZN6thrust23THRUST_200600_302600_NS11hip_rocprim14__parallel_for6kernelILj256ENS1_10for_each_fINS0_7pointerINS0_5tupleIblNS0_9null_typeES7_S7_S7_S7_S7_S7_S7_EENS1_3tagENS0_11use_defaultESA_EENS0_6detail16wrapped_functionINSC_23allocator_traits_detail5gozerEvEEEElLj1EEEvT0_T1_SJ_
	.p2align	8
	.type	_ZN6thrust23THRUST_200600_302600_NS11hip_rocprim14__parallel_for6kernelILj256ENS1_10for_each_fINS0_7pointerINS0_5tupleIblNS0_9null_typeES7_S7_S7_S7_S7_S7_S7_EENS1_3tagENS0_11use_defaultESA_EENS0_6detail16wrapped_functionINSC_23allocator_traits_detail5gozerEvEEEElLj1EEEvT0_T1_SJ_,@function
_ZN6thrust23THRUST_200600_302600_NS11hip_rocprim14__parallel_for6kernelILj256ENS1_10for_each_fINS0_7pointerINS0_5tupleIblNS0_9null_typeES7_S7_S7_S7_S7_S7_S7_EENS1_3tagENS0_11use_defaultESA_EENS0_6detail16wrapped_functionINSC_23allocator_traits_detail5gozerEvEEEElLj1EEEvT0_T1_SJ_: ; @_ZN6thrust23THRUST_200600_302600_NS11hip_rocprim14__parallel_for6kernelILj256ENS1_10for_each_fINS0_7pointerINS0_5tupleIblNS0_9null_typeES7_S7_S7_S7_S7_S7_S7_EENS1_3tagENS0_11use_defaultESA_EENS0_6detail16wrapped_functionINSC_23allocator_traits_detail5gozerEvEEEElLj1EEEvT0_T1_SJ_
; %bb.0:
	s_endpgm
	.section	.rodata,"a",@progbits
	.p2align	6, 0x0
	.amdhsa_kernel _ZN6thrust23THRUST_200600_302600_NS11hip_rocprim14__parallel_for6kernelILj256ENS1_10for_each_fINS0_7pointerINS0_5tupleIblNS0_9null_typeES7_S7_S7_S7_S7_S7_S7_EENS1_3tagENS0_11use_defaultESA_EENS0_6detail16wrapped_functionINSC_23allocator_traits_detail5gozerEvEEEElLj1EEEvT0_T1_SJ_
		.amdhsa_group_segment_fixed_size 0
		.amdhsa_private_segment_fixed_size 0
		.amdhsa_kernarg_size 32
		.amdhsa_user_sgpr_count 15
		.amdhsa_user_sgpr_dispatch_ptr 0
		.amdhsa_user_sgpr_queue_ptr 0
		.amdhsa_user_sgpr_kernarg_segment_ptr 1
		.amdhsa_user_sgpr_dispatch_id 0
		.amdhsa_user_sgpr_private_segment_size 0
		.amdhsa_wavefront_size32 1
		.amdhsa_uses_dynamic_stack 0
		.amdhsa_enable_private_segment 0
		.amdhsa_system_sgpr_workgroup_id_x 1
		.amdhsa_system_sgpr_workgroup_id_y 0
		.amdhsa_system_sgpr_workgroup_id_z 0
		.amdhsa_system_sgpr_workgroup_info 0
		.amdhsa_system_vgpr_workitem_id 0
		.amdhsa_next_free_vgpr 1
		.amdhsa_next_free_sgpr 1
		.amdhsa_reserve_vcc 0
		.amdhsa_float_round_mode_32 0
		.amdhsa_float_round_mode_16_64 0
		.amdhsa_float_denorm_mode_32 3
		.amdhsa_float_denorm_mode_16_64 3
		.amdhsa_dx10_clamp 1
		.amdhsa_ieee_mode 1
		.amdhsa_fp16_overflow 0
		.amdhsa_workgroup_processor_mode 1
		.amdhsa_memory_ordered 1
		.amdhsa_forward_progress 0
		.amdhsa_shared_vgpr_count 0
		.amdhsa_exception_fp_ieee_invalid_op 0
		.amdhsa_exception_fp_denorm_src 0
		.amdhsa_exception_fp_ieee_div_zero 0
		.amdhsa_exception_fp_ieee_overflow 0
		.amdhsa_exception_fp_ieee_underflow 0
		.amdhsa_exception_fp_ieee_inexact 0
		.amdhsa_exception_int_div_zero 0
	.end_amdhsa_kernel
	.section	.text._ZN6thrust23THRUST_200600_302600_NS11hip_rocprim14__parallel_for6kernelILj256ENS1_10for_each_fINS0_7pointerINS0_5tupleIblNS0_9null_typeES7_S7_S7_S7_S7_S7_S7_EENS1_3tagENS0_11use_defaultESA_EENS0_6detail16wrapped_functionINSC_23allocator_traits_detail5gozerEvEEEElLj1EEEvT0_T1_SJ_,"axG",@progbits,_ZN6thrust23THRUST_200600_302600_NS11hip_rocprim14__parallel_for6kernelILj256ENS1_10for_each_fINS0_7pointerINS0_5tupleIblNS0_9null_typeES7_S7_S7_S7_S7_S7_S7_EENS1_3tagENS0_11use_defaultESA_EENS0_6detail16wrapped_functionINSC_23allocator_traits_detail5gozerEvEEEElLj1EEEvT0_T1_SJ_,comdat
.Lfunc_end42:
	.size	_ZN6thrust23THRUST_200600_302600_NS11hip_rocprim14__parallel_for6kernelILj256ENS1_10for_each_fINS0_7pointerINS0_5tupleIblNS0_9null_typeES7_S7_S7_S7_S7_S7_S7_EENS1_3tagENS0_11use_defaultESA_EENS0_6detail16wrapped_functionINSC_23allocator_traits_detail5gozerEvEEEElLj1EEEvT0_T1_SJ_, .Lfunc_end42-_ZN6thrust23THRUST_200600_302600_NS11hip_rocprim14__parallel_for6kernelILj256ENS1_10for_each_fINS0_7pointerINS0_5tupleIblNS0_9null_typeES7_S7_S7_S7_S7_S7_S7_EENS1_3tagENS0_11use_defaultESA_EENS0_6detail16wrapped_functionINSC_23allocator_traits_detail5gozerEvEEEElLj1EEEvT0_T1_SJ_
                                        ; -- End function
	.section	.AMDGPU.csdata,"",@progbits
; Kernel info:
; codeLenInByte = 4
; NumSgprs: 0
; NumVgprs: 0
; ScratchSize: 0
; MemoryBound: 0
; FloatMode: 240
; IeeeMode: 1
; LDSByteSize: 0 bytes/workgroup (compile time only)
; SGPRBlocks: 0
; VGPRBlocks: 0
; NumSGPRsForWavesPerEU: 1
; NumVGPRsForWavesPerEU: 1
; Occupancy: 16
; WaveLimiterHint : 0
; COMPUTE_PGM_RSRC2:SCRATCH_EN: 0
; COMPUTE_PGM_RSRC2:USER_SGPR: 15
; COMPUTE_PGM_RSRC2:TRAP_HANDLER: 0
; COMPUTE_PGM_RSRC2:TGID_X_EN: 1
; COMPUTE_PGM_RSRC2:TGID_Y_EN: 0
; COMPUTE_PGM_RSRC2:TGID_Z_EN: 0
; COMPUTE_PGM_RSRC2:TIDIG_COMP_CNT: 0
	.section	.text._ZN6thrust23THRUST_200600_302600_NS11hip_rocprim14__parallel_for6kernelILj256ENS1_20__uninitialized_copy7functorIPNS0_5tupleIblNS0_9null_typeES7_S7_S7_S7_S7_S7_S7_EENS0_7pointerIS8_NS1_3tagENS0_11use_defaultESC_EEEEmLj1EEEvT0_T1_SG_,"axG",@progbits,_ZN6thrust23THRUST_200600_302600_NS11hip_rocprim14__parallel_for6kernelILj256ENS1_20__uninitialized_copy7functorIPNS0_5tupleIblNS0_9null_typeES7_S7_S7_S7_S7_S7_S7_EENS0_7pointerIS8_NS1_3tagENS0_11use_defaultESC_EEEEmLj1EEEvT0_T1_SG_,comdat
	.protected	_ZN6thrust23THRUST_200600_302600_NS11hip_rocprim14__parallel_for6kernelILj256ENS1_20__uninitialized_copy7functorIPNS0_5tupleIblNS0_9null_typeES7_S7_S7_S7_S7_S7_S7_EENS0_7pointerIS8_NS1_3tagENS0_11use_defaultESC_EEEEmLj1EEEvT0_T1_SG_ ; -- Begin function _ZN6thrust23THRUST_200600_302600_NS11hip_rocprim14__parallel_for6kernelILj256ENS1_20__uninitialized_copy7functorIPNS0_5tupleIblNS0_9null_typeES7_S7_S7_S7_S7_S7_S7_EENS0_7pointerIS8_NS1_3tagENS0_11use_defaultESC_EEEEmLj1EEEvT0_T1_SG_
	.globl	_ZN6thrust23THRUST_200600_302600_NS11hip_rocprim14__parallel_for6kernelILj256ENS1_20__uninitialized_copy7functorIPNS0_5tupleIblNS0_9null_typeES7_S7_S7_S7_S7_S7_S7_EENS0_7pointerIS8_NS1_3tagENS0_11use_defaultESC_EEEEmLj1EEEvT0_T1_SG_
	.p2align	8
	.type	_ZN6thrust23THRUST_200600_302600_NS11hip_rocprim14__parallel_for6kernelILj256ENS1_20__uninitialized_copy7functorIPNS0_5tupleIblNS0_9null_typeES7_S7_S7_S7_S7_S7_S7_EENS0_7pointerIS8_NS1_3tagENS0_11use_defaultESC_EEEEmLj1EEEvT0_T1_SG_,@function
_ZN6thrust23THRUST_200600_302600_NS11hip_rocprim14__parallel_for6kernelILj256ENS1_20__uninitialized_copy7functorIPNS0_5tupleIblNS0_9null_typeES7_S7_S7_S7_S7_S7_S7_EENS0_7pointerIS8_NS1_3tagENS0_11use_defaultESC_EEEEmLj1EEEvT0_T1_SG_: ; @_ZN6thrust23THRUST_200600_302600_NS11hip_rocprim14__parallel_for6kernelILj256ENS1_20__uninitialized_copy7functorIPNS0_5tupleIblNS0_9null_typeES7_S7_S7_S7_S7_S7_S7_EENS0_7pointerIS8_NS1_3tagENS0_11use_defaultESC_EEEEmLj1EEEvT0_T1_SG_
; %bb.0:
	s_load_b256 s[0:7], s[0:1], 0x0
	s_lshl_b32 s8, s15, 8
	s_waitcnt lgkmcnt(0)
	s_add_u32 s6, s8, s6
	s_addc_u32 s7, 0, s7
	s_sub_u32 s4, s4, s6
	s_subb_u32 s5, s5, s7
	s_delay_alu instid0(SALU_CYCLE_1) | instskip(NEXT) | instid1(VALU_DEP_1)
	v_cmp_gt_u64_e64 s5, 0x100, s[4:5]
	s_and_b32 vcc_lo, exec_lo, s5
	s_mov_b32 s5, -1
	s_cbranch_vccnz .LBB43_3
; %bb.1:
	s_and_not1_b32 vcc_lo, exec_lo, s5
	s_cbranch_vccz .LBB43_6
.LBB43_2:
	s_endpgm
.LBB43_3:
	v_cmp_gt_u32_e32 vcc_lo, s4, v0
	s_and_saveexec_b32 s4, vcc_lo
	s_cbranch_execz .LBB43_5
; %bb.4:
	v_add_co_u32 v1, s5, s6, v0
	s_delay_alu instid0(VALU_DEP_1) | instskip(NEXT) | instid1(VALU_DEP_1)
	v_add_co_ci_u32_e64 v2, null, s7, 0, s5
	v_lshlrev_b64 v[5:6], 4, v[1:2]
	s_delay_alu instid0(VALU_DEP_1) | instskip(NEXT) | instid1(VALU_DEP_2)
	v_add_co_u32 v1, vcc_lo, s0, v5
	v_add_co_ci_u32_e32 v2, vcc_lo, s1, v6, vcc_lo
	v_add_co_u32 v5, vcc_lo, s2, v5
	v_add_co_ci_u32_e32 v6, vcc_lo, s3, v6, vcc_lo
	global_load_b128 v[1:4], v[1:2], off
	s_waitcnt vmcnt(0)
	flat_store_b128 v[5:6], v[1:4]
.LBB43_5:
	s_or_b32 exec_lo, exec_lo, s4
	s_cbranch_execnz .LBB43_2
.LBB43_6:
	v_add_co_u32 v0, s4, s6, v0
	s_delay_alu instid0(VALU_DEP_1) | instskip(NEXT) | instid1(VALU_DEP_1)
	v_add_co_ci_u32_e64 v1, null, s7, 0, s4
	v_lshlrev_b64 v[4:5], 4, v[0:1]
	s_delay_alu instid0(VALU_DEP_1) | instskip(NEXT) | instid1(VALU_DEP_2)
	v_add_co_u32 v0, vcc_lo, s0, v4
	v_add_co_ci_u32_e32 v1, vcc_lo, s1, v5, vcc_lo
	v_add_co_u32 v4, vcc_lo, s2, v4
	v_add_co_ci_u32_e32 v5, vcc_lo, s3, v5, vcc_lo
	global_load_b128 v[0:3], v[0:1], off
	s_waitcnt vmcnt(0)
	flat_store_b128 v[4:5], v[0:3]
	s_endpgm
	.section	.rodata,"a",@progbits
	.p2align	6, 0x0
	.amdhsa_kernel _ZN6thrust23THRUST_200600_302600_NS11hip_rocprim14__parallel_for6kernelILj256ENS1_20__uninitialized_copy7functorIPNS0_5tupleIblNS0_9null_typeES7_S7_S7_S7_S7_S7_S7_EENS0_7pointerIS8_NS1_3tagENS0_11use_defaultESC_EEEEmLj1EEEvT0_T1_SG_
		.amdhsa_group_segment_fixed_size 0
		.amdhsa_private_segment_fixed_size 0
		.amdhsa_kernarg_size 32
		.amdhsa_user_sgpr_count 15
		.amdhsa_user_sgpr_dispatch_ptr 0
		.amdhsa_user_sgpr_queue_ptr 0
		.amdhsa_user_sgpr_kernarg_segment_ptr 1
		.amdhsa_user_sgpr_dispatch_id 0
		.amdhsa_user_sgpr_private_segment_size 0
		.amdhsa_wavefront_size32 1
		.amdhsa_uses_dynamic_stack 0
		.amdhsa_enable_private_segment 0
		.amdhsa_system_sgpr_workgroup_id_x 1
		.amdhsa_system_sgpr_workgroup_id_y 0
		.amdhsa_system_sgpr_workgroup_id_z 0
		.amdhsa_system_sgpr_workgroup_info 0
		.amdhsa_system_vgpr_workitem_id 0
		.amdhsa_next_free_vgpr 7
		.amdhsa_next_free_sgpr 16
		.amdhsa_reserve_vcc 1
		.amdhsa_float_round_mode_32 0
		.amdhsa_float_round_mode_16_64 0
		.amdhsa_float_denorm_mode_32 3
		.amdhsa_float_denorm_mode_16_64 3
		.amdhsa_dx10_clamp 1
		.amdhsa_ieee_mode 1
		.amdhsa_fp16_overflow 0
		.amdhsa_workgroup_processor_mode 1
		.amdhsa_memory_ordered 1
		.amdhsa_forward_progress 0
		.amdhsa_shared_vgpr_count 0
		.amdhsa_exception_fp_ieee_invalid_op 0
		.amdhsa_exception_fp_denorm_src 0
		.amdhsa_exception_fp_ieee_div_zero 0
		.amdhsa_exception_fp_ieee_overflow 0
		.amdhsa_exception_fp_ieee_underflow 0
		.amdhsa_exception_fp_ieee_inexact 0
		.amdhsa_exception_int_div_zero 0
	.end_amdhsa_kernel
	.section	.text._ZN6thrust23THRUST_200600_302600_NS11hip_rocprim14__parallel_for6kernelILj256ENS1_20__uninitialized_copy7functorIPNS0_5tupleIblNS0_9null_typeES7_S7_S7_S7_S7_S7_S7_EENS0_7pointerIS8_NS1_3tagENS0_11use_defaultESC_EEEEmLj1EEEvT0_T1_SG_,"axG",@progbits,_ZN6thrust23THRUST_200600_302600_NS11hip_rocprim14__parallel_for6kernelILj256ENS1_20__uninitialized_copy7functorIPNS0_5tupleIblNS0_9null_typeES7_S7_S7_S7_S7_S7_S7_EENS0_7pointerIS8_NS1_3tagENS0_11use_defaultESC_EEEEmLj1EEEvT0_T1_SG_,comdat
.Lfunc_end43:
	.size	_ZN6thrust23THRUST_200600_302600_NS11hip_rocprim14__parallel_for6kernelILj256ENS1_20__uninitialized_copy7functorIPNS0_5tupleIblNS0_9null_typeES7_S7_S7_S7_S7_S7_S7_EENS0_7pointerIS8_NS1_3tagENS0_11use_defaultESC_EEEEmLj1EEEvT0_T1_SG_, .Lfunc_end43-_ZN6thrust23THRUST_200600_302600_NS11hip_rocprim14__parallel_for6kernelILj256ENS1_20__uninitialized_copy7functorIPNS0_5tupleIblNS0_9null_typeES7_S7_S7_S7_S7_S7_S7_EENS0_7pointerIS8_NS1_3tagENS0_11use_defaultESC_EEEEmLj1EEEvT0_T1_SG_
                                        ; -- End function
	.section	.AMDGPU.csdata,"",@progbits
; Kernel info:
; codeLenInByte = 248
; NumSgprs: 18
; NumVgprs: 7
; ScratchSize: 0
; MemoryBound: 0
; FloatMode: 240
; IeeeMode: 1
; LDSByteSize: 0 bytes/workgroup (compile time only)
; SGPRBlocks: 2
; VGPRBlocks: 0
; NumSGPRsForWavesPerEU: 18
; NumVGPRsForWavesPerEU: 7
; Occupancy: 16
; WaveLimiterHint : 0
; COMPUTE_PGM_RSRC2:SCRATCH_EN: 0
; COMPUTE_PGM_RSRC2:USER_SGPR: 15
; COMPUTE_PGM_RSRC2:TRAP_HANDLER: 0
; COMPUTE_PGM_RSRC2:TGID_X_EN: 1
; COMPUTE_PGM_RSRC2:TGID_Y_EN: 0
; COMPUTE_PGM_RSRC2:TGID_Z_EN: 0
; COMPUTE_PGM_RSRC2:TIDIG_COMP_CNT: 0
	.section	.text._ZN6thrust23THRUST_200600_302600_NS11hip_rocprim14__parallel_for6kernelILj256ENS1_10for_each_fINS0_7pointerI10large_dataNS1_3tagENS0_11use_defaultES8_EENS0_6detail16wrapped_functionINSA_23allocator_traits_detail24construct1_via_allocatorINSA_18no_throw_allocatorINSA_19temporary_allocatorIS6_S7_EEEEEEvEEEEmLj1EEEvT0_T1_SM_,"axG",@progbits,_ZN6thrust23THRUST_200600_302600_NS11hip_rocprim14__parallel_for6kernelILj256ENS1_10for_each_fINS0_7pointerI10large_dataNS1_3tagENS0_11use_defaultES8_EENS0_6detail16wrapped_functionINSA_23allocator_traits_detail24construct1_via_allocatorINSA_18no_throw_allocatorINSA_19temporary_allocatorIS6_S7_EEEEEEvEEEEmLj1EEEvT0_T1_SM_,comdat
	.protected	_ZN6thrust23THRUST_200600_302600_NS11hip_rocprim14__parallel_for6kernelILj256ENS1_10for_each_fINS0_7pointerI10large_dataNS1_3tagENS0_11use_defaultES8_EENS0_6detail16wrapped_functionINSA_23allocator_traits_detail24construct1_via_allocatorINSA_18no_throw_allocatorINSA_19temporary_allocatorIS6_S7_EEEEEEvEEEEmLj1EEEvT0_T1_SM_ ; -- Begin function _ZN6thrust23THRUST_200600_302600_NS11hip_rocprim14__parallel_for6kernelILj256ENS1_10for_each_fINS0_7pointerI10large_dataNS1_3tagENS0_11use_defaultES8_EENS0_6detail16wrapped_functionINSA_23allocator_traits_detail24construct1_via_allocatorINSA_18no_throw_allocatorINSA_19temporary_allocatorIS6_S7_EEEEEEvEEEEmLj1EEEvT0_T1_SM_
	.globl	_ZN6thrust23THRUST_200600_302600_NS11hip_rocprim14__parallel_for6kernelILj256ENS1_10for_each_fINS0_7pointerI10large_dataNS1_3tagENS0_11use_defaultES8_EENS0_6detail16wrapped_functionINSA_23allocator_traits_detail24construct1_via_allocatorINSA_18no_throw_allocatorINSA_19temporary_allocatorIS6_S7_EEEEEEvEEEEmLj1EEEvT0_T1_SM_
	.p2align	8
	.type	_ZN6thrust23THRUST_200600_302600_NS11hip_rocprim14__parallel_for6kernelILj256ENS1_10for_each_fINS0_7pointerI10large_dataNS1_3tagENS0_11use_defaultES8_EENS0_6detail16wrapped_functionINSA_23allocator_traits_detail24construct1_via_allocatorINSA_18no_throw_allocatorINSA_19temporary_allocatorIS6_S7_EEEEEEvEEEEmLj1EEEvT0_T1_SM_,@function
_ZN6thrust23THRUST_200600_302600_NS11hip_rocprim14__parallel_for6kernelILj256ENS1_10for_each_fINS0_7pointerI10large_dataNS1_3tagENS0_11use_defaultES8_EENS0_6detail16wrapped_functionINSA_23allocator_traits_detail24construct1_via_allocatorINSA_18no_throw_allocatorINSA_19temporary_allocatorIS6_S7_EEEEEEvEEEEmLj1EEEvT0_T1_SM_: ; @_ZN6thrust23THRUST_200600_302600_NS11hip_rocprim14__parallel_for6kernelILj256ENS1_10for_each_fINS0_7pointerI10large_dataNS1_3tagENS0_11use_defaultES8_EENS0_6detail16wrapped_functionINSA_23allocator_traits_detail24construct1_via_allocatorINSA_18no_throw_allocatorINSA_19temporary_allocatorIS6_S7_EEEEEEvEEEEmLj1EEEvT0_T1_SM_
; %bb.0:
	s_load_b128 s[4:7], s[0:1], 0x10
	s_lshl_b32 s2, s15, 8
	s_waitcnt lgkmcnt(0)
	s_add_u32 s2, s2, s6
	s_addc_u32 s3, 0, s7
	s_sub_u32 s4, s4, s2
	s_subb_u32 s5, s5, s3
	s_delay_alu instid0(SALU_CYCLE_1) | instskip(NEXT) | instid1(VALU_DEP_1)
	v_cmp_gt_u64_e64 s5, 0x100, s[4:5]
	s_and_b32 vcc_lo, exec_lo, s5
	s_mov_b32 s5, 0
	s_cbranch_vccz .LBB44_2
; %bb.1:
	v_cmp_gt_u32_e32 vcc_lo, s4, v0
	s_and_b32 s5, vcc_lo, exec_lo
	s_cbranch_execz .LBB44_3
	s_branch .LBB44_4
.LBB44_2:
.LBB44_3:
	s_or_b32 s5, s5, exec_lo
.LBB44_4:
	s_delay_alu instid0(SALU_CYCLE_1)
	s_and_saveexec_b32 s4, s5
	s_cbranch_execnz .LBB44_6
; %bb.5:
	s_endpgm
.LBB44_6:
	s_load_b64 s[0:1], s[0:1], 0x0
	v_mov_b32_e32 v1, 0
	s_lshl_b64 s[2:3], s[2:3], 9
	s_delay_alu instid0(VALU_DEP_1) | instskip(SKIP_3) | instid1(VALU_DEP_1)
	v_lshlrev_b64 v[2:3], 9, v[0:1]
	s_waitcnt lgkmcnt(0)
	s_add_u32 s0, s0, s2
	s_addc_u32 s1, s1, s3
	v_add_co_u32 v2, vcc_lo, s0, v2
	s_delay_alu instid0(VALU_DEP_2)
	v_add_co_ci_u32_e32 v3, vcc_lo, s1, v3, vcc_lo
	flat_store_b8 v[2:3], v1
	s_endpgm
	.section	.rodata,"a",@progbits
	.p2align	6, 0x0
	.amdhsa_kernel _ZN6thrust23THRUST_200600_302600_NS11hip_rocprim14__parallel_for6kernelILj256ENS1_10for_each_fINS0_7pointerI10large_dataNS1_3tagENS0_11use_defaultES8_EENS0_6detail16wrapped_functionINSA_23allocator_traits_detail24construct1_via_allocatorINSA_18no_throw_allocatorINSA_19temporary_allocatorIS6_S7_EEEEEEvEEEEmLj1EEEvT0_T1_SM_
		.amdhsa_group_segment_fixed_size 0
		.amdhsa_private_segment_fixed_size 0
		.amdhsa_kernarg_size 32
		.amdhsa_user_sgpr_count 15
		.amdhsa_user_sgpr_dispatch_ptr 0
		.amdhsa_user_sgpr_queue_ptr 0
		.amdhsa_user_sgpr_kernarg_segment_ptr 1
		.amdhsa_user_sgpr_dispatch_id 0
		.amdhsa_user_sgpr_private_segment_size 0
		.amdhsa_wavefront_size32 1
		.amdhsa_uses_dynamic_stack 0
		.amdhsa_enable_private_segment 0
		.amdhsa_system_sgpr_workgroup_id_x 1
		.amdhsa_system_sgpr_workgroup_id_y 0
		.amdhsa_system_sgpr_workgroup_id_z 0
		.amdhsa_system_sgpr_workgroup_info 0
		.amdhsa_system_vgpr_workitem_id 0
		.amdhsa_next_free_vgpr 4
		.amdhsa_next_free_sgpr 16
		.amdhsa_reserve_vcc 1
		.amdhsa_float_round_mode_32 0
		.amdhsa_float_round_mode_16_64 0
		.amdhsa_float_denorm_mode_32 3
		.amdhsa_float_denorm_mode_16_64 3
		.amdhsa_dx10_clamp 1
		.amdhsa_ieee_mode 1
		.amdhsa_fp16_overflow 0
		.amdhsa_workgroup_processor_mode 1
		.amdhsa_memory_ordered 1
		.amdhsa_forward_progress 0
		.amdhsa_shared_vgpr_count 0
		.amdhsa_exception_fp_ieee_invalid_op 0
		.amdhsa_exception_fp_denorm_src 0
		.amdhsa_exception_fp_ieee_div_zero 0
		.amdhsa_exception_fp_ieee_overflow 0
		.amdhsa_exception_fp_ieee_underflow 0
		.amdhsa_exception_fp_ieee_inexact 0
		.amdhsa_exception_int_div_zero 0
	.end_amdhsa_kernel
	.section	.text._ZN6thrust23THRUST_200600_302600_NS11hip_rocprim14__parallel_for6kernelILj256ENS1_10for_each_fINS0_7pointerI10large_dataNS1_3tagENS0_11use_defaultES8_EENS0_6detail16wrapped_functionINSA_23allocator_traits_detail24construct1_via_allocatorINSA_18no_throw_allocatorINSA_19temporary_allocatorIS6_S7_EEEEEEvEEEEmLj1EEEvT0_T1_SM_,"axG",@progbits,_ZN6thrust23THRUST_200600_302600_NS11hip_rocprim14__parallel_for6kernelILj256ENS1_10for_each_fINS0_7pointerI10large_dataNS1_3tagENS0_11use_defaultES8_EENS0_6detail16wrapped_functionINSA_23allocator_traits_detail24construct1_via_allocatorINSA_18no_throw_allocatorINSA_19temporary_allocatorIS6_S7_EEEEEEvEEEEmLj1EEEvT0_T1_SM_,comdat
.Lfunc_end44:
	.size	_ZN6thrust23THRUST_200600_302600_NS11hip_rocprim14__parallel_for6kernelILj256ENS1_10for_each_fINS0_7pointerI10large_dataNS1_3tagENS0_11use_defaultES8_EENS0_6detail16wrapped_functionINSA_23allocator_traits_detail24construct1_via_allocatorINSA_18no_throw_allocatorINSA_19temporary_allocatorIS6_S7_EEEEEEvEEEEmLj1EEEvT0_T1_SM_, .Lfunc_end44-_ZN6thrust23THRUST_200600_302600_NS11hip_rocprim14__parallel_for6kernelILj256ENS1_10for_each_fINS0_7pointerI10large_dataNS1_3tagENS0_11use_defaultES8_EENS0_6detail16wrapped_functionINSA_23allocator_traits_detail24construct1_via_allocatorINSA_18no_throw_allocatorINSA_19temporary_allocatorIS6_S7_EEEEEEvEEEEmLj1EEEvT0_T1_SM_
                                        ; -- End function
	.section	.AMDGPU.csdata,"",@progbits
; Kernel info:
; codeLenInByte = 164
; NumSgprs: 18
; NumVgprs: 4
; ScratchSize: 0
; MemoryBound: 0
; FloatMode: 240
; IeeeMode: 1
; LDSByteSize: 0 bytes/workgroup (compile time only)
; SGPRBlocks: 2
; VGPRBlocks: 0
; NumSGPRsForWavesPerEU: 18
; NumVGPRsForWavesPerEU: 4
; Occupancy: 16
; WaveLimiterHint : 0
; COMPUTE_PGM_RSRC2:SCRATCH_EN: 0
; COMPUTE_PGM_RSRC2:USER_SGPR: 15
; COMPUTE_PGM_RSRC2:TRAP_HANDLER: 0
; COMPUTE_PGM_RSRC2:TGID_X_EN: 1
; COMPUTE_PGM_RSRC2:TGID_Y_EN: 0
; COMPUTE_PGM_RSRC2:TGID_Z_EN: 0
; COMPUTE_PGM_RSRC2:TIDIG_COMP_CNT: 0
	.section	.text._ZN6thrust23THRUST_200600_302600_NS11hip_rocprim14__parallel_for6kernelILj256ENS1_10for_each_fINS0_7pointerI10large_dataNS1_3tagENS0_11use_defaultES8_EENS0_6detail16wrapped_functionINSA_23allocator_traits_detail5gozerEvEEEElLj1EEEvT0_T1_SH_,"axG",@progbits,_ZN6thrust23THRUST_200600_302600_NS11hip_rocprim14__parallel_for6kernelILj256ENS1_10for_each_fINS0_7pointerI10large_dataNS1_3tagENS0_11use_defaultES8_EENS0_6detail16wrapped_functionINSA_23allocator_traits_detail5gozerEvEEEElLj1EEEvT0_T1_SH_,comdat
	.protected	_ZN6thrust23THRUST_200600_302600_NS11hip_rocprim14__parallel_for6kernelILj256ENS1_10for_each_fINS0_7pointerI10large_dataNS1_3tagENS0_11use_defaultES8_EENS0_6detail16wrapped_functionINSA_23allocator_traits_detail5gozerEvEEEElLj1EEEvT0_T1_SH_ ; -- Begin function _ZN6thrust23THRUST_200600_302600_NS11hip_rocprim14__parallel_for6kernelILj256ENS1_10for_each_fINS0_7pointerI10large_dataNS1_3tagENS0_11use_defaultES8_EENS0_6detail16wrapped_functionINSA_23allocator_traits_detail5gozerEvEEEElLj1EEEvT0_T1_SH_
	.globl	_ZN6thrust23THRUST_200600_302600_NS11hip_rocprim14__parallel_for6kernelILj256ENS1_10for_each_fINS0_7pointerI10large_dataNS1_3tagENS0_11use_defaultES8_EENS0_6detail16wrapped_functionINSA_23allocator_traits_detail5gozerEvEEEElLj1EEEvT0_T1_SH_
	.p2align	8
	.type	_ZN6thrust23THRUST_200600_302600_NS11hip_rocprim14__parallel_for6kernelILj256ENS1_10for_each_fINS0_7pointerI10large_dataNS1_3tagENS0_11use_defaultES8_EENS0_6detail16wrapped_functionINSA_23allocator_traits_detail5gozerEvEEEElLj1EEEvT0_T1_SH_,@function
_ZN6thrust23THRUST_200600_302600_NS11hip_rocprim14__parallel_for6kernelILj256ENS1_10for_each_fINS0_7pointerI10large_dataNS1_3tagENS0_11use_defaultES8_EENS0_6detail16wrapped_functionINSA_23allocator_traits_detail5gozerEvEEEElLj1EEEvT0_T1_SH_: ; @_ZN6thrust23THRUST_200600_302600_NS11hip_rocprim14__parallel_for6kernelILj256ENS1_10for_each_fINS0_7pointerI10large_dataNS1_3tagENS0_11use_defaultES8_EENS0_6detail16wrapped_functionINSA_23allocator_traits_detail5gozerEvEEEElLj1EEEvT0_T1_SH_
; %bb.0:
	s_endpgm
	.section	.rodata,"a",@progbits
	.p2align	6, 0x0
	.amdhsa_kernel _ZN6thrust23THRUST_200600_302600_NS11hip_rocprim14__parallel_for6kernelILj256ENS1_10for_each_fINS0_7pointerI10large_dataNS1_3tagENS0_11use_defaultES8_EENS0_6detail16wrapped_functionINSA_23allocator_traits_detail5gozerEvEEEElLj1EEEvT0_T1_SH_
		.amdhsa_group_segment_fixed_size 0
		.amdhsa_private_segment_fixed_size 0
		.amdhsa_kernarg_size 32
		.amdhsa_user_sgpr_count 15
		.amdhsa_user_sgpr_dispatch_ptr 0
		.amdhsa_user_sgpr_queue_ptr 0
		.amdhsa_user_sgpr_kernarg_segment_ptr 1
		.amdhsa_user_sgpr_dispatch_id 0
		.amdhsa_user_sgpr_private_segment_size 0
		.amdhsa_wavefront_size32 1
		.amdhsa_uses_dynamic_stack 0
		.amdhsa_enable_private_segment 0
		.amdhsa_system_sgpr_workgroup_id_x 1
		.amdhsa_system_sgpr_workgroup_id_y 0
		.amdhsa_system_sgpr_workgroup_id_z 0
		.amdhsa_system_sgpr_workgroup_info 0
		.amdhsa_system_vgpr_workitem_id 0
		.amdhsa_next_free_vgpr 1
		.amdhsa_next_free_sgpr 1
		.amdhsa_reserve_vcc 0
		.amdhsa_float_round_mode_32 0
		.amdhsa_float_round_mode_16_64 0
		.amdhsa_float_denorm_mode_32 3
		.amdhsa_float_denorm_mode_16_64 3
		.amdhsa_dx10_clamp 1
		.amdhsa_ieee_mode 1
		.amdhsa_fp16_overflow 0
		.amdhsa_workgroup_processor_mode 1
		.amdhsa_memory_ordered 1
		.amdhsa_forward_progress 0
		.amdhsa_shared_vgpr_count 0
		.amdhsa_exception_fp_ieee_invalid_op 0
		.amdhsa_exception_fp_denorm_src 0
		.amdhsa_exception_fp_ieee_div_zero 0
		.amdhsa_exception_fp_ieee_overflow 0
		.amdhsa_exception_fp_ieee_underflow 0
		.amdhsa_exception_fp_ieee_inexact 0
		.amdhsa_exception_int_div_zero 0
	.end_amdhsa_kernel
	.section	.text._ZN6thrust23THRUST_200600_302600_NS11hip_rocprim14__parallel_for6kernelILj256ENS1_10for_each_fINS0_7pointerI10large_dataNS1_3tagENS0_11use_defaultES8_EENS0_6detail16wrapped_functionINSA_23allocator_traits_detail5gozerEvEEEElLj1EEEvT0_T1_SH_,"axG",@progbits,_ZN6thrust23THRUST_200600_302600_NS11hip_rocprim14__parallel_for6kernelILj256ENS1_10for_each_fINS0_7pointerI10large_dataNS1_3tagENS0_11use_defaultES8_EENS0_6detail16wrapped_functionINSA_23allocator_traits_detail5gozerEvEEEElLj1EEEvT0_T1_SH_,comdat
.Lfunc_end45:
	.size	_ZN6thrust23THRUST_200600_302600_NS11hip_rocprim14__parallel_for6kernelILj256ENS1_10for_each_fINS0_7pointerI10large_dataNS1_3tagENS0_11use_defaultES8_EENS0_6detail16wrapped_functionINSA_23allocator_traits_detail5gozerEvEEEElLj1EEEvT0_T1_SH_, .Lfunc_end45-_ZN6thrust23THRUST_200600_302600_NS11hip_rocprim14__parallel_for6kernelILj256ENS1_10for_each_fINS0_7pointerI10large_dataNS1_3tagENS0_11use_defaultES8_EENS0_6detail16wrapped_functionINSA_23allocator_traits_detail5gozerEvEEEElLj1EEEvT0_T1_SH_
                                        ; -- End function
	.section	.AMDGPU.csdata,"",@progbits
; Kernel info:
; codeLenInByte = 4
; NumSgprs: 0
; NumVgprs: 0
; ScratchSize: 0
; MemoryBound: 0
; FloatMode: 240
; IeeeMode: 1
; LDSByteSize: 0 bytes/workgroup (compile time only)
; SGPRBlocks: 0
; VGPRBlocks: 0
; NumSGPRsForWavesPerEU: 1
; NumVGPRsForWavesPerEU: 1
; Occupancy: 16
; WaveLimiterHint : 0
; COMPUTE_PGM_RSRC2:SCRATCH_EN: 0
; COMPUTE_PGM_RSRC2:USER_SGPR: 15
; COMPUTE_PGM_RSRC2:TRAP_HANDLER: 0
; COMPUTE_PGM_RSRC2:TGID_X_EN: 1
; COMPUTE_PGM_RSRC2:TGID_Y_EN: 0
; COMPUTE_PGM_RSRC2:TGID_Z_EN: 0
; COMPUTE_PGM_RSRC2:TIDIG_COMP_CNT: 0
	.section	.text._ZN6thrust23THRUST_200600_302600_NS11hip_rocprim14__parallel_for6kernelILj256ENS1_11__transform17unary_transform_fINS0_7pointerI10large_dataNS1_3tagENS0_11use_defaultES9_EENS0_10device_ptrIS7_EENS4_14no_stencil_tagENS0_8identityIS7_EENS4_21always_true_predicateEEElLj1EEEvT0_T1_SJ_,"axG",@progbits,_ZN6thrust23THRUST_200600_302600_NS11hip_rocprim14__parallel_for6kernelILj256ENS1_11__transform17unary_transform_fINS0_7pointerI10large_dataNS1_3tagENS0_11use_defaultES9_EENS0_10device_ptrIS7_EENS4_14no_stencil_tagENS0_8identityIS7_EENS4_21always_true_predicateEEElLj1EEEvT0_T1_SJ_,comdat
	.protected	_ZN6thrust23THRUST_200600_302600_NS11hip_rocprim14__parallel_for6kernelILj256ENS1_11__transform17unary_transform_fINS0_7pointerI10large_dataNS1_3tagENS0_11use_defaultES9_EENS0_10device_ptrIS7_EENS4_14no_stencil_tagENS0_8identityIS7_EENS4_21always_true_predicateEEElLj1EEEvT0_T1_SJ_ ; -- Begin function _ZN6thrust23THRUST_200600_302600_NS11hip_rocprim14__parallel_for6kernelILj256ENS1_11__transform17unary_transform_fINS0_7pointerI10large_dataNS1_3tagENS0_11use_defaultES9_EENS0_10device_ptrIS7_EENS4_14no_stencil_tagENS0_8identityIS7_EENS4_21always_true_predicateEEElLj1EEEvT0_T1_SJ_
	.globl	_ZN6thrust23THRUST_200600_302600_NS11hip_rocprim14__parallel_for6kernelILj256ENS1_11__transform17unary_transform_fINS0_7pointerI10large_dataNS1_3tagENS0_11use_defaultES9_EENS0_10device_ptrIS7_EENS4_14no_stencil_tagENS0_8identityIS7_EENS4_21always_true_predicateEEElLj1EEEvT0_T1_SJ_
	.p2align	8
	.type	_ZN6thrust23THRUST_200600_302600_NS11hip_rocprim14__parallel_for6kernelILj256ENS1_11__transform17unary_transform_fINS0_7pointerI10large_dataNS1_3tagENS0_11use_defaultES9_EENS0_10device_ptrIS7_EENS4_14no_stencil_tagENS0_8identityIS7_EENS4_21always_true_predicateEEElLj1EEEvT0_T1_SJ_,@function
_ZN6thrust23THRUST_200600_302600_NS11hip_rocprim14__parallel_for6kernelILj256ENS1_11__transform17unary_transform_fINS0_7pointerI10large_dataNS1_3tagENS0_11use_defaultES9_EENS0_10device_ptrIS7_EENS4_14no_stencil_tagENS0_8identityIS7_EENS4_21always_true_predicateEEElLj1EEEvT0_T1_SJ_: ; @_ZN6thrust23THRUST_200600_302600_NS11hip_rocprim14__parallel_for6kernelILj256ENS1_11__transform17unary_transform_fINS0_7pointerI10large_dataNS1_3tagENS0_11use_defaultES9_EENS0_10device_ptrIS7_EENS4_14no_stencil_tagENS0_8identityIS7_EENS4_21always_true_predicateEEElLj1EEEvT0_T1_SJ_
; %bb.0:
	s_clause 0x1
	s_load_b128 s[8:11], s[0:1], 0x18
	s_load_b128 s[0:3], s[0:1], 0x0
	s_lshl_b32 s4, s15, 8
	s_waitcnt lgkmcnt(0)
	s_add_u32 s5, s4, s10
	s_addc_u32 s6, 0, s11
	s_sub_u32 s8, s8, s5
	s_subb_u32 s9, s9, s6
	s_delay_alu instid0(SALU_CYCLE_1) | instskip(NEXT) | instid1(VALU_DEP_1)
	v_cmp_gt_i64_e64 s4, 0x100, s[8:9]
	s_and_b32 s4, s4, exec_lo
	s_cselect_b32 s7, s8, 0x100
	s_mov_b32 s4, 0
	s_cmpk_lg_i32 s7, 0x100
	s_cbranch_scc0 .LBB46_4
; %bb.1:
	v_cmp_gt_u32_e32 vcc_lo, s7, v0
	s_mov_b32 s7, 0
                                        ; implicit-def: $vgpr1_vgpr2
                                        ; implicit-def: $vgpr3_vgpr4
	s_and_saveexec_b32 s8, vcc_lo
	s_delay_alu instid0(SALU_CYCLE_1)
	s_xor_b32 s8, exec_lo, s8
; %bb.2:
	v_add_co_u32 v1, s9, s5, v0
	s_delay_alu instid0(VALU_DEP_1) | instskip(SKIP_1) | instid1(VALU_DEP_1)
	v_add_co_ci_u32_e64 v2, null, s6, 0, s9
	s_mov_b32 s4, exec_lo
	v_lshlrev_b64 v[3:4], 9, v[1:2]
	s_delay_alu instid0(VALU_DEP_1) | instskip(NEXT) | instid1(VALU_DEP_2)
	v_add_co_u32 v1, vcc_lo, s2, v3
	v_add_co_ci_u32_e32 v2, vcc_lo, s3, v4, vcc_lo
	v_add_co_u32 v3, vcc_lo, s0, v3
	v_add_co_ci_u32_e32 v4, vcc_lo, s1, v4, vcc_lo
; %bb.3:
	s_or_b32 exec_lo, exec_lo, s8
	s_delay_alu instid0(SALU_CYCLE_1)
	s_and_b32 vcc_lo, exec_lo, s7
	s_cbranch_vccnz .LBB46_5
	s_branch .LBB46_6
.LBB46_4:
                                        ; implicit-def: $vgpr1_vgpr2
                                        ; implicit-def: $vgpr3_vgpr4
	s_cbranch_execz .LBB46_6
.LBB46_5:
	v_add_co_u32 v0, s5, s5, v0
	s_delay_alu instid0(VALU_DEP_1) | instskip(SKIP_1) | instid1(VALU_DEP_1)
	v_add_co_ci_u32_e64 v1, null, s6, 0, s5
	s_or_b32 s4, s4, exec_lo
	v_lshlrev_b64 v[1:2], 9, v[0:1]
	s_delay_alu instid0(VALU_DEP_1) | instskip(NEXT) | instid1(VALU_DEP_2)
	v_add_co_u32 v3, vcc_lo, s0, v1
	v_add_co_ci_u32_e32 v4, vcc_lo, s1, v2, vcc_lo
	v_add_co_u32 v1, vcc_lo, s2, v1
	v_add_co_ci_u32_e32 v2, vcc_lo, s3, v2, vcc_lo
.LBB46_6:
	s_and_saveexec_b32 s0, s4
	s_cbranch_execnz .LBB46_8
; %bb.7:
	s_endpgm
.LBB46_8:
	flat_load_u8 v0, v[3:4]
	s_waitcnt vmcnt(0) lgkmcnt(0)
	flat_store_b8 v[1:2], v0
	s_endpgm
	.section	.rodata,"a",@progbits
	.p2align	6, 0x0
	.amdhsa_kernel _ZN6thrust23THRUST_200600_302600_NS11hip_rocprim14__parallel_for6kernelILj256ENS1_11__transform17unary_transform_fINS0_7pointerI10large_dataNS1_3tagENS0_11use_defaultES9_EENS0_10device_ptrIS7_EENS4_14no_stencil_tagENS0_8identityIS7_EENS4_21always_true_predicateEEElLj1EEEvT0_T1_SJ_
		.amdhsa_group_segment_fixed_size 0
		.amdhsa_private_segment_fixed_size 0
		.amdhsa_kernarg_size 40
		.amdhsa_user_sgpr_count 15
		.amdhsa_user_sgpr_dispatch_ptr 0
		.amdhsa_user_sgpr_queue_ptr 0
		.amdhsa_user_sgpr_kernarg_segment_ptr 1
		.amdhsa_user_sgpr_dispatch_id 0
		.amdhsa_user_sgpr_private_segment_size 0
		.amdhsa_wavefront_size32 1
		.amdhsa_uses_dynamic_stack 0
		.amdhsa_enable_private_segment 0
		.amdhsa_system_sgpr_workgroup_id_x 1
		.amdhsa_system_sgpr_workgroup_id_y 0
		.amdhsa_system_sgpr_workgroup_id_z 0
		.amdhsa_system_sgpr_workgroup_info 0
		.amdhsa_system_vgpr_workitem_id 0
		.amdhsa_next_free_vgpr 5
		.amdhsa_next_free_sgpr 16
		.amdhsa_reserve_vcc 1
		.amdhsa_float_round_mode_32 0
		.amdhsa_float_round_mode_16_64 0
		.amdhsa_float_denorm_mode_32 3
		.amdhsa_float_denorm_mode_16_64 3
		.amdhsa_dx10_clamp 1
		.amdhsa_ieee_mode 1
		.amdhsa_fp16_overflow 0
		.amdhsa_workgroup_processor_mode 1
		.amdhsa_memory_ordered 1
		.amdhsa_forward_progress 0
		.amdhsa_shared_vgpr_count 0
		.amdhsa_exception_fp_ieee_invalid_op 0
		.amdhsa_exception_fp_denorm_src 0
		.amdhsa_exception_fp_ieee_div_zero 0
		.amdhsa_exception_fp_ieee_overflow 0
		.amdhsa_exception_fp_ieee_underflow 0
		.amdhsa_exception_fp_ieee_inexact 0
		.amdhsa_exception_int_div_zero 0
	.end_amdhsa_kernel
	.section	.text._ZN6thrust23THRUST_200600_302600_NS11hip_rocprim14__parallel_for6kernelILj256ENS1_11__transform17unary_transform_fINS0_7pointerI10large_dataNS1_3tagENS0_11use_defaultES9_EENS0_10device_ptrIS7_EENS4_14no_stencil_tagENS0_8identityIS7_EENS4_21always_true_predicateEEElLj1EEEvT0_T1_SJ_,"axG",@progbits,_ZN6thrust23THRUST_200600_302600_NS11hip_rocprim14__parallel_for6kernelILj256ENS1_11__transform17unary_transform_fINS0_7pointerI10large_dataNS1_3tagENS0_11use_defaultES9_EENS0_10device_ptrIS7_EENS4_14no_stencil_tagENS0_8identityIS7_EENS4_21always_true_predicateEEElLj1EEEvT0_T1_SJ_,comdat
.Lfunc_end46:
	.size	_ZN6thrust23THRUST_200600_302600_NS11hip_rocprim14__parallel_for6kernelILj256ENS1_11__transform17unary_transform_fINS0_7pointerI10large_dataNS1_3tagENS0_11use_defaultES9_EENS0_10device_ptrIS7_EENS4_14no_stencil_tagENS0_8identityIS7_EENS4_21always_true_predicateEEElLj1EEEvT0_T1_SJ_, .Lfunc_end46-_ZN6thrust23THRUST_200600_302600_NS11hip_rocprim14__parallel_for6kernelILj256ENS1_11__transform17unary_transform_fINS0_7pointerI10large_dataNS1_3tagENS0_11use_defaultES9_EENS0_10device_ptrIS7_EENS4_14no_stencil_tagENS0_8identityIS7_EENS4_21always_true_predicateEEElLj1EEEvT0_T1_SJ_
                                        ; -- End function
	.section	.AMDGPU.csdata,"",@progbits
; Kernel info:
; codeLenInByte = 284
; NumSgprs: 18
; NumVgprs: 5
; ScratchSize: 0
; MemoryBound: 0
; FloatMode: 240
; IeeeMode: 1
; LDSByteSize: 0 bytes/workgroup (compile time only)
; SGPRBlocks: 2
; VGPRBlocks: 0
; NumSGPRsForWavesPerEU: 18
; NumVGPRsForWavesPerEU: 5
; Occupancy: 16
; WaveLimiterHint : 0
; COMPUTE_PGM_RSRC2:SCRATCH_EN: 0
; COMPUTE_PGM_RSRC2:USER_SGPR: 15
; COMPUTE_PGM_RSRC2:TRAP_HANDLER: 0
; COMPUTE_PGM_RSRC2:TGID_X_EN: 1
; COMPUTE_PGM_RSRC2:TGID_Y_EN: 0
; COMPUTE_PGM_RSRC2:TGID_Z_EN: 0
; COMPUTE_PGM_RSRC2:TIDIG_COMP_CNT: 0
	.section	.text._ZN6thrust23THRUST_200600_302600_NS11hip_rocprim14__parallel_for6kernelILj256ENS1_20__uninitialized_copy7functorINS0_7pointerI10large_dataNS1_3tagENS0_11use_defaultES9_EESA_EEmLj1EEEvT0_T1_SD_,"axG",@progbits,_ZN6thrust23THRUST_200600_302600_NS11hip_rocprim14__parallel_for6kernelILj256ENS1_20__uninitialized_copy7functorINS0_7pointerI10large_dataNS1_3tagENS0_11use_defaultES9_EESA_EEmLj1EEEvT0_T1_SD_,comdat
	.protected	_ZN6thrust23THRUST_200600_302600_NS11hip_rocprim14__parallel_for6kernelILj256ENS1_20__uninitialized_copy7functorINS0_7pointerI10large_dataNS1_3tagENS0_11use_defaultES9_EESA_EEmLj1EEEvT0_T1_SD_ ; -- Begin function _ZN6thrust23THRUST_200600_302600_NS11hip_rocprim14__parallel_for6kernelILj256ENS1_20__uninitialized_copy7functorINS0_7pointerI10large_dataNS1_3tagENS0_11use_defaultES9_EESA_EEmLj1EEEvT0_T1_SD_
	.globl	_ZN6thrust23THRUST_200600_302600_NS11hip_rocprim14__parallel_for6kernelILj256ENS1_20__uninitialized_copy7functorINS0_7pointerI10large_dataNS1_3tagENS0_11use_defaultES9_EESA_EEmLj1EEEvT0_T1_SD_
	.p2align	8
	.type	_ZN6thrust23THRUST_200600_302600_NS11hip_rocprim14__parallel_for6kernelILj256ENS1_20__uninitialized_copy7functorINS0_7pointerI10large_dataNS1_3tagENS0_11use_defaultES9_EESA_EEmLj1EEEvT0_T1_SD_,@function
_ZN6thrust23THRUST_200600_302600_NS11hip_rocprim14__parallel_for6kernelILj256ENS1_20__uninitialized_copy7functorINS0_7pointerI10large_dataNS1_3tagENS0_11use_defaultES9_EESA_EEmLj1EEEvT0_T1_SD_: ; @_ZN6thrust23THRUST_200600_302600_NS11hip_rocprim14__parallel_for6kernelILj256ENS1_20__uninitialized_copy7functorINS0_7pointerI10large_dataNS1_3tagENS0_11use_defaultES9_EESA_EEmLj1EEEvT0_T1_SD_
; %bb.0:
	s_load_b256 s[0:7], s[0:1], 0x0
	s_lshl_b32 s8, s15, 8
	s_waitcnt lgkmcnt(0)
	s_add_u32 s6, s8, s6
	s_addc_u32 s7, 0, s7
	s_sub_u32 s4, s4, s6
	s_subb_u32 s5, s5, s7
	s_delay_alu instid0(SALU_CYCLE_1) | instskip(NEXT) | instid1(VALU_DEP_1)
	v_cmp_gt_u64_e64 s5, 0x100, s[4:5]
	s_and_b32 vcc_lo, exec_lo, s5
	s_mov_b32 s5, 0
	s_cbranch_vccz .LBB47_4
; %bb.1:
	v_cmp_gt_u32_e32 vcc_lo, s4, v0
	s_mov_b32 s4, 0
                                        ; implicit-def: $vgpr1_vgpr2
                                        ; implicit-def: $vgpr3_vgpr4
	s_and_saveexec_b32 s8, vcc_lo
	s_delay_alu instid0(SALU_CYCLE_1)
	s_xor_b32 s8, exec_lo, s8
; %bb.2:
	v_add_co_u32 v1, s9, s6, v0
	s_delay_alu instid0(VALU_DEP_1) | instskip(SKIP_1) | instid1(VALU_DEP_1)
	v_add_co_ci_u32_e64 v2, null, s7, 0, s9
	s_mov_b32 s5, exec_lo
	v_lshlrev_b64 v[3:4], 9, v[1:2]
	s_delay_alu instid0(VALU_DEP_1) | instskip(NEXT) | instid1(VALU_DEP_2)
	v_add_co_u32 v1, vcc_lo, s2, v3
	v_add_co_ci_u32_e32 v2, vcc_lo, s3, v4, vcc_lo
	v_add_co_u32 v3, vcc_lo, s0, v3
	v_add_co_ci_u32_e32 v4, vcc_lo, s1, v4, vcc_lo
; %bb.3:
	s_or_b32 exec_lo, exec_lo, s8
	s_delay_alu instid0(SALU_CYCLE_1)
	s_and_b32 vcc_lo, exec_lo, s4
	s_cbranch_vccnz .LBB47_5
	s_branch .LBB47_6
.LBB47_4:
                                        ; implicit-def: $vgpr1_vgpr2
                                        ; implicit-def: $vgpr3_vgpr4
	s_cbranch_execz .LBB47_6
.LBB47_5:
	v_add_co_u32 v0, s4, s6, v0
	s_delay_alu instid0(VALU_DEP_1) | instskip(SKIP_1) | instid1(VALU_DEP_1)
	v_add_co_ci_u32_e64 v1, null, s7, 0, s4
	s_or_b32 s5, s5, exec_lo
	v_lshlrev_b64 v[1:2], 9, v[0:1]
	s_delay_alu instid0(VALU_DEP_1) | instskip(NEXT) | instid1(VALU_DEP_2)
	v_add_co_u32 v3, vcc_lo, s0, v1
	v_add_co_ci_u32_e32 v4, vcc_lo, s1, v2, vcc_lo
	v_add_co_u32 v1, vcc_lo, s2, v1
	v_add_co_ci_u32_e32 v2, vcc_lo, s3, v2, vcc_lo
.LBB47_6:
	s_and_saveexec_b32 s0, s5
	s_cbranch_execnz .LBB47_8
; %bb.7:
	s_endpgm
.LBB47_8:
	flat_load_u8 v0, v[3:4]
	s_waitcnt vmcnt(0) lgkmcnt(0)
	flat_store_b8 v[1:2], v0
	s_endpgm
	.section	.rodata,"a",@progbits
	.p2align	6, 0x0
	.amdhsa_kernel _ZN6thrust23THRUST_200600_302600_NS11hip_rocprim14__parallel_for6kernelILj256ENS1_20__uninitialized_copy7functorINS0_7pointerI10large_dataNS1_3tagENS0_11use_defaultES9_EESA_EEmLj1EEEvT0_T1_SD_
		.amdhsa_group_segment_fixed_size 0
		.amdhsa_private_segment_fixed_size 0
		.amdhsa_kernarg_size 32
		.amdhsa_user_sgpr_count 15
		.amdhsa_user_sgpr_dispatch_ptr 0
		.amdhsa_user_sgpr_queue_ptr 0
		.amdhsa_user_sgpr_kernarg_segment_ptr 1
		.amdhsa_user_sgpr_dispatch_id 0
		.amdhsa_user_sgpr_private_segment_size 0
		.amdhsa_wavefront_size32 1
		.amdhsa_uses_dynamic_stack 0
		.amdhsa_enable_private_segment 0
		.amdhsa_system_sgpr_workgroup_id_x 1
		.amdhsa_system_sgpr_workgroup_id_y 0
		.amdhsa_system_sgpr_workgroup_id_z 0
		.amdhsa_system_sgpr_workgroup_info 0
		.amdhsa_system_vgpr_workitem_id 0
		.amdhsa_next_free_vgpr 5
		.amdhsa_next_free_sgpr 16
		.amdhsa_reserve_vcc 1
		.amdhsa_float_round_mode_32 0
		.amdhsa_float_round_mode_16_64 0
		.amdhsa_float_denorm_mode_32 3
		.amdhsa_float_denorm_mode_16_64 3
		.amdhsa_dx10_clamp 1
		.amdhsa_ieee_mode 1
		.amdhsa_fp16_overflow 0
		.amdhsa_workgroup_processor_mode 1
		.amdhsa_memory_ordered 1
		.amdhsa_forward_progress 0
		.amdhsa_shared_vgpr_count 0
		.amdhsa_exception_fp_ieee_invalid_op 0
		.amdhsa_exception_fp_denorm_src 0
		.amdhsa_exception_fp_ieee_div_zero 0
		.amdhsa_exception_fp_ieee_overflow 0
		.amdhsa_exception_fp_ieee_underflow 0
		.amdhsa_exception_fp_ieee_inexact 0
		.amdhsa_exception_int_div_zero 0
	.end_amdhsa_kernel
	.section	.text._ZN6thrust23THRUST_200600_302600_NS11hip_rocprim14__parallel_for6kernelILj256ENS1_20__uninitialized_copy7functorINS0_7pointerI10large_dataNS1_3tagENS0_11use_defaultES9_EESA_EEmLj1EEEvT0_T1_SD_,"axG",@progbits,_ZN6thrust23THRUST_200600_302600_NS11hip_rocprim14__parallel_for6kernelILj256ENS1_20__uninitialized_copy7functorINS0_7pointerI10large_dataNS1_3tagENS0_11use_defaultES9_EESA_EEmLj1EEEvT0_T1_SD_,comdat
.Lfunc_end47:
	.size	_ZN6thrust23THRUST_200600_302600_NS11hip_rocprim14__parallel_for6kernelILj256ENS1_20__uninitialized_copy7functorINS0_7pointerI10large_dataNS1_3tagENS0_11use_defaultES9_EESA_EEmLj1EEEvT0_T1_SD_, .Lfunc_end47-_ZN6thrust23THRUST_200600_302600_NS11hip_rocprim14__parallel_for6kernelILj256ENS1_20__uninitialized_copy7functorINS0_7pointerI10large_dataNS1_3tagENS0_11use_defaultES9_EESA_EEmLj1EEEvT0_T1_SD_
                                        ; -- End function
	.section	.AMDGPU.csdata,"",@progbits
; Kernel info:
; codeLenInByte = 260
; NumSgprs: 18
; NumVgprs: 5
; ScratchSize: 0
; MemoryBound: 0
; FloatMode: 240
; IeeeMode: 1
; LDSByteSize: 0 bytes/workgroup (compile time only)
; SGPRBlocks: 2
; VGPRBlocks: 0
; NumSGPRsForWavesPerEU: 18
; NumVGPRsForWavesPerEU: 5
; Occupancy: 16
; WaveLimiterHint : 0
; COMPUTE_PGM_RSRC2:SCRATCH_EN: 0
; COMPUTE_PGM_RSRC2:USER_SGPR: 15
; COMPUTE_PGM_RSRC2:TRAP_HANDLER: 0
; COMPUTE_PGM_RSRC2:TGID_X_EN: 1
; COMPUTE_PGM_RSRC2:TGID_Y_EN: 0
; COMPUTE_PGM_RSRC2:TGID_Z_EN: 0
; COMPUTE_PGM_RSRC2:TIDIG_COMP_CNT: 0
	.section	.text._ZN6thrust23THRUST_200600_302600_NS11hip_rocprim14__parallel_for6kernelILj256ENS1_20__uninitialized_copy7functorINS0_6detail15normal_iteratorINS0_10device_ptrI10large_dataEEEENS0_7pointerIS9_NS1_3tagENS0_11use_defaultESE_EEEEmLj1EEEvT0_T1_SI_,"axG",@progbits,_ZN6thrust23THRUST_200600_302600_NS11hip_rocprim14__parallel_for6kernelILj256ENS1_20__uninitialized_copy7functorINS0_6detail15normal_iteratorINS0_10device_ptrI10large_dataEEEENS0_7pointerIS9_NS1_3tagENS0_11use_defaultESE_EEEEmLj1EEEvT0_T1_SI_,comdat
	.protected	_ZN6thrust23THRUST_200600_302600_NS11hip_rocprim14__parallel_for6kernelILj256ENS1_20__uninitialized_copy7functorINS0_6detail15normal_iteratorINS0_10device_ptrI10large_dataEEEENS0_7pointerIS9_NS1_3tagENS0_11use_defaultESE_EEEEmLj1EEEvT0_T1_SI_ ; -- Begin function _ZN6thrust23THRUST_200600_302600_NS11hip_rocprim14__parallel_for6kernelILj256ENS1_20__uninitialized_copy7functorINS0_6detail15normal_iteratorINS0_10device_ptrI10large_dataEEEENS0_7pointerIS9_NS1_3tagENS0_11use_defaultESE_EEEEmLj1EEEvT0_T1_SI_
	.globl	_ZN6thrust23THRUST_200600_302600_NS11hip_rocprim14__parallel_for6kernelILj256ENS1_20__uninitialized_copy7functorINS0_6detail15normal_iteratorINS0_10device_ptrI10large_dataEEEENS0_7pointerIS9_NS1_3tagENS0_11use_defaultESE_EEEEmLj1EEEvT0_T1_SI_
	.p2align	8
	.type	_ZN6thrust23THRUST_200600_302600_NS11hip_rocprim14__parallel_for6kernelILj256ENS1_20__uninitialized_copy7functorINS0_6detail15normal_iteratorINS0_10device_ptrI10large_dataEEEENS0_7pointerIS9_NS1_3tagENS0_11use_defaultESE_EEEEmLj1EEEvT0_T1_SI_,@function
_ZN6thrust23THRUST_200600_302600_NS11hip_rocprim14__parallel_for6kernelILj256ENS1_20__uninitialized_copy7functorINS0_6detail15normal_iteratorINS0_10device_ptrI10large_dataEEEENS0_7pointerIS9_NS1_3tagENS0_11use_defaultESE_EEEEmLj1EEEvT0_T1_SI_: ; @_ZN6thrust23THRUST_200600_302600_NS11hip_rocprim14__parallel_for6kernelILj256ENS1_20__uninitialized_copy7functorINS0_6detail15normal_iteratorINS0_10device_ptrI10large_dataEEEENS0_7pointerIS9_NS1_3tagENS0_11use_defaultESE_EEEEmLj1EEEvT0_T1_SI_
; %bb.0:
	s_load_b256 s[0:7], s[0:1], 0x0
	s_lshl_b32 s8, s15, 8
	s_waitcnt lgkmcnt(0)
	s_add_u32 s6, s8, s6
	s_addc_u32 s7, 0, s7
	s_sub_u32 s4, s4, s6
	s_subb_u32 s5, s5, s7
	s_delay_alu instid0(SALU_CYCLE_1) | instskip(NEXT) | instid1(VALU_DEP_1)
	v_cmp_gt_u64_e64 s5, 0x100, s[4:5]
	s_and_b32 vcc_lo, exec_lo, s5
	s_mov_b32 s5, 0
	s_cbranch_vccz .LBB48_4
; %bb.1:
	v_cmp_gt_u32_e32 vcc_lo, s4, v0
	s_mov_b32 s4, 0
                                        ; implicit-def: $vgpr1_vgpr2
                                        ; implicit-def: $vgpr3_vgpr4
	s_and_saveexec_b32 s8, vcc_lo
	s_delay_alu instid0(SALU_CYCLE_1)
	s_xor_b32 s8, exec_lo, s8
; %bb.2:
	v_add_co_u32 v1, s9, s6, v0
	s_delay_alu instid0(VALU_DEP_1) | instskip(SKIP_1) | instid1(VALU_DEP_1)
	v_add_co_ci_u32_e64 v2, null, s7, 0, s9
	s_mov_b32 s5, exec_lo
	v_lshlrev_b64 v[3:4], 9, v[1:2]
	s_delay_alu instid0(VALU_DEP_1) | instskip(NEXT) | instid1(VALU_DEP_2)
	v_add_co_u32 v1, vcc_lo, s2, v3
	v_add_co_ci_u32_e32 v2, vcc_lo, s3, v4, vcc_lo
	v_add_co_u32 v3, vcc_lo, s0, v3
	v_add_co_ci_u32_e32 v4, vcc_lo, s1, v4, vcc_lo
; %bb.3:
	s_or_b32 exec_lo, exec_lo, s8
	s_delay_alu instid0(SALU_CYCLE_1)
	s_and_b32 vcc_lo, exec_lo, s4
	s_cbranch_vccnz .LBB48_5
	s_branch .LBB48_6
.LBB48_4:
                                        ; implicit-def: $vgpr1_vgpr2
                                        ; implicit-def: $vgpr3_vgpr4
	s_cbranch_execz .LBB48_6
.LBB48_5:
	v_add_co_u32 v0, s4, s6, v0
	s_delay_alu instid0(VALU_DEP_1) | instskip(SKIP_1) | instid1(VALU_DEP_1)
	v_add_co_ci_u32_e64 v1, null, s7, 0, s4
	s_or_b32 s5, s5, exec_lo
	v_lshlrev_b64 v[1:2], 9, v[0:1]
	s_delay_alu instid0(VALU_DEP_1) | instskip(NEXT) | instid1(VALU_DEP_2)
	v_add_co_u32 v3, vcc_lo, s0, v1
	v_add_co_ci_u32_e32 v4, vcc_lo, s1, v2, vcc_lo
	v_add_co_u32 v1, vcc_lo, s2, v1
	v_add_co_ci_u32_e32 v2, vcc_lo, s3, v2, vcc_lo
.LBB48_6:
	s_and_saveexec_b32 s0, s5
	s_cbranch_execnz .LBB48_8
; %bb.7:
	s_endpgm
.LBB48_8:
	flat_load_u8 v0, v[3:4]
	s_waitcnt vmcnt(0) lgkmcnt(0)
	flat_store_b8 v[1:2], v0
	s_endpgm
	.section	.rodata,"a",@progbits
	.p2align	6, 0x0
	.amdhsa_kernel _ZN6thrust23THRUST_200600_302600_NS11hip_rocprim14__parallel_for6kernelILj256ENS1_20__uninitialized_copy7functorINS0_6detail15normal_iteratorINS0_10device_ptrI10large_dataEEEENS0_7pointerIS9_NS1_3tagENS0_11use_defaultESE_EEEEmLj1EEEvT0_T1_SI_
		.amdhsa_group_segment_fixed_size 0
		.amdhsa_private_segment_fixed_size 0
		.amdhsa_kernarg_size 32
		.amdhsa_user_sgpr_count 15
		.amdhsa_user_sgpr_dispatch_ptr 0
		.amdhsa_user_sgpr_queue_ptr 0
		.amdhsa_user_sgpr_kernarg_segment_ptr 1
		.amdhsa_user_sgpr_dispatch_id 0
		.amdhsa_user_sgpr_private_segment_size 0
		.amdhsa_wavefront_size32 1
		.amdhsa_uses_dynamic_stack 0
		.amdhsa_enable_private_segment 0
		.amdhsa_system_sgpr_workgroup_id_x 1
		.amdhsa_system_sgpr_workgroup_id_y 0
		.amdhsa_system_sgpr_workgroup_id_z 0
		.amdhsa_system_sgpr_workgroup_info 0
		.amdhsa_system_vgpr_workitem_id 0
		.amdhsa_next_free_vgpr 5
		.amdhsa_next_free_sgpr 16
		.amdhsa_reserve_vcc 1
		.amdhsa_float_round_mode_32 0
		.amdhsa_float_round_mode_16_64 0
		.amdhsa_float_denorm_mode_32 3
		.amdhsa_float_denorm_mode_16_64 3
		.amdhsa_dx10_clamp 1
		.amdhsa_ieee_mode 1
		.amdhsa_fp16_overflow 0
		.amdhsa_workgroup_processor_mode 1
		.amdhsa_memory_ordered 1
		.amdhsa_forward_progress 0
		.amdhsa_shared_vgpr_count 0
		.amdhsa_exception_fp_ieee_invalid_op 0
		.amdhsa_exception_fp_denorm_src 0
		.amdhsa_exception_fp_ieee_div_zero 0
		.amdhsa_exception_fp_ieee_overflow 0
		.amdhsa_exception_fp_ieee_underflow 0
		.amdhsa_exception_fp_ieee_inexact 0
		.amdhsa_exception_int_div_zero 0
	.end_amdhsa_kernel
	.section	.text._ZN6thrust23THRUST_200600_302600_NS11hip_rocprim14__parallel_for6kernelILj256ENS1_20__uninitialized_copy7functorINS0_6detail15normal_iteratorINS0_10device_ptrI10large_dataEEEENS0_7pointerIS9_NS1_3tagENS0_11use_defaultESE_EEEEmLj1EEEvT0_T1_SI_,"axG",@progbits,_ZN6thrust23THRUST_200600_302600_NS11hip_rocprim14__parallel_for6kernelILj256ENS1_20__uninitialized_copy7functorINS0_6detail15normal_iteratorINS0_10device_ptrI10large_dataEEEENS0_7pointerIS9_NS1_3tagENS0_11use_defaultESE_EEEEmLj1EEEvT0_T1_SI_,comdat
.Lfunc_end48:
	.size	_ZN6thrust23THRUST_200600_302600_NS11hip_rocprim14__parallel_for6kernelILj256ENS1_20__uninitialized_copy7functorINS0_6detail15normal_iteratorINS0_10device_ptrI10large_dataEEEENS0_7pointerIS9_NS1_3tagENS0_11use_defaultESE_EEEEmLj1EEEvT0_T1_SI_, .Lfunc_end48-_ZN6thrust23THRUST_200600_302600_NS11hip_rocprim14__parallel_for6kernelILj256ENS1_20__uninitialized_copy7functorINS0_6detail15normal_iteratorINS0_10device_ptrI10large_dataEEEENS0_7pointerIS9_NS1_3tagENS0_11use_defaultESE_EEEEmLj1EEEvT0_T1_SI_
                                        ; -- End function
	.section	.AMDGPU.csdata,"",@progbits
; Kernel info:
; codeLenInByte = 260
; NumSgprs: 18
; NumVgprs: 5
; ScratchSize: 0
; MemoryBound: 0
; FloatMode: 240
; IeeeMode: 1
; LDSByteSize: 0 bytes/workgroup (compile time only)
; SGPRBlocks: 2
; VGPRBlocks: 0
; NumSGPRsForWavesPerEU: 18
; NumVGPRsForWavesPerEU: 5
; Occupancy: 16
; WaveLimiterHint : 0
; COMPUTE_PGM_RSRC2:SCRATCH_EN: 0
; COMPUTE_PGM_RSRC2:USER_SGPR: 15
; COMPUTE_PGM_RSRC2:TRAP_HANDLER: 0
; COMPUTE_PGM_RSRC2:TGID_X_EN: 1
; COMPUTE_PGM_RSRC2:TGID_Y_EN: 0
; COMPUTE_PGM_RSRC2:TGID_Z_EN: 0
; COMPUTE_PGM_RSRC2:TIDIG_COMP_CNT: 0
	.section	.text._ZN6thrust23THRUST_200600_302600_NS11hip_rocprim14__parallel_for6kernelILj256ENS1_20__uninitialized_fill7functorINS0_10device_ptrI10large_dataEES7_EEmLj1EEEvT0_T1_SB_,"axG",@progbits,_ZN6thrust23THRUST_200600_302600_NS11hip_rocprim14__parallel_for6kernelILj256ENS1_20__uninitialized_fill7functorINS0_10device_ptrI10large_dataEES7_EEmLj1EEEvT0_T1_SB_,comdat
	.protected	_ZN6thrust23THRUST_200600_302600_NS11hip_rocprim14__parallel_for6kernelILj256ENS1_20__uninitialized_fill7functorINS0_10device_ptrI10large_dataEES7_EEmLj1EEEvT0_T1_SB_ ; -- Begin function _ZN6thrust23THRUST_200600_302600_NS11hip_rocprim14__parallel_for6kernelILj256ENS1_20__uninitialized_fill7functorINS0_10device_ptrI10large_dataEES7_EEmLj1EEEvT0_T1_SB_
	.globl	_ZN6thrust23THRUST_200600_302600_NS11hip_rocprim14__parallel_for6kernelILj256ENS1_20__uninitialized_fill7functorINS0_10device_ptrI10large_dataEES7_EEmLj1EEEvT0_T1_SB_
	.p2align	8
	.type	_ZN6thrust23THRUST_200600_302600_NS11hip_rocprim14__parallel_for6kernelILj256ENS1_20__uninitialized_fill7functorINS0_10device_ptrI10large_dataEES7_EEmLj1EEEvT0_T1_SB_,@function
_ZN6thrust23THRUST_200600_302600_NS11hip_rocprim14__parallel_for6kernelILj256ENS1_20__uninitialized_fill7functorINS0_10device_ptrI10large_dataEES7_EEmLj1EEEvT0_T1_SB_: ; @_ZN6thrust23THRUST_200600_302600_NS11hip_rocprim14__parallel_for6kernelILj256ENS1_20__uninitialized_fill7functorINS0_10device_ptrI10large_dataEES7_EEmLj1EEEvT0_T1_SB_
; %bb.0:
	s_load_b128 s[4:7], s[0:1], 0x208
	s_lshl_b32 s2, s15, 8
	s_waitcnt lgkmcnt(0)
	s_add_u32 s2, s2, s6
	s_addc_u32 s3, 0, s7
	s_sub_u32 s4, s4, s2
	s_subb_u32 s5, s5, s3
	s_delay_alu instid0(SALU_CYCLE_1) | instskip(NEXT) | instid1(VALU_DEP_1)
	v_cmp_gt_u64_e64 s5, 0x100, s[4:5]
	s_and_b32 vcc_lo, exec_lo, s5
	s_mov_b32 s5, 0
	s_cbranch_vccz .LBB49_2
; %bb.1:
	v_cmp_gt_u32_e32 vcc_lo, s4, v0
	s_and_b32 s5, vcc_lo, exec_lo
	s_cbranch_execz .LBB49_3
	s_branch .LBB49_4
.LBB49_2:
.LBB49_3:
	s_or_b32 s5, s5, exec_lo
.LBB49_4:
	s_delay_alu instid0(SALU_CYCLE_1)
	s_and_saveexec_b32 s4, s5
	s_cbranch_execnz .LBB49_6
; %bb.5:
	s_endpgm
.LBB49_6:
	s_clause 0x1
	s_load_b64 s[4:5], s[0:1], 0x0
	s_load_b32 s6, s[0:1], 0x8
	v_mov_b32_e32 v1, 0
	s_lshl_b64 s[0:1], s[2:3], 9
	s_waitcnt lgkmcnt(0)
	s_add_u32 s0, s4, s0
	v_mov_b32_e32 v2, s6
	v_lshlrev_b64 v[0:1], 9, v[0:1]
	s_addc_u32 s1, s5, s1
	s_delay_alu instid0(VALU_DEP_1) | instskip(NEXT) | instid1(VALU_DEP_2)
	v_add_co_u32 v0, vcc_lo, s0, v0
	v_add_co_ci_u32_e32 v1, vcc_lo, s1, v1, vcc_lo
	flat_store_b8 v[0:1], v2
	s_endpgm
	.section	.rodata,"a",@progbits
	.p2align	6, 0x0
	.amdhsa_kernel _ZN6thrust23THRUST_200600_302600_NS11hip_rocprim14__parallel_for6kernelILj256ENS1_20__uninitialized_fill7functorINS0_10device_ptrI10large_dataEES7_EEmLj1EEEvT0_T1_SB_
		.amdhsa_group_segment_fixed_size 0
		.amdhsa_private_segment_fixed_size 0
		.amdhsa_kernarg_size 536
		.amdhsa_user_sgpr_count 15
		.amdhsa_user_sgpr_dispatch_ptr 0
		.amdhsa_user_sgpr_queue_ptr 0
		.amdhsa_user_sgpr_kernarg_segment_ptr 1
		.amdhsa_user_sgpr_dispatch_id 0
		.amdhsa_user_sgpr_private_segment_size 0
		.amdhsa_wavefront_size32 1
		.amdhsa_uses_dynamic_stack 0
		.amdhsa_enable_private_segment 0
		.amdhsa_system_sgpr_workgroup_id_x 1
		.amdhsa_system_sgpr_workgroup_id_y 0
		.amdhsa_system_sgpr_workgroup_id_z 0
		.amdhsa_system_sgpr_workgroup_info 0
		.amdhsa_system_vgpr_workitem_id 0
		.amdhsa_next_free_vgpr 3
		.amdhsa_next_free_sgpr 16
		.amdhsa_reserve_vcc 1
		.amdhsa_float_round_mode_32 0
		.amdhsa_float_round_mode_16_64 0
		.amdhsa_float_denorm_mode_32 3
		.amdhsa_float_denorm_mode_16_64 3
		.amdhsa_dx10_clamp 1
		.amdhsa_ieee_mode 1
		.amdhsa_fp16_overflow 0
		.amdhsa_workgroup_processor_mode 1
		.amdhsa_memory_ordered 1
		.amdhsa_forward_progress 0
		.amdhsa_shared_vgpr_count 0
		.amdhsa_exception_fp_ieee_invalid_op 0
		.amdhsa_exception_fp_denorm_src 0
		.amdhsa_exception_fp_ieee_div_zero 0
		.amdhsa_exception_fp_ieee_overflow 0
		.amdhsa_exception_fp_ieee_underflow 0
		.amdhsa_exception_fp_ieee_inexact 0
		.amdhsa_exception_int_div_zero 0
	.end_amdhsa_kernel
	.section	.text._ZN6thrust23THRUST_200600_302600_NS11hip_rocprim14__parallel_for6kernelILj256ENS1_20__uninitialized_fill7functorINS0_10device_ptrI10large_dataEES7_EEmLj1EEEvT0_T1_SB_,"axG",@progbits,_ZN6thrust23THRUST_200600_302600_NS11hip_rocprim14__parallel_for6kernelILj256ENS1_20__uninitialized_fill7functorINS0_10device_ptrI10large_dataEES7_EEmLj1EEEvT0_T1_SB_,comdat
.Lfunc_end49:
	.size	_ZN6thrust23THRUST_200600_302600_NS11hip_rocprim14__parallel_for6kernelILj256ENS1_20__uninitialized_fill7functorINS0_10device_ptrI10large_dataEES7_EEmLj1EEEvT0_T1_SB_, .Lfunc_end49-_ZN6thrust23THRUST_200600_302600_NS11hip_rocprim14__parallel_for6kernelILj256ENS1_20__uninitialized_fill7functorINS0_10device_ptrI10large_dataEES7_EEmLj1EEEvT0_T1_SB_
                                        ; -- End function
	.section	.AMDGPU.csdata,"",@progbits
; Kernel info:
; codeLenInByte = 176
; NumSgprs: 18
; NumVgprs: 3
; ScratchSize: 0
; MemoryBound: 0
; FloatMode: 240
; IeeeMode: 1
; LDSByteSize: 0 bytes/workgroup (compile time only)
; SGPRBlocks: 2
; VGPRBlocks: 0
; NumSGPRsForWavesPerEU: 18
; NumVGPRsForWavesPerEU: 3
; Occupancy: 16
; WaveLimiterHint : 1
; COMPUTE_PGM_RSRC2:SCRATCH_EN: 0
; COMPUTE_PGM_RSRC2:USER_SGPR: 15
; COMPUTE_PGM_RSRC2:TRAP_HANDLER: 0
; COMPUTE_PGM_RSRC2:TGID_X_EN: 1
; COMPUTE_PGM_RSRC2:TGID_Y_EN: 0
; COMPUTE_PGM_RSRC2:TGID_Z_EN: 0
; COMPUTE_PGM_RSRC2:TIDIG_COMP_CNT: 0
	.section	.text._ZN6thrust23THRUST_200600_302600_NS11hip_rocprim14__parallel_for6kernelILj256ENS1_10for_each_fINS0_10device_ptrI10large_dataEENS0_6detail16wrapped_functionINS8_23allocator_traits_detail5gozerEvEEEElLj1EEEvT0_T1_SF_,"axG",@progbits,_ZN6thrust23THRUST_200600_302600_NS11hip_rocprim14__parallel_for6kernelILj256ENS1_10for_each_fINS0_10device_ptrI10large_dataEENS0_6detail16wrapped_functionINS8_23allocator_traits_detail5gozerEvEEEElLj1EEEvT0_T1_SF_,comdat
	.protected	_ZN6thrust23THRUST_200600_302600_NS11hip_rocprim14__parallel_for6kernelILj256ENS1_10for_each_fINS0_10device_ptrI10large_dataEENS0_6detail16wrapped_functionINS8_23allocator_traits_detail5gozerEvEEEElLj1EEEvT0_T1_SF_ ; -- Begin function _ZN6thrust23THRUST_200600_302600_NS11hip_rocprim14__parallel_for6kernelILj256ENS1_10for_each_fINS0_10device_ptrI10large_dataEENS0_6detail16wrapped_functionINS8_23allocator_traits_detail5gozerEvEEEElLj1EEEvT0_T1_SF_
	.globl	_ZN6thrust23THRUST_200600_302600_NS11hip_rocprim14__parallel_for6kernelILj256ENS1_10for_each_fINS0_10device_ptrI10large_dataEENS0_6detail16wrapped_functionINS8_23allocator_traits_detail5gozerEvEEEElLj1EEEvT0_T1_SF_
	.p2align	8
	.type	_ZN6thrust23THRUST_200600_302600_NS11hip_rocprim14__parallel_for6kernelILj256ENS1_10for_each_fINS0_10device_ptrI10large_dataEENS0_6detail16wrapped_functionINS8_23allocator_traits_detail5gozerEvEEEElLj1EEEvT0_T1_SF_,@function
_ZN6thrust23THRUST_200600_302600_NS11hip_rocprim14__parallel_for6kernelILj256ENS1_10for_each_fINS0_10device_ptrI10large_dataEENS0_6detail16wrapped_functionINS8_23allocator_traits_detail5gozerEvEEEElLj1EEEvT0_T1_SF_: ; @_ZN6thrust23THRUST_200600_302600_NS11hip_rocprim14__parallel_for6kernelILj256ENS1_10for_each_fINS0_10device_ptrI10large_dataEENS0_6detail16wrapped_functionINS8_23allocator_traits_detail5gozerEvEEEElLj1EEEvT0_T1_SF_
; %bb.0:
	s_endpgm
	.section	.rodata,"a",@progbits
	.p2align	6, 0x0
	.amdhsa_kernel _ZN6thrust23THRUST_200600_302600_NS11hip_rocprim14__parallel_for6kernelILj256ENS1_10for_each_fINS0_10device_ptrI10large_dataEENS0_6detail16wrapped_functionINS8_23allocator_traits_detail5gozerEvEEEElLj1EEEvT0_T1_SF_
		.amdhsa_group_segment_fixed_size 0
		.amdhsa_private_segment_fixed_size 0
		.amdhsa_kernarg_size 32
		.amdhsa_user_sgpr_count 15
		.amdhsa_user_sgpr_dispatch_ptr 0
		.amdhsa_user_sgpr_queue_ptr 0
		.amdhsa_user_sgpr_kernarg_segment_ptr 1
		.amdhsa_user_sgpr_dispatch_id 0
		.amdhsa_user_sgpr_private_segment_size 0
		.amdhsa_wavefront_size32 1
		.amdhsa_uses_dynamic_stack 0
		.amdhsa_enable_private_segment 0
		.amdhsa_system_sgpr_workgroup_id_x 1
		.amdhsa_system_sgpr_workgroup_id_y 0
		.amdhsa_system_sgpr_workgroup_id_z 0
		.amdhsa_system_sgpr_workgroup_info 0
		.amdhsa_system_vgpr_workitem_id 0
		.amdhsa_next_free_vgpr 1
		.amdhsa_next_free_sgpr 1
		.amdhsa_reserve_vcc 0
		.amdhsa_float_round_mode_32 0
		.amdhsa_float_round_mode_16_64 0
		.amdhsa_float_denorm_mode_32 3
		.amdhsa_float_denorm_mode_16_64 3
		.amdhsa_dx10_clamp 1
		.amdhsa_ieee_mode 1
		.amdhsa_fp16_overflow 0
		.amdhsa_workgroup_processor_mode 1
		.amdhsa_memory_ordered 1
		.amdhsa_forward_progress 0
		.amdhsa_shared_vgpr_count 0
		.amdhsa_exception_fp_ieee_invalid_op 0
		.amdhsa_exception_fp_denorm_src 0
		.amdhsa_exception_fp_ieee_div_zero 0
		.amdhsa_exception_fp_ieee_overflow 0
		.amdhsa_exception_fp_ieee_underflow 0
		.amdhsa_exception_fp_ieee_inexact 0
		.amdhsa_exception_int_div_zero 0
	.end_amdhsa_kernel
	.section	.text._ZN6thrust23THRUST_200600_302600_NS11hip_rocprim14__parallel_for6kernelILj256ENS1_10for_each_fINS0_10device_ptrI10large_dataEENS0_6detail16wrapped_functionINS8_23allocator_traits_detail5gozerEvEEEElLj1EEEvT0_T1_SF_,"axG",@progbits,_ZN6thrust23THRUST_200600_302600_NS11hip_rocprim14__parallel_for6kernelILj256ENS1_10for_each_fINS0_10device_ptrI10large_dataEENS0_6detail16wrapped_functionINS8_23allocator_traits_detail5gozerEvEEEElLj1EEEvT0_T1_SF_,comdat
.Lfunc_end50:
	.size	_ZN6thrust23THRUST_200600_302600_NS11hip_rocprim14__parallel_for6kernelILj256ENS1_10for_each_fINS0_10device_ptrI10large_dataEENS0_6detail16wrapped_functionINS8_23allocator_traits_detail5gozerEvEEEElLj1EEEvT0_T1_SF_, .Lfunc_end50-_ZN6thrust23THRUST_200600_302600_NS11hip_rocprim14__parallel_for6kernelILj256ENS1_10for_each_fINS0_10device_ptrI10large_dataEENS0_6detail16wrapped_functionINS8_23allocator_traits_detail5gozerEvEEEElLj1EEEvT0_T1_SF_
                                        ; -- End function
	.section	.AMDGPU.csdata,"",@progbits
; Kernel info:
; codeLenInByte = 4
; NumSgprs: 0
; NumVgprs: 0
; ScratchSize: 0
; MemoryBound: 0
; FloatMode: 240
; IeeeMode: 1
; LDSByteSize: 0 bytes/workgroup (compile time only)
; SGPRBlocks: 0
; VGPRBlocks: 0
; NumSGPRsForWavesPerEU: 1
; NumVGPRsForWavesPerEU: 1
; Occupancy: 16
; WaveLimiterHint : 0
; COMPUTE_PGM_RSRC2:SCRATCH_EN: 0
; COMPUTE_PGM_RSRC2:USER_SGPR: 15
; COMPUTE_PGM_RSRC2:TRAP_HANDLER: 0
; COMPUTE_PGM_RSRC2:TGID_X_EN: 1
; COMPUTE_PGM_RSRC2:TGID_Y_EN: 0
; COMPUTE_PGM_RSRC2:TGID_Z_EN: 0
; COMPUTE_PGM_RSRC2:TIDIG_COMP_CNT: 0
	.section	.text._ZN6thrust23THRUST_200600_302600_NS11hip_rocprim14__parallel_for6kernelILj256ENS1_11__transform17unary_transform_fINS0_6detail15normal_iteratorINS0_10device_ptrI10large_dataEEEESB_NS4_14no_stencil_tagENS0_8identityIS9_EENS4_21always_true_predicateEEElLj1EEEvT0_T1_SI_,"axG",@progbits,_ZN6thrust23THRUST_200600_302600_NS11hip_rocprim14__parallel_for6kernelILj256ENS1_11__transform17unary_transform_fINS0_6detail15normal_iteratorINS0_10device_ptrI10large_dataEEEESB_NS4_14no_stencil_tagENS0_8identityIS9_EENS4_21always_true_predicateEEElLj1EEEvT0_T1_SI_,comdat
	.protected	_ZN6thrust23THRUST_200600_302600_NS11hip_rocprim14__parallel_for6kernelILj256ENS1_11__transform17unary_transform_fINS0_6detail15normal_iteratorINS0_10device_ptrI10large_dataEEEESB_NS4_14no_stencil_tagENS0_8identityIS9_EENS4_21always_true_predicateEEElLj1EEEvT0_T1_SI_ ; -- Begin function _ZN6thrust23THRUST_200600_302600_NS11hip_rocprim14__parallel_for6kernelILj256ENS1_11__transform17unary_transform_fINS0_6detail15normal_iteratorINS0_10device_ptrI10large_dataEEEESB_NS4_14no_stencil_tagENS0_8identityIS9_EENS4_21always_true_predicateEEElLj1EEEvT0_T1_SI_
	.globl	_ZN6thrust23THRUST_200600_302600_NS11hip_rocprim14__parallel_for6kernelILj256ENS1_11__transform17unary_transform_fINS0_6detail15normal_iteratorINS0_10device_ptrI10large_dataEEEESB_NS4_14no_stencil_tagENS0_8identityIS9_EENS4_21always_true_predicateEEElLj1EEEvT0_T1_SI_
	.p2align	8
	.type	_ZN6thrust23THRUST_200600_302600_NS11hip_rocprim14__parallel_for6kernelILj256ENS1_11__transform17unary_transform_fINS0_6detail15normal_iteratorINS0_10device_ptrI10large_dataEEEESB_NS4_14no_stencil_tagENS0_8identityIS9_EENS4_21always_true_predicateEEElLj1EEEvT0_T1_SI_,@function
_ZN6thrust23THRUST_200600_302600_NS11hip_rocprim14__parallel_for6kernelILj256ENS1_11__transform17unary_transform_fINS0_6detail15normal_iteratorINS0_10device_ptrI10large_dataEEEESB_NS4_14no_stencil_tagENS0_8identityIS9_EENS4_21always_true_predicateEEElLj1EEEvT0_T1_SI_: ; @_ZN6thrust23THRUST_200600_302600_NS11hip_rocprim14__parallel_for6kernelILj256ENS1_11__transform17unary_transform_fINS0_6detail15normal_iteratorINS0_10device_ptrI10large_dataEEEESB_NS4_14no_stencil_tagENS0_8identityIS9_EENS4_21always_true_predicateEEElLj1EEEvT0_T1_SI_
; %bb.0:
	s_clause 0x1
	s_load_b128 s[8:11], s[0:1], 0x18
	s_load_b128 s[0:3], s[0:1], 0x0
	s_lshl_b32 s4, s15, 8
	s_waitcnt lgkmcnt(0)
	s_add_u32 s5, s4, s10
	s_addc_u32 s6, 0, s11
	s_sub_u32 s8, s8, s5
	s_subb_u32 s9, s9, s6
	s_delay_alu instid0(SALU_CYCLE_1) | instskip(NEXT) | instid1(VALU_DEP_1)
	v_cmp_gt_i64_e64 s4, 0x100, s[8:9]
	s_and_b32 s4, s4, exec_lo
	s_cselect_b32 s7, s8, 0x100
	s_mov_b32 s4, 0
	s_cmpk_lg_i32 s7, 0x100
	s_cbranch_scc0 .LBB51_4
; %bb.1:
	v_cmp_gt_u32_e32 vcc_lo, s7, v0
	s_mov_b32 s7, 0
                                        ; implicit-def: $vgpr1_vgpr2
                                        ; implicit-def: $vgpr3_vgpr4
	s_and_saveexec_b32 s8, vcc_lo
	s_delay_alu instid0(SALU_CYCLE_1)
	s_xor_b32 s8, exec_lo, s8
; %bb.2:
	v_add_co_u32 v1, s9, s5, v0
	s_delay_alu instid0(VALU_DEP_1) | instskip(SKIP_1) | instid1(VALU_DEP_1)
	v_add_co_ci_u32_e64 v2, null, s6, 0, s9
	s_mov_b32 s4, exec_lo
	v_lshlrev_b64 v[3:4], 9, v[1:2]
	s_delay_alu instid0(VALU_DEP_1) | instskip(NEXT) | instid1(VALU_DEP_2)
	v_add_co_u32 v1, vcc_lo, s2, v3
	v_add_co_ci_u32_e32 v2, vcc_lo, s3, v4, vcc_lo
	v_add_co_u32 v3, vcc_lo, s0, v3
	v_add_co_ci_u32_e32 v4, vcc_lo, s1, v4, vcc_lo
; %bb.3:
	s_or_b32 exec_lo, exec_lo, s8
	s_delay_alu instid0(SALU_CYCLE_1)
	s_and_b32 vcc_lo, exec_lo, s7
	s_cbranch_vccnz .LBB51_5
	s_branch .LBB51_6
.LBB51_4:
                                        ; implicit-def: $vgpr1_vgpr2
                                        ; implicit-def: $vgpr3_vgpr4
	s_cbranch_execz .LBB51_6
.LBB51_5:
	v_add_co_u32 v0, s5, s5, v0
	s_delay_alu instid0(VALU_DEP_1) | instskip(SKIP_1) | instid1(VALU_DEP_1)
	v_add_co_ci_u32_e64 v1, null, s6, 0, s5
	s_or_b32 s4, s4, exec_lo
	v_lshlrev_b64 v[1:2], 9, v[0:1]
	s_delay_alu instid0(VALU_DEP_1) | instskip(NEXT) | instid1(VALU_DEP_2)
	v_add_co_u32 v3, vcc_lo, s0, v1
	v_add_co_ci_u32_e32 v4, vcc_lo, s1, v2, vcc_lo
	v_add_co_u32 v1, vcc_lo, s2, v1
	v_add_co_ci_u32_e32 v2, vcc_lo, s3, v2, vcc_lo
.LBB51_6:
	s_and_saveexec_b32 s0, s4
	s_cbranch_execnz .LBB51_8
; %bb.7:
	s_endpgm
.LBB51_8:
	flat_load_u8 v0, v[3:4]
	s_waitcnt vmcnt(0) lgkmcnt(0)
	flat_store_b8 v[1:2], v0
	s_endpgm
	.section	.rodata,"a",@progbits
	.p2align	6, 0x0
	.amdhsa_kernel _ZN6thrust23THRUST_200600_302600_NS11hip_rocprim14__parallel_for6kernelILj256ENS1_11__transform17unary_transform_fINS0_6detail15normal_iteratorINS0_10device_ptrI10large_dataEEEESB_NS4_14no_stencil_tagENS0_8identityIS9_EENS4_21always_true_predicateEEElLj1EEEvT0_T1_SI_
		.amdhsa_group_segment_fixed_size 0
		.amdhsa_private_segment_fixed_size 0
		.amdhsa_kernarg_size 40
		.amdhsa_user_sgpr_count 15
		.amdhsa_user_sgpr_dispatch_ptr 0
		.amdhsa_user_sgpr_queue_ptr 0
		.amdhsa_user_sgpr_kernarg_segment_ptr 1
		.amdhsa_user_sgpr_dispatch_id 0
		.amdhsa_user_sgpr_private_segment_size 0
		.amdhsa_wavefront_size32 1
		.amdhsa_uses_dynamic_stack 0
		.amdhsa_enable_private_segment 0
		.amdhsa_system_sgpr_workgroup_id_x 1
		.amdhsa_system_sgpr_workgroup_id_y 0
		.amdhsa_system_sgpr_workgroup_id_z 0
		.amdhsa_system_sgpr_workgroup_info 0
		.amdhsa_system_vgpr_workitem_id 0
		.amdhsa_next_free_vgpr 5
		.amdhsa_next_free_sgpr 16
		.amdhsa_reserve_vcc 1
		.amdhsa_float_round_mode_32 0
		.amdhsa_float_round_mode_16_64 0
		.amdhsa_float_denorm_mode_32 3
		.amdhsa_float_denorm_mode_16_64 3
		.amdhsa_dx10_clamp 1
		.amdhsa_ieee_mode 1
		.amdhsa_fp16_overflow 0
		.amdhsa_workgroup_processor_mode 1
		.amdhsa_memory_ordered 1
		.amdhsa_forward_progress 0
		.amdhsa_shared_vgpr_count 0
		.amdhsa_exception_fp_ieee_invalid_op 0
		.amdhsa_exception_fp_denorm_src 0
		.amdhsa_exception_fp_ieee_div_zero 0
		.amdhsa_exception_fp_ieee_overflow 0
		.amdhsa_exception_fp_ieee_underflow 0
		.amdhsa_exception_fp_ieee_inexact 0
		.amdhsa_exception_int_div_zero 0
	.end_amdhsa_kernel
	.section	.text._ZN6thrust23THRUST_200600_302600_NS11hip_rocprim14__parallel_for6kernelILj256ENS1_11__transform17unary_transform_fINS0_6detail15normal_iteratorINS0_10device_ptrI10large_dataEEEESB_NS4_14no_stencil_tagENS0_8identityIS9_EENS4_21always_true_predicateEEElLj1EEEvT0_T1_SI_,"axG",@progbits,_ZN6thrust23THRUST_200600_302600_NS11hip_rocprim14__parallel_for6kernelILj256ENS1_11__transform17unary_transform_fINS0_6detail15normal_iteratorINS0_10device_ptrI10large_dataEEEESB_NS4_14no_stencil_tagENS0_8identityIS9_EENS4_21always_true_predicateEEElLj1EEEvT0_T1_SI_,comdat
.Lfunc_end51:
	.size	_ZN6thrust23THRUST_200600_302600_NS11hip_rocprim14__parallel_for6kernelILj256ENS1_11__transform17unary_transform_fINS0_6detail15normal_iteratorINS0_10device_ptrI10large_dataEEEESB_NS4_14no_stencil_tagENS0_8identityIS9_EENS4_21always_true_predicateEEElLj1EEEvT0_T1_SI_, .Lfunc_end51-_ZN6thrust23THRUST_200600_302600_NS11hip_rocprim14__parallel_for6kernelILj256ENS1_11__transform17unary_transform_fINS0_6detail15normal_iteratorINS0_10device_ptrI10large_dataEEEESB_NS4_14no_stencil_tagENS0_8identityIS9_EENS4_21always_true_predicateEEElLj1EEEvT0_T1_SI_
                                        ; -- End function
	.section	.AMDGPU.csdata,"",@progbits
; Kernel info:
; codeLenInByte = 284
; NumSgprs: 18
; NumVgprs: 5
; ScratchSize: 0
; MemoryBound: 0
; FloatMode: 240
; IeeeMode: 1
; LDSByteSize: 0 bytes/workgroup (compile time only)
; SGPRBlocks: 2
; VGPRBlocks: 0
; NumSGPRsForWavesPerEU: 18
; NumVGPRsForWavesPerEU: 5
; Occupancy: 16
; WaveLimiterHint : 0
; COMPUTE_PGM_RSRC2:SCRATCH_EN: 0
; COMPUTE_PGM_RSRC2:USER_SGPR: 15
; COMPUTE_PGM_RSRC2:TRAP_HANDLER: 0
; COMPUTE_PGM_RSRC2:TGID_X_EN: 1
; COMPUTE_PGM_RSRC2:TGID_Y_EN: 0
; COMPUTE_PGM_RSRC2:TGID_Z_EN: 0
; COMPUTE_PGM_RSRC2:TIDIG_COMP_CNT: 0
	.section	.text._ZN6thrust23THRUST_200600_302600_NS11hip_rocprim14__parallel_for6kernelILj256ENS1_11__transform17unary_transform_fINS0_10device_ptrI10large_dataEES8_NS4_14no_stencil_tagENS0_8identityIS7_EENS4_21always_true_predicateEEElLj1EEEvT0_T1_SF_,"axG",@progbits,_ZN6thrust23THRUST_200600_302600_NS11hip_rocprim14__parallel_for6kernelILj256ENS1_11__transform17unary_transform_fINS0_10device_ptrI10large_dataEES8_NS4_14no_stencil_tagENS0_8identityIS7_EENS4_21always_true_predicateEEElLj1EEEvT0_T1_SF_,comdat
	.protected	_ZN6thrust23THRUST_200600_302600_NS11hip_rocprim14__parallel_for6kernelILj256ENS1_11__transform17unary_transform_fINS0_10device_ptrI10large_dataEES8_NS4_14no_stencil_tagENS0_8identityIS7_EENS4_21always_true_predicateEEElLj1EEEvT0_T1_SF_ ; -- Begin function _ZN6thrust23THRUST_200600_302600_NS11hip_rocprim14__parallel_for6kernelILj256ENS1_11__transform17unary_transform_fINS0_10device_ptrI10large_dataEES8_NS4_14no_stencil_tagENS0_8identityIS7_EENS4_21always_true_predicateEEElLj1EEEvT0_T1_SF_
	.globl	_ZN6thrust23THRUST_200600_302600_NS11hip_rocprim14__parallel_for6kernelILj256ENS1_11__transform17unary_transform_fINS0_10device_ptrI10large_dataEES8_NS4_14no_stencil_tagENS0_8identityIS7_EENS4_21always_true_predicateEEElLj1EEEvT0_T1_SF_
	.p2align	8
	.type	_ZN6thrust23THRUST_200600_302600_NS11hip_rocprim14__parallel_for6kernelILj256ENS1_11__transform17unary_transform_fINS0_10device_ptrI10large_dataEES8_NS4_14no_stencil_tagENS0_8identityIS7_EENS4_21always_true_predicateEEElLj1EEEvT0_T1_SF_,@function
_ZN6thrust23THRUST_200600_302600_NS11hip_rocprim14__parallel_for6kernelILj256ENS1_11__transform17unary_transform_fINS0_10device_ptrI10large_dataEES8_NS4_14no_stencil_tagENS0_8identityIS7_EENS4_21always_true_predicateEEElLj1EEEvT0_T1_SF_: ; @_ZN6thrust23THRUST_200600_302600_NS11hip_rocprim14__parallel_for6kernelILj256ENS1_11__transform17unary_transform_fINS0_10device_ptrI10large_dataEES8_NS4_14no_stencil_tagENS0_8identityIS7_EENS4_21always_true_predicateEEElLj1EEEvT0_T1_SF_
; %bb.0:
	s_clause 0x1
	s_load_b128 s[8:11], s[0:1], 0x18
	s_load_b128 s[0:3], s[0:1], 0x0
	s_lshl_b32 s4, s15, 8
	s_waitcnt lgkmcnt(0)
	s_add_u32 s5, s4, s10
	s_addc_u32 s6, 0, s11
	s_sub_u32 s8, s8, s5
	s_subb_u32 s9, s9, s6
	s_delay_alu instid0(SALU_CYCLE_1) | instskip(NEXT) | instid1(VALU_DEP_1)
	v_cmp_gt_i64_e64 s4, 0x100, s[8:9]
	s_and_b32 s4, s4, exec_lo
	s_cselect_b32 s7, s8, 0x100
	s_mov_b32 s4, 0
	s_cmpk_lg_i32 s7, 0x100
	s_cbranch_scc0 .LBB52_4
; %bb.1:
	v_cmp_gt_u32_e32 vcc_lo, s7, v0
	s_mov_b32 s7, 0
                                        ; implicit-def: $vgpr1_vgpr2
                                        ; implicit-def: $vgpr3_vgpr4
	s_and_saveexec_b32 s8, vcc_lo
	s_delay_alu instid0(SALU_CYCLE_1)
	s_xor_b32 s8, exec_lo, s8
; %bb.2:
	v_add_co_u32 v1, s9, s5, v0
	s_delay_alu instid0(VALU_DEP_1) | instskip(SKIP_1) | instid1(VALU_DEP_1)
	v_add_co_ci_u32_e64 v2, null, s6, 0, s9
	s_mov_b32 s4, exec_lo
	v_lshlrev_b64 v[3:4], 9, v[1:2]
	s_delay_alu instid0(VALU_DEP_1) | instskip(NEXT) | instid1(VALU_DEP_2)
	v_add_co_u32 v1, vcc_lo, s2, v3
	v_add_co_ci_u32_e32 v2, vcc_lo, s3, v4, vcc_lo
	v_add_co_u32 v3, vcc_lo, s0, v3
	v_add_co_ci_u32_e32 v4, vcc_lo, s1, v4, vcc_lo
; %bb.3:
	s_or_b32 exec_lo, exec_lo, s8
	s_delay_alu instid0(SALU_CYCLE_1)
	s_and_b32 vcc_lo, exec_lo, s7
	s_cbranch_vccnz .LBB52_5
	s_branch .LBB52_6
.LBB52_4:
                                        ; implicit-def: $vgpr1_vgpr2
                                        ; implicit-def: $vgpr3_vgpr4
	s_cbranch_execz .LBB52_6
.LBB52_5:
	v_add_co_u32 v0, s5, s5, v0
	s_delay_alu instid0(VALU_DEP_1) | instskip(SKIP_1) | instid1(VALU_DEP_1)
	v_add_co_ci_u32_e64 v1, null, s6, 0, s5
	s_or_b32 s4, s4, exec_lo
	v_lshlrev_b64 v[1:2], 9, v[0:1]
	s_delay_alu instid0(VALU_DEP_1) | instskip(NEXT) | instid1(VALU_DEP_2)
	v_add_co_u32 v3, vcc_lo, s0, v1
	v_add_co_ci_u32_e32 v4, vcc_lo, s1, v2, vcc_lo
	v_add_co_u32 v1, vcc_lo, s2, v1
	v_add_co_ci_u32_e32 v2, vcc_lo, s3, v2, vcc_lo
.LBB52_6:
	s_and_saveexec_b32 s0, s4
	s_cbranch_execnz .LBB52_8
; %bb.7:
	s_endpgm
.LBB52_8:
	flat_load_u8 v0, v[3:4]
	s_waitcnt vmcnt(0) lgkmcnt(0)
	flat_store_b8 v[1:2], v0
	s_endpgm
	.section	.rodata,"a",@progbits
	.p2align	6, 0x0
	.amdhsa_kernel _ZN6thrust23THRUST_200600_302600_NS11hip_rocprim14__parallel_for6kernelILj256ENS1_11__transform17unary_transform_fINS0_10device_ptrI10large_dataEES8_NS4_14no_stencil_tagENS0_8identityIS7_EENS4_21always_true_predicateEEElLj1EEEvT0_T1_SF_
		.amdhsa_group_segment_fixed_size 0
		.amdhsa_private_segment_fixed_size 0
		.amdhsa_kernarg_size 40
		.amdhsa_user_sgpr_count 15
		.amdhsa_user_sgpr_dispatch_ptr 0
		.amdhsa_user_sgpr_queue_ptr 0
		.amdhsa_user_sgpr_kernarg_segment_ptr 1
		.amdhsa_user_sgpr_dispatch_id 0
		.amdhsa_user_sgpr_private_segment_size 0
		.amdhsa_wavefront_size32 1
		.amdhsa_uses_dynamic_stack 0
		.amdhsa_enable_private_segment 0
		.amdhsa_system_sgpr_workgroup_id_x 1
		.amdhsa_system_sgpr_workgroup_id_y 0
		.amdhsa_system_sgpr_workgroup_id_z 0
		.amdhsa_system_sgpr_workgroup_info 0
		.amdhsa_system_vgpr_workitem_id 0
		.amdhsa_next_free_vgpr 5
		.amdhsa_next_free_sgpr 16
		.amdhsa_reserve_vcc 1
		.amdhsa_float_round_mode_32 0
		.amdhsa_float_round_mode_16_64 0
		.amdhsa_float_denorm_mode_32 3
		.amdhsa_float_denorm_mode_16_64 3
		.amdhsa_dx10_clamp 1
		.amdhsa_ieee_mode 1
		.amdhsa_fp16_overflow 0
		.amdhsa_workgroup_processor_mode 1
		.amdhsa_memory_ordered 1
		.amdhsa_forward_progress 0
		.amdhsa_shared_vgpr_count 0
		.amdhsa_exception_fp_ieee_invalid_op 0
		.amdhsa_exception_fp_denorm_src 0
		.amdhsa_exception_fp_ieee_div_zero 0
		.amdhsa_exception_fp_ieee_overflow 0
		.amdhsa_exception_fp_ieee_underflow 0
		.amdhsa_exception_fp_ieee_inexact 0
		.amdhsa_exception_int_div_zero 0
	.end_amdhsa_kernel
	.section	.text._ZN6thrust23THRUST_200600_302600_NS11hip_rocprim14__parallel_for6kernelILj256ENS1_11__transform17unary_transform_fINS0_10device_ptrI10large_dataEES8_NS4_14no_stencil_tagENS0_8identityIS7_EENS4_21always_true_predicateEEElLj1EEEvT0_T1_SF_,"axG",@progbits,_ZN6thrust23THRUST_200600_302600_NS11hip_rocprim14__parallel_for6kernelILj256ENS1_11__transform17unary_transform_fINS0_10device_ptrI10large_dataEES8_NS4_14no_stencil_tagENS0_8identityIS7_EENS4_21always_true_predicateEEElLj1EEEvT0_T1_SF_,comdat
.Lfunc_end52:
	.size	_ZN6thrust23THRUST_200600_302600_NS11hip_rocprim14__parallel_for6kernelILj256ENS1_11__transform17unary_transform_fINS0_10device_ptrI10large_dataEES8_NS4_14no_stencil_tagENS0_8identityIS7_EENS4_21always_true_predicateEEElLj1EEEvT0_T1_SF_, .Lfunc_end52-_ZN6thrust23THRUST_200600_302600_NS11hip_rocprim14__parallel_for6kernelILj256ENS1_11__transform17unary_transform_fINS0_10device_ptrI10large_dataEES8_NS4_14no_stencil_tagENS0_8identityIS7_EENS4_21always_true_predicateEEElLj1EEEvT0_T1_SF_
                                        ; -- End function
	.section	.AMDGPU.csdata,"",@progbits
; Kernel info:
; codeLenInByte = 284
; NumSgprs: 18
; NumVgprs: 5
; ScratchSize: 0
; MemoryBound: 0
; FloatMode: 240
; IeeeMode: 1
; LDSByteSize: 0 bytes/workgroup (compile time only)
; SGPRBlocks: 2
; VGPRBlocks: 0
; NumSGPRsForWavesPerEU: 18
; NumVGPRsForWavesPerEU: 5
; Occupancy: 16
; WaveLimiterHint : 0
; COMPUTE_PGM_RSRC2:SCRATCH_EN: 0
; COMPUTE_PGM_RSRC2:USER_SGPR: 15
; COMPUTE_PGM_RSRC2:TRAP_HANDLER: 0
; COMPUTE_PGM_RSRC2:TGID_X_EN: 1
; COMPUTE_PGM_RSRC2:TGID_Y_EN: 0
; COMPUTE_PGM_RSRC2:TGID_Z_EN: 0
; COMPUTE_PGM_RSRC2:TIDIG_COMP_CNT: 0
	.section	.text._ZN6thrust23THRUST_200600_302600_NS11hip_rocprim14__parallel_for6kernelILj256ENS1_20__uninitialized_copy7functorINS0_10device_ptrI10large_dataEENS0_7pointerIS7_NS1_3tagENS0_11use_defaultESB_EEEEmLj1EEEvT0_T1_SF_,"axG",@progbits,_ZN6thrust23THRUST_200600_302600_NS11hip_rocprim14__parallel_for6kernelILj256ENS1_20__uninitialized_copy7functorINS0_10device_ptrI10large_dataEENS0_7pointerIS7_NS1_3tagENS0_11use_defaultESB_EEEEmLj1EEEvT0_T1_SF_,comdat
	.protected	_ZN6thrust23THRUST_200600_302600_NS11hip_rocprim14__parallel_for6kernelILj256ENS1_20__uninitialized_copy7functorINS0_10device_ptrI10large_dataEENS0_7pointerIS7_NS1_3tagENS0_11use_defaultESB_EEEEmLj1EEEvT0_T1_SF_ ; -- Begin function _ZN6thrust23THRUST_200600_302600_NS11hip_rocprim14__parallel_for6kernelILj256ENS1_20__uninitialized_copy7functorINS0_10device_ptrI10large_dataEENS0_7pointerIS7_NS1_3tagENS0_11use_defaultESB_EEEEmLj1EEEvT0_T1_SF_
	.globl	_ZN6thrust23THRUST_200600_302600_NS11hip_rocprim14__parallel_for6kernelILj256ENS1_20__uninitialized_copy7functorINS0_10device_ptrI10large_dataEENS0_7pointerIS7_NS1_3tagENS0_11use_defaultESB_EEEEmLj1EEEvT0_T1_SF_
	.p2align	8
	.type	_ZN6thrust23THRUST_200600_302600_NS11hip_rocprim14__parallel_for6kernelILj256ENS1_20__uninitialized_copy7functorINS0_10device_ptrI10large_dataEENS0_7pointerIS7_NS1_3tagENS0_11use_defaultESB_EEEEmLj1EEEvT0_T1_SF_,@function
_ZN6thrust23THRUST_200600_302600_NS11hip_rocprim14__parallel_for6kernelILj256ENS1_20__uninitialized_copy7functorINS0_10device_ptrI10large_dataEENS0_7pointerIS7_NS1_3tagENS0_11use_defaultESB_EEEEmLj1EEEvT0_T1_SF_: ; @_ZN6thrust23THRUST_200600_302600_NS11hip_rocprim14__parallel_for6kernelILj256ENS1_20__uninitialized_copy7functorINS0_10device_ptrI10large_dataEENS0_7pointerIS7_NS1_3tagENS0_11use_defaultESB_EEEEmLj1EEEvT0_T1_SF_
; %bb.0:
	s_load_b256 s[0:7], s[0:1], 0x0
	s_lshl_b32 s8, s15, 8
	s_waitcnt lgkmcnt(0)
	s_add_u32 s6, s8, s6
	s_addc_u32 s7, 0, s7
	s_sub_u32 s4, s4, s6
	s_subb_u32 s5, s5, s7
	s_delay_alu instid0(SALU_CYCLE_1) | instskip(NEXT) | instid1(VALU_DEP_1)
	v_cmp_gt_u64_e64 s5, 0x100, s[4:5]
	s_and_b32 vcc_lo, exec_lo, s5
	s_mov_b32 s5, 0
	s_cbranch_vccz .LBB53_4
; %bb.1:
	v_cmp_gt_u32_e32 vcc_lo, s4, v0
	s_mov_b32 s4, 0
                                        ; implicit-def: $vgpr1_vgpr2
                                        ; implicit-def: $vgpr3_vgpr4
	s_and_saveexec_b32 s8, vcc_lo
	s_delay_alu instid0(SALU_CYCLE_1)
	s_xor_b32 s8, exec_lo, s8
; %bb.2:
	v_add_co_u32 v1, s9, s6, v0
	s_delay_alu instid0(VALU_DEP_1) | instskip(SKIP_1) | instid1(VALU_DEP_1)
	v_add_co_ci_u32_e64 v2, null, s7, 0, s9
	s_mov_b32 s5, exec_lo
	v_lshlrev_b64 v[3:4], 9, v[1:2]
	s_delay_alu instid0(VALU_DEP_1) | instskip(NEXT) | instid1(VALU_DEP_2)
	v_add_co_u32 v1, vcc_lo, s2, v3
	v_add_co_ci_u32_e32 v2, vcc_lo, s3, v4, vcc_lo
	v_add_co_u32 v3, vcc_lo, s0, v3
	v_add_co_ci_u32_e32 v4, vcc_lo, s1, v4, vcc_lo
; %bb.3:
	s_or_b32 exec_lo, exec_lo, s8
	s_delay_alu instid0(SALU_CYCLE_1)
	s_and_b32 vcc_lo, exec_lo, s4
	s_cbranch_vccnz .LBB53_5
	s_branch .LBB53_6
.LBB53_4:
                                        ; implicit-def: $vgpr1_vgpr2
                                        ; implicit-def: $vgpr3_vgpr4
	s_cbranch_execz .LBB53_6
.LBB53_5:
	v_add_co_u32 v0, s4, s6, v0
	s_delay_alu instid0(VALU_DEP_1) | instskip(SKIP_1) | instid1(VALU_DEP_1)
	v_add_co_ci_u32_e64 v1, null, s7, 0, s4
	s_or_b32 s5, s5, exec_lo
	v_lshlrev_b64 v[1:2], 9, v[0:1]
	s_delay_alu instid0(VALU_DEP_1) | instskip(NEXT) | instid1(VALU_DEP_2)
	v_add_co_u32 v3, vcc_lo, s0, v1
	v_add_co_ci_u32_e32 v4, vcc_lo, s1, v2, vcc_lo
	v_add_co_u32 v1, vcc_lo, s2, v1
	v_add_co_ci_u32_e32 v2, vcc_lo, s3, v2, vcc_lo
.LBB53_6:
	s_and_saveexec_b32 s0, s5
	s_cbranch_execnz .LBB53_8
; %bb.7:
	s_endpgm
.LBB53_8:
	flat_load_u8 v0, v[3:4]
	s_waitcnt vmcnt(0) lgkmcnt(0)
	flat_store_b8 v[1:2], v0
	s_endpgm
	.section	.rodata,"a",@progbits
	.p2align	6, 0x0
	.amdhsa_kernel _ZN6thrust23THRUST_200600_302600_NS11hip_rocprim14__parallel_for6kernelILj256ENS1_20__uninitialized_copy7functorINS0_10device_ptrI10large_dataEENS0_7pointerIS7_NS1_3tagENS0_11use_defaultESB_EEEEmLj1EEEvT0_T1_SF_
		.amdhsa_group_segment_fixed_size 0
		.amdhsa_private_segment_fixed_size 0
		.amdhsa_kernarg_size 32
		.amdhsa_user_sgpr_count 15
		.amdhsa_user_sgpr_dispatch_ptr 0
		.amdhsa_user_sgpr_queue_ptr 0
		.amdhsa_user_sgpr_kernarg_segment_ptr 1
		.amdhsa_user_sgpr_dispatch_id 0
		.amdhsa_user_sgpr_private_segment_size 0
		.amdhsa_wavefront_size32 1
		.amdhsa_uses_dynamic_stack 0
		.amdhsa_enable_private_segment 0
		.amdhsa_system_sgpr_workgroup_id_x 1
		.amdhsa_system_sgpr_workgroup_id_y 0
		.amdhsa_system_sgpr_workgroup_id_z 0
		.amdhsa_system_sgpr_workgroup_info 0
		.amdhsa_system_vgpr_workitem_id 0
		.amdhsa_next_free_vgpr 5
		.amdhsa_next_free_sgpr 16
		.amdhsa_reserve_vcc 1
		.amdhsa_float_round_mode_32 0
		.amdhsa_float_round_mode_16_64 0
		.amdhsa_float_denorm_mode_32 3
		.amdhsa_float_denorm_mode_16_64 3
		.amdhsa_dx10_clamp 1
		.amdhsa_ieee_mode 1
		.amdhsa_fp16_overflow 0
		.amdhsa_workgroup_processor_mode 1
		.amdhsa_memory_ordered 1
		.amdhsa_forward_progress 0
		.amdhsa_shared_vgpr_count 0
		.amdhsa_exception_fp_ieee_invalid_op 0
		.amdhsa_exception_fp_denorm_src 0
		.amdhsa_exception_fp_ieee_div_zero 0
		.amdhsa_exception_fp_ieee_overflow 0
		.amdhsa_exception_fp_ieee_underflow 0
		.amdhsa_exception_fp_ieee_inexact 0
		.amdhsa_exception_int_div_zero 0
	.end_amdhsa_kernel
	.section	.text._ZN6thrust23THRUST_200600_302600_NS11hip_rocprim14__parallel_for6kernelILj256ENS1_20__uninitialized_copy7functorINS0_10device_ptrI10large_dataEENS0_7pointerIS7_NS1_3tagENS0_11use_defaultESB_EEEEmLj1EEEvT0_T1_SF_,"axG",@progbits,_ZN6thrust23THRUST_200600_302600_NS11hip_rocprim14__parallel_for6kernelILj256ENS1_20__uninitialized_copy7functorINS0_10device_ptrI10large_dataEENS0_7pointerIS7_NS1_3tagENS0_11use_defaultESB_EEEEmLj1EEEvT0_T1_SF_,comdat
.Lfunc_end53:
	.size	_ZN6thrust23THRUST_200600_302600_NS11hip_rocprim14__parallel_for6kernelILj256ENS1_20__uninitialized_copy7functorINS0_10device_ptrI10large_dataEENS0_7pointerIS7_NS1_3tagENS0_11use_defaultESB_EEEEmLj1EEEvT0_T1_SF_, .Lfunc_end53-_ZN6thrust23THRUST_200600_302600_NS11hip_rocprim14__parallel_for6kernelILj256ENS1_20__uninitialized_copy7functorINS0_10device_ptrI10large_dataEENS0_7pointerIS7_NS1_3tagENS0_11use_defaultESB_EEEEmLj1EEEvT0_T1_SF_
                                        ; -- End function
	.section	.AMDGPU.csdata,"",@progbits
; Kernel info:
; codeLenInByte = 260
; NumSgprs: 18
; NumVgprs: 5
; ScratchSize: 0
; MemoryBound: 0
; FloatMode: 240
; IeeeMode: 1
; LDSByteSize: 0 bytes/workgroup (compile time only)
; SGPRBlocks: 2
; VGPRBlocks: 0
; NumSGPRsForWavesPerEU: 18
; NumVGPRsForWavesPerEU: 5
; Occupancy: 16
; WaveLimiterHint : 0
; COMPUTE_PGM_RSRC2:SCRATCH_EN: 0
; COMPUTE_PGM_RSRC2:USER_SGPR: 15
; COMPUTE_PGM_RSRC2:TRAP_HANDLER: 0
; COMPUTE_PGM_RSRC2:TGID_X_EN: 1
; COMPUTE_PGM_RSRC2:TGID_Y_EN: 0
; COMPUTE_PGM_RSRC2:TGID_Z_EN: 0
; COMPUTE_PGM_RSRC2:TIDIG_COMP_CNT: 0
	.section	.text._ZN6thrust23THRUST_200600_302600_NS11hip_rocprim14__parallel_for6kernelILj256ENS1_20__uninitialized_fill7functorINS0_10device_ptrIdEEdEEmLj1EEEvT0_T1_SA_,"axG",@progbits,_ZN6thrust23THRUST_200600_302600_NS11hip_rocprim14__parallel_for6kernelILj256ENS1_20__uninitialized_fill7functorINS0_10device_ptrIdEEdEEmLj1EEEvT0_T1_SA_,comdat
	.protected	_ZN6thrust23THRUST_200600_302600_NS11hip_rocprim14__parallel_for6kernelILj256ENS1_20__uninitialized_fill7functorINS0_10device_ptrIdEEdEEmLj1EEEvT0_T1_SA_ ; -- Begin function _ZN6thrust23THRUST_200600_302600_NS11hip_rocprim14__parallel_for6kernelILj256ENS1_20__uninitialized_fill7functorINS0_10device_ptrIdEEdEEmLj1EEEvT0_T1_SA_
	.globl	_ZN6thrust23THRUST_200600_302600_NS11hip_rocprim14__parallel_for6kernelILj256ENS1_20__uninitialized_fill7functorINS0_10device_ptrIdEEdEEmLj1EEEvT0_T1_SA_
	.p2align	8
	.type	_ZN6thrust23THRUST_200600_302600_NS11hip_rocprim14__parallel_for6kernelILj256ENS1_20__uninitialized_fill7functorINS0_10device_ptrIdEEdEEmLj1EEEvT0_T1_SA_,@function
_ZN6thrust23THRUST_200600_302600_NS11hip_rocprim14__parallel_for6kernelILj256ENS1_20__uninitialized_fill7functorINS0_10device_ptrIdEEdEEmLj1EEEvT0_T1_SA_: ; @_ZN6thrust23THRUST_200600_302600_NS11hip_rocprim14__parallel_for6kernelILj256ENS1_20__uninitialized_fill7functorINS0_10device_ptrIdEEdEEmLj1EEEvT0_T1_SA_
; %bb.0:
	s_load_b256 s[0:7], s[0:1], 0x0
	s_lshl_b32 s8, s15, 8
	s_waitcnt lgkmcnt(0)
	s_add_u32 s6, s8, s6
	s_addc_u32 s7, 0, s7
	s_sub_u32 s4, s4, s6
	s_subb_u32 s5, s5, s7
	s_delay_alu instid0(SALU_CYCLE_1) | instskip(NEXT) | instid1(VALU_DEP_1)
	v_cmp_gt_u64_e64 s5, 0x100, s[4:5]
	s_and_b32 vcc_lo, exec_lo, s5
	s_mov_b32 s5, 0
	s_cbranch_vccz .LBB54_2
; %bb.1:
	v_cmp_gt_u32_e32 vcc_lo, s4, v0
	s_and_b32 s5, vcc_lo, exec_lo
	s_cbranch_execz .LBB54_3
	s_branch .LBB54_4
.LBB54_2:
.LBB54_3:
	s_or_b32 s5, s5, exec_lo
.LBB54_4:
	s_delay_alu instid0(SALU_CYCLE_1)
	s_and_saveexec_b32 s4, s5
	s_cbranch_execnz .LBB54_6
; %bb.5:
	s_endpgm
.LBB54_6:
	v_dual_mov_b32 v1, 0 :: v_dual_mov_b32 v2, s2
	s_lshl_b64 s[4:5], s[6:7], 3
	v_mov_b32_e32 v3, s3
	s_add_u32 s0, s0, s4
	s_delay_alu instid0(VALU_DEP_2) | instskip(SKIP_1) | instid1(VALU_DEP_1)
	v_lshlrev_b64 v[0:1], 3, v[0:1]
	s_addc_u32 s1, s1, s5
	v_add_co_u32 v0, vcc_lo, s0, v0
	s_delay_alu instid0(VALU_DEP_2)
	v_add_co_ci_u32_e32 v1, vcc_lo, s1, v1, vcc_lo
	flat_store_b64 v[0:1], v[2:3]
	s_endpgm
	.section	.rodata,"a",@progbits
	.p2align	6, 0x0
	.amdhsa_kernel _ZN6thrust23THRUST_200600_302600_NS11hip_rocprim14__parallel_for6kernelILj256ENS1_20__uninitialized_fill7functorINS0_10device_ptrIdEEdEEmLj1EEEvT0_T1_SA_
		.amdhsa_group_segment_fixed_size 0
		.amdhsa_private_segment_fixed_size 0
		.amdhsa_kernarg_size 32
		.amdhsa_user_sgpr_count 15
		.amdhsa_user_sgpr_dispatch_ptr 0
		.amdhsa_user_sgpr_queue_ptr 0
		.amdhsa_user_sgpr_kernarg_segment_ptr 1
		.amdhsa_user_sgpr_dispatch_id 0
		.amdhsa_user_sgpr_private_segment_size 0
		.amdhsa_wavefront_size32 1
		.amdhsa_uses_dynamic_stack 0
		.amdhsa_enable_private_segment 0
		.amdhsa_system_sgpr_workgroup_id_x 1
		.amdhsa_system_sgpr_workgroup_id_y 0
		.amdhsa_system_sgpr_workgroup_id_z 0
		.amdhsa_system_sgpr_workgroup_info 0
		.amdhsa_system_vgpr_workitem_id 0
		.amdhsa_next_free_vgpr 4
		.amdhsa_next_free_sgpr 16
		.amdhsa_reserve_vcc 1
		.amdhsa_float_round_mode_32 0
		.amdhsa_float_round_mode_16_64 0
		.amdhsa_float_denorm_mode_32 3
		.amdhsa_float_denorm_mode_16_64 3
		.amdhsa_dx10_clamp 1
		.amdhsa_ieee_mode 1
		.amdhsa_fp16_overflow 0
		.amdhsa_workgroup_processor_mode 1
		.amdhsa_memory_ordered 1
		.amdhsa_forward_progress 0
		.amdhsa_shared_vgpr_count 0
		.amdhsa_exception_fp_ieee_invalid_op 0
		.amdhsa_exception_fp_denorm_src 0
		.amdhsa_exception_fp_ieee_div_zero 0
		.amdhsa_exception_fp_ieee_overflow 0
		.amdhsa_exception_fp_ieee_underflow 0
		.amdhsa_exception_fp_ieee_inexact 0
		.amdhsa_exception_int_div_zero 0
	.end_amdhsa_kernel
	.section	.text._ZN6thrust23THRUST_200600_302600_NS11hip_rocprim14__parallel_for6kernelILj256ENS1_20__uninitialized_fill7functorINS0_10device_ptrIdEEdEEmLj1EEEvT0_T1_SA_,"axG",@progbits,_ZN6thrust23THRUST_200600_302600_NS11hip_rocprim14__parallel_for6kernelILj256ENS1_20__uninitialized_fill7functorINS0_10device_ptrIdEEdEEmLj1EEEvT0_T1_SA_,comdat
.Lfunc_end54:
	.size	_ZN6thrust23THRUST_200600_302600_NS11hip_rocprim14__parallel_for6kernelILj256ENS1_20__uninitialized_fill7functorINS0_10device_ptrIdEEdEEmLj1EEEvT0_T1_SA_, .Lfunc_end54-_ZN6thrust23THRUST_200600_302600_NS11hip_rocprim14__parallel_for6kernelILj256ENS1_20__uninitialized_fill7functorINS0_10device_ptrIdEEdEEmLj1EEEvT0_T1_SA_
                                        ; -- End function
	.section	.AMDGPU.csdata,"",@progbits
; Kernel info:
; codeLenInByte = 160
; NumSgprs: 18
; NumVgprs: 4
; ScratchSize: 0
; MemoryBound: 0
; FloatMode: 240
; IeeeMode: 1
; LDSByteSize: 0 bytes/workgroup (compile time only)
; SGPRBlocks: 2
; VGPRBlocks: 0
; NumSGPRsForWavesPerEU: 18
; NumVGPRsForWavesPerEU: 4
; Occupancy: 16
; WaveLimiterHint : 0
; COMPUTE_PGM_RSRC2:SCRATCH_EN: 0
; COMPUTE_PGM_RSRC2:USER_SGPR: 15
; COMPUTE_PGM_RSRC2:TRAP_HANDLER: 0
; COMPUTE_PGM_RSRC2:TGID_X_EN: 1
; COMPUTE_PGM_RSRC2:TGID_Y_EN: 0
; COMPUTE_PGM_RSRC2:TGID_Z_EN: 0
; COMPUTE_PGM_RSRC2:TIDIG_COMP_CNT: 0
	.section	.text._ZN6thrust23THRUST_200600_302600_NS11hip_rocprim14__parallel_for6kernelILj256ENS1_20__uninitialized_fill7functorINS0_10device_ptrIfEEfEEmLj1EEEvT0_T1_SA_,"axG",@progbits,_ZN6thrust23THRUST_200600_302600_NS11hip_rocprim14__parallel_for6kernelILj256ENS1_20__uninitialized_fill7functorINS0_10device_ptrIfEEfEEmLj1EEEvT0_T1_SA_,comdat
	.protected	_ZN6thrust23THRUST_200600_302600_NS11hip_rocprim14__parallel_for6kernelILj256ENS1_20__uninitialized_fill7functorINS0_10device_ptrIfEEfEEmLj1EEEvT0_T1_SA_ ; -- Begin function _ZN6thrust23THRUST_200600_302600_NS11hip_rocprim14__parallel_for6kernelILj256ENS1_20__uninitialized_fill7functorINS0_10device_ptrIfEEfEEmLj1EEEvT0_T1_SA_
	.globl	_ZN6thrust23THRUST_200600_302600_NS11hip_rocprim14__parallel_for6kernelILj256ENS1_20__uninitialized_fill7functorINS0_10device_ptrIfEEfEEmLj1EEEvT0_T1_SA_
	.p2align	8
	.type	_ZN6thrust23THRUST_200600_302600_NS11hip_rocprim14__parallel_for6kernelILj256ENS1_20__uninitialized_fill7functorINS0_10device_ptrIfEEfEEmLj1EEEvT0_T1_SA_,@function
_ZN6thrust23THRUST_200600_302600_NS11hip_rocprim14__parallel_for6kernelILj256ENS1_20__uninitialized_fill7functorINS0_10device_ptrIfEEfEEmLj1EEEvT0_T1_SA_: ; @_ZN6thrust23THRUST_200600_302600_NS11hip_rocprim14__parallel_for6kernelILj256ENS1_20__uninitialized_fill7functorINS0_10device_ptrIfEEfEEmLj1EEEvT0_T1_SA_
; %bb.0:
	s_load_b128 s[4:7], s[0:1], 0x10
	s_lshl_b32 s2, s15, 8
	s_waitcnt lgkmcnt(0)
	s_add_u32 s2, s2, s6
	s_addc_u32 s3, 0, s7
	s_sub_u32 s4, s4, s2
	s_subb_u32 s5, s5, s3
	s_delay_alu instid0(SALU_CYCLE_1) | instskip(NEXT) | instid1(VALU_DEP_1)
	v_cmp_gt_u64_e64 s5, 0x100, s[4:5]
	s_and_b32 vcc_lo, exec_lo, s5
	s_mov_b32 s5, 0
	s_cbranch_vccz .LBB55_2
; %bb.1:
	v_cmp_gt_u32_e32 vcc_lo, s4, v0
	s_and_b32 s5, vcc_lo, exec_lo
	s_cbranch_execz .LBB55_3
	s_branch .LBB55_4
.LBB55_2:
.LBB55_3:
	s_or_b32 s5, s5, exec_lo
.LBB55_4:
	s_delay_alu instid0(SALU_CYCLE_1)
	s_and_saveexec_b32 s4, s5
	s_cbranch_execnz .LBB55_6
; %bb.5:
	s_endpgm
.LBB55_6:
	s_clause 0x1
	s_load_b64 s[4:5], s[0:1], 0x0
	s_load_b32 s6, s[0:1], 0x8
	v_mov_b32_e32 v1, 0
	s_lshl_b64 s[0:1], s[2:3], 2
	s_waitcnt lgkmcnt(0)
	s_add_u32 s0, s4, s0
	v_mov_b32_e32 v2, s6
	v_lshlrev_b64 v[0:1], 2, v[0:1]
	s_addc_u32 s1, s5, s1
	s_delay_alu instid0(VALU_DEP_1) | instskip(NEXT) | instid1(VALU_DEP_2)
	v_add_co_u32 v0, vcc_lo, s0, v0
	v_add_co_ci_u32_e32 v1, vcc_lo, s1, v1, vcc_lo
	flat_store_b32 v[0:1], v2
	s_endpgm
	.section	.rodata,"a",@progbits
	.p2align	6, 0x0
	.amdhsa_kernel _ZN6thrust23THRUST_200600_302600_NS11hip_rocprim14__parallel_for6kernelILj256ENS1_20__uninitialized_fill7functorINS0_10device_ptrIfEEfEEmLj1EEEvT0_T1_SA_
		.amdhsa_group_segment_fixed_size 0
		.amdhsa_private_segment_fixed_size 0
		.amdhsa_kernarg_size 32
		.amdhsa_user_sgpr_count 15
		.amdhsa_user_sgpr_dispatch_ptr 0
		.amdhsa_user_sgpr_queue_ptr 0
		.amdhsa_user_sgpr_kernarg_segment_ptr 1
		.amdhsa_user_sgpr_dispatch_id 0
		.amdhsa_user_sgpr_private_segment_size 0
		.amdhsa_wavefront_size32 1
		.amdhsa_uses_dynamic_stack 0
		.amdhsa_enable_private_segment 0
		.amdhsa_system_sgpr_workgroup_id_x 1
		.amdhsa_system_sgpr_workgroup_id_y 0
		.amdhsa_system_sgpr_workgroup_id_z 0
		.amdhsa_system_sgpr_workgroup_info 0
		.amdhsa_system_vgpr_workitem_id 0
		.amdhsa_next_free_vgpr 3
		.amdhsa_next_free_sgpr 16
		.amdhsa_reserve_vcc 1
		.amdhsa_float_round_mode_32 0
		.amdhsa_float_round_mode_16_64 0
		.amdhsa_float_denorm_mode_32 3
		.amdhsa_float_denorm_mode_16_64 3
		.amdhsa_dx10_clamp 1
		.amdhsa_ieee_mode 1
		.amdhsa_fp16_overflow 0
		.amdhsa_workgroup_processor_mode 1
		.amdhsa_memory_ordered 1
		.amdhsa_forward_progress 0
		.amdhsa_shared_vgpr_count 0
		.amdhsa_exception_fp_ieee_invalid_op 0
		.amdhsa_exception_fp_denorm_src 0
		.amdhsa_exception_fp_ieee_div_zero 0
		.amdhsa_exception_fp_ieee_overflow 0
		.amdhsa_exception_fp_ieee_underflow 0
		.amdhsa_exception_fp_ieee_inexact 0
		.amdhsa_exception_int_div_zero 0
	.end_amdhsa_kernel
	.section	.text._ZN6thrust23THRUST_200600_302600_NS11hip_rocprim14__parallel_for6kernelILj256ENS1_20__uninitialized_fill7functorINS0_10device_ptrIfEEfEEmLj1EEEvT0_T1_SA_,"axG",@progbits,_ZN6thrust23THRUST_200600_302600_NS11hip_rocprim14__parallel_for6kernelILj256ENS1_20__uninitialized_fill7functorINS0_10device_ptrIfEEfEEmLj1EEEvT0_T1_SA_,comdat
.Lfunc_end55:
	.size	_ZN6thrust23THRUST_200600_302600_NS11hip_rocprim14__parallel_for6kernelILj256ENS1_20__uninitialized_fill7functorINS0_10device_ptrIfEEfEEmLj1EEEvT0_T1_SA_, .Lfunc_end55-_ZN6thrust23THRUST_200600_302600_NS11hip_rocprim14__parallel_for6kernelILj256ENS1_20__uninitialized_fill7functorINS0_10device_ptrIfEEfEEmLj1EEEvT0_T1_SA_
                                        ; -- End function
	.section	.AMDGPU.csdata,"",@progbits
; Kernel info:
; codeLenInByte = 176
; NumSgprs: 18
; NumVgprs: 3
; ScratchSize: 0
; MemoryBound: 0
; FloatMode: 240
; IeeeMode: 1
; LDSByteSize: 0 bytes/workgroup (compile time only)
; SGPRBlocks: 2
; VGPRBlocks: 0
; NumSGPRsForWavesPerEU: 18
; NumVGPRsForWavesPerEU: 3
; Occupancy: 16
; WaveLimiterHint : 0
; COMPUTE_PGM_RSRC2:SCRATCH_EN: 0
; COMPUTE_PGM_RSRC2:USER_SGPR: 15
; COMPUTE_PGM_RSRC2:TRAP_HANDLER: 0
; COMPUTE_PGM_RSRC2:TGID_X_EN: 1
; COMPUTE_PGM_RSRC2:TGID_Y_EN: 0
; COMPUTE_PGM_RSRC2:TGID_Z_EN: 0
; COMPUTE_PGM_RSRC2:TIDIG_COMP_CNT: 0
	.section	.text._ZN6thrust23THRUST_200600_302600_NS11hip_rocprim14__parallel_for6kernelILj256ENS1_20__uninitialized_fill7functorINS0_10device_ptrIyEEyEEmLj1EEEvT0_T1_SA_,"axG",@progbits,_ZN6thrust23THRUST_200600_302600_NS11hip_rocprim14__parallel_for6kernelILj256ENS1_20__uninitialized_fill7functorINS0_10device_ptrIyEEyEEmLj1EEEvT0_T1_SA_,comdat
	.protected	_ZN6thrust23THRUST_200600_302600_NS11hip_rocprim14__parallel_for6kernelILj256ENS1_20__uninitialized_fill7functorINS0_10device_ptrIyEEyEEmLj1EEEvT0_T1_SA_ ; -- Begin function _ZN6thrust23THRUST_200600_302600_NS11hip_rocprim14__parallel_for6kernelILj256ENS1_20__uninitialized_fill7functorINS0_10device_ptrIyEEyEEmLj1EEEvT0_T1_SA_
	.globl	_ZN6thrust23THRUST_200600_302600_NS11hip_rocprim14__parallel_for6kernelILj256ENS1_20__uninitialized_fill7functorINS0_10device_ptrIyEEyEEmLj1EEEvT0_T1_SA_
	.p2align	8
	.type	_ZN6thrust23THRUST_200600_302600_NS11hip_rocprim14__parallel_for6kernelILj256ENS1_20__uninitialized_fill7functorINS0_10device_ptrIyEEyEEmLj1EEEvT0_T1_SA_,@function
_ZN6thrust23THRUST_200600_302600_NS11hip_rocprim14__parallel_for6kernelILj256ENS1_20__uninitialized_fill7functorINS0_10device_ptrIyEEyEEmLj1EEEvT0_T1_SA_: ; @_ZN6thrust23THRUST_200600_302600_NS11hip_rocprim14__parallel_for6kernelILj256ENS1_20__uninitialized_fill7functorINS0_10device_ptrIyEEyEEmLj1EEEvT0_T1_SA_
; %bb.0:
	s_load_b256 s[0:7], s[0:1], 0x0
	s_lshl_b32 s8, s15, 8
	s_waitcnt lgkmcnt(0)
	s_add_u32 s6, s8, s6
	s_addc_u32 s7, 0, s7
	s_sub_u32 s4, s4, s6
	s_subb_u32 s5, s5, s7
	s_delay_alu instid0(SALU_CYCLE_1) | instskip(NEXT) | instid1(VALU_DEP_1)
	v_cmp_gt_u64_e64 s5, 0x100, s[4:5]
	s_and_b32 vcc_lo, exec_lo, s5
	s_mov_b32 s5, 0
	s_cbranch_vccz .LBB56_2
; %bb.1:
	v_cmp_gt_u32_e32 vcc_lo, s4, v0
	s_and_b32 s5, vcc_lo, exec_lo
	s_cbranch_execz .LBB56_3
	s_branch .LBB56_4
.LBB56_2:
.LBB56_3:
	s_or_b32 s5, s5, exec_lo
.LBB56_4:
	s_delay_alu instid0(SALU_CYCLE_1)
	s_and_saveexec_b32 s4, s5
	s_cbranch_execnz .LBB56_6
; %bb.5:
	s_endpgm
.LBB56_6:
	v_dual_mov_b32 v1, 0 :: v_dual_mov_b32 v2, s2
	s_lshl_b64 s[4:5], s[6:7], 3
	v_mov_b32_e32 v3, s3
	s_add_u32 s0, s0, s4
	s_delay_alu instid0(VALU_DEP_2) | instskip(SKIP_1) | instid1(VALU_DEP_1)
	v_lshlrev_b64 v[0:1], 3, v[0:1]
	s_addc_u32 s1, s1, s5
	v_add_co_u32 v0, vcc_lo, s0, v0
	s_delay_alu instid0(VALU_DEP_2)
	v_add_co_ci_u32_e32 v1, vcc_lo, s1, v1, vcc_lo
	flat_store_b64 v[0:1], v[2:3]
	s_endpgm
	.section	.rodata,"a",@progbits
	.p2align	6, 0x0
	.amdhsa_kernel _ZN6thrust23THRUST_200600_302600_NS11hip_rocprim14__parallel_for6kernelILj256ENS1_20__uninitialized_fill7functorINS0_10device_ptrIyEEyEEmLj1EEEvT0_T1_SA_
		.amdhsa_group_segment_fixed_size 0
		.amdhsa_private_segment_fixed_size 0
		.amdhsa_kernarg_size 32
		.amdhsa_user_sgpr_count 15
		.amdhsa_user_sgpr_dispatch_ptr 0
		.amdhsa_user_sgpr_queue_ptr 0
		.amdhsa_user_sgpr_kernarg_segment_ptr 1
		.amdhsa_user_sgpr_dispatch_id 0
		.amdhsa_user_sgpr_private_segment_size 0
		.amdhsa_wavefront_size32 1
		.amdhsa_uses_dynamic_stack 0
		.amdhsa_enable_private_segment 0
		.amdhsa_system_sgpr_workgroup_id_x 1
		.amdhsa_system_sgpr_workgroup_id_y 0
		.amdhsa_system_sgpr_workgroup_id_z 0
		.amdhsa_system_sgpr_workgroup_info 0
		.amdhsa_system_vgpr_workitem_id 0
		.amdhsa_next_free_vgpr 4
		.amdhsa_next_free_sgpr 16
		.amdhsa_reserve_vcc 1
		.amdhsa_float_round_mode_32 0
		.amdhsa_float_round_mode_16_64 0
		.amdhsa_float_denorm_mode_32 3
		.amdhsa_float_denorm_mode_16_64 3
		.amdhsa_dx10_clamp 1
		.amdhsa_ieee_mode 1
		.amdhsa_fp16_overflow 0
		.amdhsa_workgroup_processor_mode 1
		.amdhsa_memory_ordered 1
		.amdhsa_forward_progress 0
		.amdhsa_shared_vgpr_count 0
		.amdhsa_exception_fp_ieee_invalid_op 0
		.amdhsa_exception_fp_denorm_src 0
		.amdhsa_exception_fp_ieee_div_zero 0
		.amdhsa_exception_fp_ieee_overflow 0
		.amdhsa_exception_fp_ieee_underflow 0
		.amdhsa_exception_fp_ieee_inexact 0
		.amdhsa_exception_int_div_zero 0
	.end_amdhsa_kernel
	.section	.text._ZN6thrust23THRUST_200600_302600_NS11hip_rocprim14__parallel_for6kernelILj256ENS1_20__uninitialized_fill7functorINS0_10device_ptrIyEEyEEmLj1EEEvT0_T1_SA_,"axG",@progbits,_ZN6thrust23THRUST_200600_302600_NS11hip_rocprim14__parallel_for6kernelILj256ENS1_20__uninitialized_fill7functorINS0_10device_ptrIyEEyEEmLj1EEEvT0_T1_SA_,comdat
.Lfunc_end56:
	.size	_ZN6thrust23THRUST_200600_302600_NS11hip_rocprim14__parallel_for6kernelILj256ENS1_20__uninitialized_fill7functorINS0_10device_ptrIyEEyEEmLj1EEEvT0_T1_SA_, .Lfunc_end56-_ZN6thrust23THRUST_200600_302600_NS11hip_rocprim14__parallel_for6kernelILj256ENS1_20__uninitialized_fill7functorINS0_10device_ptrIyEEyEEmLj1EEEvT0_T1_SA_
                                        ; -- End function
	.section	.AMDGPU.csdata,"",@progbits
; Kernel info:
; codeLenInByte = 160
; NumSgprs: 18
; NumVgprs: 4
; ScratchSize: 0
; MemoryBound: 0
; FloatMode: 240
; IeeeMode: 1
; LDSByteSize: 0 bytes/workgroup (compile time only)
; SGPRBlocks: 2
; VGPRBlocks: 0
; NumSGPRsForWavesPerEU: 18
; NumVGPRsForWavesPerEU: 4
; Occupancy: 16
; WaveLimiterHint : 0
; COMPUTE_PGM_RSRC2:SCRATCH_EN: 0
; COMPUTE_PGM_RSRC2:USER_SGPR: 15
; COMPUTE_PGM_RSRC2:TRAP_HANDLER: 0
; COMPUTE_PGM_RSRC2:TGID_X_EN: 1
; COMPUTE_PGM_RSRC2:TGID_Y_EN: 0
; COMPUTE_PGM_RSRC2:TGID_Z_EN: 0
; COMPUTE_PGM_RSRC2:TIDIG_COMP_CNT: 0
	.section	.text._ZN6thrust23THRUST_200600_302600_NS11hip_rocprim14__parallel_for6kernelILj256ENS1_20__uninitialized_fill7functorINS0_10device_ptrIjEEjEEmLj1EEEvT0_T1_SA_,"axG",@progbits,_ZN6thrust23THRUST_200600_302600_NS11hip_rocprim14__parallel_for6kernelILj256ENS1_20__uninitialized_fill7functorINS0_10device_ptrIjEEjEEmLj1EEEvT0_T1_SA_,comdat
	.protected	_ZN6thrust23THRUST_200600_302600_NS11hip_rocprim14__parallel_for6kernelILj256ENS1_20__uninitialized_fill7functorINS0_10device_ptrIjEEjEEmLj1EEEvT0_T1_SA_ ; -- Begin function _ZN6thrust23THRUST_200600_302600_NS11hip_rocprim14__parallel_for6kernelILj256ENS1_20__uninitialized_fill7functorINS0_10device_ptrIjEEjEEmLj1EEEvT0_T1_SA_
	.globl	_ZN6thrust23THRUST_200600_302600_NS11hip_rocprim14__parallel_for6kernelILj256ENS1_20__uninitialized_fill7functorINS0_10device_ptrIjEEjEEmLj1EEEvT0_T1_SA_
	.p2align	8
	.type	_ZN6thrust23THRUST_200600_302600_NS11hip_rocprim14__parallel_for6kernelILj256ENS1_20__uninitialized_fill7functorINS0_10device_ptrIjEEjEEmLj1EEEvT0_T1_SA_,@function
_ZN6thrust23THRUST_200600_302600_NS11hip_rocprim14__parallel_for6kernelILj256ENS1_20__uninitialized_fill7functorINS0_10device_ptrIjEEjEEmLj1EEEvT0_T1_SA_: ; @_ZN6thrust23THRUST_200600_302600_NS11hip_rocprim14__parallel_for6kernelILj256ENS1_20__uninitialized_fill7functorINS0_10device_ptrIjEEjEEmLj1EEEvT0_T1_SA_
; %bb.0:
	s_load_b128 s[4:7], s[0:1], 0x10
	s_lshl_b32 s2, s15, 8
	s_waitcnt lgkmcnt(0)
	s_add_u32 s2, s2, s6
	s_addc_u32 s3, 0, s7
	s_sub_u32 s4, s4, s2
	s_subb_u32 s5, s5, s3
	s_delay_alu instid0(SALU_CYCLE_1) | instskip(NEXT) | instid1(VALU_DEP_1)
	v_cmp_gt_u64_e64 s5, 0x100, s[4:5]
	s_and_b32 vcc_lo, exec_lo, s5
	s_mov_b32 s5, 0
	s_cbranch_vccz .LBB57_2
; %bb.1:
	v_cmp_gt_u32_e32 vcc_lo, s4, v0
	s_and_b32 s5, vcc_lo, exec_lo
	s_cbranch_execz .LBB57_3
	s_branch .LBB57_4
.LBB57_2:
.LBB57_3:
	s_or_b32 s5, s5, exec_lo
.LBB57_4:
	s_delay_alu instid0(SALU_CYCLE_1)
	s_and_saveexec_b32 s4, s5
	s_cbranch_execnz .LBB57_6
; %bb.5:
	s_endpgm
.LBB57_6:
	s_clause 0x1
	s_load_b64 s[4:5], s[0:1], 0x0
	s_load_b32 s6, s[0:1], 0x8
	v_mov_b32_e32 v1, 0
	s_lshl_b64 s[0:1], s[2:3], 2
	s_waitcnt lgkmcnt(0)
	s_add_u32 s0, s4, s0
	v_mov_b32_e32 v2, s6
	v_lshlrev_b64 v[0:1], 2, v[0:1]
	s_addc_u32 s1, s5, s1
	s_delay_alu instid0(VALU_DEP_1) | instskip(NEXT) | instid1(VALU_DEP_2)
	v_add_co_u32 v0, vcc_lo, s0, v0
	v_add_co_ci_u32_e32 v1, vcc_lo, s1, v1, vcc_lo
	flat_store_b32 v[0:1], v2
	s_endpgm
	.section	.rodata,"a",@progbits
	.p2align	6, 0x0
	.amdhsa_kernel _ZN6thrust23THRUST_200600_302600_NS11hip_rocprim14__parallel_for6kernelILj256ENS1_20__uninitialized_fill7functorINS0_10device_ptrIjEEjEEmLj1EEEvT0_T1_SA_
		.amdhsa_group_segment_fixed_size 0
		.amdhsa_private_segment_fixed_size 0
		.amdhsa_kernarg_size 32
		.amdhsa_user_sgpr_count 15
		.amdhsa_user_sgpr_dispatch_ptr 0
		.amdhsa_user_sgpr_queue_ptr 0
		.amdhsa_user_sgpr_kernarg_segment_ptr 1
		.amdhsa_user_sgpr_dispatch_id 0
		.amdhsa_user_sgpr_private_segment_size 0
		.amdhsa_wavefront_size32 1
		.amdhsa_uses_dynamic_stack 0
		.amdhsa_enable_private_segment 0
		.amdhsa_system_sgpr_workgroup_id_x 1
		.amdhsa_system_sgpr_workgroup_id_y 0
		.amdhsa_system_sgpr_workgroup_id_z 0
		.amdhsa_system_sgpr_workgroup_info 0
		.amdhsa_system_vgpr_workitem_id 0
		.amdhsa_next_free_vgpr 3
		.amdhsa_next_free_sgpr 16
		.amdhsa_reserve_vcc 1
		.amdhsa_float_round_mode_32 0
		.amdhsa_float_round_mode_16_64 0
		.amdhsa_float_denorm_mode_32 3
		.amdhsa_float_denorm_mode_16_64 3
		.amdhsa_dx10_clamp 1
		.amdhsa_ieee_mode 1
		.amdhsa_fp16_overflow 0
		.amdhsa_workgroup_processor_mode 1
		.amdhsa_memory_ordered 1
		.amdhsa_forward_progress 0
		.amdhsa_shared_vgpr_count 0
		.amdhsa_exception_fp_ieee_invalid_op 0
		.amdhsa_exception_fp_denorm_src 0
		.amdhsa_exception_fp_ieee_div_zero 0
		.amdhsa_exception_fp_ieee_overflow 0
		.amdhsa_exception_fp_ieee_underflow 0
		.amdhsa_exception_fp_ieee_inexact 0
		.amdhsa_exception_int_div_zero 0
	.end_amdhsa_kernel
	.section	.text._ZN6thrust23THRUST_200600_302600_NS11hip_rocprim14__parallel_for6kernelILj256ENS1_20__uninitialized_fill7functorINS0_10device_ptrIjEEjEEmLj1EEEvT0_T1_SA_,"axG",@progbits,_ZN6thrust23THRUST_200600_302600_NS11hip_rocprim14__parallel_for6kernelILj256ENS1_20__uninitialized_fill7functorINS0_10device_ptrIjEEjEEmLj1EEEvT0_T1_SA_,comdat
.Lfunc_end57:
	.size	_ZN6thrust23THRUST_200600_302600_NS11hip_rocprim14__parallel_for6kernelILj256ENS1_20__uninitialized_fill7functorINS0_10device_ptrIjEEjEEmLj1EEEvT0_T1_SA_, .Lfunc_end57-_ZN6thrust23THRUST_200600_302600_NS11hip_rocprim14__parallel_for6kernelILj256ENS1_20__uninitialized_fill7functorINS0_10device_ptrIjEEjEEmLj1EEEvT0_T1_SA_
                                        ; -- End function
	.section	.AMDGPU.csdata,"",@progbits
; Kernel info:
; codeLenInByte = 176
; NumSgprs: 18
; NumVgprs: 3
; ScratchSize: 0
; MemoryBound: 0
; FloatMode: 240
; IeeeMode: 1
; LDSByteSize: 0 bytes/workgroup (compile time only)
; SGPRBlocks: 2
; VGPRBlocks: 0
; NumSGPRsForWavesPerEU: 18
; NumVGPRsForWavesPerEU: 3
; Occupancy: 16
; WaveLimiterHint : 0
; COMPUTE_PGM_RSRC2:SCRATCH_EN: 0
; COMPUTE_PGM_RSRC2:USER_SGPR: 15
; COMPUTE_PGM_RSRC2:TRAP_HANDLER: 0
; COMPUTE_PGM_RSRC2:TGID_X_EN: 1
; COMPUTE_PGM_RSRC2:TGID_Y_EN: 0
; COMPUTE_PGM_RSRC2:TGID_Z_EN: 0
; COMPUTE_PGM_RSRC2:TIDIG_COMP_CNT: 0
	.section	.text._ZN6thrust23THRUST_200600_302600_NS11hip_rocprim14__parallel_for6kernelILj256ENS1_20__uninitialized_fill7functorINS0_10device_ptrItEEtEEmLj1EEEvT0_T1_SA_,"axG",@progbits,_ZN6thrust23THRUST_200600_302600_NS11hip_rocprim14__parallel_for6kernelILj256ENS1_20__uninitialized_fill7functorINS0_10device_ptrItEEtEEmLj1EEEvT0_T1_SA_,comdat
	.protected	_ZN6thrust23THRUST_200600_302600_NS11hip_rocprim14__parallel_for6kernelILj256ENS1_20__uninitialized_fill7functorINS0_10device_ptrItEEtEEmLj1EEEvT0_T1_SA_ ; -- Begin function _ZN6thrust23THRUST_200600_302600_NS11hip_rocprim14__parallel_for6kernelILj256ENS1_20__uninitialized_fill7functorINS0_10device_ptrItEEtEEmLj1EEEvT0_T1_SA_
	.globl	_ZN6thrust23THRUST_200600_302600_NS11hip_rocprim14__parallel_for6kernelILj256ENS1_20__uninitialized_fill7functorINS0_10device_ptrItEEtEEmLj1EEEvT0_T1_SA_
	.p2align	8
	.type	_ZN6thrust23THRUST_200600_302600_NS11hip_rocprim14__parallel_for6kernelILj256ENS1_20__uninitialized_fill7functorINS0_10device_ptrItEEtEEmLj1EEEvT0_T1_SA_,@function
_ZN6thrust23THRUST_200600_302600_NS11hip_rocprim14__parallel_for6kernelILj256ENS1_20__uninitialized_fill7functorINS0_10device_ptrItEEtEEmLj1EEEvT0_T1_SA_: ; @_ZN6thrust23THRUST_200600_302600_NS11hip_rocprim14__parallel_for6kernelILj256ENS1_20__uninitialized_fill7functorINS0_10device_ptrItEEtEEmLj1EEEvT0_T1_SA_
; %bb.0:
	s_load_b128 s[4:7], s[0:1], 0x10
	s_lshl_b32 s2, s15, 8
	s_waitcnt lgkmcnt(0)
	s_add_u32 s2, s2, s6
	s_addc_u32 s3, 0, s7
	s_sub_u32 s4, s4, s2
	s_subb_u32 s5, s5, s3
	s_delay_alu instid0(SALU_CYCLE_1) | instskip(NEXT) | instid1(VALU_DEP_1)
	v_cmp_gt_u64_e64 s5, 0x100, s[4:5]
	s_and_b32 vcc_lo, exec_lo, s5
	s_mov_b32 s5, 0
	s_cbranch_vccz .LBB58_2
; %bb.1:
	v_cmp_gt_u32_e32 vcc_lo, s4, v0
	s_and_b32 s5, vcc_lo, exec_lo
	s_cbranch_execz .LBB58_3
	s_branch .LBB58_4
.LBB58_2:
.LBB58_3:
	s_or_b32 s5, s5, exec_lo
.LBB58_4:
	s_delay_alu instid0(SALU_CYCLE_1)
	s_and_saveexec_b32 s4, s5
	s_cbranch_execnz .LBB58_6
; %bb.5:
	s_endpgm
.LBB58_6:
	s_clause 0x1
	s_load_b64 s[4:5], s[0:1], 0x0
	s_load_b32 s6, s[0:1], 0x8
	v_mov_b32_e32 v1, 0
	s_lshl_b64 s[0:1], s[2:3], 1
	s_waitcnt lgkmcnt(0)
	s_add_u32 s0, s4, s0
	v_mov_b32_e32 v2, s6
	v_lshlrev_b64 v[0:1], 1, v[0:1]
	s_addc_u32 s1, s5, s1
	s_delay_alu instid0(VALU_DEP_1) | instskip(NEXT) | instid1(VALU_DEP_2)
	v_add_co_u32 v0, vcc_lo, s0, v0
	v_add_co_ci_u32_e32 v1, vcc_lo, s1, v1, vcc_lo
	flat_store_b16 v[0:1], v2
	s_endpgm
	.section	.rodata,"a",@progbits
	.p2align	6, 0x0
	.amdhsa_kernel _ZN6thrust23THRUST_200600_302600_NS11hip_rocprim14__parallel_for6kernelILj256ENS1_20__uninitialized_fill7functorINS0_10device_ptrItEEtEEmLj1EEEvT0_T1_SA_
		.amdhsa_group_segment_fixed_size 0
		.amdhsa_private_segment_fixed_size 0
		.amdhsa_kernarg_size 32
		.amdhsa_user_sgpr_count 15
		.amdhsa_user_sgpr_dispatch_ptr 0
		.amdhsa_user_sgpr_queue_ptr 0
		.amdhsa_user_sgpr_kernarg_segment_ptr 1
		.amdhsa_user_sgpr_dispatch_id 0
		.amdhsa_user_sgpr_private_segment_size 0
		.amdhsa_wavefront_size32 1
		.amdhsa_uses_dynamic_stack 0
		.amdhsa_enable_private_segment 0
		.amdhsa_system_sgpr_workgroup_id_x 1
		.amdhsa_system_sgpr_workgroup_id_y 0
		.amdhsa_system_sgpr_workgroup_id_z 0
		.amdhsa_system_sgpr_workgroup_info 0
		.amdhsa_system_vgpr_workitem_id 0
		.amdhsa_next_free_vgpr 3
		.amdhsa_next_free_sgpr 16
		.amdhsa_reserve_vcc 1
		.amdhsa_float_round_mode_32 0
		.amdhsa_float_round_mode_16_64 0
		.amdhsa_float_denorm_mode_32 3
		.amdhsa_float_denorm_mode_16_64 3
		.amdhsa_dx10_clamp 1
		.amdhsa_ieee_mode 1
		.amdhsa_fp16_overflow 0
		.amdhsa_workgroup_processor_mode 1
		.amdhsa_memory_ordered 1
		.amdhsa_forward_progress 0
		.amdhsa_shared_vgpr_count 0
		.amdhsa_exception_fp_ieee_invalid_op 0
		.amdhsa_exception_fp_denorm_src 0
		.amdhsa_exception_fp_ieee_div_zero 0
		.amdhsa_exception_fp_ieee_overflow 0
		.amdhsa_exception_fp_ieee_underflow 0
		.amdhsa_exception_fp_ieee_inexact 0
		.amdhsa_exception_int_div_zero 0
	.end_amdhsa_kernel
	.section	.text._ZN6thrust23THRUST_200600_302600_NS11hip_rocprim14__parallel_for6kernelILj256ENS1_20__uninitialized_fill7functorINS0_10device_ptrItEEtEEmLj1EEEvT0_T1_SA_,"axG",@progbits,_ZN6thrust23THRUST_200600_302600_NS11hip_rocprim14__parallel_for6kernelILj256ENS1_20__uninitialized_fill7functorINS0_10device_ptrItEEtEEmLj1EEEvT0_T1_SA_,comdat
.Lfunc_end58:
	.size	_ZN6thrust23THRUST_200600_302600_NS11hip_rocprim14__parallel_for6kernelILj256ENS1_20__uninitialized_fill7functorINS0_10device_ptrItEEtEEmLj1EEEvT0_T1_SA_, .Lfunc_end58-_ZN6thrust23THRUST_200600_302600_NS11hip_rocprim14__parallel_for6kernelILj256ENS1_20__uninitialized_fill7functorINS0_10device_ptrItEEtEEmLj1EEEvT0_T1_SA_
                                        ; -- End function
	.section	.AMDGPU.csdata,"",@progbits
; Kernel info:
; codeLenInByte = 176
; NumSgprs: 18
; NumVgprs: 3
; ScratchSize: 0
; MemoryBound: 0
; FloatMode: 240
; IeeeMode: 1
; LDSByteSize: 0 bytes/workgroup (compile time only)
; SGPRBlocks: 2
; VGPRBlocks: 0
; NumSGPRsForWavesPerEU: 18
; NumVGPRsForWavesPerEU: 3
; Occupancy: 16
; WaveLimiterHint : 0
; COMPUTE_PGM_RSRC2:SCRATCH_EN: 0
; COMPUTE_PGM_RSRC2:USER_SGPR: 15
; COMPUTE_PGM_RSRC2:TRAP_HANDLER: 0
; COMPUTE_PGM_RSRC2:TGID_X_EN: 1
; COMPUTE_PGM_RSRC2:TGID_Y_EN: 0
; COMPUTE_PGM_RSRC2:TGID_Z_EN: 0
; COMPUTE_PGM_RSRC2:TIDIG_COMP_CNT: 0
	.section	.text._ZN6thrust23THRUST_200600_302600_NS11hip_rocprim14__parallel_for6kernelILj256ENS1_20__uninitialized_fill7functorINS0_10device_ptrIxEExEEmLj1EEEvT0_T1_SA_,"axG",@progbits,_ZN6thrust23THRUST_200600_302600_NS11hip_rocprim14__parallel_for6kernelILj256ENS1_20__uninitialized_fill7functorINS0_10device_ptrIxEExEEmLj1EEEvT0_T1_SA_,comdat
	.protected	_ZN6thrust23THRUST_200600_302600_NS11hip_rocprim14__parallel_for6kernelILj256ENS1_20__uninitialized_fill7functorINS0_10device_ptrIxEExEEmLj1EEEvT0_T1_SA_ ; -- Begin function _ZN6thrust23THRUST_200600_302600_NS11hip_rocprim14__parallel_for6kernelILj256ENS1_20__uninitialized_fill7functorINS0_10device_ptrIxEExEEmLj1EEEvT0_T1_SA_
	.globl	_ZN6thrust23THRUST_200600_302600_NS11hip_rocprim14__parallel_for6kernelILj256ENS1_20__uninitialized_fill7functorINS0_10device_ptrIxEExEEmLj1EEEvT0_T1_SA_
	.p2align	8
	.type	_ZN6thrust23THRUST_200600_302600_NS11hip_rocprim14__parallel_for6kernelILj256ENS1_20__uninitialized_fill7functorINS0_10device_ptrIxEExEEmLj1EEEvT0_T1_SA_,@function
_ZN6thrust23THRUST_200600_302600_NS11hip_rocprim14__parallel_for6kernelILj256ENS1_20__uninitialized_fill7functorINS0_10device_ptrIxEExEEmLj1EEEvT0_T1_SA_: ; @_ZN6thrust23THRUST_200600_302600_NS11hip_rocprim14__parallel_for6kernelILj256ENS1_20__uninitialized_fill7functorINS0_10device_ptrIxEExEEmLj1EEEvT0_T1_SA_
; %bb.0:
	s_load_b256 s[0:7], s[0:1], 0x0
	s_lshl_b32 s8, s15, 8
	s_waitcnt lgkmcnt(0)
	s_add_u32 s6, s8, s6
	s_addc_u32 s7, 0, s7
	s_sub_u32 s4, s4, s6
	s_subb_u32 s5, s5, s7
	s_delay_alu instid0(SALU_CYCLE_1) | instskip(NEXT) | instid1(VALU_DEP_1)
	v_cmp_gt_u64_e64 s5, 0x100, s[4:5]
	s_and_b32 vcc_lo, exec_lo, s5
	s_mov_b32 s5, 0
	s_cbranch_vccz .LBB59_2
; %bb.1:
	v_cmp_gt_u32_e32 vcc_lo, s4, v0
	s_and_b32 s5, vcc_lo, exec_lo
	s_cbranch_execz .LBB59_3
	s_branch .LBB59_4
.LBB59_2:
.LBB59_3:
	s_or_b32 s5, s5, exec_lo
.LBB59_4:
	s_delay_alu instid0(SALU_CYCLE_1)
	s_and_saveexec_b32 s4, s5
	s_cbranch_execnz .LBB59_6
; %bb.5:
	s_endpgm
.LBB59_6:
	v_dual_mov_b32 v1, 0 :: v_dual_mov_b32 v2, s2
	s_lshl_b64 s[4:5], s[6:7], 3
	v_mov_b32_e32 v3, s3
	s_add_u32 s0, s0, s4
	s_delay_alu instid0(VALU_DEP_2) | instskip(SKIP_1) | instid1(VALU_DEP_1)
	v_lshlrev_b64 v[0:1], 3, v[0:1]
	s_addc_u32 s1, s1, s5
	v_add_co_u32 v0, vcc_lo, s0, v0
	s_delay_alu instid0(VALU_DEP_2)
	v_add_co_ci_u32_e32 v1, vcc_lo, s1, v1, vcc_lo
	flat_store_b64 v[0:1], v[2:3]
	s_endpgm
	.section	.rodata,"a",@progbits
	.p2align	6, 0x0
	.amdhsa_kernel _ZN6thrust23THRUST_200600_302600_NS11hip_rocprim14__parallel_for6kernelILj256ENS1_20__uninitialized_fill7functorINS0_10device_ptrIxEExEEmLj1EEEvT0_T1_SA_
		.amdhsa_group_segment_fixed_size 0
		.amdhsa_private_segment_fixed_size 0
		.amdhsa_kernarg_size 32
		.amdhsa_user_sgpr_count 15
		.amdhsa_user_sgpr_dispatch_ptr 0
		.amdhsa_user_sgpr_queue_ptr 0
		.amdhsa_user_sgpr_kernarg_segment_ptr 1
		.amdhsa_user_sgpr_dispatch_id 0
		.amdhsa_user_sgpr_private_segment_size 0
		.amdhsa_wavefront_size32 1
		.amdhsa_uses_dynamic_stack 0
		.amdhsa_enable_private_segment 0
		.amdhsa_system_sgpr_workgroup_id_x 1
		.amdhsa_system_sgpr_workgroup_id_y 0
		.amdhsa_system_sgpr_workgroup_id_z 0
		.amdhsa_system_sgpr_workgroup_info 0
		.amdhsa_system_vgpr_workitem_id 0
		.amdhsa_next_free_vgpr 4
		.amdhsa_next_free_sgpr 16
		.amdhsa_reserve_vcc 1
		.amdhsa_float_round_mode_32 0
		.amdhsa_float_round_mode_16_64 0
		.amdhsa_float_denorm_mode_32 3
		.amdhsa_float_denorm_mode_16_64 3
		.amdhsa_dx10_clamp 1
		.amdhsa_ieee_mode 1
		.amdhsa_fp16_overflow 0
		.amdhsa_workgroup_processor_mode 1
		.amdhsa_memory_ordered 1
		.amdhsa_forward_progress 0
		.amdhsa_shared_vgpr_count 0
		.amdhsa_exception_fp_ieee_invalid_op 0
		.amdhsa_exception_fp_denorm_src 0
		.amdhsa_exception_fp_ieee_div_zero 0
		.amdhsa_exception_fp_ieee_overflow 0
		.amdhsa_exception_fp_ieee_underflow 0
		.amdhsa_exception_fp_ieee_inexact 0
		.amdhsa_exception_int_div_zero 0
	.end_amdhsa_kernel
	.section	.text._ZN6thrust23THRUST_200600_302600_NS11hip_rocprim14__parallel_for6kernelILj256ENS1_20__uninitialized_fill7functorINS0_10device_ptrIxEExEEmLj1EEEvT0_T1_SA_,"axG",@progbits,_ZN6thrust23THRUST_200600_302600_NS11hip_rocprim14__parallel_for6kernelILj256ENS1_20__uninitialized_fill7functorINS0_10device_ptrIxEExEEmLj1EEEvT0_T1_SA_,comdat
.Lfunc_end59:
	.size	_ZN6thrust23THRUST_200600_302600_NS11hip_rocprim14__parallel_for6kernelILj256ENS1_20__uninitialized_fill7functorINS0_10device_ptrIxEExEEmLj1EEEvT0_T1_SA_, .Lfunc_end59-_ZN6thrust23THRUST_200600_302600_NS11hip_rocprim14__parallel_for6kernelILj256ENS1_20__uninitialized_fill7functorINS0_10device_ptrIxEExEEmLj1EEEvT0_T1_SA_
                                        ; -- End function
	.section	.AMDGPU.csdata,"",@progbits
; Kernel info:
; codeLenInByte = 160
; NumSgprs: 18
; NumVgprs: 4
; ScratchSize: 0
; MemoryBound: 0
; FloatMode: 240
; IeeeMode: 1
; LDSByteSize: 0 bytes/workgroup (compile time only)
; SGPRBlocks: 2
; VGPRBlocks: 0
; NumSGPRsForWavesPerEU: 18
; NumVGPRsForWavesPerEU: 4
; Occupancy: 16
; WaveLimiterHint : 0
; COMPUTE_PGM_RSRC2:SCRATCH_EN: 0
; COMPUTE_PGM_RSRC2:USER_SGPR: 15
; COMPUTE_PGM_RSRC2:TRAP_HANDLER: 0
; COMPUTE_PGM_RSRC2:TGID_X_EN: 1
; COMPUTE_PGM_RSRC2:TGID_Y_EN: 0
; COMPUTE_PGM_RSRC2:TGID_Z_EN: 0
; COMPUTE_PGM_RSRC2:TIDIG_COMP_CNT: 0
	.section	.text._ZN6thrust23THRUST_200600_302600_NS11hip_rocprim14__parallel_for6kernelILj256ENS1_20__uninitialized_fill7functorINS0_10device_ptrIsEEsEEmLj1EEEvT0_T1_SA_,"axG",@progbits,_ZN6thrust23THRUST_200600_302600_NS11hip_rocprim14__parallel_for6kernelILj256ENS1_20__uninitialized_fill7functorINS0_10device_ptrIsEEsEEmLj1EEEvT0_T1_SA_,comdat
	.protected	_ZN6thrust23THRUST_200600_302600_NS11hip_rocprim14__parallel_for6kernelILj256ENS1_20__uninitialized_fill7functorINS0_10device_ptrIsEEsEEmLj1EEEvT0_T1_SA_ ; -- Begin function _ZN6thrust23THRUST_200600_302600_NS11hip_rocprim14__parallel_for6kernelILj256ENS1_20__uninitialized_fill7functorINS0_10device_ptrIsEEsEEmLj1EEEvT0_T1_SA_
	.globl	_ZN6thrust23THRUST_200600_302600_NS11hip_rocprim14__parallel_for6kernelILj256ENS1_20__uninitialized_fill7functorINS0_10device_ptrIsEEsEEmLj1EEEvT0_T1_SA_
	.p2align	8
	.type	_ZN6thrust23THRUST_200600_302600_NS11hip_rocprim14__parallel_for6kernelILj256ENS1_20__uninitialized_fill7functorINS0_10device_ptrIsEEsEEmLj1EEEvT0_T1_SA_,@function
_ZN6thrust23THRUST_200600_302600_NS11hip_rocprim14__parallel_for6kernelILj256ENS1_20__uninitialized_fill7functorINS0_10device_ptrIsEEsEEmLj1EEEvT0_T1_SA_: ; @_ZN6thrust23THRUST_200600_302600_NS11hip_rocprim14__parallel_for6kernelILj256ENS1_20__uninitialized_fill7functorINS0_10device_ptrIsEEsEEmLj1EEEvT0_T1_SA_
; %bb.0:
	s_load_b128 s[4:7], s[0:1], 0x10
	s_lshl_b32 s2, s15, 8
	s_waitcnt lgkmcnt(0)
	s_add_u32 s2, s2, s6
	s_addc_u32 s3, 0, s7
	s_sub_u32 s4, s4, s2
	s_subb_u32 s5, s5, s3
	s_delay_alu instid0(SALU_CYCLE_1) | instskip(NEXT) | instid1(VALU_DEP_1)
	v_cmp_gt_u64_e64 s5, 0x100, s[4:5]
	s_and_b32 vcc_lo, exec_lo, s5
	s_mov_b32 s5, 0
	s_cbranch_vccz .LBB60_2
; %bb.1:
	v_cmp_gt_u32_e32 vcc_lo, s4, v0
	s_and_b32 s5, vcc_lo, exec_lo
	s_cbranch_execz .LBB60_3
	s_branch .LBB60_4
.LBB60_2:
.LBB60_3:
	s_or_b32 s5, s5, exec_lo
.LBB60_4:
	s_delay_alu instid0(SALU_CYCLE_1)
	s_and_saveexec_b32 s4, s5
	s_cbranch_execnz .LBB60_6
; %bb.5:
	s_endpgm
.LBB60_6:
	s_clause 0x1
	s_load_b64 s[4:5], s[0:1], 0x0
	s_load_b32 s6, s[0:1], 0x8
	v_mov_b32_e32 v1, 0
	s_lshl_b64 s[0:1], s[2:3], 1
	s_waitcnt lgkmcnt(0)
	s_add_u32 s0, s4, s0
	v_mov_b32_e32 v2, s6
	v_lshlrev_b64 v[0:1], 1, v[0:1]
	s_addc_u32 s1, s5, s1
	s_delay_alu instid0(VALU_DEP_1) | instskip(NEXT) | instid1(VALU_DEP_2)
	v_add_co_u32 v0, vcc_lo, s0, v0
	v_add_co_ci_u32_e32 v1, vcc_lo, s1, v1, vcc_lo
	flat_store_b16 v[0:1], v2
	s_endpgm
	.section	.rodata,"a",@progbits
	.p2align	6, 0x0
	.amdhsa_kernel _ZN6thrust23THRUST_200600_302600_NS11hip_rocprim14__parallel_for6kernelILj256ENS1_20__uninitialized_fill7functorINS0_10device_ptrIsEEsEEmLj1EEEvT0_T1_SA_
		.amdhsa_group_segment_fixed_size 0
		.amdhsa_private_segment_fixed_size 0
		.amdhsa_kernarg_size 32
		.amdhsa_user_sgpr_count 15
		.amdhsa_user_sgpr_dispatch_ptr 0
		.amdhsa_user_sgpr_queue_ptr 0
		.amdhsa_user_sgpr_kernarg_segment_ptr 1
		.amdhsa_user_sgpr_dispatch_id 0
		.amdhsa_user_sgpr_private_segment_size 0
		.amdhsa_wavefront_size32 1
		.amdhsa_uses_dynamic_stack 0
		.amdhsa_enable_private_segment 0
		.amdhsa_system_sgpr_workgroup_id_x 1
		.amdhsa_system_sgpr_workgroup_id_y 0
		.amdhsa_system_sgpr_workgroup_id_z 0
		.amdhsa_system_sgpr_workgroup_info 0
		.amdhsa_system_vgpr_workitem_id 0
		.amdhsa_next_free_vgpr 3
		.amdhsa_next_free_sgpr 16
		.amdhsa_reserve_vcc 1
		.amdhsa_float_round_mode_32 0
		.amdhsa_float_round_mode_16_64 0
		.amdhsa_float_denorm_mode_32 3
		.amdhsa_float_denorm_mode_16_64 3
		.amdhsa_dx10_clamp 1
		.amdhsa_ieee_mode 1
		.amdhsa_fp16_overflow 0
		.amdhsa_workgroup_processor_mode 1
		.amdhsa_memory_ordered 1
		.amdhsa_forward_progress 0
		.amdhsa_shared_vgpr_count 0
		.amdhsa_exception_fp_ieee_invalid_op 0
		.amdhsa_exception_fp_denorm_src 0
		.amdhsa_exception_fp_ieee_div_zero 0
		.amdhsa_exception_fp_ieee_overflow 0
		.amdhsa_exception_fp_ieee_underflow 0
		.amdhsa_exception_fp_ieee_inexact 0
		.amdhsa_exception_int_div_zero 0
	.end_amdhsa_kernel
	.section	.text._ZN6thrust23THRUST_200600_302600_NS11hip_rocprim14__parallel_for6kernelILj256ENS1_20__uninitialized_fill7functorINS0_10device_ptrIsEEsEEmLj1EEEvT0_T1_SA_,"axG",@progbits,_ZN6thrust23THRUST_200600_302600_NS11hip_rocprim14__parallel_for6kernelILj256ENS1_20__uninitialized_fill7functorINS0_10device_ptrIsEEsEEmLj1EEEvT0_T1_SA_,comdat
.Lfunc_end60:
	.size	_ZN6thrust23THRUST_200600_302600_NS11hip_rocprim14__parallel_for6kernelILj256ENS1_20__uninitialized_fill7functorINS0_10device_ptrIsEEsEEmLj1EEEvT0_T1_SA_, .Lfunc_end60-_ZN6thrust23THRUST_200600_302600_NS11hip_rocprim14__parallel_for6kernelILj256ENS1_20__uninitialized_fill7functorINS0_10device_ptrIsEEsEEmLj1EEEvT0_T1_SA_
                                        ; -- End function
	.section	.AMDGPU.csdata,"",@progbits
; Kernel info:
; codeLenInByte = 176
; NumSgprs: 18
; NumVgprs: 3
; ScratchSize: 0
; MemoryBound: 0
; FloatMode: 240
; IeeeMode: 1
; LDSByteSize: 0 bytes/workgroup (compile time only)
; SGPRBlocks: 2
; VGPRBlocks: 0
; NumSGPRsForWavesPerEU: 18
; NumVGPRsForWavesPerEU: 3
; Occupancy: 16
; WaveLimiterHint : 0
; COMPUTE_PGM_RSRC2:SCRATCH_EN: 0
; COMPUTE_PGM_RSRC2:USER_SGPR: 15
; COMPUTE_PGM_RSRC2:TRAP_HANDLER: 0
; COMPUTE_PGM_RSRC2:TGID_X_EN: 1
; COMPUTE_PGM_RSRC2:TGID_Y_EN: 0
; COMPUTE_PGM_RSRC2:TGID_Z_EN: 0
; COMPUTE_PGM_RSRC2:TIDIG_COMP_CNT: 0
	.section	.text._ZN6thrust23THRUST_200600_302600_NS11hip_rocprim14__parallel_for6kernelILj256ENS1_11__transform17unary_transform_fINS0_6detail15normal_iteratorINS0_10device_ptrI10large_dataEEEENS7_INS8_IfEEEENS4_14no_stencil_tagENS0_8identityIS9_EENS4_21always_true_predicateEEElLj1EEEvT0_T1_SK_,"axG",@progbits,_ZN6thrust23THRUST_200600_302600_NS11hip_rocprim14__parallel_for6kernelILj256ENS1_11__transform17unary_transform_fINS0_6detail15normal_iteratorINS0_10device_ptrI10large_dataEEEENS7_INS8_IfEEEENS4_14no_stencil_tagENS0_8identityIS9_EENS4_21always_true_predicateEEElLj1EEEvT0_T1_SK_,comdat
	.protected	_ZN6thrust23THRUST_200600_302600_NS11hip_rocprim14__parallel_for6kernelILj256ENS1_11__transform17unary_transform_fINS0_6detail15normal_iteratorINS0_10device_ptrI10large_dataEEEENS7_INS8_IfEEEENS4_14no_stencil_tagENS0_8identityIS9_EENS4_21always_true_predicateEEElLj1EEEvT0_T1_SK_ ; -- Begin function _ZN6thrust23THRUST_200600_302600_NS11hip_rocprim14__parallel_for6kernelILj256ENS1_11__transform17unary_transform_fINS0_6detail15normal_iteratorINS0_10device_ptrI10large_dataEEEENS7_INS8_IfEEEENS4_14no_stencil_tagENS0_8identityIS9_EENS4_21always_true_predicateEEElLj1EEEvT0_T1_SK_
	.globl	_ZN6thrust23THRUST_200600_302600_NS11hip_rocprim14__parallel_for6kernelILj256ENS1_11__transform17unary_transform_fINS0_6detail15normal_iteratorINS0_10device_ptrI10large_dataEEEENS7_INS8_IfEEEENS4_14no_stencil_tagENS0_8identityIS9_EENS4_21always_true_predicateEEElLj1EEEvT0_T1_SK_
	.p2align	8
	.type	_ZN6thrust23THRUST_200600_302600_NS11hip_rocprim14__parallel_for6kernelILj256ENS1_11__transform17unary_transform_fINS0_6detail15normal_iteratorINS0_10device_ptrI10large_dataEEEENS7_INS8_IfEEEENS4_14no_stencil_tagENS0_8identityIS9_EENS4_21always_true_predicateEEElLj1EEEvT0_T1_SK_,@function
_ZN6thrust23THRUST_200600_302600_NS11hip_rocprim14__parallel_for6kernelILj256ENS1_11__transform17unary_transform_fINS0_6detail15normal_iteratorINS0_10device_ptrI10large_dataEEEENS7_INS8_IfEEEENS4_14no_stencil_tagENS0_8identityIS9_EENS4_21always_true_predicateEEElLj1EEEvT0_T1_SK_: ; @_ZN6thrust23THRUST_200600_302600_NS11hip_rocprim14__parallel_for6kernelILj256ENS1_11__transform17unary_transform_fINS0_6detail15normal_iteratorINS0_10device_ptrI10large_dataEEEENS7_INS8_IfEEEENS4_14no_stencil_tagENS0_8identityIS9_EENS4_21always_true_predicateEEElLj1EEEvT0_T1_SK_
; %bb.0:
	s_clause 0x1
	s_load_b128 s[8:11], s[0:1], 0x18
	s_load_b128 s[0:3], s[0:1], 0x0
	s_lshl_b32 s4, s15, 8
	s_waitcnt lgkmcnt(0)
	s_add_u32 s4, s4, s10
	s_addc_u32 s5, 0, s11
	s_sub_u32 s6, s8, s4
	s_subb_u32 s7, s9, s5
	s_delay_alu instid0(SALU_CYCLE_1) | instskip(NEXT) | instid1(VALU_DEP_1)
	v_cmp_gt_i64_e64 s7, 0x100, s[6:7]
	s_and_b32 s7, s7, exec_lo
	s_cselect_b32 s7, s6, 0x100
	s_mov_b32 s6, -1
	s_cmpk_lg_i32 s7, 0x100
	s_cbranch_scc1 .LBB61_3
; %bb.1:
	s_and_not1_b32 vcc_lo, exec_lo, s6
	s_cbranch_vccz .LBB61_6
.LBB61_2:
	s_endpgm
.LBB61_3:
	s_mov_b32 s6, exec_lo
	v_cmpx_gt_u32_e64 s7, v0
	s_cbranch_execz .LBB61_5
; %bb.4:
	v_add_co_u32 v1, s7, s4, v0
	s_delay_alu instid0(VALU_DEP_1) | instskip(NEXT) | instid1(VALU_DEP_1)
	v_add_co_ci_u32_e64 v2, null, s5, 0, s7
	v_lshlrev_b64 v[3:4], 9, v[1:2]
	v_lshlrev_b64 v[1:2], 2, v[1:2]
	s_delay_alu instid0(VALU_DEP_2) | instskip(NEXT) | instid1(VALU_DEP_3)
	v_add_co_u32 v3, vcc_lo, s0, v3
	v_add_co_ci_u32_e32 v4, vcc_lo, s1, v4, vcc_lo
	s_delay_alu instid0(VALU_DEP_3) | instskip(NEXT) | instid1(VALU_DEP_4)
	v_add_co_u32 v1, vcc_lo, s2, v1
	v_add_co_ci_u32_e32 v2, vcc_lo, s3, v2, vcc_lo
	flat_load_i8 v3, v[3:4]
	s_waitcnt vmcnt(0) lgkmcnt(0)
	v_cvt_f32_i32_e32 v3, v3
	flat_store_b32 v[1:2], v3
.LBB61_5:
	s_or_b32 exec_lo, exec_lo, s6
	s_cbranch_execnz .LBB61_2
.LBB61_6:
	v_add_co_u32 v0, s4, s4, v0
	s_delay_alu instid0(VALU_DEP_1) | instskip(NEXT) | instid1(VALU_DEP_1)
	v_add_co_ci_u32_e64 v1, null, s5, 0, s4
	v_lshlrev_b64 v[2:3], 9, v[0:1]
	v_lshlrev_b64 v[0:1], 2, v[0:1]
	s_delay_alu instid0(VALU_DEP_2) | instskip(NEXT) | instid1(VALU_DEP_3)
	v_add_co_u32 v2, vcc_lo, s0, v2
	v_add_co_ci_u32_e32 v3, vcc_lo, s1, v3, vcc_lo
	s_delay_alu instid0(VALU_DEP_3) | instskip(NEXT) | instid1(VALU_DEP_4)
	v_add_co_u32 v0, vcc_lo, s2, v0
	v_add_co_ci_u32_e32 v1, vcc_lo, s3, v1, vcc_lo
	flat_load_i8 v2, v[2:3]
	s_waitcnt vmcnt(0) lgkmcnt(0)
	v_cvt_f32_i32_e32 v2, v2
	flat_store_b32 v[0:1], v2
	s_endpgm
	.section	.rodata,"a",@progbits
	.p2align	6, 0x0
	.amdhsa_kernel _ZN6thrust23THRUST_200600_302600_NS11hip_rocprim14__parallel_for6kernelILj256ENS1_11__transform17unary_transform_fINS0_6detail15normal_iteratorINS0_10device_ptrI10large_dataEEEENS7_INS8_IfEEEENS4_14no_stencil_tagENS0_8identityIS9_EENS4_21always_true_predicateEEElLj1EEEvT0_T1_SK_
		.amdhsa_group_segment_fixed_size 0
		.amdhsa_private_segment_fixed_size 0
		.amdhsa_kernarg_size 40
		.amdhsa_user_sgpr_count 15
		.amdhsa_user_sgpr_dispatch_ptr 0
		.amdhsa_user_sgpr_queue_ptr 0
		.amdhsa_user_sgpr_kernarg_segment_ptr 1
		.amdhsa_user_sgpr_dispatch_id 0
		.amdhsa_user_sgpr_private_segment_size 0
		.amdhsa_wavefront_size32 1
		.amdhsa_uses_dynamic_stack 0
		.amdhsa_enable_private_segment 0
		.amdhsa_system_sgpr_workgroup_id_x 1
		.amdhsa_system_sgpr_workgroup_id_y 0
		.amdhsa_system_sgpr_workgroup_id_z 0
		.amdhsa_system_sgpr_workgroup_info 0
		.amdhsa_system_vgpr_workitem_id 0
		.amdhsa_next_free_vgpr 5
		.amdhsa_next_free_sgpr 16
		.amdhsa_reserve_vcc 1
		.amdhsa_float_round_mode_32 0
		.amdhsa_float_round_mode_16_64 0
		.amdhsa_float_denorm_mode_32 3
		.amdhsa_float_denorm_mode_16_64 3
		.amdhsa_dx10_clamp 1
		.amdhsa_ieee_mode 1
		.amdhsa_fp16_overflow 0
		.amdhsa_workgroup_processor_mode 1
		.amdhsa_memory_ordered 1
		.amdhsa_forward_progress 0
		.amdhsa_shared_vgpr_count 0
		.amdhsa_exception_fp_ieee_invalid_op 0
		.amdhsa_exception_fp_denorm_src 0
		.amdhsa_exception_fp_ieee_div_zero 0
		.amdhsa_exception_fp_ieee_overflow 0
		.amdhsa_exception_fp_ieee_underflow 0
		.amdhsa_exception_fp_ieee_inexact 0
		.amdhsa_exception_int_div_zero 0
	.end_amdhsa_kernel
	.section	.text._ZN6thrust23THRUST_200600_302600_NS11hip_rocprim14__parallel_for6kernelILj256ENS1_11__transform17unary_transform_fINS0_6detail15normal_iteratorINS0_10device_ptrI10large_dataEEEENS7_INS8_IfEEEENS4_14no_stencil_tagENS0_8identityIS9_EENS4_21always_true_predicateEEElLj1EEEvT0_T1_SK_,"axG",@progbits,_ZN6thrust23THRUST_200600_302600_NS11hip_rocprim14__parallel_for6kernelILj256ENS1_11__transform17unary_transform_fINS0_6detail15normal_iteratorINS0_10device_ptrI10large_dataEEEENS7_INS8_IfEEEENS4_14no_stencil_tagENS0_8identityIS9_EENS4_21always_true_predicateEEElLj1EEEvT0_T1_SK_,comdat
.Lfunc_end61:
	.size	_ZN6thrust23THRUST_200600_302600_NS11hip_rocprim14__parallel_for6kernelILj256ENS1_11__transform17unary_transform_fINS0_6detail15normal_iteratorINS0_10device_ptrI10large_dataEEEENS7_INS8_IfEEEENS4_14no_stencil_tagENS0_8identityIS9_EENS4_21always_true_predicateEEElLj1EEEvT0_T1_SK_, .Lfunc_end61-_ZN6thrust23THRUST_200600_302600_NS11hip_rocprim14__parallel_for6kernelILj256ENS1_11__transform17unary_transform_fINS0_6detail15normal_iteratorINS0_10device_ptrI10large_dataEEEENS7_INS8_IfEEEENS4_14no_stencil_tagENS0_8identityIS9_EENS4_21always_true_predicateEEElLj1EEEvT0_T1_SK_
                                        ; -- End function
	.section	.AMDGPU.csdata,"",@progbits
; Kernel info:
; codeLenInByte = 308
; NumSgprs: 18
; NumVgprs: 5
; ScratchSize: 0
; MemoryBound: 0
; FloatMode: 240
; IeeeMode: 1
; LDSByteSize: 0 bytes/workgroup (compile time only)
; SGPRBlocks: 2
; VGPRBlocks: 0
; NumSGPRsForWavesPerEU: 18
; NumVGPRsForWavesPerEU: 5
; Occupancy: 16
; WaveLimiterHint : 0
; COMPUTE_PGM_RSRC2:SCRATCH_EN: 0
; COMPUTE_PGM_RSRC2:USER_SGPR: 15
; COMPUTE_PGM_RSRC2:TRAP_HANDLER: 0
; COMPUTE_PGM_RSRC2:TGID_X_EN: 1
; COMPUTE_PGM_RSRC2:TGID_Y_EN: 0
; COMPUTE_PGM_RSRC2:TGID_Z_EN: 0
; COMPUTE_PGM_RSRC2:TIDIG_COMP_CNT: 0
	.section	.text._ZN6thrust23THRUST_200600_302600_NS11hip_rocprim14__parallel_for6kernelILj256ENS1_11__transform17unary_transform_fINS0_10device_ptrI10large_dataEENS6_IfEENS4_14no_stencil_tagENS0_8identityIS7_EENS4_21always_true_predicateEEElLj1EEEvT0_T1_SG_,"axG",@progbits,_ZN6thrust23THRUST_200600_302600_NS11hip_rocprim14__parallel_for6kernelILj256ENS1_11__transform17unary_transform_fINS0_10device_ptrI10large_dataEENS6_IfEENS4_14no_stencil_tagENS0_8identityIS7_EENS4_21always_true_predicateEEElLj1EEEvT0_T1_SG_,comdat
	.protected	_ZN6thrust23THRUST_200600_302600_NS11hip_rocprim14__parallel_for6kernelILj256ENS1_11__transform17unary_transform_fINS0_10device_ptrI10large_dataEENS6_IfEENS4_14no_stencil_tagENS0_8identityIS7_EENS4_21always_true_predicateEEElLj1EEEvT0_T1_SG_ ; -- Begin function _ZN6thrust23THRUST_200600_302600_NS11hip_rocprim14__parallel_for6kernelILj256ENS1_11__transform17unary_transform_fINS0_10device_ptrI10large_dataEENS6_IfEENS4_14no_stencil_tagENS0_8identityIS7_EENS4_21always_true_predicateEEElLj1EEEvT0_T1_SG_
	.globl	_ZN6thrust23THRUST_200600_302600_NS11hip_rocprim14__parallel_for6kernelILj256ENS1_11__transform17unary_transform_fINS0_10device_ptrI10large_dataEENS6_IfEENS4_14no_stencil_tagENS0_8identityIS7_EENS4_21always_true_predicateEEElLj1EEEvT0_T1_SG_
	.p2align	8
	.type	_ZN6thrust23THRUST_200600_302600_NS11hip_rocprim14__parallel_for6kernelILj256ENS1_11__transform17unary_transform_fINS0_10device_ptrI10large_dataEENS6_IfEENS4_14no_stencil_tagENS0_8identityIS7_EENS4_21always_true_predicateEEElLj1EEEvT0_T1_SG_,@function
_ZN6thrust23THRUST_200600_302600_NS11hip_rocprim14__parallel_for6kernelILj256ENS1_11__transform17unary_transform_fINS0_10device_ptrI10large_dataEENS6_IfEENS4_14no_stencil_tagENS0_8identityIS7_EENS4_21always_true_predicateEEElLj1EEEvT0_T1_SG_: ; @_ZN6thrust23THRUST_200600_302600_NS11hip_rocprim14__parallel_for6kernelILj256ENS1_11__transform17unary_transform_fINS0_10device_ptrI10large_dataEENS6_IfEENS4_14no_stencil_tagENS0_8identityIS7_EENS4_21always_true_predicateEEElLj1EEEvT0_T1_SG_
; %bb.0:
	s_clause 0x1
	s_load_b128 s[8:11], s[0:1], 0x18
	s_load_b128 s[0:3], s[0:1], 0x0
	s_lshl_b32 s4, s15, 8
	s_waitcnt lgkmcnt(0)
	s_add_u32 s4, s4, s10
	s_addc_u32 s5, 0, s11
	s_sub_u32 s6, s8, s4
	s_subb_u32 s7, s9, s5
	s_delay_alu instid0(SALU_CYCLE_1) | instskip(NEXT) | instid1(VALU_DEP_1)
	v_cmp_gt_i64_e64 s7, 0x100, s[6:7]
	s_and_b32 s7, s7, exec_lo
	s_cselect_b32 s7, s6, 0x100
	s_mov_b32 s6, -1
	s_cmpk_lg_i32 s7, 0x100
	s_cbranch_scc1 .LBB62_3
; %bb.1:
	s_and_not1_b32 vcc_lo, exec_lo, s6
	s_cbranch_vccz .LBB62_6
.LBB62_2:
	s_endpgm
.LBB62_3:
	s_mov_b32 s6, exec_lo
	v_cmpx_gt_u32_e64 s7, v0
	s_cbranch_execz .LBB62_5
; %bb.4:
	v_add_co_u32 v1, s7, s4, v0
	s_delay_alu instid0(VALU_DEP_1) | instskip(NEXT) | instid1(VALU_DEP_1)
	v_add_co_ci_u32_e64 v2, null, s5, 0, s7
	v_lshlrev_b64 v[3:4], 9, v[1:2]
	v_lshlrev_b64 v[1:2], 2, v[1:2]
	s_delay_alu instid0(VALU_DEP_2) | instskip(NEXT) | instid1(VALU_DEP_3)
	v_add_co_u32 v3, vcc_lo, s0, v3
	v_add_co_ci_u32_e32 v4, vcc_lo, s1, v4, vcc_lo
	s_delay_alu instid0(VALU_DEP_3) | instskip(NEXT) | instid1(VALU_DEP_4)
	v_add_co_u32 v1, vcc_lo, s2, v1
	v_add_co_ci_u32_e32 v2, vcc_lo, s3, v2, vcc_lo
	flat_load_i8 v3, v[3:4]
	s_waitcnt vmcnt(0) lgkmcnt(0)
	v_cvt_f32_i32_e32 v3, v3
	flat_store_b32 v[1:2], v3
.LBB62_5:
	s_or_b32 exec_lo, exec_lo, s6
	s_cbranch_execnz .LBB62_2
.LBB62_6:
	v_add_co_u32 v0, s4, s4, v0
	s_delay_alu instid0(VALU_DEP_1) | instskip(NEXT) | instid1(VALU_DEP_1)
	v_add_co_ci_u32_e64 v1, null, s5, 0, s4
	v_lshlrev_b64 v[2:3], 9, v[0:1]
	v_lshlrev_b64 v[0:1], 2, v[0:1]
	s_delay_alu instid0(VALU_DEP_2) | instskip(NEXT) | instid1(VALU_DEP_3)
	v_add_co_u32 v2, vcc_lo, s0, v2
	v_add_co_ci_u32_e32 v3, vcc_lo, s1, v3, vcc_lo
	s_delay_alu instid0(VALU_DEP_3) | instskip(NEXT) | instid1(VALU_DEP_4)
	v_add_co_u32 v0, vcc_lo, s2, v0
	v_add_co_ci_u32_e32 v1, vcc_lo, s3, v1, vcc_lo
	flat_load_i8 v2, v[2:3]
	s_waitcnt vmcnt(0) lgkmcnt(0)
	v_cvt_f32_i32_e32 v2, v2
	flat_store_b32 v[0:1], v2
	s_endpgm
	.section	.rodata,"a",@progbits
	.p2align	6, 0x0
	.amdhsa_kernel _ZN6thrust23THRUST_200600_302600_NS11hip_rocprim14__parallel_for6kernelILj256ENS1_11__transform17unary_transform_fINS0_10device_ptrI10large_dataEENS6_IfEENS4_14no_stencil_tagENS0_8identityIS7_EENS4_21always_true_predicateEEElLj1EEEvT0_T1_SG_
		.amdhsa_group_segment_fixed_size 0
		.amdhsa_private_segment_fixed_size 0
		.amdhsa_kernarg_size 40
		.amdhsa_user_sgpr_count 15
		.amdhsa_user_sgpr_dispatch_ptr 0
		.amdhsa_user_sgpr_queue_ptr 0
		.amdhsa_user_sgpr_kernarg_segment_ptr 1
		.amdhsa_user_sgpr_dispatch_id 0
		.amdhsa_user_sgpr_private_segment_size 0
		.amdhsa_wavefront_size32 1
		.amdhsa_uses_dynamic_stack 0
		.amdhsa_enable_private_segment 0
		.amdhsa_system_sgpr_workgroup_id_x 1
		.amdhsa_system_sgpr_workgroup_id_y 0
		.amdhsa_system_sgpr_workgroup_id_z 0
		.amdhsa_system_sgpr_workgroup_info 0
		.amdhsa_system_vgpr_workitem_id 0
		.amdhsa_next_free_vgpr 5
		.amdhsa_next_free_sgpr 16
		.amdhsa_reserve_vcc 1
		.amdhsa_float_round_mode_32 0
		.amdhsa_float_round_mode_16_64 0
		.amdhsa_float_denorm_mode_32 3
		.amdhsa_float_denorm_mode_16_64 3
		.amdhsa_dx10_clamp 1
		.amdhsa_ieee_mode 1
		.amdhsa_fp16_overflow 0
		.amdhsa_workgroup_processor_mode 1
		.amdhsa_memory_ordered 1
		.amdhsa_forward_progress 0
		.amdhsa_shared_vgpr_count 0
		.amdhsa_exception_fp_ieee_invalid_op 0
		.amdhsa_exception_fp_denorm_src 0
		.amdhsa_exception_fp_ieee_div_zero 0
		.amdhsa_exception_fp_ieee_overflow 0
		.amdhsa_exception_fp_ieee_underflow 0
		.amdhsa_exception_fp_ieee_inexact 0
		.amdhsa_exception_int_div_zero 0
	.end_amdhsa_kernel
	.section	.text._ZN6thrust23THRUST_200600_302600_NS11hip_rocprim14__parallel_for6kernelILj256ENS1_11__transform17unary_transform_fINS0_10device_ptrI10large_dataEENS6_IfEENS4_14no_stencil_tagENS0_8identityIS7_EENS4_21always_true_predicateEEElLj1EEEvT0_T1_SG_,"axG",@progbits,_ZN6thrust23THRUST_200600_302600_NS11hip_rocprim14__parallel_for6kernelILj256ENS1_11__transform17unary_transform_fINS0_10device_ptrI10large_dataEENS6_IfEENS4_14no_stencil_tagENS0_8identityIS7_EENS4_21always_true_predicateEEElLj1EEEvT0_T1_SG_,comdat
.Lfunc_end62:
	.size	_ZN6thrust23THRUST_200600_302600_NS11hip_rocprim14__parallel_for6kernelILj256ENS1_11__transform17unary_transform_fINS0_10device_ptrI10large_dataEENS6_IfEENS4_14no_stencil_tagENS0_8identityIS7_EENS4_21always_true_predicateEEElLj1EEEvT0_T1_SG_, .Lfunc_end62-_ZN6thrust23THRUST_200600_302600_NS11hip_rocprim14__parallel_for6kernelILj256ENS1_11__transform17unary_transform_fINS0_10device_ptrI10large_dataEENS6_IfEENS4_14no_stencil_tagENS0_8identityIS7_EENS4_21always_true_predicateEEElLj1EEEvT0_T1_SG_
                                        ; -- End function
	.section	.AMDGPU.csdata,"",@progbits
; Kernel info:
; codeLenInByte = 308
; NumSgprs: 18
; NumVgprs: 5
; ScratchSize: 0
; MemoryBound: 0
; FloatMode: 240
; IeeeMode: 1
; LDSByteSize: 0 bytes/workgroup (compile time only)
; SGPRBlocks: 2
; VGPRBlocks: 0
; NumSGPRsForWavesPerEU: 18
; NumVGPRsForWavesPerEU: 5
; Occupancy: 16
; WaveLimiterHint : 0
; COMPUTE_PGM_RSRC2:SCRATCH_EN: 0
; COMPUTE_PGM_RSRC2:USER_SGPR: 15
; COMPUTE_PGM_RSRC2:TRAP_HANDLER: 0
; COMPUTE_PGM_RSRC2:TGID_X_EN: 1
; COMPUTE_PGM_RSRC2:TGID_Y_EN: 0
; COMPUTE_PGM_RSRC2:TGID_Z_EN: 0
; COMPUTE_PGM_RSRC2:TIDIG_COMP_CNT: 0
	.section	.text._ZN6thrust23THRUST_200600_302600_NS11hip_rocprim14__parallel_for6kernelILj256ENS1_20__uninitialized_copy7functorINS0_6detail15normal_iteratorINS0_10device_ptrIdEEEENS0_7pointerIdNS1_3tagENS0_11use_defaultESD_EEEEmLj1EEEvT0_T1_SH_,"axG",@progbits,_ZN6thrust23THRUST_200600_302600_NS11hip_rocprim14__parallel_for6kernelILj256ENS1_20__uninitialized_copy7functorINS0_6detail15normal_iteratorINS0_10device_ptrIdEEEENS0_7pointerIdNS1_3tagENS0_11use_defaultESD_EEEEmLj1EEEvT0_T1_SH_,comdat
	.protected	_ZN6thrust23THRUST_200600_302600_NS11hip_rocprim14__parallel_for6kernelILj256ENS1_20__uninitialized_copy7functorINS0_6detail15normal_iteratorINS0_10device_ptrIdEEEENS0_7pointerIdNS1_3tagENS0_11use_defaultESD_EEEEmLj1EEEvT0_T1_SH_ ; -- Begin function _ZN6thrust23THRUST_200600_302600_NS11hip_rocprim14__parallel_for6kernelILj256ENS1_20__uninitialized_copy7functorINS0_6detail15normal_iteratorINS0_10device_ptrIdEEEENS0_7pointerIdNS1_3tagENS0_11use_defaultESD_EEEEmLj1EEEvT0_T1_SH_
	.globl	_ZN6thrust23THRUST_200600_302600_NS11hip_rocprim14__parallel_for6kernelILj256ENS1_20__uninitialized_copy7functorINS0_6detail15normal_iteratorINS0_10device_ptrIdEEEENS0_7pointerIdNS1_3tagENS0_11use_defaultESD_EEEEmLj1EEEvT0_T1_SH_
	.p2align	8
	.type	_ZN6thrust23THRUST_200600_302600_NS11hip_rocprim14__parallel_for6kernelILj256ENS1_20__uninitialized_copy7functorINS0_6detail15normal_iteratorINS0_10device_ptrIdEEEENS0_7pointerIdNS1_3tagENS0_11use_defaultESD_EEEEmLj1EEEvT0_T1_SH_,@function
_ZN6thrust23THRUST_200600_302600_NS11hip_rocprim14__parallel_for6kernelILj256ENS1_20__uninitialized_copy7functorINS0_6detail15normal_iteratorINS0_10device_ptrIdEEEENS0_7pointerIdNS1_3tagENS0_11use_defaultESD_EEEEmLj1EEEvT0_T1_SH_: ; @_ZN6thrust23THRUST_200600_302600_NS11hip_rocprim14__parallel_for6kernelILj256ENS1_20__uninitialized_copy7functorINS0_6detail15normal_iteratorINS0_10device_ptrIdEEEENS0_7pointerIdNS1_3tagENS0_11use_defaultESD_EEEEmLj1EEEvT0_T1_SH_
; %bb.0:
	s_load_b256 s[0:7], s[0:1], 0x0
	s_lshl_b32 s8, s15, 8
	s_waitcnt lgkmcnt(0)
	s_add_u32 s6, s8, s6
	s_addc_u32 s7, 0, s7
	s_sub_u32 s4, s4, s6
	s_subb_u32 s5, s5, s7
	s_delay_alu instid0(SALU_CYCLE_1) | instskip(NEXT) | instid1(VALU_DEP_1)
	v_cmp_gt_u64_e64 s5, 0x100, s[4:5]
	s_and_b32 vcc_lo, exec_lo, s5
	s_mov_b32 s5, 0
	s_cbranch_vccz .LBB63_4
; %bb.1:
	v_cmp_gt_u32_e32 vcc_lo, s4, v0
	s_mov_b32 s4, 0
                                        ; implicit-def: $vgpr1_vgpr2
                                        ; implicit-def: $vgpr3_vgpr4
	s_and_saveexec_b32 s8, vcc_lo
	s_delay_alu instid0(SALU_CYCLE_1)
	s_xor_b32 s8, exec_lo, s8
; %bb.2:
	v_add_co_u32 v1, s9, s6, v0
	s_delay_alu instid0(VALU_DEP_1) | instskip(SKIP_1) | instid1(VALU_DEP_1)
	v_add_co_ci_u32_e64 v2, null, s7, 0, s9
	s_mov_b32 s5, exec_lo
	v_lshlrev_b64 v[3:4], 3, v[1:2]
	s_delay_alu instid0(VALU_DEP_1) | instskip(NEXT) | instid1(VALU_DEP_2)
	v_add_co_u32 v1, vcc_lo, s2, v3
	v_add_co_ci_u32_e32 v2, vcc_lo, s3, v4, vcc_lo
	v_add_co_u32 v3, vcc_lo, s0, v3
	v_add_co_ci_u32_e32 v4, vcc_lo, s1, v4, vcc_lo
; %bb.3:
	s_or_b32 exec_lo, exec_lo, s8
	s_delay_alu instid0(SALU_CYCLE_1)
	s_and_b32 vcc_lo, exec_lo, s4
	s_cbranch_vccnz .LBB63_5
	s_branch .LBB63_6
.LBB63_4:
                                        ; implicit-def: $vgpr1_vgpr2
                                        ; implicit-def: $vgpr3_vgpr4
	s_cbranch_execz .LBB63_6
.LBB63_5:
	v_add_co_u32 v0, s4, s6, v0
	s_delay_alu instid0(VALU_DEP_1) | instskip(SKIP_1) | instid1(VALU_DEP_1)
	v_add_co_ci_u32_e64 v1, null, s7, 0, s4
	s_or_b32 s5, s5, exec_lo
	v_lshlrev_b64 v[1:2], 3, v[0:1]
	s_delay_alu instid0(VALU_DEP_1) | instskip(NEXT) | instid1(VALU_DEP_2)
	v_add_co_u32 v3, vcc_lo, s0, v1
	v_add_co_ci_u32_e32 v4, vcc_lo, s1, v2, vcc_lo
	v_add_co_u32 v1, vcc_lo, s2, v1
	v_add_co_ci_u32_e32 v2, vcc_lo, s3, v2, vcc_lo
.LBB63_6:
	s_and_saveexec_b32 s0, s5
	s_cbranch_execnz .LBB63_8
; %bb.7:
	s_endpgm
.LBB63_8:
	flat_load_b64 v[3:4], v[3:4]
	s_waitcnt vmcnt(0) lgkmcnt(0)
	flat_store_b64 v[1:2], v[3:4]
	s_endpgm
	.section	.rodata,"a",@progbits
	.p2align	6, 0x0
	.amdhsa_kernel _ZN6thrust23THRUST_200600_302600_NS11hip_rocprim14__parallel_for6kernelILj256ENS1_20__uninitialized_copy7functorINS0_6detail15normal_iteratorINS0_10device_ptrIdEEEENS0_7pointerIdNS1_3tagENS0_11use_defaultESD_EEEEmLj1EEEvT0_T1_SH_
		.amdhsa_group_segment_fixed_size 0
		.amdhsa_private_segment_fixed_size 0
		.amdhsa_kernarg_size 32
		.amdhsa_user_sgpr_count 15
		.amdhsa_user_sgpr_dispatch_ptr 0
		.amdhsa_user_sgpr_queue_ptr 0
		.amdhsa_user_sgpr_kernarg_segment_ptr 1
		.amdhsa_user_sgpr_dispatch_id 0
		.amdhsa_user_sgpr_private_segment_size 0
		.amdhsa_wavefront_size32 1
		.amdhsa_uses_dynamic_stack 0
		.amdhsa_enable_private_segment 0
		.amdhsa_system_sgpr_workgroup_id_x 1
		.amdhsa_system_sgpr_workgroup_id_y 0
		.amdhsa_system_sgpr_workgroup_id_z 0
		.amdhsa_system_sgpr_workgroup_info 0
		.amdhsa_system_vgpr_workitem_id 0
		.amdhsa_next_free_vgpr 5
		.amdhsa_next_free_sgpr 16
		.amdhsa_reserve_vcc 1
		.amdhsa_float_round_mode_32 0
		.amdhsa_float_round_mode_16_64 0
		.amdhsa_float_denorm_mode_32 3
		.amdhsa_float_denorm_mode_16_64 3
		.amdhsa_dx10_clamp 1
		.amdhsa_ieee_mode 1
		.amdhsa_fp16_overflow 0
		.amdhsa_workgroup_processor_mode 1
		.amdhsa_memory_ordered 1
		.amdhsa_forward_progress 0
		.amdhsa_shared_vgpr_count 0
		.amdhsa_exception_fp_ieee_invalid_op 0
		.amdhsa_exception_fp_denorm_src 0
		.amdhsa_exception_fp_ieee_div_zero 0
		.amdhsa_exception_fp_ieee_overflow 0
		.amdhsa_exception_fp_ieee_underflow 0
		.amdhsa_exception_fp_ieee_inexact 0
		.amdhsa_exception_int_div_zero 0
	.end_amdhsa_kernel
	.section	.text._ZN6thrust23THRUST_200600_302600_NS11hip_rocprim14__parallel_for6kernelILj256ENS1_20__uninitialized_copy7functorINS0_6detail15normal_iteratorINS0_10device_ptrIdEEEENS0_7pointerIdNS1_3tagENS0_11use_defaultESD_EEEEmLj1EEEvT0_T1_SH_,"axG",@progbits,_ZN6thrust23THRUST_200600_302600_NS11hip_rocprim14__parallel_for6kernelILj256ENS1_20__uninitialized_copy7functorINS0_6detail15normal_iteratorINS0_10device_ptrIdEEEENS0_7pointerIdNS1_3tagENS0_11use_defaultESD_EEEEmLj1EEEvT0_T1_SH_,comdat
.Lfunc_end63:
	.size	_ZN6thrust23THRUST_200600_302600_NS11hip_rocprim14__parallel_for6kernelILj256ENS1_20__uninitialized_copy7functorINS0_6detail15normal_iteratorINS0_10device_ptrIdEEEENS0_7pointerIdNS1_3tagENS0_11use_defaultESD_EEEEmLj1EEEvT0_T1_SH_, .Lfunc_end63-_ZN6thrust23THRUST_200600_302600_NS11hip_rocprim14__parallel_for6kernelILj256ENS1_20__uninitialized_copy7functorINS0_6detail15normal_iteratorINS0_10device_ptrIdEEEENS0_7pointerIdNS1_3tagENS0_11use_defaultESD_EEEEmLj1EEEvT0_T1_SH_
                                        ; -- End function
	.section	.AMDGPU.csdata,"",@progbits
; Kernel info:
; codeLenInByte = 260
; NumSgprs: 18
; NumVgprs: 5
; ScratchSize: 0
; MemoryBound: 1
; FloatMode: 240
; IeeeMode: 1
; LDSByteSize: 0 bytes/workgroup (compile time only)
; SGPRBlocks: 2
; VGPRBlocks: 0
; NumSGPRsForWavesPerEU: 18
; NumVGPRsForWavesPerEU: 5
; Occupancy: 16
; WaveLimiterHint : 0
; COMPUTE_PGM_RSRC2:SCRATCH_EN: 0
; COMPUTE_PGM_RSRC2:USER_SGPR: 15
; COMPUTE_PGM_RSRC2:TRAP_HANDLER: 0
; COMPUTE_PGM_RSRC2:TGID_X_EN: 1
; COMPUTE_PGM_RSRC2:TGID_Y_EN: 0
; COMPUTE_PGM_RSRC2:TGID_Z_EN: 0
; COMPUTE_PGM_RSRC2:TIDIG_COMP_CNT: 0
	.section	.text._ZN6thrust23THRUST_200600_302600_NS11hip_rocprim14__parallel_for6kernelILj256ENS1_11__transform17unary_transform_fINS0_6detail15normal_iteratorINS0_10device_ptrIdEEEENS7_INS8_IfEEEENS4_14no_stencil_tagENS0_8identityIdEENS4_21always_true_predicateEEElLj1EEEvT0_T1_SJ_,"axG",@progbits,_ZN6thrust23THRUST_200600_302600_NS11hip_rocprim14__parallel_for6kernelILj256ENS1_11__transform17unary_transform_fINS0_6detail15normal_iteratorINS0_10device_ptrIdEEEENS7_INS8_IfEEEENS4_14no_stencil_tagENS0_8identityIdEENS4_21always_true_predicateEEElLj1EEEvT0_T1_SJ_,comdat
	.protected	_ZN6thrust23THRUST_200600_302600_NS11hip_rocprim14__parallel_for6kernelILj256ENS1_11__transform17unary_transform_fINS0_6detail15normal_iteratorINS0_10device_ptrIdEEEENS7_INS8_IfEEEENS4_14no_stencil_tagENS0_8identityIdEENS4_21always_true_predicateEEElLj1EEEvT0_T1_SJ_ ; -- Begin function _ZN6thrust23THRUST_200600_302600_NS11hip_rocprim14__parallel_for6kernelILj256ENS1_11__transform17unary_transform_fINS0_6detail15normal_iteratorINS0_10device_ptrIdEEEENS7_INS8_IfEEEENS4_14no_stencil_tagENS0_8identityIdEENS4_21always_true_predicateEEElLj1EEEvT0_T1_SJ_
	.globl	_ZN6thrust23THRUST_200600_302600_NS11hip_rocprim14__parallel_for6kernelILj256ENS1_11__transform17unary_transform_fINS0_6detail15normal_iteratorINS0_10device_ptrIdEEEENS7_INS8_IfEEEENS4_14no_stencil_tagENS0_8identityIdEENS4_21always_true_predicateEEElLj1EEEvT0_T1_SJ_
	.p2align	8
	.type	_ZN6thrust23THRUST_200600_302600_NS11hip_rocprim14__parallel_for6kernelILj256ENS1_11__transform17unary_transform_fINS0_6detail15normal_iteratorINS0_10device_ptrIdEEEENS7_INS8_IfEEEENS4_14no_stencil_tagENS0_8identityIdEENS4_21always_true_predicateEEElLj1EEEvT0_T1_SJ_,@function
_ZN6thrust23THRUST_200600_302600_NS11hip_rocprim14__parallel_for6kernelILj256ENS1_11__transform17unary_transform_fINS0_6detail15normal_iteratorINS0_10device_ptrIdEEEENS7_INS8_IfEEEENS4_14no_stencil_tagENS0_8identityIdEENS4_21always_true_predicateEEElLj1EEEvT0_T1_SJ_: ; @_ZN6thrust23THRUST_200600_302600_NS11hip_rocprim14__parallel_for6kernelILj256ENS1_11__transform17unary_transform_fINS0_6detail15normal_iteratorINS0_10device_ptrIdEEEENS7_INS8_IfEEEENS4_14no_stencil_tagENS0_8identityIdEENS4_21always_true_predicateEEElLj1EEEvT0_T1_SJ_
; %bb.0:
	s_clause 0x1
	s_load_b128 s[8:11], s[0:1], 0x18
	s_load_b128 s[0:3], s[0:1], 0x0
	s_lshl_b32 s4, s15, 8
	s_waitcnt lgkmcnt(0)
	s_add_u32 s4, s4, s10
	s_addc_u32 s5, 0, s11
	s_sub_u32 s6, s8, s4
	s_subb_u32 s7, s9, s5
	s_delay_alu instid0(SALU_CYCLE_1) | instskip(NEXT) | instid1(VALU_DEP_1)
	v_cmp_gt_i64_e64 s7, 0x100, s[6:7]
	s_and_b32 s7, s7, exec_lo
	s_cselect_b32 s7, s6, 0x100
	s_mov_b32 s6, -1
	s_cmpk_lg_i32 s7, 0x100
	s_cbranch_scc1 .LBB64_3
; %bb.1:
	s_and_not1_b32 vcc_lo, exec_lo, s6
	s_cbranch_vccz .LBB64_6
.LBB64_2:
	s_endpgm
.LBB64_3:
	s_mov_b32 s6, exec_lo
	v_cmpx_gt_u32_e64 s7, v0
	s_cbranch_execz .LBB64_5
; %bb.4:
	v_add_co_u32 v1, s7, s4, v0
	s_delay_alu instid0(VALU_DEP_1) | instskip(NEXT) | instid1(VALU_DEP_1)
	v_add_co_ci_u32_e64 v2, null, s5, 0, s7
	v_lshlrev_b64 v[3:4], 3, v[1:2]
	v_lshlrev_b64 v[1:2], 2, v[1:2]
	s_delay_alu instid0(VALU_DEP_2) | instskip(NEXT) | instid1(VALU_DEP_3)
	v_add_co_u32 v3, vcc_lo, s0, v3
	v_add_co_ci_u32_e32 v4, vcc_lo, s1, v4, vcc_lo
	s_delay_alu instid0(VALU_DEP_3) | instskip(NEXT) | instid1(VALU_DEP_4)
	v_add_co_u32 v1, vcc_lo, s2, v1
	v_add_co_ci_u32_e32 v2, vcc_lo, s3, v2, vcc_lo
	flat_load_b64 v[3:4], v[3:4]
	s_waitcnt vmcnt(0) lgkmcnt(0)
	v_cvt_f32_f64_e32 v3, v[3:4]
	flat_store_b32 v[1:2], v3
.LBB64_5:
	s_or_b32 exec_lo, exec_lo, s6
	s_cbranch_execnz .LBB64_2
.LBB64_6:
	v_add_co_u32 v0, s4, s4, v0
	s_delay_alu instid0(VALU_DEP_1) | instskip(NEXT) | instid1(VALU_DEP_1)
	v_add_co_ci_u32_e64 v1, null, s5, 0, s4
	v_lshlrev_b64 v[2:3], 3, v[0:1]
	v_lshlrev_b64 v[0:1], 2, v[0:1]
	s_delay_alu instid0(VALU_DEP_2) | instskip(NEXT) | instid1(VALU_DEP_3)
	v_add_co_u32 v2, vcc_lo, s0, v2
	v_add_co_ci_u32_e32 v3, vcc_lo, s1, v3, vcc_lo
	s_delay_alu instid0(VALU_DEP_3) | instskip(NEXT) | instid1(VALU_DEP_4)
	v_add_co_u32 v0, vcc_lo, s2, v0
	v_add_co_ci_u32_e32 v1, vcc_lo, s3, v1, vcc_lo
	flat_load_b64 v[2:3], v[2:3]
	s_waitcnt vmcnt(0) lgkmcnt(0)
	v_cvt_f32_f64_e32 v2, v[2:3]
	flat_store_b32 v[0:1], v2
	s_endpgm
	.section	.rodata,"a",@progbits
	.p2align	6, 0x0
	.amdhsa_kernel _ZN6thrust23THRUST_200600_302600_NS11hip_rocprim14__parallel_for6kernelILj256ENS1_11__transform17unary_transform_fINS0_6detail15normal_iteratorINS0_10device_ptrIdEEEENS7_INS8_IfEEEENS4_14no_stencil_tagENS0_8identityIdEENS4_21always_true_predicateEEElLj1EEEvT0_T1_SJ_
		.amdhsa_group_segment_fixed_size 0
		.amdhsa_private_segment_fixed_size 0
		.amdhsa_kernarg_size 40
		.amdhsa_user_sgpr_count 15
		.amdhsa_user_sgpr_dispatch_ptr 0
		.amdhsa_user_sgpr_queue_ptr 0
		.amdhsa_user_sgpr_kernarg_segment_ptr 1
		.amdhsa_user_sgpr_dispatch_id 0
		.amdhsa_user_sgpr_private_segment_size 0
		.amdhsa_wavefront_size32 1
		.amdhsa_uses_dynamic_stack 0
		.amdhsa_enable_private_segment 0
		.amdhsa_system_sgpr_workgroup_id_x 1
		.amdhsa_system_sgpr_workgroup_id_y 0
		.amdhsa_system_sgpr_workgroup_id_z 0
		.amdhsa_system_sgpr_workgroup_info 0
		.amdhsa_system_vgpr_workitem_id 0
		.amdhsa_next_free_vgpr 5
		.amdhsa_next_free_sgpr 16
		.amdhsa_reserve_vcc 1
		.amdhsa_float_round_mode_32 0
		.amdhsa_float_round_mode_16_64 0
		.amdhsa_float_denorm_mode_32 3
		.amdhsa_float_denorm_mode_16_64 3
		.amdhsa_dx10_clamp 1
		.amdhsa_ieee_mode 1
		.amdhsa_fp16_overflow 0
		.amdhsa_workgroup_processor_mode 1
		.amdhsa_memory_ordered 1
		.amdhsa_forward_progress 0
		.amdhsa_shared_vgpr_count 0
		.amdhsa_exception_fp_ieee_invalid_op 0
		.amdhsa_exception_fp_denorm_src 0
		.amdhsa_exception_fp_ieee_div_zero 0
		.amdhsa_exception_fp_ieee_overflow 0
		.amdhsa_exception_fp_ieee_underflow 0
		.amdhsa_exception_fp_ieee_inexact 0
		.amdhsa_exception_int_div_zero 0
	.end_amdhsa_kernel
	.section	.text._ZN6thrust23THRUST_200600_302600_NS11hip_rocprim14__parallel_for6kernelILj256ENS1_11__transform17unary_transform_fINS0_6detail15normal_iteratorINS0_10device_ptrIdEEEENS7_INS8_IfEEEENS4_14no_stencil_tagENS0_8identityIdEENS4_21always_true_predicateEEElLj1EEEvT0_T1_SJ_,"axG",@progbits,_ZN6thrust23THRUST_200600_302600_NS11hip_rocprim14__parallel_for6kernelILj256ENS1_11__transform17unary_transform_fINS0_6detail15normal_iteratorINS0_10device_ptrIdEEEENS7_INS8_IfEEEENS4_14no_stencil_tagENS0_8identityIdEENS4_21always_true_predicateEEElLj1EEEvT0_T1_SJ_,comdat
.Lfunc_end64:
	.size	_ZN6thrust23THRUST_200600_302600_NS11hip_rocprim14__parallel_for6kernelILj256ENS1_11__transform17unary_transform_fINS0_6detail15normal_iteratorINS0_10device_ptrIdEEEENS7_INS8_IfEEEENS4_14no_stencil_tagENS0_8identityIdEENS4_21always_true_predicateEEElLj1EEEvT0_T1_SJ_, .Lfunc_end64-_ZN6thrust23THRUST_200600_302600_NS11hip_rocprim14__parallel_for6kernelILj256ENS1_11__transform17unary_transform_fINS0_6detail15normal_iteratorINS0_10device_ptrIdEEEENS7_INS8_IfEEEENS4_14no_stencil_tagENS0_8identityIdEENS4_21always_true_predicateEEElLj1EEEvT0_T1_SJ_
                                        ; -- End function
	.section	.AMDGPU.csdata,"",@progbits
; Kernel info:
; codeLenInByte = 308
; NumSgprs: 18
; NumVgprs: 5
; ScratchSize: 0
; MemoryBound: 0
; FloatMode: 240
; IeeeMode: 1
; LDSByteSize: 0 bytes/workgroup (compile time only)
; SGPRBlocks: 2
; VGPRBlocks: 0
; NumSGPRsForWavesPerEU: 18
; NumVGPRsForWavesPerEU: 5
; Occupancy: 16
; WaveLimiterHint : 0
; COMPUTE_PGM_RSRC2:SCRATCH_EN: 0
; COMPUTE_PGM_RSRC2:USER_SGPR: 15
; COMPUTE_PGM_RSRC2:TRAP_HANDLER: 0
; COMPUTE_PGM_RSRC2:TGID_X_EN: 1
; COMPUTE_PGM_RSRC2:TGID_Y_EN: 0
; COMPUTE_PGM_RSRC2:TGID_Z_EN: 0
; COMPUTE_PGM_RSRC2:TIDIG_COMP_CNT: 0
	.section	.text._ZN6thrust23THRUST_200600_302600_NS11hip_rocprim14__parallel_for6kernelILj256ENS1_11__transform17unary_transform_fINS0_10device_ptrIdEENS6_IfEENS4_14no_stencil_tagENS0_8identityIdEENS4_21always_true_predicateEEElLj1EEEvT0_T1_SF_,"axG",@progbits,_ZN6thrust23THRUST_200600_302600_NS11hip_rocprim14__parallel_for6kernelILj256ENS1_11__transform17unary_transform_fINS0_10device_ptrIdEENS6_IfEENS4_14no_stencil_tagENS0_8identityIdEENS4_21always_true_predicateEEElLj1EEEvT0_T1_SF_,comdat
	.protected	_ZN6thrust23THRUST_200600_302600_NS11hip_rocprim14__parallel_for6kernelILj256ENS1_11__transform17unary_transform_fINS0_10device_ptrIdEENS6_IfEENS4_14no_stencil_tagENS0_8identityIdEENS4_21always_true_predicateEEElLj1EEEvT0_T1_SF_ ; -- Begin function _ZN6thrust23THRUST_200600_302600_NS11hip_rocprim14__parallel_for6kernelILj256ENS1_11__transform17unary_transform_fINS0_10device_ptrIdEENS6_IfEENS4_14no_stencil_tagENS0_8identityIdEENS4_21always_true_predicateEEElLj1EEEvT0_T1_SF_
	.globl	_ZN6thrust23THRUST_200600_302600_NS11hip_rocprim14__parallel_for6kernelILj256ENS1_11__transform17unary_transform_fINS0_10device_ptrIdEENS6_IfEENS4_14no_stencil_tagENS0_8identityIdEENS4_21always_true_predicateEEElLj1EEEvT0_T1_SF_
	.p2align	8
	.type	_ZN6thrust23THRUST_200600_302600_NS11hip_rocprim14__parallel_for6kernelILj256ENS1_11__transform17unary_transform_fINS0_10device_ptrIdEENS6_IfEENS4_14no_stencil_tagENS0_8identityIdEENS4_21always_true_predicateEEElLj1EEEvT0_T1_SF_,@function
_ZN6thrust23THRUST_200600_302600_NS11hip_rocprim14__parallel_for6kernelILj256ENS1_11__transform17unary_transform_fINS0_10device_ptrIdEENS6_IfEENS4_14no_stencil_tagENS0_8identityIdEENS4_21always_true_predicateEEElLj1EEEvT0_T1_SF_: ; @_ZN6thrust23THRUST_200600_302600_NS11hip_rocprim14__parallel_for6kernelILj256ENS1_11__transform17unary_transform_fINS0_10device_ptrIdEENS6_IfEENS4_14no_stencil_tagENS0_8identityIdEENS4_21always_true_predicateEEElLj1EEEvT0_T1_SF_
; %bb.0:
	s_clause 0x1
	s_load_b128 s[8:11], s[0:1], 0x18
	s_load_b128 s[0:3], s[0:1], 0x0
	s_lshl_b32 s4, s15, 8
	s_waitcnt lgkmcnt(0)
	s_add_u32 s4, s4, s10
	s_addc_u32 s5, 0, s11
	s_sub_u32 s6, s8, s4
	s_subb_u32 s7, s9, s5
	s_delay_alu instid0(SALU_CYCLE_1) | instskip(NEXT) | instid1(VALU_DEP_1)
	v_cmp_gt_i64_e64 s7, 0x100, s[6:7]
	s_and_b32 s7, s7, exec_lo
	s_cselect_b32 s7, s6, 0x100
	s_mov_b32 s6, -1
	s_cmpk_lg_i32 s7, 0x100
	s_cbranch_scc1 .LBB65_3
; %bb.1:
	s_and_not1_b32 vcc_lo, exec_lo, s6
	s_cbranch_vccz .LBB65_6
.LBB65_2:
	s_endpgm
.LBB65_3:
	s_mov_b32 s6, exec_lo
	v_cmpx_gt_u32_e64 s7, v0
	s_cbranch_execz .LBB65_5
; %bb.4:
	v_add_co_u32 v1, s7, s4, v0
	s_delay_alu instid0(VALU_DEP_1) | instskip(NEXT) | instid1(VALU_DEP_1)
	v_add_co_ci_u32_e64 v2, null, s5, 0, s7
	v_lshlrev_b64 v[3:4], 3, v[1:2]
	v_lshlrev_b64 v[1:2], 2, v[1:2]
	s_delay_alu instid0(VALU_DEP_2) | instskip(NEXT) | instid1(VALU_DEP_3)
	v_add_co_u32 v3, vcc_lo, s0, v3
	v_add_co_ci_u32_e32 v4, vcc_lo, s1, v4, vcc_lo
	s_delay_alu instid0(VALU_DEP_3) | instskip(NEXT) | instid1(VALU_DEP_4)
	v_add_co_u32 v1, vcc_lo, s2, v1
	v_add_co_ci_u32_e32 v2, vcc_lo, s3, v2, vcc_lo
	flat_load_b64 v[3:4], v[3:4]
	s_waitcnt vmcnt(0) lgkmcnt(0)
	v_cvt_f32_f64_e32 v3, v[3:4]
	flat_store_b32 v[1:2], v3
.LBB65_5:
	s_or_b32 exec_lo, exec_lo, s6
	s_cbranch_execnz .LBB65_2
.LBB65_6:
	v_add_co_u32 v0, s4, s4, v0
	s_delay_alu instid0(VALU_DEP_1) | instskip(NEXT) | instid1(VALU_DEP_1)
	v_add_co_ci_u32_e64 v1, null, s5, 0, s4
	v_lshlrev_b64 v[2:3], 3, v[0:1]
	v_lshlrev_b64 v[0:1], 2, v[0:1]
	s_delay_alu instid0(VALU_DEP_2) | instskip(NEXT) | instid1(VALU_DEP_3)
	v_add_co_u32 v2, vcc_lo, s0, v2
	v_add_co_ci_u32_e32 v3, vcc_lo, s1, v3, vcc_lo
	s_delay_alu instid0(VALU_DEP_3) | instskip(NEXT) | instid1(VALU_DEP_4)
	v_add_co_u32 v0, vcc_lo, s2, v0
	v_add_co_ci_u32_e32 v1, vcc_lo, s3, v1, vcc_lo
	flat_load_b64 v[2:3], v[2:3]
	s_waitcnt vmcnt(0) lgkmcnt(0)
	v_cvt_f32_f64_e32 v2, v[2:3]
	flat_store_b32 v[0:1], v2
	s_endpgm
	.section	.rodata,"a",@progbits
	.p2align	6, 0x0
	.amdhsa_kernel _ZN6thrust23THRUST_200600_302600_NS11hip_rocprim14__parallel_for6kernelILj256ENS1_11__transform17unary_transform_fINS0_10device_ptrIdEENS6_IfEENS4_14no_stencil_tagENS0_8identityIdEENS4_21always_true_predicateEEElLj1EEEvT0_T1_SF_
		.amdhsa_group_segment_fixed_size 0
		.amdhsa_private_segment_fixed_size 0
		.amdhsa_kernarg_size 40
		.amdhsa_user_sgpr_count 15
		.amdhsa_user_sgpr_dispatch_ptr 0
		.amdhsa_user_sgpr_queue_ptr 0
		.amdhsa_user_sgpr_kernarg_segment_ptr 1
		.amdhsa_user_sgpr_dispatch_id 0
		.amdhsa_user_sgpr_private_segment_size 0
		.amdhsa_wavefront_size32 1
		.amdhsa_uses_dynamic_stack 0
		.amdhsa_enable_private_segment 0
		.amdhsa_system_sgpr_workgroup_id_x 1
		.amdhsa_system_sgpr_workgroup_id_y 0
		.amdhsa_system_sgpr_workgroup_id_z 0
		.amdhsa_system_sgpr_workgroup_info 0
		.amdhsa_system_vgpr_workitem_id 0
		.amdhsa_next_free_vgpr 5
		.amdhsa_next_free_sgpr 16
		.amdhsa_reserve_vcc 1
		.amdhsa_float_round_mode_32 0
		.amdhsa_float_round_mode_16_64 0
		.amdhsa_float_denorm_mode_32 3
		.amdhsa_float_denorm_mode_16_64 3
		.amdhsa_dx10_clamp 1
		.amdhsa_ieee_mode 1
		.amdhsa_fp16_overflow 0
		.amdhsa_workgroup_processor_mode 1
		.amdhsa_memory_ordered 1
		.amdhsa_forward_progress 0
		.amdhsa_shared_vgpr_count 0
		.amdhsa_exception_fp_ieee_invalid_op 0
		.amdhsa_exception_fp_denorm_src 0
		.amdhsa_exception_fp_ieee_div_zero 0
		.amdhsa_exception_fp_ieee_overflow 0
		.amdhsa_exception_fp_ieee_underflow 0
		.amdhsa_exception_fp_ieee_inexact 0
		.amdhsa_exception_int_div_zero 0
	.end_amdhsa_kernel
	.section	.text._ZN6thrust23THRUST_200600_302600_NS11hip_rocprim14__parallel_for6kernelILj256ENS1_11__transform17unary_transform_fINS0_10device_ptrIdEENS6_IfEENS4_14no_stencil_tagENS0_8identityIdEENS4_21always_true_predicateEEElLj1EEEvT0_T1_SF_,"axG",@progbits,_ZN6thrust23THRUST_200600_302600_NS11hip_rocprim14__parallel_for6kernelILj256ENS1_11__transform17unary_transform_fINS0_10device_ptrIdEENS6_IfEENS4_14no_stencil_tagENS0_8identityIdEENS4_21always_true_predicateEEElLj1EEEvT0_T1_SF_,comdat
.Lfunc_end65:
	.size	_ZN6thrust23THRUST_200600_302600_NS11hip_rocprim14__parallel_for6kernelILj256ENS1_11__transform17unary_transform_fINS0_10device_ptrIdEENS6_IfEENS4_14no_stencil_tagENS0_8identityIdEENS4_21always_true_predicateEEElLj1EEEvT0_T1_SF_, .Lfunc_end65-_ZN6thrust23THRUST_200600_302600_NS11hip_rocprim14__parallel_for6kernelILj256ENS1_11__transform17unary_transform_fINS0_10device_ptrIdEENS6_IfEENS4_14no_stencil_tagENS0_8identityIdEENS4_21always_true_predicateEEElLj1EEEvT0_T1_SF_
                                        ; -- End function
	.section	.AMDGPU.csdata,"",@progbits
; Kernel info:
; codeLenInByte = 308
; NumSgprs: 18
; NumVgprs: 5
; ScratchSize: 0
; MemoryBound: 0
; FloatMode: 240
; IeeeMode: 1
; LDSByteSize: 0 bytes/workgroup (compile time only)
; SGPRBlocks: 2
; VGPRBlocks: 0
; NumSGPRsForWavesPerEU: 18
; NumVGPRsForWavesPerEU: 5
; Occupancy: 16
; WaveLimiterHint : 0
; COMPUTE_PGM_RSRC2:SCRATCH_EN: 0
; COMPUTE_PGM_RSRC2:USER_SGPR: 15
; COMPUTE_PGM_RSRC2:TRAP_HANDLER: 0
; COMPUTE_PGM_RSRC2:TGID_X_EN: 1
; COMPUTE_PGM_RSRC2:TGID_Y_EN: 0
; COMPUTE_PGM_RSRC2:TGID_Z_EN: 0
; COMPUTE_PGM_RSRC2:TIDIG_COMP_CNT: 0
	.section	.text._ZN6thrust23THRUST_200600_302600_NS11hip_rocprim14__parallel_for6kernelILj256ENS1_20__uninitialized_copy7functorINS0_6detail15normal_iteratorINS0_10device_ptrIyEEEENS0_7pointerIyNS1_3tagENS0_11use_defaultESD_EEEEmLj1EEEvT0_T1_SH_,"axG",@progbits,_ZN6thrust23THRUST_200600_302600_NS11hip_rocprim14__parallel_for6kernelILj256ENS1_20__uninitialized_copy7functorINS0_6detail15normal_iteratorINS0_10device_ptrIyEEEENS0_7pointerIyNS1_3tagENS0_11use_defaultESD_EEEEmLj1EEEvT0_T1_SH_,comdat
	.protected	_ZN6thrust23THRUST_200600_302600_NS11hip_rocprim14__parallel_for6kernelILj256ENS1_20__uninitialized_copy7functorINS0_6detail15normal_iteratorINS0_10device_ptrIyEEEENS0_7pointerIyNS1_3tagENS0_11use_defaultESD_EEEEmLj1EEEvT0_T1_SH_ ; -- Begin function _ZN6thrust23THRUST_200600_302600_NS11hip_rocprim14__parallel_for6kernelILj256ENS1_20__uninitialized_copy7functorINS0_6detail15normal_iteratorINS0_10device_ptrIyEEEENS0_7pointerIyNS1_3tagENS0_11use_defaultESD_EEEEmLj1EEEvT0_T1_SH_
	.globl	_ZN6thrust23THRUST_200600_302600_NS11hip_rocprim14__parallel_for6kernelILj256ENS1_20__uninitialized_copy7functorINS0_6detail15normal_iteratorINS0_10device_ptrIyEEEENS0_7pointerIyNS1_3tagENS0_11use_defaultESD_EEEEmLj1EEEvT0_T1_SH_
	.p2align	8
	.type	_ZN6thrust23THRUST_200600_302600_NS11hip_rocprim14__parallel_for6kernelILj256ENS1_20__uninitialized_copy7functorINS0_6detail15normal_iteratorINS0_10device_ptrIyEEEENS0_7pointerIyNS1_3tagENS0_11use_defaultESD_EEEEmLj1EEEvT0_T1_SH_,@function
_ZN6thrust23THRUST_200600_302600_NS11hip_rocprim14__parallel_for6kernelILj256ENS1_20__uninitialized_copy7functorINS0_6detail15normal_iteratorINS0_10device_ptrIyEEEENS0_7pointerIyNS1_3tagENS0_11use_defaultESD_EEEEmLj1EEEvT0_T1_SH_: ; @_ZN6thrust23THRUST_200600_302600_NS11hip_rocprim14__parallel_for6kernelILj256ENS1_20__uninitialized_copy7functorINS0_6detail15normal_iteratorINS0_10device_ptrIyEEEENS0_7pointerIyNS1_3tagENS0_11use_defaultESD_EEEEmLj1EEEvT0_T1_SH_
; %bb.0:
	s_load_b256 s[0:7], s[0:1], 0x0
	s_lshl_b32 s8, s15, 8
	s_waitcnt lgkmcnt(0)
	s_add_u32 s6, s8, s6
	s_addc_u32 s7, 0, s7
	s_sub_u32 s4, s4, s6
	s_subb_u32 s5, s5, s7
	s_delay_alu instid0(SALU_CYCLE_1) | instskip(NEXT) | instid1(VALU_DEP_1)
	v_cmp_gt_u64_e64 s5, 0x100, s[4:5]
	s_and_b32 vcc_lo, exec_lo, s5
	s_mov_b32 s5, 0
	s_cbranch_vccz .LBB66_4
; %bb.1:
	v_cmp_gt_u32_e32 vcc_lo, s4, v0
	s_mov_b32 s4, 0
                                        ; implicit-def: $vgpr1_vgpr2
                                        ; implicit-def: $vgpr3_vgpr4
	s_and_saveexec_b32 s8, vcc_lo
	s_delay_alu instid0(SALU_CYCLE_1)
	s_xor_b32 s8, exec_lo, s8
; %bb.2:
	v_add_co_u32 v1, s9, s6, v0
	s_delay_alu instid0(VALU_DEP_1) | instskip(SKIP_1) | instid1(VALU_DEP_1)
	v_add_co_ci_u32_e64 v2, null, s7, 0, s9
	s_mov_b32 s5, exec_lo
	v_lshlrev_b64 v[3:4], 3, v[1:2]
	s_delay_alu instid0(VALU_DEP_1) | instskip(NEXT) | instid1(VALU_DEP_2)
	v_add_co_u32 v1, vcc_lo, s2, v3
	v_add_co_ci_u32_e32 v2, vcc_lo, s3, v4, vcc_lo
	v_add_co_u32 v3, vcc_lo, s0, v3
	v_add_co_ci_u32_e32 v4, vcc_lo, s1, v4, vcc_lo
; %bb.3:
	s_or_b32 exec_lo, exec_lo, s8
	s_delay_alu instid0(SALU_CYCLE_1)
	s_and_b32 vcc_lo, exec_lo, s4
	s_cbranch_vccnz .LBB66_5
	s_branch .LBB66_6
.LBB66_4:
                                        ; implicit-def: $vgpr1_vgpr2
                                        ; implicit-def: $vgpr3_vgpr4
	s_cbranch_execz .LBB66_6
.LBB66_5:
	v_add_co_u32 v0, s4, s6, v0
	s_delay_alu instid0(VALU_DEP_1) | instskip(SKIP_1) | instid1(VALU_DEP_1)
	v_add_co_ci_u32_e64 v1, null, s7, 0, s4
	s_or_b32 s5, s5, exec_lo
	v_lshlrev_b64 v[1:2], 3, v[0:1]
	s_delay_alu instid0(VALU_DEP_1) | instskip(NEXT) | instid1(VALU_DEP_2)
	v_add_co_u32 v3, vcc_lo, s0, v1
	v_add_co_ci_u32_e32 v4, vcc_lo, s1, v2, vcc_lo
	v_add_co_u32 v1, vcc_lo, s2, v1
	v_add_co_ci_u32_e32 v2, vcc_lo, s3, v2, vcc_lo
.LBB66_6:
	s_and_saveexec_b32 s0, s5
	s_cbranch_execnz .LBB66_8
; %bb.7:
	s_endpgm
.LBB66_8:
	flat_load_b64 v[3:4], v[3:4]
	s_waitcnt vmcnt(0) lgkmcnt(0)
	flat_store_b64 v[1:2], v[3:4]
	s_endpgm
	.section	.rodata,"a",@progbits
	.p2align	6, 0x0
	.amdhsa_kernel _ZN6thrust23THRUST_200600_302600_NS11hip_rocprim14__parallel_for6kernelILj256ENS1_20__uninitialized_copy7functorINS0_6detail15normal_iteratorINS0_10device_ptrIyEEEENS0_7pointerIyNS1_3tagENS0_11use_defaultESD_EEEEmLj1EEEvT0_T1_SH_
		.amdhsa_group_segment_fixed_size 0
		.amdhsa_private_segment_fixed_size 0
		.amdhsa_kernarg_size 32
		.amdhsa_user_sgpr_count 15
		.amdhsa_user_sgpr_dispatch_ptr 0
		.amdhsa_user_sgpr_queue_ptr 0
		.amdhsa_user_sgpr_kernarg_segment_ptr 1
		.amdhsa_user_sgpr_dispatch_id 0
		.amdhsa_user_sgpr_private_segment_size 0
		.amdhsa_wavefront_size32 1
		.amdhsa_uses_dynamic_stack 0
		.amdhsa_enable_private_segment 0
		.amdhsa_system_sgpr_workgroup_id_x 1
		.amdhsa_system_sgpr_workgroup_id_y 0
		.amdhsa_system_sgpr_workgroup_id_z 0
		.amdhsa_system_sgpr_workgroup_info 0
		.amdhsa_system_vgpr_workitem_id 0
		.amdhsa_next_free_vgpr 5
		.amdhsa_next_free_sgpr 16
		.amdhsa_reserve_vcc 1
		.amdhsa_float_round_mode_32 0
		.amdhsa_float_round_mode_16_64 0
		.amdhsa_float_denorm_mode_32 3
		.amdhsa_float_denorm_mode_16_64 3
		.amdhsa_dx10_clamp 1
		.amdhsa_ieee_mode 1
		.amdhsa_fp16_overflow 0
		.amdhsa_workgroup_processor_mode 1
		.amdhsa_memory_ordered 1
		.amdhsa_forward_progress 0
		.amdhsa_shared_vgpr_count 0
		.amdhsa_exception_fp_ieee_invalid_op 0
		.amdhsa_exception_fp_denorm_src 0
		.amdhsa_exception_fp_ieee_div_zero 0
		.amdhsa_exception_fp_ieee_overflow 0
		.amdhsa_exception_fp_ieee_underflow 0
		.amdhsa_exception_fp_ieee_inexact 0
		.amdhsa_exception_int_div_zero 0
	.end_amdhsa_kernel
	.section	.text._ZN6thrust23THRUST_200600_302600_NS11hip_rocprim14__parallel_for6kernelILj256ENS1_20__uninitialized_copy7functorINS0_6detail15normal_iteratorINS0_10device_ptrIyEEEENS0_7pointerIyNS1_3tagENS0_11use_defaultESD_EEEEmLj1EEEvT0_T1_SH_,"axG",@progbits,_ZN6thrust23THRUST_200600_302600_NS11hip_rocprim14__parallel_for6kernelILj256ENS1_20__uninitialized_copy7functorINS0_6detail15normal_iteratorINS0_10device_ptrIyEEEENS0_7pointerIyNS1_3tagENS0_11use_defaultESD_EEEEmLj1EEEvT0_T1_SH_,comdat
.Lfunc_end66:
	.size	_ZN6thrust23THRUST_200600_302600_NS11hip_rocprim14__parallel_for6kernelILj256ENS1_20__uninitialized_copy7functorINS0_6detail15normal_iteratorINS0_10device_ptrIyEEEENS0_7pointerIyNS1_3tagENS0_11use_defaultESD_EEEEmLj1EEEvT0_T1_SH_, .Lfunc_end66-_ZN6thrust23THRUST_200600_302600_NS11hip_rocprim14__parallel_for6kernelILj256ENS1_20__uninitialized_copy7functorINS0_6detail15normal_iteratorINS0_10device_ptrIyEEEENS0_7pointerIyNS1_3tagENS0_11use_defaultESD_EEEEmLj1EEEvT0_T1_SH_
                                        ; -- End function
	.section	.AMDGPU.csdata,"",@progbits
; Kernel info:
; codeLenInByte = 260
; NumSgprs: 18
; NumVgprs: 5
; ScratchSize: 0
; MemoryBound: 1
; FloatMode: 240
; IeeeMode: 1
; LDSByteSize: 0 bytes/workgroup (compile time only)
; SGPRBlocks: 2
; VGPRBlocks: 0
; NumSGPRsForWavesPerEU: 18
; NumVGPRsForWavesPerEU: 5
; Occupancy: 16
; WaveLimiterHint : 0
; COMPUTE_PGM_RSRC2:SCRATCH_EN: 0
; COMPUTE_PGM_RSRC2:USER_SGPR: 15
; COMPUTE_PGM_RSRC2:TRAP_HANDLER: 0
; COMPUTE_PGM_RSRC2:TGID_X_EN: 1
; COMPUTE_PGM_RSRC2:TGID_Y_EN: 0
; COMPUTE_PGM_RSRC2:TGID_Z_EN: 0
; COMPUTE_PGM_RSRC2:TIDIG_COMP_CNT: 0
	.section	.text._ZN6thrust23THRUST_200600_302600_NS11hip_rocprim14__parallel_for6kernelILj256ENS1_11__transform17unary_transform_fINS0_6detail15normal_iteratorINS0_10device_ptrIyEEEENS7_INS8_IfEEEENS4_14no_stencil_tagENS0_8identityIyEENS4_21always_true_predicateEEElLj1EEEvT0_T1_SJ_,"axG",@progbits,_ZN6thrust23THRUST_200600_302600_NS11hip_rocprim14__parallel_for6kernelILj256ENS1_11__transform17unary_transform_fINS0_6detail15normal_iteratorINS0_10device_ptrIyEEEENS7_INS8_IfEEEENS4_14no_stencil_tagENS0_8identityIyEENS4_21always_true_predicateEEElLj1EEEvT0_T1_SJ_,comdat
	.protected	_ZN6thrust23THRUST_200600_302600_NS11hip_rocprim14__parallel_for6kernelILj256ENS1_11__transform17unary_transform_fINS0_6detail15normal_iteratorINS0_10device_ptrIyEEEENS7_INS8_IfEEEENS4_14no_stencil_tagENS0_8identityIyEENS4_21always_true_predicateEEElLj1EEEvT0_T1_SJ_ ; -- Begin function _ZN6thrust23THRUST_200600_302600_NS11hip_rocprim14__parallel_for6kernelILj256ENS1_11__transform17unary_transform_fINS0_6detail15normal_iteratorINS0_10device_ptrIyEEEENS7_INS8_IfEEEENS4_14no_stencil_tagENS0_8identityIyEENS4_21always_true_predicateEEElLj1EEEvT0_T1_SJ_
	.globl	_ZN6thrust23THRUST_200600_302600_NS11hip_rocprim14__parallel_for6kernelILj256ENS1_11__transform17unary_transform_fINS0_6detail15normal_iteratorINS0_10device_ptrIyEEEENS7_INS8_IfEEEENS4_14no_stencil_tagENS0_8identityIyEENS4_21always_true_predicateEEElLj1EEEvT0_T1_SJ_
	.p2align	8
	.type	_ZN6thrust23THRUST_200600_302600_NS11hip_rocprim14__parallel_for6kernelILj256ENS1_11__transform17unary_transform_fINS0_6detail15normal_iteratorINS0_10device_ptrIyEEEENS7_INS8_IfEEEENS4_14no_stencil_tagENS0_8identityIyEENS4_21always_true_predicateEEElLj1EEEvT0_T1_SJ_,@function
_ZN6thrust23THRUST_200600_302600_NS11hip_rocprim14__parallel_for6kernelILj256ENS1_11__transform17unary_transform_fINS0_6detail15normal_iteratorINS0_10device_ptrIyEEEENS7_INS8_IfEEEENS4_14no_stencil_tagENS0_8identityIyEENS4_21always_true_predicateEEElLj1EEEvT0_T1_SJ_: ; @_ZN6thrust23THRUST_200600_302600_NS11hip_rocprim14__parallel_for6kernelILj256ENS1_11__transform17unary_transform_fINS0_6detail15normal_iteratorINS0_10device_ptrIyEEEENS7_INS8_IfEEEENS4_14no_stencil_tagENS0_8identityIyEENS4_21always_true_predicateEEElLj1EEEvT0_T1_SJ_
; %bb.0:
	s_clause 0x1
	s_load_b128 s[8:11], s[0:1], 0x18
	s_load_b128 s[0:3], s[0:1], 0x0
	s_lshl_b32 s4, s15, 8
	s_waitcnt lgkmcnt(0)
	s_add_u32 s4, s4, s10
	s_addc_u32 s5, 0, s11
	s_sub_u32 s6, s8, s4
	s_subb_u32 s7, s9, s5
	s_delay_alu instid0(SALU_CYCLE_1) | instskip(NEXT) | instid1(VALU_DEP_1)
	v_cmp_gt_i64_e64 s7, 0x100, s[6:7]
	s_and_b32 s7, s7, exec_lo
	s_cselect_b32 s7, s6, 0x100
	s_mov_b32 s6, -1
	s_cmpk_lg_i32 s7, 0x100
	s_cbranch_scc1 .LBB67_3
; %bb.1:
	s_and_not1_b32 vcc_lo, exec_lo, s6
	s_cbranch_vccz .LBB67_6
.LBB67_2:
	s_endpgm
.LBB67_3:
	s_mov_b32 s6, exec_lo
	v_cmpx_gt_u32_e64 s7, v0
	s_cbranch_execz .LBB67_5
; %bb.4:
	v_add_co_u32 v1, s7, s4, v0
	s_delay_alu instid0(VALU_DEP_1) | instskip(NEXT) | instid1(VALU_DEP_1)
	v_add_co_ci_u32_e64 v2, null, s5, 0, s7
	v_lshlrev_b64 v[3:4], 3, v[1:2]
	v_lshlrev_b64 v[1:2], 2, v[1:2]
	s_delay_alu instid0(VALU_DEP_2) | instskip(NEXT) | instid1(VALU_DEP_3)
	v_add_co_u32 v3, vcc_lo, s0, v3
	v_add_co_ci_u32_e32 v4, vcc_lo, s1, v4, vcc_lo
	s_delay_alu instid0(VALU_DEP_3) | instskip(NEXT) | instid1(VALU_DEP_4)
	v_add_co_u32 v1, vcc_lo, s2, v1
	v_add_co_ci_u32_e32 v2, vcc_lo, s3, v2, vcc_lo
	flat_load_b64 v[3:4], v[3:4]
	s_waitcnt vmcnt(0) lgkmcnt(0)
	v_clz_i32_u32_e32 v5, v4
	s_delay_alu instid0(VALU_DEP_1) | instskip(NEXT) | instid1(VALU_DEP_1)
	v_min_u32_e32 v5, 32, v5
	v_lshlrev_b64 v[3:4], v5, v[3:4]
	s_delay_alu instid0(VALU_DEP_1) | instskip(NEXT) | instid1(VALU_DEP_1)
	v_min_u32_e32 v3, 1, v3
	v_or_b32_e32 v3, v4, v3
	v_sub_nc_u32_e32 v4, 32, v5
	s_delay_alu instid0(VALU_DEP_2) | instskip(NEXT) | instid1(VALU_DEP_1)
	v_cvt_f32_u32_e32 v3, v3
	v_ldexp_f32 v3, v3, v4
	flat_store_b32 v[1:2], v3
.LBB67_5:
	s_or_b32 exec_lo, exec_lo, s6
	s_cbranch_execnz .LBB67_2
.LBB67_6:
	v_add_co_u32 v0, s4, s4, v0
	s_delay_alu instid0(VALU_DEP_1) | instskip(NEXT) | instid1(VALU_DEP_1)
	v_add_co_ci_u32_e64 v1, null, s5, 0, s4
	v_lshlrev_b64 v[2:3], 3, v[0:1]
	v_lshlrev_b64 v[0:1], 2, v[0:1]
	s_delay_alu instid0(VALU_DEP_2) | instskip(NEXT) | instid1(VALU_DEP_3)
	v_add_co_u32 v2, vcc_lo, s0, v2
	v_add_co_ci_u32_e32 v3, vcc_lo, s1, v3, vcc_lo
	s_delay_alu instid0(VALU_DEP_3) | instskip(NEXT) | instid1(VALU_DEP_4)
	v_add_co_u32 v0, vcc_lo, s2, v0
	v_add_co_ci_u32_e32 v1, vcc_lo, s3, v1, vcc_lo
	flat_load_b64 v[2:3], v[2:3]
	s_waitcnt vmcnt(0) lgkmcnt(0)
	v_clz_i32_u32_e32 v4, v3
	s_delay_alu instid0(VALU_DEP_1) | instskip(NEXT) | instid1(VALU_DEP_1)
	v_min_u32_e32 v4, 32, v4
	v_lshlrev_b64 v[2:3], v4, v[2:3]
	s_delay_alu instid0(VALU_DEP_1) | instskip(NEXT) | instid1(VALU_DEP_1)
	v_min_u32_e32 v2, 1, v2
	v_or_b32_e32 v2, v3, v2
	v_sub_nc_u32_e32 v3, 32, v4
	s_delay_alu instid0(VALU_DEP_2) | instskip(NEXT) | instid1(VALU_DEP_1)
	v_cvt_f32_u32_e32 v2, v2
	v_ldexp_f32 v2, v2, v3
	flat_store_b32 v[0:1], v2
	s_endpgm
	.section	.rodata,"a",@progbits
	.p2align	6, 0x0
	.amdhsa_kernel _ZN6thrust23THRUST_200600_302600_NS11hip_rocprim14__parallel_for6kernelILj256ENS1_11__transform17unary_transform_fINS0_6detail15normal_iteratorINS0_10device_ptrIyEEEENS7_INS8_IfEEEENS4_14no_stencil_tagENS0_8identityIyEENS4_21always_true_predicateEEElLj1EEEvT0_T1_SJ_
		.amdhsa_group_segment_fixed_size 0
		.amdhsa_private_segment_fixed_size 0
		.amdhsa_kernarg_size 40
		.amdhsa_user_sgpr_count 15
		.amdhsa_user_sgpr_dispatch_ptr 0
		.amdhsa_user_sgpr_queue_ptr 0
		.amdhsa_user_sgpr_kernarg_segment_ptr 1
		.amdhsa_user_sgpr_dispatch_id 0
		.amdhsa_user_sgpr_private_segment_size 0
		.amdhsa_wavefront_size32 1
		.amdhsa_uses_dynamic_stack 0
		.amdhsa_enable_private_segment 0
		.amdhsa_system_sgpr_workgroup_id_x 1
		.amdhsa_system_sgpr_workgroup_id_y 0
		.amdhsa_system_sgpr_workgroup_id_z 0
		.amdhsa_system_sgpr_workgroup_info 0
		.amdhsa_system_vgpr_workitem_id 0
		.amdhsa_next_free_vgpr 6
		.amdhsa_next_free_sgpr 16
		.amdhsa_reserve_vcc 1
		.amdhsa_float_round_mode_32 0
		.amdhsa_float_round_mode_16_64 0
		.amdhsa_float_denorm_mode_32 3
		.amdhsa_float_denorm_mode_16_64 3
		.amdhsa_dx10_clamp 1
		.amdhsa_ieee_mode 1
		.amdhsa_fp16_overflow 0
		.amdhsa_workgroup_processor_mode 1
		.amdhsa_memory_ordered 1
		.amdhsa_forward_progress 0
		.amdhsa_shared_vgpr_count 0
		.amdhsa_exception_fp_ieee_invalid_op 0
		.amdhsa_exception_fp_denorm_src 0
		.amdhsa_exception_fp_ieee_div_zero 0
		.amdhsa_exception_fp_ieee_overflow 0
		.amdhsa_exception_fp_ieee_underflow 0
		.amdhsa_exception_fp_ieee_inexact 0
		.amdhsa_exception_int_div_zero 0
	.end_amdhsa_kernel
	.section	.text._ZN6thrust23THRUST_200600_302600_NS11hip_rocprim14__parallel_for6kernelILj256ENS1_11__transform17unary_transform_fINS0_6detail15normal_iteratorINS0_10device_ptrIyEEEENS7_INS8_IfEEEENS4_14no_stencil_tagENS0_8identityIyEENS4_21always_true_predicateEEElLj1EEEvT0_T1_SJ_,"axG",@progbits,_ZN6thrust23THRUST_200600_302600_NS11hip_rocprim14__parallel_for6kernelILj256ENS1_11__transform17unary_transform_fINS0_6detail15normal_iteratorINS0_10device_ptrIyEEEENS7_INS8_IfEEEENS4_14no_stencil_tagENS0_8identityIyEENS4_21always_true_predicateEEElLj1EEEvT0_T1_SJ_,comdat
.Lfunc_end67:
	.size	_ZN6thrust23THRUST_200600_302600_NS11hip_rocprim14__parallel_for6kernelILj256ENS1_11__transform17unary_transform_fINS0_6detail15normal_iteratorINS0_10device_ptrIyEEEENS7_INS8_IfEEEENS4_14no_stencil_tagENS0_8identityIyEENS4_21always_true_predicateEEElLj1EEEvT0_T1_SJ_, .Lfunc_end67-_ZN6thrust23THRUST_200600_302600_NS11hip_rocprim14__parallel_for6kernelILj256ENS1_11__transform17unary_transform_fINS0_6detail15normal_iteratorINS0_10device_ptrIyEEEENS7_INS8_IfEEEENS4_14no_stencil_tagENS0_8identityIyEENS4_21always_true_predicateEEElLj1EEEvT0_T1_SJ_
                                        ; -- End function
	.section	.AMDGPU.csdata,"",@progbits
; Kernel info:
; codeLenInByte = 404
; NumSgprs: 18
; NumVgprs: 6
; ScratchSize: 0
; MemoryBound: 0
; FloatMode: 240
; IeeeMode: 1
; LDSByteSize: 0 bytes/workgroup (compile time only)
; SGPRBlocks: 2
; VGPRBlocks: 0
; NumSGPRsForWavesPerEU: 18
; NumVGPRsForWavesPerEU: 6
; Occupancy: 16
; WaveLimiterHint : 0
; COMPUTE_PGM_RSRC2:SCRATCH_EN: 0
; COMPUTE_PGM_RSRC2:USER_SGPR: 15
; COMPUTE_PGM_RSRC2:TRAP_HANDLER: 0
; COMPUTE_PGM_RSRC2:TGID_X_EN: 1
; COMPUTE_PGM_RSRC2:TGID_Y_EN: 0
; COMPUTE_PGM_RSRC2:TGID_Z_EN: 0
; COMPUTE_PGM_RSRC2:TIDIG_COMP_CNT: 0
	.section	.text._ZN6thrust23THRUST_200600_302600_NS11hip_rocprim14__parallel_for6kernelILj256ENS1_11__transform17unary_transform_fINS0_10device_ptrIyEENS6_IfEENS4_14no_stencil_tagENS0_8identityIyEENS4_21always_true_predicateEEElLj1EEEvT0_T1_SF_,"axG",@progbits,_ZN6thrust23THRUST_200600_302600_NS11hip_rocprim14__parallel_for6kernelILj256ENS1_11__transform17unary_transform_fINS0_10device_ptrIyEENS6_IfEENS4_14no_stencil_tagENS0_8identityIyEENS4_21always_true_predicateEEElLj1EEEvT0_T1_SF_,comdat
	.protected	_ZN6thrust23THRUST_200600_302600_NS11hip_rocprim14__parallel_for6kernelILj256ENS1_11__transform17unary_transform_fINS0_10device_ptrIyEENS6_IfEENS4_14no_stencil_tagENS0_8identityIyEENS4_21always_true_predicateEEElLj1EEEvT0_T1_SF_ ; -- Begin function _ZN6thrust23THRUST_200600_302600_NS11hip_rocprim14__parallel_for6kernelILj256ENS1_11__transform17unary_transform_fINS0_10device_ptrIyEENS6_IfEENS4_14no_stencil_tagENS0_8identityIyEENS4_21always_true_predicateEEElLj1EEEvT0_T1_SF_
	.globl	_ZN6thrust23THRUST_200600_302600_NS11hip_rocprim14__parallel_for6kernelILj256ENS1_11__transform17unary_transform_fINS0_10device_ptrIyEENS6_IfEENS4_14no_stencil_tagENS0_8identityIyEENS4_21always_true_predicateEEElLj1EEEvT0_T1_SF_
	.p2align	8
	.type	_ZN6thrust23THRUST_200600_302600_NS11hip_rocprim14__parallel_for6kernelILj256ENS1_11__transform17unary_transform_fINS0_10device_ptrIyEENS6_IfEENS4_14no_stencil_tagENS0_8identityIyEENS4_21always_true_predicateEEElLj1EEEvT0_T1_SF_,@function
_ZN6thrust23THRUST_200600_302600_NS11hip_rocprim14__parallel_for6kernelILj256ENS1_11__transform17unary_transform_fINS0_10device_ptrIyEENS6_IfEENS4_14no_stencil_tagENS0_8identityIyEENS4_21always_true_predicateEEElLj1EEEvT0_T1_SF_: ; @_ZN6thrust23THRUST_200600_302600_NS11hip_rocprim14__parallel_for6kernelILj256ENS1_11__transform17unary_transform_fINS0_10device_ptrIyEENS6_IfEENS4_14no_stencil_tagENS0_8identityIyEENS4_21always_true_predicateEEElLj1EEEvT0_T1_SF_
; %bb.0:
	s_clause 0x1
	s_load_b128 s[8:11], s[0:1], 0x18
	s_load_b128 s[0:3], s[0:1], 0x0
	s_lshl_b32 s4, s15, 8
	s_waitcnt lgkmcnt(0)
	s_add_u32 s4, s4, s10
	s_addc_u32 s5, 0, s11
	s_sub_u32 s6, s8, s4
	s_subb_u32 s7, s9, s5
	s_delay_alu instid0(SALU_CYCLE_1) | instskip(NEXT) | instid1(VALU_DEP_1)
	v_cmp_gt_i64_e64 s7, 0x100, s[6:7]
	s_and_b32 s7, s7, exec_lo
	s_cselect_b32 s7, s6, 0x100
	s_mov_b32 s6, -1
	s_cmpk_lg_i32 s7, 0x100
	s_cbranch_scc1 .LBB68_3
; %bb.1:
	s_and_not1_b32 vcc_lo, exec_lo, s6
	s_cbranch_vccz .LBB68_6
.LBB68_2:
	s_endpgm
.LBB68_3:
	s_mov_b32 s6, exec_lo
	v_cmpx_gt_u32_e64 s7, v0
	s_cbranch_execz .LBB68_5
; %bb.4:
	v_add_co_u32 v1, s7, s4, v0
	s_delay_alu instid0(VALU_DEP_1) | instskip(NEXT) | instid1(VALU_DEP_1)
	v_add_co_ci_u32_e64 v2, null, s5, 0, s7
	v_lshlrev_b64 v[3:4], 3, v[1:2]
	v_lshlrev_b64 v[1:2], 2, v[1:2]
	s_delay_alu instid0(VALU_DEP_2) | instskip(NEXT) | instid1(VALU_DEP_3)
	v_add_co_u32 v3, vcc_lo, s0, v3
	v_add_co_ci_u32_e32 v4, vcc_lo, s1, v4, vcc_lo
	s_delay_alu instid0(VALU_DEP_3) | instskip(NEXT) | instid1(VALU_DEP_4)
	v_add_co_u32 v1, vcc_lo, s2, v1
	v_add_co_ci_u32_e32 v2, vcc_lo, s3, v2, vcc_lo
	flat_load_b64 v[3:4], v[3:4]
	s_waitcnt vmcnt(0) lgkmcnt(0)
	v_clz_i32_u32_e32 v5, v4
	s_delay_alu instid0(VALU_DEP_1) | instskip(NEXT) | instid1(VALU_DEP_1)
	v_min_u32_e32 v5, 32, v5
	v_lshlrev_b64 v[3:4], v5, v[3:4]
	s_delay_alu instid0(VALU_DEP_1) | instskip(NEXT) | instid1(VALU_DEP_1)
	v_min_u32_e32 v3, 1, v3
	v_or_b32_e32 v3, v4, v3
	v_sub_nc_u32_e32 v4, 32, v5
	s_delay_alu instid0(VALU_DEP_2) | instskip(NEXT) | instid1(VALU_DEP_1)
	v_cvt_f32_u32_e32 v3, v3
	v_ldexp_f32 v3, v3, v4
	flat_store_b32 v[1:2], v3
.LBB68_5:
	s_or_b32 exec_lo, exec_lo, s6
	s_cbranch_execnz .LBB68_2
.LBB68_6:
	v_add_co_u32 v0, s4, s4, v0
	s_delay_alu instid0(VALU_DEP_1) | instskip(NEXT) | instid1(VALU_DEP_1)
	v_add_co_ci_u32_e64 v1, null, s5, 0, s4
	v_lshlrev_b64 v[2:3], 3, v[0:1]
	v_lshlrev_b64 v[0:1], 2, v[0:1]
	s_delay_alu instid0(VALU_DEP_2) | instskip(NEXT) | instid1(VALU_DEP_3)
	v_add_co_u32 v2, vcc_lo, s0, v2
	v_add_co_ci_u32_e32 v3, vcc_lo, s1, v3, vcc_lo
	s_delay_alu instid0(VALU_DEP_3) | instskip(NEXT) | instid1(VALU_DEP_4)
	v_add_co_u32 v0, vcc_lo, s2, v0
	v_add_co_ci_u32_e32 v1, vcc_lo, s3, v1, vcc_lo
	flat_load_b64 v[2:3], v[2:3]
	s_waitcnt vmcnt(0) lgkmcnt(0)
	v_clz_i32_u32_e32 v4, v3
	s_delay_alu instid0(VALU_DEP_1) | instskip(NEXT) | instid1(VALU_DEP_1)
	v_min_u32_e32 v4, 32, v4
	v_lshlrev_b64 v[2:3], v4, v[2:3]
	s_delay_alu instid0(VALU_DEP_1) | instskip(NEXT) | instid1(VALU_DEP_1)
	v_min_u32_e32 v2, 1, v2
	v_or_b32_e32 v2, v3, v2
	v_sub_nc_u32_e32 v3, 32, v4
	s_delay_alu instid0(VALU_DEP_2) | instskip(NEXT) | instid1(VALU_DEP_1)
	v_cvt_f32_u32_e32 v2, v2
	v_ldexp_f32 v2, v2, v3
	flat_store_b32 v[0:1], v2
	s_endpgm
	.section	.rodata,"a",@progbits
	.p2align	6, 0x0
	.amdhsa_kernel _ZN6thrust23THRUST_200600_302600_NS11hip_rocprim14__parallel_for6kernelILj256ENS1_11__transform17unary_transform_fINS0_10device_ptrIyEENS6_IfEENS4_14no_stencil_tagENS0_8identityIyEENS4_21always_true_predicateEEElLj1EEEvT0_T1_SF_
		.amdhsa_group_segment_fixed_size 0
		.amdhsa_private_segment_fixed_size 0
		.amdhsa_kernarg_size 40
		.amdhsa_user_sgpr_count 15
		.amdhsa_user_sgpr_dispatch_ptr 0
		.amdhsa_user_sgpr_queue_ptr 0
		.amdhsa_user_sgpr_kernarg_segment_ptr 1
		.amdhsa_user_sgpr_dispatch_id 0
		.amdhsa_user_sgpr_private_segment_size 0
		.amdhsa_wavefront_size32 1
		.amdhsa_uses_dynamic_stack 0
		.amdhsa_enable_private_segment 0
		.amdhsa_system_sgpr_workgroup_id_x 1
		.amdhsa_system_sgpr_workgroup_id_y 0
		.amdhsa_system_sgpr_workgroup_id_z 0
		.amdhsa_system_sgpr_workgroup_info 0
		.amdhsa_system_vgpr_workitem_id 0
		.amdhsa_next_free_vgpr 6
		.amdhsa_next_free_sgpr 16
		.amdhsa_reserve_vcc 1
		.amdhsa_float_round_mode_32 0
		.amdhsa_float_round_mode_16_64 0
		.amdhsa_float_denorm_mode_32 3
		.amdhsa_float_denorm_mode_16_64 3
		.amdhsa_dx10_clamp 1
		.amdhsa_ieee_mode 1
		.amdhsa_fp16_overflow 0
		.amdhsa_workgroup_processor_mode 1
		.amdhsa_memory_ordered 1
		.amdhsa_forward_progress 0
		.amdhsa_shared_vgpr_count 0
		.amdhsa_exception_fp_ieee_invalid_op 0
		.amdhsa_exception_fp_denorm_src 0
		.amdhsa_exception_fp_ieee_div_zero 0
		.amdhsa_exception_fp_ieee_overflow 0
		.amdhsa_exception_fp_ieee_underflow 0
		.amdhsa_exception_fp_ieee_inexact 0
		.amdhsa_exception_int_div_zero 0
	.end_amdhsa_kernel
	.section	.text._ZN6thrust23THRUST_200600_302600_NS11hip_rocprim14__parallel_for6kernelILj256ENS1_11__transform17unary_transform_fINS0_10device_ptrIyEENS6_IfEENS4_14no_stencil_tagENS0_8identityIyEENS4_21always_true_predicateEEElLj1EEEvT0_T1_SF_,"axG",@progbits,_ZN6thrust23THRUST_200600_302600_NS11hip_rocprim14__parallel_for6kernelILj256ENS1_11__transform17unary_transform_fINS0_10device_ptrIyEENS6_IfEENS4_14no_stencil_tagENS0_8identityIyEENS4_21always_true_predicateEEElLj1EEEvT0_T1_SF_,comdat
.Lfunc_end68:
	.size	_ZN6thrust23THRUST_200600_302600_NS11hip_rocprim14__parallel_for6kernelILj256ENS1_11__transform17unary_transform_fINS0_10device_ptrIyEENS6_IfEENS4_14no_stencil_tagENS0_8identityIyEENS4_21always_true_predicateEEElLj1EEEvT0_T1_SF_, .Lfunc_end68-_ZN6thrust23THRUST_200600_302600_NS11hip_rocprim14__parallel_for6kernelILj256ENS1_11__transform17unary_transform_fINS0_10device_ptrIyEENS6_IfEENS4_14no_stencil_tagENS0_8identityIyEENS4_21always_true_predicateEEElLj1EEEvT0_T1_SF_
                                        ; -- End function
	.section	.AMDGPU.csdata,"",@progbits
; Kernel info:
; codeLenInByte = 404
; NumSgprs: 18
; NumVgprs: 6
; ScratchSize: 0
; MemoryBound: 0
; FloatMode: 240
; IeeeMode: 1
; LDSByteSize: 0 bytes/workgroup (compile time only)
; SGPRBlocks: 2
; VGPRBlocks: 0
; NumSGPRsForWavesPerEU: 18
; NumVGPRsForWavesPerEU: 6
; Occupancy: 16
; WaveLimiterHint : 0
; COMPUTE_PGM_RSRC2:SCRATCH_EN: 0
; COMPUTE_PGM_RSRC2:USER_SGPR: 15
; COMPUTE_PGM_RSRC2:TRAP_HANDLER: 0
; COMPUTE_PGM_RSRC2:TGID_X_EN: 1
; COMPUTE_PGM_RSRC2:TGID_Y_EN: 0
; COMPUTE_PGM_RSRC2:TGID_Z_EN: 0
; COMPUTE_PGM_RSRC2:TIDIG_COMP_CNT: 0
	.section	.text._ZN6thrust23THRUST_200600_302600_NS11hip_rocprim14__parallel_for6kernelILj256ENS1_20__uninitialized_copy7functorINS0_6detail15normal_iteratorINS0_10device_ptrIjEEEENS0_7pointerIjNS1_3tagENS0_11use_defaultESD_EEEEmLj1EEEvT0_T1_SH_,"axG",@progbits,_ZN6thrust23THRUST_200600_302600_NS11hip_rocprim14__parallel_for6kernelILj256ENS1_20__uninitialized_copy7functorINS0_6detail15normal_iteratorINS0_10device_ptrIjEEEENS0_7pointerIjNS1_3tagENS0_11use_defaultESD_EEEEmLj1EEEvT0_T1_SH_,comdat
	.protected	_ZN6thrust23THRUST_200600_302600_NS11hip_rocprim14__parallel_for6kernelILj256ENS1_20__uninitialized_copy7functorINS0_6detail15normal_iteratorINS0_10device_ptrIjEEEENS0_7pointerIjNS1_3tagENS0_11use_defaultESD_EEEEmLj1EEEvT0_T1_SH_ ; -- Begin function _ZN6thrust23THRUST_200600_302600_NS11hip_rocprim14__parallel_for6kernelILj256ENS1_20__uninitialized_copy7functorINS0_6detail15normal_iteratorINS0_10device_ptrIjEEEENS0_7pointerIjNS1_3tagENS0_11use_defaultESD_EEEEmLj1EEEvT0_T1_SH_
	.globl	_ZN6thrust23THRUST_200600_302600_NS11hip_rocprim14__parallel_for6kernelILj256ENS1_20__uninitialized_copy7functorINS0_6detail15normal_iteratorINS0_10device_ptrIjEEEENS0_7pointerIjNS1_3tagENS0_11use_defaultESD_EEEEmLj1EEEvT0_T1_SH_
	.p2align	8
	.type	_ZN6thrust23THRUST_200600_302600_NS11hip_rocprim14__parallel_for6kernelILj256ENS1_20__uninitialized_copy7functorINS0_6detail15normal_iteratorINS0_10device_ptrIjEEEENS0_7pointerIjNS1_3tagENS0_11use_defaultESD_EEEEmLj1EEEvT0_T1_SH_,@function
_ZN6thrust23THRUST_200600_302600_NS11hip_rocprim14__parallel_for6kernelILj256ENS1_20__uninitialized_copy7functorINS0_6detail15normal_iteratorINS0_10device_ptrIjEEEENS0_7pointerIjNS1_3tagENS0_11use_defaultESD_EEEEmLj1EEEvT0_T1_SH_: ; @_ZN6thrust23THRUST_200600_302600_NS11hip_rocprim14__parallel_for6kernelILj256ENS1_20__uninitialized_copy7functorINS0_6detail15normal_iteratorINS0_10device_ptrIjEEEENS0_7pointerIjNS1_3tagENS0_11use_defaultESD_EEEEmLj1EEEvT0_T1_SH_
; %bb.0:
	s_load_b256 s[0:7], s[0:1], 0x0
	s_lshl_b32 s8, s15, 8
	s_waitcnt lgkmcnt(0)
	s_add_u32 s6, s8, s6
	s_addc_u32 s7, 0, s7
	s_sub_u32 s4, s4, s6
	s_subb_u32 s5, s5, s7
	s_delay_alu instid0(SALU_CYCLE_1) | instskip(NEXT) | instid1(VALU_DEP_1)
	v_cmp_gt_u64_e64 s5, 0x100, s[4:5]
	s_and_b32 vcc_lo, exec_lo, s5
	s_mov_b32 s5, 0
	s_cbranch_vccz .LBB69_4
; %bb.1:
	v_cmp_gt_u32_e32 vcc_lo, s4, v0
	s_mov_b32 s4, 0
                                        ; implicit-def: $vgpr1_vgpr2
                                        ; implicit-def: $vgpr3_vgpr4
	s_and_saveexec_b32 s8, vcc_lo
	s_delay_alu instid0(SALU_CYCLE_1)
	s_xor_b32 s8, exec_lo, s8
; %bb.2:
	v_add_co_u32 v1, s9, s6, v0
	s_delay_alu instid0(VALU_DEP_1) | instskip(SKIP_1) | instid1(VALU_DEP_1)
	v_add_co_ci_u32_e64 v2, null, s7, 0, s9
	s_mov_b32 s5, exec_lo
	v_lshlrev_b64 v[3:4], 2, v[1:2]
	s_delay_alu instid0(VALU_DEP_1) | instskip(NEXT) | instid1(VALU_DEP_2)
	v_add_co_u32 v1, vcc_lo, s2, v3
	v_add_co_ci_u32_e32 v2, vcc_lo, s3, v4, vcc_lo
	v_add_co_u32 v3, vcc_lo, s0, v3
	v_add_co_ci_u32_e32 v4, vcc_lo, s1, v4, vcc_lo
; %bb.3:
	s_or_b32 exec_lo, exec_lo, s8
	s_delay_alu instid0(SALU_CYCLE_1)
	s_and_b32 vcc_lo, exec_lo, s4
	s_cbranch_vccnz .LBB69_5
	s_branch .LBB69_6
.LBB69_4:
                                        ; implicit-def: $vgpr1_vgpr2
                                        ; implicit-def: $vgpr3_vgpr4
	s_cbranch_execz .LBB69_6
.LBB69_5:
	v_add_co_u32 v0, s4, s6, v0
	s_delay_alu instid0(VALU_DEP_1) | instskip(SKIP_1) | instid1(VALU_DEP_1)
	v_add_co_ci_u32_e64 v1, null, s7, 0, s4
	s_or_b32 s5, s5, exec_lo
	v_lshlrev_b64 v[1:2], 2, v[0:1]
	s_delay_alu instid0(VALU_DEP_1) | instskip(NEXT) | instid1(VALU_DEP_2)
	v_add_co_u32 v3, vcc_lo, s0, v1
	v_add_co_ci_u32_e32 v4, vcc_lo, s1, v2, vcc_lo
	v_add_co_u32 v1, vcc_lo, s2, v1
	v_add_co_ci_u32_e32 v2, vcc_lo, s3, v2, vcc_lo
.LBB69_6:
	s_and_saveexec_b32 s0, s5
	s_cbranch_execnz .LBB69_8
; %bb.7:
	s_endpgm
.LBB69_8:
	flat_load_b32 v0, v[3:4]
	s_waitcnt vmcnt(0) lgkmcnt(0)
	flat_store_b32 v[1:2], v0
	s_endpgm
	.section	.rodata,"a",@progbits
	.p2align	6, 0x0
	.amdhsa_kernel _ZN6thrust23THRUST_200600_302600_NS11hip_rocprim14__parallel_for6kernelILj256ENS1_20__uninitialized_copy7functorINS0_6detail15normal_iteratorINS0_10device_ptrIjEEEENS0_7pointerIjNS1_3tagENS0_11use_defaultESD_EEEEmLj1EEEvT0_T1_SH_
		.amdhsa_group_segment_fixed_size 0
		.amdhsa_private_segment_fixed_size 0
		.amdhsa_kernarg_size 32
		.amdhsa_user_sgpr_count 15
		.amdhsa_user_sgpr_dispatch_ptr 0
		.amdhsa_user_sgpr_queue_ptr 0
		.amdhsa_user_sgpr_kernarg_segment_ptr 1
		.amdhsa_user_sgpr_dispatch_id 0
		.amdhsa_user_sgpr_private_segment_size 0
		.amdhsa_wavefront_size32 1
		.amdhsa_uses_dynamic_stack 0
		.amdhsa_enable_private_segment 0
		.amdhsa_system_sgpr_workgroup_id_x 1
		.amdhsa_system_sgpr_workgroup_id_y 0
		.amdhsa_system_sgpr_workgroup_id_z 0
		.amdhsa_system_sgpr_workgroup_info 0
		.amdhsa_system_vgpr_workitem_id 0
		.amdhsa_next_free_vgpr 5
		.amdhsa_next_free_sgpr 16
		.amdhsa_reserve_vcc 1
		.amdhsa_float_round_mode_32 0
		.amdhsa_float_round_mode_16_64 0
		.amdhsa_float_denorm_mode_32 3
		.amdhsa_float_denorm_mode_16_64 3
		.amdhsa_dx10_clamp 1
		.amdhsa_ieee_mode 1
		.amdhsa_fp16_overflow 0
		.amdhsa_workgroup_processor_mode 1
		.amdhsa_memory_ordered 1
		.amdhsa_forward_progress 0
		.amdhsa_shared_vgpr_count 0
		.amdhsa_exception_fp_ieee_invalid_op 0
		.amdhsa_exception_fp_denorm_src 0
		.amdhsa_exception_fp_ieee_div_zero 0
		.amdhsa_exception_fp_ieee_overflow 0
		.amdhsa_exception_fp_ieee_underflow 0
		.amdhsa_exception_fp_ieee_inexact 0
		.amdhsa_exception_int_div_zero 0
	.end_amdhsa_kernel
	.section	.text._ZN6thrust23THRUST_200600_302600_NS11hip_rocprim14__parallel_for6kernelILj256ENS1_20__uninitialized_copy7functorINS0_6detail15normal_iteratorINS0_10device_ptrIjEEEENS0_7pointerIjNS1_3tagENS0_11use_defaultESD_EEEEmLj1EEEvT0_T1_SH_,"axG",@progbits,_ZN6thrust23THRUST_200600_302600_NS11hip_rocprim14__parallel_for6kernelILj256ENS1_20__uninitialized_copy7functorINS0_6detail15normal_iteratorINS0_10device_ptrIjEEEENS0_7pointerIjNS1_3tagENS0_11use_defaultESD_EEEEmLj1EEEvT0_T1_SH_,comdat
.Lfunc_end69:
	.size	_ZN6thrust23THRUST_200600_302600_NS11hip_rocprim14__parallel_for6kernelILj256ENS1_20__uninitialized_copy7functorINS0_6detail15normal_iteratorINS0_10device_ptrIjEEEENS0_7pointerIjNS1_3tagENS0_11use_defaultESD_EEEEmLj1EEEvT0_T1_SH_, .Lfunc_end69-_ZN6thrust23THRUST_200600_302600_NS11hip_rocprim14__parallel_for6kernelILj256ENS1_20__uninitialized_copy7functorINS0_6detail15normal_iteratorINS0_10device_ptrIjEEEENS0_7pointerIjNS1_3tagENS0_11use_defaultESD_EEEEmLj1EEEvT0_T1_SH_
                                        ; -- End function
	.section	.AMDGPU.csdata,"",@progbits
; Kernel info:
; codeLenInByte = 260
; NumSgprs: 18
; NumVgprs: 5
; ScratchSize: 0
; MemoryBound: 0
; FloatMode: 240
; IeeeMode: 1
; LDSByteSize: 0 bytes/workgroup (compile time only)
; SGPRBlocks: 2
; VGPRBlocks: 0
; NumSGPRsForWavesPerEU: 18
; NumVGPRsForWavesPerEU: 5
; Occupancy: 16
; WaveLimiterHint : 0
; COMPUTE_PGM_RSRC2:SCRATCH_EN: 0
; COMPUTE_PGM_RSRC2:USER_SGPR: 15
; COMPUTE_PGM_RSRC2:TRAP_HANDLER: 0
; COMPUTE_PGM_RSRC2:TGID_X_EN: 1
; COMPUTE_PGM_RSRC2:TGID_Y_EN: 0
; COMPUTE_PGM_RSRC2:TGID_Z_EN: 0
; COMPUTE_PGM_RSRC2:TIDIG_COMP_CNT: 0
	.section	.text._ZN6thrust23THRUST_200600_302600_NS11hip_rocprim14__parallel_for6kernelILj256ENS1_11__transform17unary_transform_fINS0_6detail15normal_iteratorINS0_10device_ptrIjEEEENS7_INS8_IfEEEENS4_14no_stencil_tagENS0_8identityIjEENS4_21always_true_predicateEEElLj1EEEvT0_T1_SJ_,"axG",@progbits,_ZN6thrust23THRUST_200600_302600_NS11hip_rocprim14__parallel_for6kernelILj256ENS1_11__transform17unary_transform_fINS0_6detail15normal_iteratorINS0_10device_ptrIjEEEENS7_INS8_IfEEEENS4_14no_stencil_tagENS0_8identityIjEENS4_21always_true_predicateEEElLj1EEEvT0_T1_SJ_,comdat
	.protected	_ZN6thrust23THRUST_200600_302600_NS11hip_rocprim14__parallel_for6kernelILj256ENS1_11__transform17unary_transform_fINS0_6detail15normal_iteratorINS0_10device_ptrIjEEEENS7_INS8_IfEEEENS4_14no_stencil_tagENS0_8identityIjEENS4_21always_true_predicateEEElLj1EEEvT0_T1_SJ_ ; -- Begin function _ZN6thrust23THRUST_200600_302600_NS11hip_rocprim14__parallel_for6kernelILj256ENS1_11__transform17unary_transform_fINS0_6detail15normal_iteratorINS0_10device_ptrIjEEEENS7_INS8_IfEEEENS4_14no_stencil_tagENS0_8identityIjEENS4_21always_true_predicateEEElLj1EEEvT0_T1_SJ_
	.globl	_ZN6thrust23THRUST_200600_302600_NS11hip_rocprim14__parallel_for6kernelILj256ENS1_11__transform17unary_transform_fINS0_6detail15normal_iteratorINS0_10device_ptrIjEEEENS7_INS8_IfEEEENS4_14no_stencil_tagENS0_8identityIjEENS4_21always_true_predicateEEElLj1EEEvT0_T1_SJ_
	.p2align	8
	.type	_ZN6thrust23THRUST_200600_302600_NS11hip_rocprim14__parallel_for6kernelILj256ENS1_11__transform17unary_transform_fINS0_6detail15normal_iteratorINS0_10device_ptrIjEEEENS7_INS8_IfEEEENS4_14no_stencil_tagENS0_8identityIjEENS4_21always_true_predicateEEElLj1EEEvT0_T1_SJ_,@function
_ZN6thrust23THRUST_200600_302600_NS11hip_rocprim14__parallel_for6kernelILj256ENS1_11__transform17unary_transform_fINS0_6detail15normal_iteratorINS0_10device_ptrIjEEEENS7_INS8_IfEEEENS4_14no_stencil_tagENS0_8identityIjEENS4_21always_true_predicateEEElLj1EEEvT0_T1_SJ_: ; @_ZN6thrust23THRUST_200600_302600_NS11hip_rocprim14__parallel_for6kernelILj256ENS1_11__transform17unary_transform_fINS0_6detail15normal_iteratorINS0_10device_ptrIjEEEENS7_INS8_IfEEEENS4_14no_stencil_tagENS0_8identityIjEENS4_21always_true_predicateEEElLj1EEEvT0_T1_SJ_
; %bb.0:
	s_clause 0x1
	s_load_b128 s[8:11], s[0:1], 0x18
	s_load_b128 s[0:3], s[0:1], 0x0
	s_lshl_b32 s4, s15, 8
	s_waitcnt lgkmcnt(0)
	s_add_u32 s4, s4, s10
	s_addc_u32 s5, 0, s11
	s_sub_u32 s6, s8, s4
	s_subb_u32 s7, s9, s5
	s_delay_alu instid0(SALU_CYCLE_1) | instskip(NEXT) | instid1(VALU_DEP_1)
	v_cmp_gt_i64_e64 s7, 0x100, s[6:7]
	s_and_b32 s7, s7, exec_lo
	s_cselect_b32 s7, s6, 0x100
	s_mov_b32 s6, -1
	s_cmpk_lg_i32 s7, 0x100
	s_cbranch_scc1 .LBB70_3
; %bb.1:
	s_and_not1_b32 vcc_lo, exec_lo, s6
	s_cbranch_vccz .LBB70_6
.LBB70_2:
	s_endpgm
.LBB70_3:
	s_mov_b32 s6, exec_lo
	v_cmpx_gt_u32_e64 s7, v0
	s_cbranch_execz .LBB70_5
; %bb.4:
	v_add_co_u32 v1, s7, s4, v0
	s_delay_alu instid0(VALU_DEP_1) | instskip(NEXT) | instid1(VALU_DEP_1)
	v_add_co_ci_u32_e64 v2, null, s5, 0, s7
	v_lshlrev_b64 v[1:2], 2, v[1:2]
	s_delay_alu instid0(VALU_DEP_1) | instskip(NEXT) | instid1(VALU_DEP_2)
	v_add_co_u32 v3, vcc_lo, s0, v1
	v_add_co_ci_u32_e32 v4, vcc_lo, s1, v2, vcc_lo
	v_add_co_u32 v1, vcc_lo, s2, v1
	v_add_co_ci_u32_e32 v2, vcc_lo, s3, v2, vcc_lo
	flat_load_b32 v3, v[3:4]
	s_waitcnt vmcnt(0) lgkmcnt(0)
	v_cvt_f32_u32_e32 v3, v3
	flat_store_b32 v[1:2], v3
.LBB70_5:
	s_or_b32 exec_lo, exec_lo, s6
	s_cbranch_execnz .LBB70_2
.LBB70_6:
	v_add_co_u32 v0, s4, s4, v0
	s_delay_alu instid0(VALU_DEP_1) | instskip(NEXT) | instid1(VALU_DEP_1)
	v_add_co_ci_u32_e64 v1, null, s5, 0, s4
	v_lshlrev_b64 v[0:1], 2, v[0:1]
	s_delay_alu instid0(VALU_DEP_1) | instskip(NEXT) | instid1(VALU_DEP_2)
	v_add_co_u32 v2, vcc_lo, s0, v0
	v_add_co_ci_u32_e32 v3, vcc_lo, s1, v1, vcc_lo
	v_add_co_u32 v0, vcc_lo, s2, v0
	v_add_co_ci_u32_e32 v1, vcc_lo, s3, v1, vcc_lo
	flat_load_b32 v2, v[2:3]
	s_waitcnt vmcnt(0) lgkmcnt(0)
	v_cvt_f32_u32_e32 v2, v2
	flat_store_b32 v[0:1], v2
	s_endpgm
	.section	.rodata,"a",@progbits
	.p2align	6, 0x0
	.amdhsa_kernel _ZN6thrust23THRUST_200600_302600_NS11hip_rocprim14__parallel_for6kernelILj256ENS1_11__transform17unary_transform_fINS0_6detail15normal_iteratorINS0_10device_ptrIjEEEENS7_INS8_IfEEEENS4_14no_stencil_tagENS0_8identityIjEENS4_21always_true_predicateEEElLj1EEEvT0_T1_SJ_
		.amdhsa_group_segment_fixed_size 0
		.amdhsa_private_segment_fixed_size 0
		.amdhsa_kernarg_size 40
		.amdhsa_user_sgpr_count 15
		.amdhsa_user_sgpr_dispatch_ptr 0
		.amdhsa_user_sgpr_queue_ptr 0
		.amdhsa_user_sgpr_kernarg_segment_ptr 1
		.amdhsa_user_sgpr_dispatch_id 0
		.amdhsa_user_sgpr_private_segment_size 0
		.amdhsa_wavefront_size32 1
		.amdhsa_uses_dynamic_stack 0
		.amdhsa_enable_private_segment 0
		.amdhsa_system_sgpr_workgroup_id_x 1
		.amdhsa_system_sgpr_workgroup_id_y 0
		.amdhsa_system_sgpr_workgroup_id_z 0
		.amdhsa_system_sgpr_workgroup_info 0
		.amdhsa_system_vgpr_workitem_id 0
		.amdhsa_next_free_vgpr 5
		.amdhsa_next_free_sgpr 16
		.amdhsa_reserve_vcc 1
		.amdhsa_float_round_mode_32 0
		.amdhsa_float_round_mode_16_64 0
		.amdhsa_float_denorm_mode_32 3
		.amdhsa_float_denorm_mode_16_64 3
		.amdhsa_dx10_clamp 1
		.amdhsa_ieee_mode 1
		.amdhsa_fp16_overflow 0
		.amdhsa_workgroup_processor_mode 1
		.amdhsa_memory_ordered 1
		.amdhsa_forward_progress 0
		.amdhsa_shared_vgpr_count 0
		.amdhsa_exception_fp_ieee_invalid_op 0
		.amdhsa_exception_fp_denorm_src 0
		.amdhsa_exception_fp_ieee_div_zero 0
		.amdhsa_exception_fp_ieee_overflow 0
		.amdhsa_exception_fp_ieee_underflow 0
		.amdhsa_exception_fp_ieee_inexact 0
		.amdhsa_exception_int_div_zero 0
	.end_amdhsa_kernel
	.section	.text._ZN6thrust23THRUST_200600_302600_NS11hip_rocprim14__parallel_for6kernelILj256ENS1_11__transform17unary_transform_fINS0_6detail15normal_iteratorINS0_10device_ptrIjEEEENS7_INS8_IfEEEENS4_14no_stencil_tagENS0_8identityIjEENS4_21always_true_predicateEEElLj1EEEvT0_T1_SJ_,"axG",@progbits,_ZN6thrust23THRUST_200600_302600_NS11hip_rocprim14__parallel_for6kernelILj256ENS1_11__transform17unary_transform_fINS0_6detail15normal_iteratorINS0_10device_ptrIjEEEENS7_INS8_IfEEEENS4_14no_stencil_tagENS0_8identityIjEENS4_21always_true_predicateEEElLj1EEEvT0_T1_SJ_,comdat
.Lfunc_end70:
	.size	_ZN6thrust23THRUST_200600_302600_NS11hip_rocprim14__parallel_for6kernelILj256ENS1_11__transform17unary_transform_fINS0_6detail15normal_iteratorINS0_10device_ptrIjEEEENS7_INS8_IfEEEENS4_14no_stencil_tagENS0_8identityIjEENS4_21always_true_predicateEEElLj1EEEvT0_T1_SJ_, .Lfunc_end70-_ZN6thrust23THRUST_200600_302600_NS11hip_rocprim14__parallel_for6kernelILj256ENS1_11__transform17unary_transform_fINS0_6detail15normal_iteratorINS0_10device_ptrIjEEEENS7_INS8_IfEEEENS4_14no_stencil_tagENS0_8identityIjEENS4_21always_true_predicateEEElLj1EEEvT0_T1_SJ_
                                        ; -- End function
	.section	.AMDGPU.csdata,"",@progbits
; Kernel info:
; codeLenInByte = 284
; NumSgprs: 18
; NumVgprs: 5
; ScratchSize: 0
; MemoryBound: 0
; FloatMode: 240
; IeeeMode: 1
; LDSByteSize: 0 bytes/workgroup (compile time only)
; SGPRBlocks: 2
; VGPRBlocks: 0
; NumSGPRsForWavesPerEU: 18
; NumVGPRsForWavesPerEU: 5
; Occupancy: 16
; WaveLimiterHint : 0
; COMPUTE_PGM_RSRC2:SCRATCH_EN: 0
; COMPUTE_PGM_RSRC2:USER_SGPR: 15
; COMPUTE_PGM_RSRC2:TRAP_HANDLER: 0
; COMPUTE_PGM_RSRC2:TGID_X_EN: 1
; COMPUTE_PGM_RSRC2:TGID_Y_EN: 0
; COMPUTE_PGM_RSRC2:TGID_Z_EN: 0
; COMPUTE_PGM_RSRC2:TIDIG_COMP_CNT: 0
	.section	.text._ZN6thrust23THRUST_200600_302600_NS11hip_rocprim14__parallel_for6kernelILj256ENS1_11__transform17unary_transform_fINS0_10device_ptrIjEENS6_IfEENS4_14no_stencil_tagENS0_8identityIjEENS4_21always_true_predicateEEElLj1EEEvT0_T1_SF_,"axG",@progbits,_ZN6thrust23THRUST_200600_302600_NS11hip_rocprim14__parallel_for6kernelILj256ENS1_11__transform17unary_transform_fINS0_10device_ptrIjEENS6_IfEENS4_14no_stencil_tagENS0_8identityIjEENS4_21always_true_predicateEEElLj1EEEvT0_T1_SF_,comdat
	.protected	_ZN6thrust23THRUST_200600_302600_NS11hip_rocprim14__parallel_for6kernelILj256ENS1_11__transform17unary_transform_fINS0_10device_ptrIjEENS6_IfEENS4_14no_stencil_tagENS0_8identityIjEENS4_21always_true_predicateEEElLj1EEEvT0_T1_SF_ ; -- Begin function _ZN6thrust23THRUST_200600_302600_NS11hip_rocprim14__parallel_for6kernelILj256ENS1_11__transform17unary_transform_fINS0_10device_ptrIjEENS6_IfEENS4_14no_stencil_tagENS0_8identityIjEENS4_21always_true_predicateEEElLj1EEEvT0_T1_SF_
	.globl	_ZN6thrust23THRUST_200600_302600_NS11hip_rocprim14__parallel_for6kernelILj256ENS1_11__transform17unary_transform_fINS0_10device_ptrIjEENS6_IfEENS4_14no_stencil_tagENS0_8identityIjEENS4_21always_true_predicateEEElLj1EEEvT0_T1_SF_
	.p2align	8
	.type	_ZN6thrust23THRUST_200600_302600_NS11hip_rocprim14__parallel_for6kernelILj256ENS1_11__transform17unary_transform_fINS0_10device_ptrIjEENS6_IfEENS4_14no_stencil_tagENS0_8identityIjEENS4_21always_true_predicateEEElLj1EEEvT0_T1_SF_,@function
_ZN6thrust23THRUST_200600_302600_NS11hip_rocprim14__parallel_for6kernelILj256ENS1_11__transform17unary_transform_fINS0_10device_ptrIjEENS6_IfEENS4_14no_stencil_tagENS0_8identityIjEENS4_21always_true_predicateEEElLj1EEEvT0_T1_SF_: ; @_ZN6thrust23THRUST_200600_302600_NS11hip_rocprim14__parallel_for6kernelILj256ENS1_11__transform17unary_transform_fINS0_10device_ptrIjEENS6_IfEENS4_14no_stencil_tagENS0_8identityIjEENS4_21always_true_predicateEEElLj1EEEvT0_T1_SF_
; %bb.0:
	s_clause 0x1
	s_load_b128 s[8:11], s[0:1], 0x18
	s_load_b128 s[0:3], s[0:1], 0x0
	s_lshl_b32 s4, s15, 8
	s_waitcnt lgkmcnt(0)
	s_add_u32 s4, s4, s10
	s_addc_u32 s5, 0, s11
	s_sub_u32 s6, s8, s4
	s_subb_u32 s7, s9, s5
	s_delay_alu instid0(SALU_CYCLE_1) | instskip(NEXT) | instid1(VALU_DEP_1)
	v_cmp_gt_i64_e64 s7, 0x100, s[6:7]
	s_and_b32 s7, s7, exec_lo
	s_cselect_b32 s7, s6, 0x100
	s_mov_b32 s6, -1
	s_cmpk_lg_i32 s7, 0x100
	s_cbranch_scc1 .LBB71_3
; %bb.1:
	s_and_not1_b32 vcc_lo, exec_lo, s6
	s_cbranch_vccz .LBB71_6
.LBB71_2:
	s_endpgm
.LBB71_3:
	s_mov_b32 s6, exec_lo
	v_cmpx_gt_u32_e64 s7, v0
	s_cbranch_execz .LBB71_5
; %bb.4:
	v_add_co_u32 v1, s7, s4, v0
	s_delay_alu instid0(VALU_DEP_1) | instskip(NEXT) | instid1(VALU_DEP_1)
	v_add_co_ci_u32_e64 v2, null, s5, 0, s7
	v_lshlrev_b64 v[1:2], 2, v[1:2]
	s_delay_alu instid0(VALU_DEP_1) | instskip(NEXT) | instid1(VALU_DEP_2)
	v_add_co_u32 v3, vcc_lo, s0, v1
	v_add_co_ci_u32_e32 v4, vcc_lo, s1, v2, vcc_lo
	v_add_co_u32 v1, vcc_lo, s2, v1
	v_add_co_ci_u32_e32 v2, vcc_lo, s3, v2, vcc_lo
	flat_load_b32 v3, v[3:4]
	s_waitcnt vmcnt(0) lgkmcnt(0)
	v_cvt_f32_u32_e32 v3, v3
	flat_store_b32 v[1:2], v3
.LBB71_5:
	s_or_b32 exec_lo, exec_lo, s6
	s_cbranch_execnz .LBB71_2
.LBB71_6:
	v_add_co_u32 v0, s4, s4, v0
	s_delay_alu instid0(VALU_DEP_1) | instskip(NEXT) | instid1(VALU_DEP_1)
	v_add_co_ci_u32_e64 v1, null, s5, 0, s4
	v_lshlrev_b64 v[0:1], 2, v[0:1]
	s_delay_alu instid0(VALU_DEP_1) | instskip(NEXT) | instid1(VALU_DEP_2)
	v_add_co_u32 v2, vcc_lo, s0, v0
	v_add_co_ci_u32_e32 v3, vcc_lo, s1, v1, vcc_lo
	v_add_co_u32 v0, vcc_lo, s2, v0
	v_add_co_ci_u32_e32 v1, vcc_lo, s3, v1, vcc_lo
	flat_load_b32 v2, v[2:3]
	s_waitcnt vmcnt(0) lgkmcnt(0)
	v_cvt_f32_u32_e32 v2, v2
	flat_store_b32 v[0:1], v2
	s_endpgm
	.section	.rodata,"a",@progbits
	.p2align	6, 0x0
	.amdhsa_kernel _ZN6thrust23THRUST_200600_302600_NS11hip_rocprim14__parallel_for6kernelILj256ENS1_11__transform17unary_transform_fINS0_10device_ptrIjEENS6_IfEENS4_14no_stencil_tagENS0_8identityIjEENS4_21always_true_predicateEEElLj1EEEvT0_T1_SF_
		.amdhsa_group_segment_fixed_size 0
		.amdhsa_private_segment_fixed_size 0
		.amdhsa_kernarg_size 40
		.amdhsa_user_sgpr_count 15
		.amdhsa_user_sgpr_dispatch_ptr 0
		.amdhsa_user_sgpr_queue_ptr 0
		.amdhsa_user_sgpr_kernarg_segment_ptr 1
		.amdhsa_user_sgpr_dispatch_id 0
		.amdhsa_user_sgpr_private_segment_size 0
		.amdhsa_wavefront_size32 1
		.amdhsa_uses_dynamic_stack 0
		.amdhsa_enable_private_segment 0
		.amdhsa_system_sgpr_workgroup_id_x 1
		.amdhsa_system_sgpr_workgroup_id_y 0
		.amdhsa_system_sgpr_workgroup_id_z 0
		.amdhsa_system_sgpr_workgroup_info 0
		.amdhsa_system_vgpr_workitem_id 0
		.amdhsa_next_free_vgpr 5
		.amdhsa_next_free_sgpr 16
		.amdhsa_reserve_vcc 1
		.amdhsa_float_round_mode_32 0
		.amdhsa_float_round_mode_16_64 0
		.amdhsa_float_denorm_mode_32 3
		.amdhsa_float_denorm_mode_16_64 3
		.amdhsa_dx10_clamp 1
		.amdhsa_ieee_mode 1
		.amdhsa_fp16_overflow 0
		.amdhsa_workgroup_processor_mode 1
		.amdhsa_memory_ordered 1
		.amdhsa_forward_progress 0
		.amdhsa_shared_vgpr_count 0
		.amdhsa_exception_fp_ieee_invalid_op 0
		.amdhsa_exception_fp_denorm_src 0
		.amdhsa_exception_fp_ieee_div_zero 0
		.amdhsa_exception_fp_ieee_overflow 0
		.amdhsa_exception_fp_ieee_underflow 0
		.amdhsa_exception_fp_ieee_inexact 0
		.amdhsa_exception_int_div_zero 0
	.end_amdhsa_kernel
	.section	.text._ZN6thrust23THRUST_200600_302600_NS11hip_rocprim14__parallel_for6kernelILj256ENS1_11__transform17unary_transform_fINS0_10device_ptrIjEENS6_IfEENS4_14no_stencil_tagENS0_8identityIjEENS4_21always_true_predicateEEElLj1EEEvT0_T1_SF_,"axG",@progbits,_ZN6thrust23THRUST_200600_302600_NS11hip_rocprim14__parallel_for6kernelILj256ENS1_11__transform17unary_transform_fINS0_10device_ptrIjEENS6_IfEENS4_14no_stencil_tagENS0_8identityIjEENS4_21always_true_predicateEEElLj1EEEvT0_T1_SF_,comdat
.Lfunc_end71:
	.size	_ZN6thrust23THRUST_200600_302600_NS11hip_rocprim14__parallel_for6kernelILj256ENS1_11__transform17unary_transform_fINS0_10device_ptrIjEENS6_IfEENS4_14no_stencil_tagENS0_8identityIjEENS4_21always_true_predicateEEElLj1EEEvT0_T1_SF_, .Lfunc_end71-_ZN6thrust23THRUST_200600_302600_NS11hip_rocprim14__parallel_for6kernelILj256ENS1_11__transform17unary_transform_fINS0_10device_ptrIjEENS6_IfEENS4_14no_stencil_tagENS0_8identityIjEENS4_21always_true_predicateEEElLj1EEEvT0_T1_SF_
                                        ; -- End function
	.section	.AMDGPU.csdata,"",@progbits
; Kernel info:
; codeLenInByte = 284
; NumSgprs: 18
; NumVgprs: 5
; ScratchSize: 0
; MemoryBound: 0
; FloatMode: 240
; IeeeMode: 1
; LDSByteSize: 0 bytes/workgroup (compile time only)
; SGPRBlocks: 2
; VGPRBlocks: 0
; NumSGPRsForWavesPerEU: 18
; NumVGPRsForWavesPerEU: 5
; Occupancy: 16
; WaveLimiterHint : 0
; COMPUTE_PGM_RSRC2:SCRATCH_EN: 0
; COMPUTE_PGM_RSRC2:USER_SGPR: 15
; COMPUTE_PGM_RSRC2:TRAP_HANDLER: 0
; COMPUTE_PGM_RSRC2:TGID_X_EN: 1
; COMPUTE_PGM_RSRC2:TGID_Y_EN: 0
; COMPUTE_PGM_RSRC2:TGID_Z_EN: 0
; COMPUTE_PGM_RSRC2:TIDIG_COMP_CNT: 0
	.section	.text._ZN6thrust23THRUST_200600_302600_NS11hip_rocprim14__parallel_for6kernelILj256ENS1_20__uninitialized_copy7functorINS0_6detail15normal_iteratorINS0_10device_ptrItEEEENS0_7pointerItNS1_3tagENS0_11use_defaultESD_EEEEmLj1EEEvT0_T1_SH_,"axG",@progbits,_ZN6thrust23THRUST_200600_302600_NS11hip_rocprim14__parallel_for6kernelILj256ENS1_20__uninitialized_copy7functorINS0_6detail15normal_iteratorINS0_10device_ptrItEEEENS0_7pointerItNS1_3tagENS0_11use_defaultESD_EEEEmLj1EEEvT0_T1_SH_,comdat
	.protected	_ZN6thrust23THRUST_200600_302600_NS11hip_rocprim14__parallel_for6kernelILj256ENS1_20__uninitialized_copy7functorINS0_6detail15normal_iteratorINS0_10device_ptrItEEEENS0_7pointerItNS1_3tagENS0_11use_defaultESD_EEEEmLj1EEEvT0_T1_SH_ ; -- Begin function _ZN6thrust23THRUST_200600_302600_NS11hip_rocprim14__parallel_for6kernelILj256ENS1_20__uninitialized_copy7functorINS0_6detail15normal_iteratorINS0_10device_ptrItEEEENS0_7pointerItNS1_3tagENS0_11use_defaultESD_EEEEmLj1EEEvT0_T1_SH_
	.globl	_ZN6thrust23THRUST_200600_302600_NS11hip_rocprim14__parallel_for6kernelILj256ENS1_20__uninitialized_copy7functorINS0_6detail15normal_iteratorINS0_10device_ptrItEEEENS0_7pointerItNS1_3tagENS0_11use_defaultESD_EEEEmLj1EEEvT0_T1_SH_
	.p2align	8
	.type	_ZN6thrust23THRUST_200600_302600_NS11hip_rocprim14__parallel_for6kernelILj256ENS1_20__uninitialized_copy7functorINS0_6detail15normal_iteratorINS0_10device_ptrItEEEENS0_7pointerItNS1_3tagENS0_11use_defaultESD_EEEEmLj1EEEvT0_T1_SH_,@function
_ZN6thrust23THRUST_200600_302600_NS11hip_rocprim14__parallel_for6kernelILj256ENS1_20__uninitialized_copy7functorINS0_6detail15normal_iteratorINS0_10device_ptrItEEEENS0_7pointerItNS1_3tagENS0_11use_defaultESD_EEEEmLj1EEEvT0_T1_SH_: ; @_ZN6thrust23THRUST_200600_302600_NS11hip_rocprim14__parallel_for6kernelILj256ENS1_20__uninitialized_copy7functorINS0_6detail15normal_iteratorINS0_10device_ptrItEEEENS0_7pointerItNS1_3tagENS0_11use_defaultESD_EEEEmLj1EEEvT0_T1_SH_
; %bb.0:
	s_load_b256 s[0:7], s[0:1], 0x0
	s_lshl_b32 s8, s15, 8
	s_waitcnt lgkmcnt(0)
	s_add_u32 s6, s8, s6
	s_addc_u32 s7, 0, s7
	s_sub_u32 s4, s4, s6
	s_subb_u32 s5, s5, s7
	s_delay_alu instid0(SALU_CYCLE_1) | instskip(NEXT) | instid1(VALU_DEP_1)
	v_cmp_gt_u64_e64 s5, 0x100, s[4:5]
	s_and_b32 vcc_lo, exec_lo, s5
	s_mov_b32 s5, 0
	s_cbranch_vccz .LBB72_4
; %bb.1:
	v_cmp_gt_u32_e32 vcc_lo, s4, v0
	s_mov_b32 s4, 0
                                        ; implicit-def: $vgpr1_vgpr2
                                        ; implicit-def: $vgpr3_vgpr4
	s_and_saveexec_b32 s8, vcc_lo
	s_delay_alu instid0(SALU_CYCLE_1)
	s_xor_b32 s8, exec_lo, s8
; %bb.2:
	v_add_co_u32 v1, s9, s6, v0
	s_delay_alu instid0(VALU_DEP_1) | instskip(SKIP_1) | instid1(VALU_DEP_1)
	v_add_co_ci_u32_e64 v2, null, s7, 0, s9
	s_mov_b32 s5, exec_lo
	v_lshlrev_b64 v[3:4], 1, v[1:2]
	s_delay_alu instid0(VALU_DEP_1) | instskip(NEXT) | instid1(VALU_DEP_2)
	v_add_co_u32 v1, vcc_lo, s2, v3
	v_add_co_ci_u32_e32 v2, vcc_lo, s3, v4, vcc_lo
	v_add_co_u32 v3, vcc_lo, s0, v3
	v_add_co_ci_u32_e32 v4, vcc_lo, s1, v4, vcc_lo
; %bb.3:
	s_or_b32 exec_lo, exec_lo, s8
	s_delay_alu instid0(SALU_CYCLE_1)
	s_and_b32 vcc_lo, exec_lo, s4
	s_cbranch_vccnz .LBB72_5
	s_branch .LBB72_6
.LBB72_4:
                                        ; implicit-def: $vgpr1_vgpr2
                                        ; implicit-def: $vgpr3_vgpr4
	s_cbranch_execz .LBB72_6
.LBB72_5:
	v_add_co_u32 v0, s4, s6, v0
	s_delay_alu instid0(VALU_DEP_1) | instskip(SKIP_1) | instid1(VALU_DEP_1)
	v_add_co_ci_u32_e64 v1, null, s7, 0, s4
	s_or_b32 s5, s5, exec_lo
	v_lshlrev_b64 v[1:2], 1, v[0:1]
	s_delay_alu instid0(VALU_DEP_1) | instskip(NEXT) | instid1(VALU_DEP_2)
	v_add_co_u32 v3, vcc_lo, s0, v1
	v_add_co_ci_u32_e32 v4, vcc_lo, s1, v2, vcc_lo
	v_add_co_u32 v1, vcc_lo, s2, v1
	v_add_co_ci_u32_e32 v2, vcc_lo, s3, v2, vcc_lo
.LBB72_6:
	s_and_saveexec_b32 s0, s5
	s_cbranch_execnz .LBB72_8
; %bb.7:
	s_endpgm
.LBB72_8:
	flat_load_u16 v0, v[3:4]
	s_waitcnt vmcnt(0) lgkmcnt(0)
	flat_store_b16 v[1:2], v0
	s_endpgm
	.section	.rodata,"a",@progbits
	.p2align	6, 0x0
	.amdhsa_kernel _ZN6thrust23THRUST_200600_302600_NS11hip_rocprim14__parallel_for6kernelILj256ENS1_20__uninitialized_copy7functorINS0_6detail15normal_iteratorINS0_10device_ptrItEEEENS0_7pointerItNS1_3tagENS0_11use_defaultESD_EEEEmLj1EEEvT0_T1_SH_
		.amdhsa_group_segment_fixed_size 0
		.amdhsa_private_segment_fixed_size 0
		.amdhsa_kernarg_size 32
		.amdhsa_user_sgpr_count 15
		.amdhsa_user_sgpr_dispatch_ptr 0
		.amdhsa_user_sgpr_queue_ptr 0
		.amdhsa_user_sgpr_kernarg_segment_ptr 1
		.amdhsa_user_sgpr_dispatch_id 0
		.amdhsa_user_sgpr_private_segment_size 0
		.amdhsa_wavefront_size32 1
		.amdhsa_uses_dynamic_stack 0
		.amdhsa_enable_private_segment 0
		.amdhsa_system_sgpr_workgroup_id_x 1
		.amdhsa_system_sgpr_workgroup_id_y 0
		.amdhsa_system_sgpr_workgroup_id_z 0
		.amdhsa_system_sgpr_workgroup_info 0
		.amdhsa_system_vgpr_workitem_id 0
		.amdhsa_next_free_vgpr 5
		.amdhsa_next_free_sgpr 16
		.amdhsa_reserve_vcc 1
		.amdhsa_float_round_mode_32 0
		.amdhsa_float_round_mode_16_64 0
		.amdhsa_float_denorm_mode_32 3
		.amdhsa_float_denorm_mode_16_64 3
		.amdhsa_dx10_clamp 1
		.amdhsa_ieee_mode 1
		.amdhsa_fp16_overflow 0
		.amdhsa_workgroup_processor_mode 1
		.amdhsa_memory_ordered 1
		.amdhsa_forward_progress 0
		.amdhsa_shared_vgpr_count 0
		.amdhsa_exception_fp_ieee_invalid_op 0
		.amdhsa_exception_fp_denorm_src 0
		.amdhsa_exception_fp_ieee_div_zero 0
		.amdhsa_exception_fp_ieee_overflow 0
		.amdhsa_exception_fp_ieee_underflow 0
		.amdhsa_exception_fp_ieee_inexact 0
		.amdhsa_exception_int_div_zero 0
	.end_amdhsa_kernel
	.section	.text._ZN6thrust23THRUST_200600_302600_NS11hip_rocprim14__parallel_for6kernelILj256ENS1_20__uninitialized_copy7functorINS0_6detail15normal_iteratorINS0_10device_ptrItEEEENS0_7pointerItNS1_3tagENS0_11use_defaultESD_EEEEmLj1EEEvT0_T1_SH_,"axG",@progbits,_ZN6thrust23THRUST_200600_302600_NS11hip_rocprim14__parallel_for6kernelILj256ENS1_20__uninitialized_copy7functorINS0_6detail15normal_iteratorINS0_10device_ptrItEEEENS0_7pointerItNS1_3tagENS0_11use_defaultESD_EEEEmLj1EEEvT0_T1_SH_,comdat
.Lfunc_end72:
	.size	_ZN6thrust23THRUST_200600_302600_NS11hip_rocprim14__parallel_for6kernelILj256ENS1_20__uninitialized_copy7functorINS0_6detail15normal_iteratorINS0_10device_ptrItEEEENS0_7pointerItNS1_3tagENS0_11use_defaultESD_EEEEmLj1EEEvT0_T1_SH_, .Lfunc_end72-_ZN6thrust23THRUST_200600_302600_NS11hip_rocprim14__parallel_for6kernelILj256ENS1_20__uninitialized_copy7functorINS0_6detail15normal_iteratorINS0_10device_ptrItEEEENS0_7pointerItNS1_3tagENS0_11use_defaultESD_EEEEmLj1EEEvT0_T1_SH_
                                        ; -- End function
	.section	.AMDGPU.csdata,"",@progbits
; Kernel info:
; codeLenInByte = 260
; NumSgprs: 18
; NumVgprs: 5
; ScratchSize: 0
; MemoryBound: 0
; FloatMode: 240
; IeeeMode: 1
; LDSByteSize: 0 bytes/workgroup (compile time only)
; SGPRBlocks: 2
; VGPRBlocks: 0
; NumSGPRsForWavesPerEU: 18
; NumVGPRsForWavesPerEU: 5
; Occupancy: 16
; WaveLimiterHint : 0
; COMPUTE_PGM_RSRC2:SCRATCH_EN: 0
; COMPUTE_PGM_RSRC2:USER_SGPR: 15
; COMPUTE_PGM_RSRC2:TRAP_HANDLER: 0
; COMPUTE_PGM_RSRC2:TGID_X_EN: 1
; COMPUTE_PGM_RSRC2:TGID_Y_EN: 0
; COMPUTE_PGM_RSRC2:TGID_Z_EN: 0
; COMPUTE_PGM_RSRC2:TIDIG_COMP_CNT: 0
	.section	.text._ZN6thrust23THRUST_200600_302600_NS11hip_rocprim14__parallel_for6kernelILj256ENS1_11__transform17unary_transform_fINS0_6detail15normal_iteratorINS0_10device_ptrItEEEENS7_INS8_IfEEEENS4_14no_stencil_tagENS0_8identityItEENS4_21always_true_predicateEEElLj1EEEvT0_T1_SJ_,"axG",@progbits,_ZN6thrust23THRUST_200600_302600_NS11hip_rocprim14__parallel_for6kernelILj256ENS1_11__transform17unary_transform_fINS0_6detail15normal_iteratorINS0_10device_ptrItEEEENS7_INS8_IfEEEENS4_14no_stencil_tagENS0_8identityItEENS4_21always_true_predicateEEElLj1EEEvT0_T1_SJ_,comdat
	.protected	_ZN6thrust23THRUST_200600_302600_NS11hip_rocprim14__parallel_for6kernelILj256ENS1_11__transform17unary_transform_fINS0_6detail15normal_iteratorINS0_10device_ptrItEEEENS7_INS8_IfEEEENS4_14no_stencil_tagENS0_8identityItEENS4_21always_true_predicateEEElLj1EEEvT0_T1_SJ_ ; -- Begin function _ZN6thrust23THRUST_200600_302600_NS11hip_rocprim14__parallel_for6kernelILj256ENS1_11__transform17unary_transform_fINS0_6detail15normal_iteratorINS0_10device_ptrItEEEENS7_INS8_IfEEEENS4_14no_stencil_tagENS0_8identityItEENS4_21always_true_predicateEEElLj1EEEvT0_T1_SJ_
	.globl	_ZN6thrust23THRUST_200600_302600_NS11hip_rocprim14__parallel_for6kernelILj256ENS1_11__transform17unary_transform_fINS0_6detail15normal_iteratorINS0_10device_ptrItEEEENS7_INS8_IfEEEENS4_14no_stencil_tagENS0_8identityItEENS4_21always_true_predicateEEElLj1EEEvT0_T1_SJ_
	.p2align	8
	.type	_ZN6thrust23THRUST_200600_302600_NS11hip_rocprim14__parallel_for6kernelILj256ENS1_11__transform17unary_transform_fINS0_6detail15normal_iteratorINS0_10device_ptrItEEEENS7_INS8_IfEEEENS4_14no_stencil_tagENS0_8identityItEENS4_21always_true_predicateEEElLj1EEEvT0_T1_SJ_,@function
_ZN6thrust23THRUST_200600_302600_NS11hip_rocprim14__parallel_for6kernelILj256ENS1_11__transform17unary_transform_fINS0_6detail15normal_iteratorINS0_10device_ptrItEEEENS7_INS8_IfEEEENS4_14no_stencil_tagENS0_8identityItEENS4_21always_true_predicateEEElLj1EEEvT0_T1_SJ_: ; @_ZN6thrust23THRUST_200600_302600_NS11hip_rocprim14__parallel_for6kernelILj256ENS1_11__transform17unary_transform_fINS0_6detail15normal_iteratorINS0_10device_ptrItEEEENS7_INS8_IfEEEENS4_14no_stencil_tagENS0_8identityItEENS4_21always_true_predicateEEElLj1EEEvT0_T1_SJ_
; %bb.0:
	s_clause 0x1
	s_load_b128 s[8:11], s[0:1], 0x18
	s_load_b128 s[0:3], s[0:1], 0x0
	s_lshl_b32 s4, s15, 8
	s_waitcnt lgkmcnt(0)
	s_add_u32 s4, s4, s10
	s_addc_u32 s5, 0, s11
	s_sub_u32 s6, s8, s4
	s_subb_u32 s7, s9, s5
	s_delay_alu instid0(SALU_CYCLE_1) | instskip(NEXT) | instid1(VALU_DEP_1)
	v_cmp_gt_i64_e64 s7, 0x100, s[6:7]
	s_and_b32 s7, s7, exec_lo
	s_cselect_b32 s7, s6, 0x100
	s_mov_b32 s6, -1
	s_cmpk_lg_i32 s7, 0x100
	s_cbranch_scc1 .LBB73_3
; %bb.1:
	s_and_not1_b32 vcc_lo, exec_lo, s6
	s_cbranch_vccz .LBB73_6
.LBB73_2:
	s_endpgm
.LBB73_3:
	s_mov_b32 s6, exec_lo
	v_cmpx_gt_u32_e64 s7, v0
	s_cbranch_execz .LBB73_5
; %bb.4:
	v_add_co_u32 v1, s7, s4, v0
	s_delay_alu instid0(VALU_DEP_1) | instskip(NEXT) | instid1(VALU_DEP_1)
	v_add_co_ci_u32_e64 v2, null, s5, 0, s7
	v_lshlrev_b64 v[3:4], 1, v[1:2]
	v_lshlrev_b64 v[1:2], 2, v[1:2]
	s_delay_alu instid0(VALU_DEP_2) | instskip(NEXT) | instid1(VALU_DEP_3)
	v_add_co_u32 v3, vcc_lo, s0, v3
	v_add_co_ci_u32_e32 v4, vcc_lo, s1, v4, vcc_lo
	s_delay_alu instid0(VALU_DEP_3) | instskip(NEXT) | instid1(VALU_DEP_4)
	v_add_co_u32 v1, vcc_lo, s2, v1
	v_add_co_ci_u32_e32 v2, vcc_lo, s3, v2, vcc_lo
	flat_load_u16 v3, v[3:4]
	s_waitcnt vmcnt(0) lgkmcnt(0)
	v_cvt_f32_u32_e32 v3, v3
	flat_store_b32 v[1:2], v3
.LBB73_5:
	s_or_b32 exec_lo, exec_lo, s6
	s_cbranch_execnz .LBB73_2
.LBB73_6:
	v_add_co_u32 v0, s4, s4, v0
	s_delay_alu instid0(VALU_DEP_1) | instskip(NEXT) | instid1(VALU_DEP_1)
	v_add_co_ci_u32_e64 v1, null, s5, 0, s4
	v_lshlrev_b64 v[2:3], 1, v[0:1]
	v_lshlrev_b64 v[0:1], 2, v[0:1]
	s_delay_alu instid0(VALU_DEP_2) | instskip(NEXT) | instid1(VALU_DEP_3)
	v_add_co_u32 v2, vcc_lo, s0, v2
	v_add_co_ci_u32_e32 v3, vcc_lo, s1, v3, vcc_lo
	s_delay_alu instid0(VALU_DEP_3) | instskip(NEXT) | instid1(VALU_DEP_4)
	v_add_co_u32 v0, vcc_lo, s2, v0
	v_add_co_ci_u32_e32 v1, vcc_lo, s3, v1, vcc_lo
	flat_load_u16 v2, v[2:3]
	s_waitcnt vmcnt(0) lgkmcnt(0)
	v_cvt_f32_u32_e32 v2, v2
	flat_store_b32 v[0:1], v2
	s_endpgm
	.section	.rodata,"a",@progbits
	.p2align	6, 0x0
	.amdhsa_kernel _ZN6thrust23THRUST_200600_302600_NS11hip_rocprim14__parallel_for6kernelILj256ENS1_11__transform17unary_transform_fINS0_6detail15normal_iteratorINS0_10device_ptrItEEEENS7_INS8_IfEEEENS4_14no_stencil_tagENS0_8identityItEENS4_21always_true_predicateEEElLj1EEEvT0_T1_SJ_
		.amdhsa_group_segment_fixed_size 0
		.amdhsa_private_segment_fixed_size 0
		.amdhsa_kernarg_size 40
		.amdhsa_user_sgpr_count 15
		.amdhsa_user_sgpr_dispatch_ptr 0
		.amdhsa_user_sgpr_queue_ptr 0
		.amdhsa_user_sgpr_kernarg_segment_ptr 1
		.amdhsa_user_sgpr_dispatch_id 0
		.amdhsa_user_sgpr_private_segment_size 0
		.amdhsa_wavefront_size32 1
		.amdhsa_uses_dynamic_stack 0
		.amdhsa_enable_private_segment 0
		.amdhsa_system_sgpr_workgroup_id_x 1
		.amdhsa_system_sgpr_workgroup_id_y 0
		.amdhsa_system_sgpr_workgroup_id_z 0
		.amdhsa_system_sgpr_workgroup_info 0
		.amdhsa_system_vgpr_workitem_id 0
		.amdhsa_next_free_vgpr 5
		.amdhsa_next_free_sgpr 16
		.amdhsa_reserve_vcc 1
		.amdhsa_float_round_mode_32 0
		.amdhsa_float_round_mode_16_64 0
		.amdhsa_float_denorm_mode_32 3
		.amdhsa_float_denorm_mode_16_64 3
		.amdhsa_dx10_clamp 1
		.amdhsa_ieee_mode 1
		.amdhsa_fp16_overflow 0
		.amdhsa_workgroup_processor_mode 1
		.amdhsa_memory_ordered 1
		.amdhsa_forward_progress 0
		.amdhsa_shared_vgpr_count 0
		.amdhsa_exception_fp_ieee_invalid_op 0
		.amdhsa_exception_fp_denorm_src 0
		.amdhsa_exception_fp_ieee_div_zero 0
		.amdhsa_exception_fp_ieee_overflow 0
		.amdhsa_exception_fp_ieee_underflow 0
		.amdhsa_exception_fp_ieee_inexact 0
		.amdhsa_exception_int_div_zero 0
	.end_amdhsa_kernel
	.section	.text._ZN6thrust23THRUST_200600_302600_NS11hip_rocprim14__parallel_for6kernelILj256ENS1_11__transform17unary_transform_fINS0_6detail15normal_iteratorINS0_10device_ptrItEEEENS7_INS8_IfEEEENS4_14no_stencil_tagENS0_8identityItEENS4_21always_true_predicateEEElLj1EEEvT0_T1_SJ_,"axG",@progbits,_ZN6thrust23THRUST_200600_302600_NS11hip_rocprim14__parallel_for6kernelILj256ENS1_11__transform17unary_transform_fINS0_6detail15normal_iteratorINS0_10device_ptrItEEEENS7_INS8_IfEEEENS4_14no_stencil_tagENS0_8identityItEENS4_21always_true_predicateEEElLj1EEEvT0_T1_SJ_,comdat
.Lfunc_end73:
	.size	_ZN6thrust23THRUST_200600_302600_NS11hip_rocprim14__parallel_for6kernelILj256ENS1_11__transform17unary_transform_fINS0_6detail15normal_iteratorINS0_10device_ptrItEEEENS7_INS8_IfEEEENS4_14no_stencil_tagENS0_8identityItEENS4_21always_true_predicateEEElLj1EEEvT0_T1_SJ_, .Lfunc_end73-_ZN6thrust23THRUST_200600_302600_NS11hip_rocprim14__parallel_for6kernelILj256ENS1_11__transform17unary_transform_fINS0_6detail15normal_iteratorINS0_10device_ptrItEEEENS7_INS8_IfEEEENS4_14no_stencil_tagENS0_8identityItEENS4_21always_true_predicateEEElLj1EEEvT0_T1_SJ_
                                        ; -- End function
	.section	.AMDGPU.csdata,"",@progbits
; Kernel info:
; codeLenInByte = 308
; NumSgprs: 18
; NumVgprs: 5
; ScratchSize: 0
; MemoryBound: 0
; FloatMode: 240
; IeeeMode: 1
; LDSByteSize: 0 bytes/workgroup (compile time only)
; SGPRBlocks: 2
; VGPRBlocks: 0
; NumSGPRsForWavesPerEU: 18
; NumVGPRsForWavesPerEU: 5
; Occupancy: 16
; WaveLimiterHint : 0
; COMPUTE_PGM_RSRC2:SCRATCH_EN: 0
; COMPUTE_PGM_RSRC2:USER_SGPR: 15
; COMPUTE_PGM_RSRC2:TRAP_HANDLER: 0
; COMPUTE_PGM_RSRC2:TGID_X_EN: 1
; COMPUTE_PGM_RSRC2:TGID_Y_EN: 0
; COMPUTE_PGM_RSRC2:TGID_Z_EN: 0
; COMPUTE_PGM_RSRC2:TIDIG_COMP_CNT: 0
	.section	.text._ZN6thrust23THRUST_200600_302600_NS11hip_rocprim14__parallel_for6kernelILj256ENS1_11__transform17unary_transform_fINS0_10device_ptrItEENS6_IfEENS4_14no_stencil_tagENS0_8identityItEENS4_21always_true_predicateEEElLj1EEEvT0_T1_SF_,"axG",@progbits,_ZN6thrust23THRUST_200600_302600_NS11hip_rocprim14__parallel_for6kernelILj256ENS1_11__transform17unary_transform_fINS0_10device_ptrItEENS6_IfEENS4_14no_stencil_tagENS0_8identityItEENS4_21always_true_predicateEEElLj1EEEvT0_T1_SF_,comdat
	.protected	_ZN6thrust23THRUST_200600_302600_NS11hip_rocprim14__parallel_for6kernelILj256ENS1_11__transform17unary_transform_fINS0_10device_ptrItEENS6_IfEENS4_14no_stencil_tagENS0_8identityItEENS4_21always_true_predicateEEElLj1EEEvT0_T1_SF_ ; -- Begin function _ZN6thrust23THRUST_200600_302600_NS11hip_rocprim14__parallel_for6kernelILj256ENS1_11__transform17unary_transform_fINS0_10device_ptrItEENS6_IfEENS4_14no_stencil_tagENS0_8identityItEENS4_21always_true_predicateEEElLj1EEEvT0_T1_SF_
	.globl	_ZN6thrust23THRUST_200600_302600_NS11hip_rocprim14__parallel_for6kernelILj256ENS1_11__transform17unary_transform_fINS0_10device_ptrItEENS6_IfEENS4_14no_stencil_tagENS0_8identityItEENS4_21always_true_predicateEEElLj1EEEvT0_T1_SF_
	.p2align	8
	.type	_ZN6thrust23THRUST_200600_302600_NS11hip_rocprim14__parallel_for6kernelILj256ENS1_11__transform17unary_transform_fINS0_10device_ptrItEENS6_IfEENS4_14no_stencil_tagENS0_8identityItEENS4_21always_true_predicateEEElLj1EEEvT0_T1_SF_,@function
_ZN6thrust23THRUST_200600_302600_NS11hip_rocprim14__parallel_for6kernelILj256ENS1_11__transform17unary_transform_fINS0_10device_ptrItEENS6_IfEENS4_14no_stencil_tagENS0_8identityItEENS4_21always_true_predicateEEElLj1EEEvT0_T1_SF_: ; @_ZN6thrust23THRUST_200600_302600_NS11hip_rocprim14__parallel_for6kernelILj256ENS1_11__transform17unary_transform_fINS0_10device_ptrItEENS6_IfEENS4_14no_stencil_tagENS0_8identityItEENS4_21always_true_predicateEEElLj1EEEvT0_T1_SF_
; %bb.0:
	s_clause 0x1
	s_load_b128 s[8:11], s[0:1], 0x18
	s_load_b128 s[0:3], s[0:1], 0x0
	s_lshl_b32 s4, s15, 8
	s_waitcnt lgkmcnt(0)
	s_add_u32 s4, s4, s10
	s_addc_u32 s5, 0, s11
	s_sub_u32 s6, s8, s4
	s_subb_u32 s7, s9, s5
	s_delay_alu instid0(SALU_CYCLE_1) | instskip(NEXT) | instid1(VALU_DEP_1)
	v_cmp_gt_i64_e64 s7, 0x100, s[6:7]
	s_and_b32 s7, s7, exec_lo
	s_cselect_b32 s7, s6, 0x100
	s_mov_b32 s6, -1
	s_cmpk_lg_i32 s7, 0x100
	s_cbranch_scc1 .LBB74_3
; %bb.1:
	s_and_not1_b32 vcc_lo, exec_lo, s6
	s_cbranch_vccz .LBB74_6
.LBB74_2:
	s_endpgm
.LBB74_3:
	s_mov_b32 s6, exec_lo
	v_cmpx_gt_u32_e64 s7, v0
	s_cbranch_execz .LBB74_5
; %bb.4:
	v_add_co_u32 v1, s7, s4, v0
	s_delay_alu instid0(VALU_DEP_1) | instskip(NEXT) | instid1(VALU_DEP_1)
	v_add_co_ci_u32_e64 v2, null, s5, 0, s7
	v_lshlrev_b64 v[3:4], 1, v[1:2]
	v_lshlrev_b64 v[1:2], 2, v[1:2]
	s_delay_alu instid0(VALU_DEP_2) | instskip(NEXT) | instid1(VALU_DEP_3)
	v_add_co_u32 v3, vcc_lo, s0, v3
	v_add_co_ci_u32_e32 v4, vcc_lo, s1, v4, vcc_lo
	s_delay_alu instid0(VALU_DEP_3) | instskip(NEXT) | instid1(VALU_DEP_4)
	v_add_co_u32 v1, vcc_lo, s2, v1
	v_add_co_ci_u32_e32 v2, vcc_lo, s3, v2, vcc_lo
	flat_load_u16 v3, v[3:4]
	s_waitcnt vmcnt(0) lgkmcnt(0)
	v_cvt_f32_u32_e32 v3, v3
	flat_store_b32 v[1:2], v3
.LBB74_5:
	s_or_b32 exec_lo, exec_lo, s6
	s_cbranch_execnz .LBB74_2
.LBB74_6:
	v_add_co_u32 v0, s4, s4, v0
	s_delay_alu instid0(VALU_DEP_1) | instskip(NEXT) | instid1(VALU_DEP_1)
	v_add_co_ci_u32_e64 v1, null, s5, 0, s4
	v_lshlrev_b64 v[2:3], 1, v[0:1]
	v_lshlrev_b64 v[0:1], 2, v[0:1]
	s_delay_alu instid0(VALU_DEP_2) | instskip(NEXT) | instid1(VALU_DEP_3)
	v_add_co_u32 v2, vcc_lo, s0, v2
	v_add_co_ci_u32_e32 v3, vcc_lo, s1, v3, vcc_lo
	s_delay_alu instid0(VALU_DEP_3) | instskip(NEXT) | instid1(VALU_DEP_4)
	v_add_co_u32 v0, vcc_lo, s2, v0
	v_add_co_ci_u32_e32 v1, vcc_lo, s3, v1, vcc_lo
	flat_load_u16 v2, v[2:3]
	s_waitcnt vmcnt(0) lgkmcnt(0)
	v_cvt_f32_u32_e32 v2, v2
	flat_store_b32 v[0:1], v2
	s_endpgm
	.section	.rodata,"a",@progbits
	.p2align	6, 0x0
	.amdhsa_kernel _ZN6thrust23THRUST_200600_302600_NS11hip_rocprim14__parallel_for6kernelILj256ENS1_11__transform17unary_transform_fINS0_10device_ptrItEENS6_IfEENS4_14no_stencil_tagENS0_8identityItEENS4_21always_true_predicateEEElLj1EEEvT0_T1_SF_
		.amdhsa_group_segment_fixed_size 0
		.amdhsa_private_segment_fixed_size 0
		.amdhsa_kernarg_size 40
		.amdhsa_user_sgpr_count 15
		.amdhsa_user_sgpr_dispatch_ptr 0
		.amdhsa_user_sgpr_queue_ptr 0
		.amdhsa_user_sgpr_kernarg_segment_ptr 1
		.amdhsa_user_sgpr_dispatch_id 0
		.amdhsa_user_sgpr_private_segment_size 0
		.amdhsa_wavefront_size32 1
		.amdhsa_uses_dynamic_stack 0
		.amdhsa_enable_private_segment 0
		.amdhsa_system_sgpr_workgroup_id_x 1
		.amdhsa_system_sgpr_workgroup_id_y 0
		.amdhsa_system_sgpr_workgroup_id_z 0
		.amdhsa_system_sgpr_workgroup_info 0
		.amdhsa_system_vgpr_workitem_id 0
		.amdhsa_next_free_vgpr 5
		.amdhsa_next_free_sgpr 16
		.amdhsa_reserve_vcc 1
		.amdhsa_float_round_mode_32 0
		.amdhsa_float_round_mode_16_64 0
		.amdhsa_float_denorm_mode_32 3
		.amdhsa_float_denorm_mode_16_64 3
		.amdhsa_dx10_clamp 1
		.amdhsa_ieee_mode 1
		.amdhsa_fp16_overflow 0
		.amdhsa_workgroup_processor_mode 1
		.amdhsa_memory_ordered 1
		.amdhsa_forward_progress 0
		.amdhsa_shared_vgpr_count 0
		.amdhsa_exception_fp_ieee_invalid_op 0
		.amdhsa_exception_fp_denorm_src 0
		.amdhsa_exception_fp_ieee_div_zero 0
		.amdhsa_exception_fp_ieee_overflow 0
		.amdhsa_exception_fp_ieee_underflow 0
		.amdhsa_exception_fp_ieee_inexact 0
		.amdhsa_exception_int_div_zero 0
	.end_amdhsa_kernel
	.section	.text._ZN6thrust23THRUST_200600_302600_NS11hip_rocprim14__parallel_for6kernelILj256ENS1_11__transform17unary_transform_fINS0_10device_ptrItEENS6_IfEENS4_14no_stencil_tagENS0_8identityItEENS4_21always_true_predicateEEElLj1EEEvT0_T1_SF_,"axG",@progbits,_ZN6thrust23THRUST_200600_302600_NS11hip_rocprim14__parallel_for6kernelILj256ENS1_11__transform17unary_transform_fINS0_10device_ptrItEENS6_IfEENS4_14no_stencil_tagENS0_8identityItEENS4_21always_true_predicateEEElLj1EEEvT0_T1_SF_,comdat
.Lfunc_end74:
	.size	_ZN6thrust23THRUST_200600_302600_NS11hip_rocprim14__parallel_for6kernelILj256ENS1_11__transform17unary_transform_fINS0_10device_ptrItEENS6_IfEENS4_14no_stencil_tagENS0_8identityItEENS4_21always_true_predicateEEElLj1EEEvT0_T1_SF_, .Lfunc_end74-_ZN6thrust23THRUST_200600_302600_NS11hip_rocprim14__parallel_for6kernelILj256ENS1_11__transform17unary_transform_fINS0_10device_ptrItEENS6_IfEENS4_14no_stencil_tagENS0_8identityItEENS4_21always_true_predicateEEElLj1EEEvT0_T1_SF_
                                        ; -- End function
	.section	.AMDGPU.csdata,"",@progbits
; Kernel info:
; codeLenInByte = 308
; NumSgprs: 18
; NumVgprs: 5
; ScratchSize: 0
; MemoryBound: 0
; FloatMode: 240
; IeeeMode: 1
; LDSByteSize: 0 bytes/workgroup (compile time only)
; SGPRBlocks: 2
; VGPRBlocks: 0
; NumSGPRsForWavesPerEU: 18
; NumVGPRsForWavesPerEU: 5
; Occupancy: 16
; WaveLimiterHint : 0
; COMPUTE_PGM_RSRC2:SCRATCH_EN: 0
; COMPUTE_PGM_RSRC2:USER_SGPR: 15
; COMPUTE_PGM_RSRC2:TRAP_HANDLER: 0
; COMPUTE_PGM_RSRC2:TGID_X_EN: 1
; COMPUTE_PGM_RSRC2:TGID_Y_EN: 0
; COMPUTE_PGM_RSRC2:TGID_Z_EN: 0
; COMPUTE_PGM_RSRC2:TIDIG_COMP_CNT: 0
	.section	.text._ZN6thrust23THRUST_200600_302600_NS11hip_rocprim14__parallel_for6kernelILj256ENS1_20__uninitialized_copy7functorINS0_6detail15normal_iteratorINS0_10device_ptrIxEEEENS0_7pointerIxNS1_3tagENS0_11use_defaultESD_EEEEmLj1EEEvT0_T1_SH_,"axG",@progbits,_ZN6thrust23THRUST_200600_302600_NS11hip_rocprim14__parallel_for6kernelILj256ENS1_20__uninitialized_copy7functorINS0_6detail15normal_iteratorINS0_10device_ptrIxEEEENS0_7pointerIxNS1_3tagENS0_11use_defaultESD_EEEEmLj1EEEvT0_T1_SH_,comdat
	.protected	_ZN6thrust23THRUST_200600_302600_NS11hip_rocprim14__parallel_for6kernelILj256ENS1_20__uninitialized_copy7functorINS0_6detail15normal_iteratorINS0_10device_ptrIxEEEENS0_7pointerIxNS1_3tagENS0_11use_defaultESD_EEEEmLj1EEEvT0_T1_SH_ ; -- Begin function _ZN6thrust23THRUST_200600_302600_NS11hip_rocprim14__parallel_for6kernelILj256ENS1_20__uninitialized_copy7functorINS0_6detail15normal_iteratorINS0_10device_ptrIxEEEENS0_7pointerIxNS1_3tagENS0_11use_defaultESD_EEEEmLj1EEEvT0_T1_SH_
	.globl	_ZN6thrust23THRUST_200600_302600_NS11hip_rocprim14__parallel_for6kernelILj256ENS1_20__uninitialized_copy7functorINS0_6detail15normal_iteratorINS0_10device_ptrIxEEEENS0_7pointerIxNS1_3tagENS0_11use_defaultESD_EEEEmLj1EEEvT0_T1_SH_
	.p2align	8
	.type	_ZN6thrust23THRUST_200600_302600_NS11hip_rocprim14__parallel_for6kernelILj256ENS1_20__uninitialized_copy7functorINS0_6detail15normal_iteratorINS0_10device_ptrIxEEEENS0_7pointerIxNS1_3tagENS0_11use_defaultESD_EEEEmLj1EEEvT0_T1_SH_,@function
_ZN6thrust23THRUST_200600_302600_NS11hip_rocprim14__parallel_for6kernelILj256ENS1_20__uninitialized_copy7functorINS0_6detail15normal_iteratorINS0_10device_ptrIxEEEENS0_7pointerIxNS1_3tagENS0_11use_defaultESD_EEEEmLj1EEEvT0_T1_SH_: ; @_ZN6thrust23THRUST_200600_302600_NS11hip_rocprim14__parallel_for6kernelILj256ENS1_20__uninitialized_copy7functorINS0_6detail15normal_iteratorINS0_10device_ptrIxEEEENS0_7pointerIxNS1_3tagENS0_11use_defaultESD_EEEEmLj1EEEvT0_T1_SH_
; %bb.0:
	s_load_b256 s[0:7], s[0:1], 0x0
	s_lshl_b32 s8, s15, 8
	s_waitcnt lgkmcnt(0)
	s_add_u32 s6, s8, s6
	s_addc_u32 s7, 0, s7
	s_sub_u32 s4, s4, s6
	s_subb_u32 s5, s5, s7
	s_delay_alu instid0(SALU_CYCLE_1) | instskip(NEXT) | instid1(VALU_DEP_1)
	v_cmp_gt_u64_e64 s5, 0x100, s[4:5]
	s_and_b32 vcc_lo, exec_lo, s5
	s_mov_b32 s5, 0
	s_cbranch_vccz .LBB75_4
; %bb.1:
	v_cmp_gt_u32_e32 vcc_lo, s4, v0
	s_mov_b32 s4, 0
                                        ; implicit-def: $vgpr1_vgpr2
                                        ; implicit-def: $vgpr3_vgpr4
	s_and_saveexec_b32 s8, vcc_lo
	s_delay_alu instid0(SALU_CYCLE_1)
	s_xor_b32 s8, exec_lo, s8
; %bb.2:
	v_add_co_u32 v1, s9, s6, v0
	s_delay_alu instid0(VALU_DEP_1) | instskip(SKIP_1) | instid1(VALU_DEP_1)
	v_add_co_ci_u32_e64 v2, null, s7, 0, s9
	s_mov_b32 s5, exec_lo
	v_lshlrev_b64 v[3:4], 3, v[1:2]
	s_delay_alu instid0(VALU_DEP_1) | instskip(NEXT) | instid1(VALU_DEP_2)
	v_add_co_u32 v1, vcc_lo, s2, v3
	v_add_co_ci_u32_e32 v2, vcc_lo, s3, v4, vcc_lo
	v_add_co_u32 v3, vcc_lo, s0, v3
	v_add_co_ci_u32_e32 v4, vcc_lo, s1, v4, vcc_lo
; %bb.3:
	s_or_b32 exec_lo, exec_lo, s8
	s_delay_alu instid0(SALU_CYCLE_1)
	s_and_b32 vcc_lo, exec_lo, s4
	s_cbranch_vccnz .LBB75_5
	s_branch .LBB75_6
.LBB75_4:
                                        ; implicit-def: $vgpr1_vgpr2
                                        ; implicit-def: $vgpr3_vgpr4
	s_cbranch_execz .LBB75_6
.LBB75_5:
	v_add_co_u32 v0, s4, s6, v0
	s_delay_alu instid0(VALU_DEP_1) | instskip(SKIP_1) | instid1(VALU_DEP_1)
	v_add_co_ci_u32_e64 v1, null, s7, 0, s4
	s_or_b32 s5, s5, exec_lo
	v_lshlrev_b64 v[1:2], 3, v[0:1]
	s_delay_alu instid0(VALU_DEP_1) | instskip(NEXT) | instid1(VALU_DEP_2)
	v_add_co_u32 v3, vcc_lo, s0, v1
	v_add_co_ci_u32_e32 v4, vcc_lo, s1, v2, vcc_lo
	v_add_co_u32 v1, vcc_lo, s2, v1
	v_add_co_ci_u32_e32 v2, vcc_lo, s3, v2, vcc_lo
.LBB75_6:
	s_and_saveexec_b32 s0, s5
	s_cbranch_execnz .LBB75_8
; %bb.7:
	s_endpgm
.LBB75_8:
	flat_load_b64 v[3:4], v[3:4]
	s_waitcnt vmcnt(0) lgkmcnt(0)
	flat_store_b64 v[1:2], v[3:4]
	s_endpgm
	.section	.rodata,"a",@progbits
	.p2align	6, 0x0
	.amdhsa_kernel _ZN6thrust23THRUST_200600_302600_NS11hip_rocprim14__parallel_for6kernelILj256ENS1_20__uninitialized_copy7functorINS0_6detail15normal_iteratorINS0_10device_ptrIxEEEENS0_7pointerIxNS1_3tagENS0_11use_defaultESD_EEEEmLj1EEEvT0_T1_SH_
		.amdhsa_group_segment_fixed_size 0
		.amdhsa_private_segment_fixed_size 0
		.amdhsa_kernarg_size 32
		.amdhsa_user_sgpr_count 15
		.amdhsa_user_sgpr_dispatch_ptr 0
		.amdhsa_user_sgpr_queue_ptr 0
		.amdhsa_user_sgpr_kernarg_segment_ptr 1
		.amdhsa_user_sgpr_dispatch_id 0
		.amdhsa_user_sgpr_private_segment_size 0
		.amdhsa_wavefront_size32 1
		.amdhsa_uses_dynamic_stack 0
		.amdhsa_enable_private_segment 0
		.amdhsa_system_sgpr_workgroup_id_x 1
		.amdhsa_system_sgpr_workgroup_id_y 0
		.amdhsa_system_sgpr_workgroup_id_z 0
		.amdhsa_system_sgpr_workgroup_info 0
		.amdhsa_system_vgpr_workitem_id 0
		.amdhsa_next_free_vgpr 5
		.amdhsa_next_free_sgpr 16
		.amdhsa_reserve_vcc 1
		.amdhsa_float_round_mode_32 0
		.amdhsa_float_round_mode_16_64 0
		.amdhsa_float_denorm_mode_32 3
		.amdhsa_float_denorm_mode_16_64 3
		.amdhsa_dx10_clamp 1
		.amdhsa_ieee_mode 1
		.amdhsa_fp16_overflow 0
		.amdhsa_workgroup_processor_mode 1
		.amdhsa_memory_ordered 1
		.amdhsa_forward_progress 0
		.amdhsa_shared_vgpr_count 0
		.amdhsa_exception_fp_ieee_invalid_op 0
		.amdhsa_exception_fp_denorm_src 0
		.amdhsa_exception_fp_ieee_div_zero 0
		.amdhsa_exception_fp_ieee_overflow 0
		.amdhsa_exception_fp_ieee_underflow 0
		.amdhsa_exception_fp_ieee_inexact 0
		.amdhsa_exception_int_div_zero 0
	.end_amdhsa_kernel
	.section	.text._ZN6thrust23THRUST_200600_302600_NS11hip_rocprim14__parallel_for6kernelILj256ENS1_20__uninitialized_copy7functorINS0_6detail15normal_iteratorINS0_10device_ptrIxEEEENS0_7pointerIxNS1_3tagENS0_11use_defaultESD_EEEEmLj1EEEvT0_T1_SH_,"axG",@progbits,_ZN6thrust23THRUST_200600_302600_NS11hip_rocprim14__parallel_for6kernelILj256ENS1_20__uninitialized_copy7functorINS0_6detail15normal_iteratorINS0_10device_ptrIxEEEENS0_7pointerIxNS1_3tagENS0_11use_defaultESD_EEEEmLj1EEEvT0_T1_SH_,comdat
.Lfunc_end75:
	.size	_ZN6thrust23THRUST_200600_302600_NS11hip_rocprim14__parallel_for6kernelILj256ENS1_20__uninitialized_copy7functorINS0_6detail15normal_iteratorINS0_10device_ptrIxEEEENS0_7pointerIxNS1_3tagENS0_11use_defaultESD_EEEEmLj1EEEvT0_T1_SH_, .Lfunc_end75-_ZN6thrust23THRUST_200600_302600_NS11hip_rocprim14__parallel_for6kernelILj256ENS1_20__uninitialized_copy7functorINS0_6detail15normal_iteratorINS0_10device_ptrIxEEEENS0_7pointerIxNS1_3tagENS0_11use_defaultESD_EEEEmLj1EEEvT0_T1_SH_
                                        ; -- End function
	.section	.AMDGPU.csdata,"",@progbits
; Kernel info:
; codeLenInByte = 260
; NumSgprs: 18
; NumVgprs: 5
; ScratchSize: 0
; MemoryBound: 1
; FloatMode: 240
; IeeeMode: 1
; LDSByteSize: 0 bytes/workgroup (compile time only)
; SGPRBlocks: 2
; VGPRBlocks: 0
; NumSGPRsForWavesPerEU: 18
; NumVGPRsForWavesPerEU: 5
; Occupancy: 16
; WaveLimiterHint : 0
; COMPUTE_PGM_RSRC2:SCRATCH_EN: 0
; COMPUTE_PGM_RSRC2:USER_SGPR: 15
; COMPUTE_PGM_RSRC2:TRAP_HANDLER: 0
; COMPUTE_PGM_RSRC2:TGID_X_EN: 1
; COMPUTE_PGM_RSRC2:TGID_Y_EN: 0
; COMPUTE_PGM_RSRC2:TGID_Z_EN: 0
; COMPUTE_PGM_RSRC2:TIDIG_COMP_CNT: 0
	.section	.text._ZN6thrust23THRUST_200600_302600_NS11hip_rocprim14__parallel_for6kernelILj256ENS1_11__transform17unary_transform_fINS0_6detail15normal_iteratorINS0_10device_ptrIxEEEENS7_INS8_IfEEEENS4_14no_stencil_tagENS0_8identityIxEENS4_21always_true_predicateEEElLj1EEEvT0_T1_SJ_,"axG",@progbits,_ZN6thrust23THRUST_200600_302600_NS11hip_rocprim14__parallel_for6kernelILj256ENS1_11__transform17unary_transform_fINS0_6detail15normal_iteratorINS0_10device_ptrIxEEEENS7_INS8_IfEEEENS4_14no_stencil_tagENS0_8identityIxEENS4_21always_true_predicateEEElLj1EEEvT0_T1_SJ_,comdat
	.protected	_ZN6thrust23THRUST_200600_302600_NS11hip_rocprim14__parallel_for6kernelILj256ENS1_11__transform17unary_transform_fINS0_6detail15normal_iteratorINS0_10device_ptrIxEEEENS7_INS8_IfEEEENS4_14no_stencil_tagENS0_8identityIxEENS4_21always_true_predicateEEElLj1EEEvT0_T1_SJ_ ; -- Begin function _ZN6thrust23THRUST_200600_302600_NS11hip_rocprim14__parallel_for6kernelILj256ENS1_11__transform17unary_transform_fINS0_6detail15normal_iteratorINS0_10device_ptrIxEEEENS7_INS8_IfEEEENS4_14no_stencil_tagENS0_8identityIxEENS4_21always_true_predicateEEElLj1EEEvT0_T1_SJ_
	.globl	_ZN6thrust23THRUST_200600_302600_NS11hip_rocprim14__parallel_for6kernelILj256ENS1_11__transform17unary_transform_fINS0_6detail15normal_iteratorINS0_10device_ptrIxEEEENS7_INS8_IfEEEENS4_14no_stencil_tagENS0_8identityIxEENS4_21always_true_predicateEEElLj1EEEvT0_T1_SJ_
	.p2align	8
	.type	_ZN6thrust23THRUST_200600_302600_NS11hip_rocprim14__parallel_for6kernelILj256ENS1_11__transform17unary_transform_fINS0_6detail15normal_iteratorINS0_10device_ptrIxEEEENS7_INS8_IfEEEENS4_14no_stencil_tagENS0_8identityIxEENS4_21always_true_predicateEEElLj1EEEvT0_T1_SJ_,@function
_ZN6thrust23THRUST_200600_302600_NS11hip_rocprim14__parallel_for6kernelILj256ENS1_11__transform17unary_transform_fINS0_6detail15normal_iteratorINS0_10device_ptrIxEEEENS7_INS8_IfEEEENS4_14no_stencil_tagENS0_8identityIxEENS4_21always_true_predicateEEElLj1EEEvT0_T1_SJ_: ; @_ZN6thrust23THRUST_200600_302600_NS11hip_rocprim14__parallel_for6kernelILj256ENS1_11__transform17unary_transform_fINS0_6detail15normal_iteratorINS0_10device_ptrIxEEEENS7_INS8_IfEEEENS4_14no_stencil_tagENS0_8identityIxEENS4_21always_true_predicateEEElLj1EEEvT0_T1_SJ_
; %bb.0:
	s_clause 0x1
	s_load_b128 s[8:11], s[0:1], 0x18
	s_load_b128 s[0:3], s[0:1], 0x0
	s_lshl_b32 s4, s15, 8
	s_waitcnt lgkmcnt(0)
	s_add_u32 s4, s4, s10
	s_addc_u32 s5, 0, s11
	s_sub_u32 s6, s8, s4
	s_subb_u32 s7, s9, s5
	s_delay_alu instid0(SALU_CYCLE_1) | instskip(NEXT) | instid1(VALU_DEP_1)
	v_cmp_gt_i64_e64 s7, 0x100, s[6:7]
	s_and_b32 s7, s7, exec_lo
	s_cselect_b32 s7, s6, 0x100
	s_mov_b32 s6, -1
	s_cmpk_lg_i32 s7, 0x100
	s_cbranch_scc1 .LBB76_3
; %bb.1:
	s_and_not1_b32 vcc_lo, exec_lo, s6
	s_cbranch_vccz .LBB76_6
.LBB76_2:
	s_endpgm
.LBB76_3:
	s_mov_b32 s6, exec_lo
	v_cmpx_gt_u32_e64 s7, v0
	s_cbranch_execz .LBB76_5
; %bb.4:
	v_add_co_u32 v1, s7, s4, v0
	s_delay_alu instid0(VALU_DEP_1) | instskip(NEXT) | instid1(VALU_DEP_1)
	v_add_co_ci_u32_e64 v2, null, s5, 0, s7
	v_lshlrev_b64 v[3:4], 3, v[1:2]
	v_lshlrev_b64 v[1:2], 2, v[1:2]
	s_delay_alu instid0(VALU_DEP_2) | instskip(NEXT) | instid1(VALU_DEP_3)
	v_add_co_u32 v3, vcc_lo, s0, v3
	v_add_co_ci_u32_e32 v4, vcc_lo, s1, v4, vcc_lo
	s_delay_alu instid0(VALU_DEP_3) | instskip(NEXT) | instid1(VALU_DEP_4)
	v_add_co_u32 v1, vcc_lo, s2, v1
	v_add_co_ci_u32_e32 v2, vcc_lo, s3, v2, vcc_lo
	flat_load_b64 v[3:4], v[3:4]
	s_waitcnt vmcnt(0) lgkmcnt(0)
	v_xor_b32_e32 v5, v3, v4
	v_cls_i32_e32 v6, v4
	s_delay_alu instid0(VALU_DEP_2) | instskip(NEXT) | instid1(VALU_DEP_2)
	v_ashrrev_i32_e32 v5, 31, v5
	v_add_nc_u32_e32 v6, -1, v6
	s_delay_alu instid0(VALU_DEP_2) | instskip(NEXT) | instid1(VALU_DEP_1)
	v_add_nc_u32_e32 v5, 32, v5
	v_min_u32_e32 v5, v6, v5
	s_delay_alu instid0(VALU_DEP_1) | instskip(NEXT) | instid1(VALU_DEP_1)
	v_lshlrev_b64 v[3:4], v5, v[3:4]
	v_min_u32_e32 v3, 1, v3
	s_delay_alu instid0(VALU_DEP_1) | instskip(SKIP_1) | instid1(VALU_DEP_2)
	v_or_b32_e32 v3, v4, v3
	v_sub_nc_u32_e32 v4, 32, v5
	v_cvt_f32_i32_e32 v3, v3
	s_delay_alu instid0(VALU_DEP_1)
	v_ldexp_f32 v3, v3, v4
	flat_store_b32 v[1:2], v3
.LBB76_5:
	s_or_b32 exec_lo, exec_lo, s6
	s_cbranch_execnz .LBB76_2
.LBB76_6:
	v_add_co_u32 v0, s4, s4, v0
	s_delay_alu instid0(VALU_DEP_1) | instskip(NEXT) | instid1(VALU_DEP_1)
	v_add_co_ci_u32_e64 v1, null, s5, 0, s4
	v_lshlrev_b64 v[2:3], 3, v[0:1]
	v_lshlrev_b64 v[0:1], 2, v[0:1]
	s_delay_alu instid0(VALU_DEP_2) | instskip(NEXT) | instid1(VALU_DEP_3)
	v_add_co_u32 v2, vcc_lo, s0, v2
	v_add_co_ci_u32_e32 v3, vcc_lo, s1, v3, vcc_lo
	s_delay_alu instid0(VALU_DEP_3) | instskip(NEXT) | instid1(VALU_DEP_4)
	v_add_co_u32 v0, vcc_lo, s2, v0
	v_add_co_ci_u32_e32 v1, vcc_lo, s3, v1, vcc_lo
	flat_load_b64 v[2:3], v[2:3]
	s_waitcnt vmcnt(0) lgkmcnt(0)
	v_xor_b32_e32 v4, v2, v3
	v_cls_i32_e32 v5, v3
	s_delay_alu instid0(VALU_DEP_2) | instskip(NEXT) | instid1(VALU_DEP_2)
	v_ashrrev_i32_e32 v4, 31, v4
	v_add_nc_u32_e32 v5, -1, v5
	s_delay_alu instid0(VALU_DEP_2) | instskip(NEXT) | instid1(VALU_DEP_1)
	v_add_nc_u32_e32 v4, 32, v4
	v_min_u32_e32 v4, v5, v4
	s_delay_alu instid0(VALU_DEP_1) | instskip(NEXT) | instid1(VALU_DEP_1)
	v_lshlrev_b64 v[2:3], v4, v[2:3]
	v_min_u32_e32 v2, 1, v2
	s_delay_alu instid0(VALU_DEP_1) | instskip(SKIP_1) | instid1(VALU_DEP_2)
	v_or_b32_e32 v2, v3, v2
	v_sub_nc_u32_e32 v3, 32, v4
	v_cvt_f32_i32_e32 v2, v2
	s_delay_alu instid0(VALU_DEP_1)
	v_ldexp_f32 v2, v2, v3
	flat_store_b32 v[0:1], v2
	s_endpgm
	.section	.rodata,"a",@progbits
	.p2align	6, 0x0
	.amdhsa_kernel _ZN6thrust23THRUST_200600_302600_NS11hip_rocprim14__parallel_for6kernelILj256ENS1_11__transform17unary_transform_fINS0_6detail15normal_iteratorINS0_10device_ptrIxEEEENS7_INS8_IfEEEENS4_14no_stencil_tagENS0_8identityIxEENS4_21always_true_predicateEEElLj1EEEvT0_T1_SJ_
		.amdhsa_group_segment_fixed_size 0
		.amdhsa_private_segment_fixed_size 0
		.amdhsa_kernarg_size 40
		.amdhsa_user_sgpr_count 15
		.amdhsa_user_sgpr_dispatch_ptr 0
		.amdhsa_user_sgpr_queue_ptr 0
		.amdhsa_user_sgpr_kernarg_segment_ptr 1
		.amdhsa_user_sgpr_dispatch_id 0
		.amdhsa_user_sgpr_private_segment_size 0
		.amdhsa_wavefront_size32 1
		.amdhsa_uses_dynamic_stack 0
		.amdhsa_enable_private_segment 0
		.amdhsa_system_sgpr_workgroup_id_x 1
		.amdhsa_system_sgpr_workgroup_id_y 0
		.amdhsa_system_sgpr_workgroup_id_z 0
		.amdhsa_system_sgpr_workgroup_info 0
		.amdhsa_system_vgpr_workitem_id 0
		.amdhsa_next_free_vgpr 7
		.amdhsa_next_free_sgpr 16
		.amdhsa_reserve_vcc 1
		.amdhsa_float_round_mode_32 0
		.amdhsa_float_round_mode_16_64 0
		.amdhsa_float_denorm_mode_32 3
		.amdhsa_float_denorm_mode_16_64 3
		.amdhsa_dx10_clamp 1
		.amdhsa_ieee_mode 1
		.amdhsa_fp16_overflow 0
		.amdhsa_workgroup_processor_mode 1
		.amdhsa_memory_ordered 1
		.amdhsa_forward_progress 0
		.amdhsa_shared_vgpr_count 0
		.amdhsa_exception_fp_ieee_invalid_op 0
		.amdhsa_exception_fp_denorm_src 0
		.amdhsa_exception_fp_ieee_div_zero 0
		.amdhsa_exception_fp_ieee_overflow 0
		.amdhsa_exception_fp_ieee_underflow 0
		.amdhsa_exception_fp_ieee_inexact 0
		.amdhsa_exception_int_div_zero 0
	.end_amdhsa_kernel
	.section	.text._ZN6thrust23THRUST_200600_302600_NS11hip_rocprim14__parallel_for6kernelILj256ENS1_11__transform17unary_transform_fINS0_6detail15normal_iteratorINS0_10device_ptrIxEEEENS7_INS8_IfEEEENS4_14no_stencil_tagENS0_8identityIxEENS4_21always_true_predicateEEElLj1EEEvT0_T1_SJ_,"axG",@progbits,_ZN6thrust23THRUST_200600_302600_NS11hip_rocprim14__parallel_for6kernelILj256ENS1_11__transform17unary_transform_fINS0_6detail15normal_iteratorINS0_10device_ptrIxEEEENS7_INS8_IfEEEENS4_14no_stencil_tagENS0_8identityIxEENS4_21always_true_predicateEEElLj1EEEvT0_T1_SJ_,comdat
.Lfunc_end76:
	.size	_ZN6thrust23THRUST_200600_302600_NS11hip_rocprim14__parallel_for6kernelILj256ENS1_11__transform17unary_transform_fINS0_6detail15normal_iteratorINS0_10device_ptrIxEEEENS7_INS8_IfEEEENS4_14no_stencil_tagENS0_8identityIxEENS4_21always_true_predicateEEElLj1EEEvT0_T1_SJ_, .Lfunc_end76-_ZN6thrust23THRUST_200600_302600_NS11hip_rocprim14__parallel_for6kernelILj256ENS1_11__transform17unary_transform_fINS0_6detail15normal_iteratorINS0_10device_ptrIxEEEENS7_INS8_IfEEEENS4_14no_stencil_tagENS0_8identityIxEENS4_21always_true_predicateEEElLj1EEEvT0_T1_SJ_
                                        ; -- End function
	.section	.AMDGPU.csdata,"",@progbits
; Kernel info:
; codeLenInByte = 452
; NumSgprs: 18
; NumVgprs: 7
; ScratchSize: 0
; MemoryBound: 0
; FloatMode: 240
; IeeeMode: 1
; LDSByteSize: 0 bytes/workgroup (compile time only)
; SGPRBlocks: 2
; VGPRBlocks: 0
; NumSGPRsForWavesPerEU: 18
; NumVGPRsForWavesPerEU: 7
; Occupancy: 16
; WaveLimiterHint : 0
; COMPUTE_PGM_RSRC2:SCRATCH_EN: 0
; COMPUTE_PGM_RSRC2:USER_SGPR: 15
; COMPUTE_PGM_RSRC2:TRAP_HANDLER: 0
; COMPUTE_PGM_RSRC2:TGID_X_EN: 1
; COMPUTE_PGM_RSRC2:TGID_Y_EN: 0
; COMPUTE_PGM_RSRC2:TGID_Z_EN: 0
; COMPUTE_PGM_RSRC2:TIDIG_COMP_CNT: 0
	.section	.text._ZN6thrust23THRUST_200600_302600_NS11hip_rocprim14__parallel_for6kernelILj256ENS1_11__transform17unary_transform_fINS0_10device_ptrIxEENS6_IfEENS4_14no_stencil_tagENS0_8identityIxEENS4_21always_true_predicateEEElLj1EEEvT0_T1_SF_,"axG",@progbits,_ZN6thrust23THRUST_200600_302600_NS11hip_rocprim14__parallel_for6kernelILj256ENS1_11__transform17unary_transform_fINS0_10device_ptrIxEENS6_IfEENS4_14no_stencil_tagENS0_8identityIxEENS4_21always_true_predicateEEElLj1EEEvT0_T1_SF_,comdat
	.protected	_ZN6thrust23THRUST_200600_302600_NS11hip_rocprim14__parallel_for6kernelILj256ENS1_11__transform17unary_transform_fINS0_10device_ptrIxEENS6_IfEENS4_14no_stencil_tagENS0_8identityIxEENS4_21always_true_predicateEEElLj1EEEvT0_T1_SF_ ; -- Begin function _ZN6thrust23THRUST_200600_302600_NS11hip_rocprim14__parallel_for6kernelILj256ENS1_11__transform17unary_transform_fINS0_10device_ptrIxEENS6_IfEENS4_14no_stencil_tagENS0_8identityIxEENS4_21always_true_predicateEEElLj1EEEvT0_T1_SF_
	.globl	_ZN6thrust23THRUST_200600_302600_NS11hip_rocprim14__parallel_for6kernelILj256ENS1_11__transform17unary_transform_fINS0_10device_ptrIxEENS6_IfEENS4_14no_stencil_tagENS0_8identityIxEENS4_21always_true_predicateEEElLj1EEEvT0_T1_SF_
	.p2align	8
	.type	_ZN6thrust23THRUST_200600_302600_NS11hip_rocprim14__parallel_for6kernelILj256ENS1_11__transform17unary_transform_fINS0_10device_ptrIxEENS6_IfEENS4_14no_stencil_tagENS0_8identityIxEENS4_21always_true_predicateEEElLj1EEEvT0_T1_SF_,@function
_ZN6thrust23THRUST_200600_302600_NS11hip_rocprim14__parallel_for6kernelILj256ENS1_11__transform17unary_transform_fINS0_10device_ptrIxEENS6_IfEENS4_14no_stencil_tagENS0_8identityIxEENS4_21always_true_predicateEEElLj1EEEvT0_T1_SF_: ; @_ZN6thrust23THRUST_200600_302600_NS11hip_rocprim14__parallel_for6kernelILj256ENS1_11__transform17unary_transform_fINS0_10device_ptrIxEENS6_IfEENS4_14no_stencil_tagENS0_8identityIxEENS4_21always_true_predicateEEElLj1EEEvT0_T1_SF_
; %bb.0:
	s_clause 0x1
	s_load_b128 s[8:11], s[0:1], 0x18
	s_load_b128 s[0:3], s[0:1], 0x0
	s_lshl_b32 s4, s15, 8
	s_waitcnt lgkmcnt(0)
	s_add_u32 s4, s4, s10
	s_addc_u32 s5, 0, s11
	s_sub_u32 s6, s8, s4
	s_subb_u32 s7, s9, s5
	s_delay_alu instid0(SALU_CYCLE_1) | instskip(NEXT) | instid1(VALU_DEP_1)
	v_cmp_gt_i64_e64 s7, 0x100, s[6:7]
	s_and_b32 s7, s7, exec_lo
	s_cselect_b32 s7, s6, 0x100
	s_mov_b32 s6, -1
	s_cmpk_lg_i32 s7, 0x100
	s_cbranch_scc1 .LBB77_3
; %bb.1:
	s_and_not1_b32 vcc_lo, exec_lo, s6
	s_cbranch_vccz .LBB77_6
.LBB77_2:
	s_endpgm
.LBB77_3:
	s_mov_b32 s6, exec_lo
	v_cmpx_gt_u32_e64 s7, v0
	s_cbranch_execz .LBB77_5
; %bb.4:
	v_add_co_u32 v1, s7, s4, v0
	s_delay_alu instid0(VALU_DEP_1) | instskip(NEXT) | instid1(VALU_DEP_1)
	v_add_co_ci_u32_e64 v2, null, s5, 0, s7
	v_lshlrev_b64 v[3:4], 3, v[1:2]
	v_lshlrev_b64 v[1:2], 2, v[1:2]
	s_delay_alu instid0(VALU_DEP_2) | instskip(NEXT) | instid1(VALU_DEP_3)
	v_add_co_u32 v3, vcc_lo, s0, v3
	v_add_co_ci_u32_e32 v4, vcc_lo, s1, v4, vcc_lo
	s_delay_alu instid0(VALU_DEP_3) | instskip(NEXT) | instid1(VALU_DEP_4)
	v_add_co_u32 v1, vcc_lo, s2, v1
	v_add_co_ci_u32_e32 v2, vcc_lo, s3, v2, vcc_lo
	flat_load_b64 v[3:4], v[3:4]
	s_waitcnt vmcnt(0) lgkmcnt(0)
	v_xor_b32_e32 v5, v3, v4
	v_cls_i32_e32 v6, v4
	s_delay_alu instid0(VALU_DEP_2) | instskip(NEXT) | instid1(VALU_DEP_2)
	v_ashrrev_i32_e32 v5, 31, v5
	v_add_nc_u32_e32 v6, -1, v6
	s_delay_alu instid0(VALU_DEP_2) | instskip(NEXT) | instid1(VALU_DEP_1)
	v_add_nc_u32_e32 v5, 32, v5
	v_min_u32_e32 v5, v6, v5
	s_delay_alu instid0(VALU_DEP_1) | instskip(NEXT) | instid1(VALU_DEP_1)
	v_lshlrev_b64 v[3:4], v5, v[3:4]
	v_min_u32_e32 v3, 1, v3
	s_delay_alu instid0(VALU_DEP_1) | instskip(SKIP_1) | instid1(VALU_DEP_2)
	v_or_b32_e32 v3, v4, v3
	v_sub_nc_u32_e32 v4, 32, v5
	v_cvt_f32_i32_e32 v3, v3
	s_delay_alu instid0(VALU_DEP_1)
	v_ldexp_f32 v3, v3, v4
	flat_store_b32 v[1:2], v3
.LBB77_5:
	s_or_b32 exec_lo, exec_lo, s6
	s_cbranch_execnz .LBB77_2
.LBB77_6:
	v_add_co_u32 v0, s4, s4, v0
	s_delay_alu instid0(VALU_DEP_1) | instskip(NEXT) | instid1(VALU_DEP_1)
	v_add_co_ci_u32_e64 v1, null, s5, 0, s4
	v_lshlrev_b64 v[2:3], 3, v[0:1]
	v_lshlrev_b64 v[0:1], 2, v[0:1]
	s_delay_alu instid0(VALU_DEP_2) | instskip(NEXT) | instid1(VALU_DEP_3)
	v_add_co_u32 v2, vcc_lo, s0, v2
	v_add_co_ci_u32_e32 v3, vcc_lo, s1, v3, vcc_lo
	s_delay_alu instid0(VALU_DEP_3) | instskip(NEXT) | instid1(VALU_DEP_4)
	v_add_co_u32 v0, vcc_lo, s2, v0
	v_add_co_ci_u32_e32 v1, vcc_lo, s3, v1, vcc_lo
	flat_load_b64 v[2:3], v[2:3]
	s_waitcnt vmcnt(0) lgkmcnt(0)
	v_xor_b32_e32 v4, v2, v3
	v_cls_i32_e32 v5, v3
	s_delay_alu instid0(VALU_DEP_2) | instskip(NEXT) | instid1(VALU_DEP_2)
	v_ashrrev_i32_e32 v4, 31, v4
	v_add_nc_u32_e32 v5, -1, v5
	s_delay_alu instid0(VALU_DEP_2) | instskip(NEXT) | instid1(VALU_DEP_1)
	v_add_nc_u32_e32 v4, 32, v4
	v_min_u32_e32 v4, v5, v4
	s_delay_alu instid0(VALU_DEP_1) | instskip(NEXT) | instid1(VALU_DEP_1)
	v_lshlrev_b64 v[2:3], v4, v[2:3]
	v_min_u32_e32 v2, 1, v2
	s_delay_alu instid0(VALU_DEP_1) | instskip(SKIP_1) | instid1(VALU_DEP_2)
	v_or_b32_e32 v2, v3, v2
	v_sub_nc_u32_e32 v3, 32, v4
	v_cvt_f32_i32_e32 v2, v2
	s_delay_alu instid0(VALU_DEP_1)
	v_ldexp_f32 v2, v2, v3
	flat_store_b32 v[0:1], v2
	s_endpgm
	.section	.rodata,"a",@progbits
	.p2align	6, 0x0
	.amdhsa_kernel _ZN6thrust23THRUST_200600_302600_NS11hip_rocprim14__parallel_for6kernelILj256ENS1_11__transform17unary_transform_fINS0_10device_ptrIxEENS6_IfEENS4_14no_stencil_tagENS0_8identityIxEENS4_21always_true_predicateEEElLj1EEEvT0_T1_SF_
		.amdhsa_group_segment_fixed_size 0
		.amdhsa_private_segment_fixed_size 0
		.amdhsa_kernarg_size 40
		.amdhsa_user_sgpr_count 15
		.amdhsa_user_sgpr_dispatch_ptr 0
		.amdhsa_user_sgpr_queue_ptr 0
		.amdhsa_user_sgpr_kernarg_segment_ptr 1
		.amdhsa_user_sgpr_dispatch_id 0
		.amdhsa_user_sgpr_private_segment_size 0
		.amdhsa_wavefront_size32 1
		.amdhsa_uses_dynamic_stack 0
		.amdhsa_enable_private_segment 0
		.amdhsa_system_sgpr_workgroup_id_x 1
		.amdhsa_system_sgpr_workgroup_id_y 0
		.amdhsa_system_sgpr_workgroup_id_z 0
		.amdhsa_system_sgpr_workgroup_info 0
		.amdhsa_system_vgpr_workitem_id 0
		.amdhsa_next_free_vgpr 7
		.amdhsa_next_free_sgpr 16
		.amdhsa_reserve_vcc 1
		.amdhsa_float_round_mode_32 0
		.amdhsa_float_round_mode_16_64 0
		.amdhsa_float_denorm_mode_32 3
		.amdhsa_float_denorm_mode_16_64 3
		.amdhsa_dx10_clamp 1
		.amdhsa_ieee_mode 1
		.amdhsa_fp16_overflow 0
		.amdhsa_workgroup_processor_mode 1
		.amdhsa_memory_ordered 1
		.amdhsa_forward_progress 0
		.amdhsa_shared_vgpr_count 0
		.amdhsa_exception_fp_ieee_invalid_op 0
		.amdhsa_exception_fp_denorm_src 0
		.amdhsa_exception_fp_ieee_div_zero 0
		.amdhsa_exception_fp_ieee_overflow 0
		.amdhsa_exception_fp_ieee_underflow 0
		.amdhsa_exception_fp_ieee_inexact 0
		.amdhsa_exception_int_div_zero 0
	.end_amdhsa_kernel
	.section	.text._ZN6thrust23THRUST_200600_302600_NS11hip_rocprim14__parallel_for6kernelILj256ENS1_11__transform17unary_transform_fINS0_10device_ptrIxEENS6_IfEENS4_14no_stencil_tagENS0_8identityIxEENS4_21always_true_predicateEEElLj1EEEvT0_T1_SF_,"axG",@progbits,_ZN6thrust23THRUST_200600_302600_NS11hip_rocprim14__parallel_for6kernelILj256ENS1_11__transform17unary_transform_fINS0_10device_ptrIxEENS6_IfEENS4_14no_stencil_tagENS0_8identityIxEENS4_21always_true_predicateEEElLj1EEEvT0_T1_SF_,comdat
.Lfunc_end77:
	.size	_ZN6thrust23THRUST_200600_302600_NS11hip_rocprim14__parallel_for6kernelILj256ENS1_11__transform17unary_transform_fINS0_10device_ptrIxEENS6_IfEENS4_14no_stencil_tagENS0_8identityIxEENS4_21always_true_predicateEEElLj1EEEvT0_T1_SF_, .Lfunc_end77-_ZN6thrust23THRUST_200600_302600_NS11hip_rocprim14__parallel_for6kernelILj256ENS1_11__transform17unary_transform_fINS0_10device_ptrIxEENS6_IfEENS4_14no_stencil_tagENS0_8identityIxEENS4_21always_true_predicateEEElLj1EEEvT0_T1_SF_
                                        ; -- End function
	.section	.AMDGPU.csdata,"",@progbits
; Kernel info:
; codeLenInByte = 452
; NumSgprs: 18
; NumVgprs: 7
; ScratchSize: 0
; MemoryBound: 0
; FloatMode: 240
; IeeeMode: 1
; LDSByteSize: 0 bytes/workgroup (compile time only)
; SGPRBlocks: 2
; VGPRBlocks: 0
; NumSGPRsForWavesPerEU: 18
; NumVGPRsForWavesPerEU: 7
; Occupancy: 16
; WaveLimiterHint : 0
; COMPUTE_PGM_RSRC2:SCRATCH_EN: 0
; COMPUTE_PGM_RSRC2:USER_SGPR: 15
; COMPUTE_PGM_RSRC2:TRAP_HANDLER: 0
; COMPUTE_PGM_RSRC2:TGID_X_EN: 1
; COMPUTE_PGM_RSRC2:TGID_Y_EN: 0
; COMPUTE_PGM_RSRC2:TGID_Z_EN: 0
; COMPUTE_PGM_RSRC2:TIDIG_COMP_CNT: 0
	.section	.text._ZN6thrust23THRUST_200600_302600_NS11hip_rocprim14__parallel_for6kernelILj256ENS1_20__uninitialized_copy7functorINS0_6detail15normal_iteratorINS0_10device_ptrIiEEEENS0_7pointerIiNS1_3tagENS0_11use_defaultESD_EEEEmLj1EEEvT0_T1_SH_,"axG",@progbits,_ZN6thrust23THRUST_200600_302600_NS11hip_rocprim14__parallel_for6kernelILj256ENS1_20__uninitialized_copy7functorINS0_6detail15normal_iteratorINS0_10device_ptrIiEEEENS0_7pointerIiNS1_3tagENS0_11use_defaultESD_EEEEmLj1EEEvT0_T1_SH_,comdat
	.protected	_ZN6thrust23THRUST_200600_302600_NS11hip_rocprim14__parallel_for6kernelILj256ENS1_20__uninitialized_copy7functorINS0_6detail15normal_iteratorINS0_10device_ptrIiEEEENS0_7pointerIiNS1_3tagENS0_11use_defaultESD_EEEEmLj1EEEvT0_T1_SH_ ; -- Begin function _ZN6thrust23THRUST_200600_302600_NS11hip_rocprim14__parallel_for6kernelILj256ENS1_20__uninitialized_copy7functorINS0_6detail15normal_iteratorINS0_10device_ptrIiEEEENS0_7pointerIiNS1_3tagENS0_11use_defaultESD_EEEEmLj1EEEvT0_T1_SH_
	.globl	_ZN6thrust23THRUST_200600_302600_NS11hip_rocprim14__parallel_for6kernelILj256ENS1_20__uninitialized_copy7functorINS0_6detail15normal_iteratorINS0_10device_ptrIiEEEENS0_7pointerIiNS1_3tagENS0_11use_defaultESD_EEEEmLj1EEEvT0_T1_SH_
	.p2align	8
	.type	_ZN6thrust23THRUST_200600_302600_NS11hip_rocprim14__parallel_for6kernelILj256ENS1_20__uninitialized_copy7functorINS0_6detail15normal_iteratorINS0_10device_ptrIiEEEENS0_7pointerIiNS1_3tagENS0_11use_defaultESD_EEEEmLj1EEEvT0_T1_SH_,@function
_ZN6thrust23THRUST_200600_302600_NS11hip_rocprim14__parallel_for6kernelILj256ENS1_20__uninitialized_copy7functorINS0_6detail15normal_iteratorINS0_10device_ptrIiEEEENS0_7pointerIiNS1_3tagENS0_11use_defaultESD_EEEEmLj1EEEvT0_T1_SH_: ; @_ZN6thrust23THRUST_200600_302600_NS11hip_rocprim14__parallel_for6kernelILj256ENS1_20__uninitialized_copy7functorINS0_6detail15normal_iteratorINS0_10device_ptrIiEEEENS0_7pointerIiNS1_3tagENS0_11use_defaultESD_EEEEmLj1EEEvT0_T1_SH_
; %bb.0:
	s_load_b256 s[0:7], s[0:1], 0x0
	s_lshl_b32 s8, s15, 8
	s_waitcnt lgkmcnt(0)
	s_add_u32 s6, s8, s6
	s_addc_u32 s7, 0, s7
	s_sub_u32 s4, s4, s6
	s_subb_u32 s5, s5, s7
	s_delay_alu instid0(SALU_CYCLE_1) | instskip(NEXT) | instid1(VALU_DEP_1)
	v_cmp_gt_u64_e64 s5, 0x100, s[4:5]
	s_and_b32 vcc_lo, exec_lo, s5
	s_mov_b32 s5, 0
	s_cbranch_vccz .LBB78_4
; %bb.1:
	v_cmp_gt_u32_e32 vcc_lo, s4, v0
	s_mov_b32 s4, 0
                                        ; implicit-def: $vgpr1_vgpr2
                                        ; implicit-def: $vgpr3_vgpr4
	s_and_saveexec_b32 s8, vcc_lo
	s_delay_alu instid0(SALU_CYCLE_1)
	s_xor_b32 s8, exec_lo, s8
; %bb.2:
	v_add_co_u32 v1, s9, s6, v0
	s_delay_alu instid0(VALU_DEP_1) | instskip(SKIP_1) | instid1(VALU_DEP_1)
	v_add_co_ci_u32_e64 v2, null, s7, 0, s9
	s_mov_b32 s5, exec_lo
	v_lshlrev_b64 v[3:4], 2, v[1:2]
	s_delay_alu instid0(VALU_DEP_1) | instskip(NEXT) | instid1(VALU_DEP_2)
	v_add_co_u32 v1, vcc_lo, s2, v3
	v_add_co_ci_u32_e32 v2, vcc_lo, s3, v4, vcc_lo
	v_add_co_u32 v3, vcc_lo, s0, v3
	v_add_co_ci_u32_e32 v4, vcc_lo, s1, v4, vcc_lo
; %bb.3:
	s_or_b32 exec_lo, exec_lo, s8
	s_delay_alu instid0(SALU_CYCLE_1)
	s_and_b32 vcc_lo, exec_lo, s4
	s_cbranch_vccnz .LBB78_5
	s_branch .LBB78_6
.LBB78_4:
                                        ; implicit-def: $vgpr1_vgpr2
                                        ; implicit-def: $vgpr3_vgpr4
	s_cbranch_execz .LBB78_6
.LBB78_5:
	v_add_co_u32 v0, s4, s6, v0
	s_delay_alu instid0(VALU_DEP_1) | instskip(SKIP_1) | instid1(VALU_DEP_1)
	v_add_co_ci_u32_e64 v1, null, s7, 0, s4
	s_or_b32 s5, s5, exec_lo
	v_lshlrev_b64 v[1:2], 2, v[0:1]
	s_delay_alu instid0(VALU_DEP_1) | instskip(NEXT) | instid1(VALU_DEP_2)
	v_add_co_u32 v3, vcc_lo, s0, v1
	v_add_co_ci_u32_e32 v4, vcc_lo, s1, v2, vcc_lo
	v_add_co_u32 v1, vcc_lo, s2, v1
	v_add_co_ci_u32_e32 v2, vcc_lo, s3, v2, vcc_lo
.LBB78_6:
	s_and_saveexec_b32 s0, s5
	s_cbranch_execnz .LBB78_8
; %bb.7:
	s_endpgm
.LBB78_8:
	flat_load_b32 v0, v[3:4]
	s_waitcnt vmcnt(0) lgkmcnt(0)
	flat_store_b32 v[1:2], v0
	s_endpgm
	.section	.rodata,"a",@progbits
	.p2align	6, 0x0
	.amdhsa_kernel _ZN6thrust23THRUST_200600_302600_NS11hip_rocprim14__parallel_for6kernelILj256ENS1_20__uninitialized_copy7functorINS0_6detail15normal_iteratorINS0_10device_ptrIiEEEENS0_7pointerIiNS1_3tagENS0_11use_defaultESD_EEEEmLj1EEEvT0_T1_SH_
		.amdhsa_group_segment_fixed_size 0
		.amdhsa_private_segment_fixed_size 0
		.amdhsa_kernarg_size 32
		.amdhsa_user_sgpr_count 15
		.amdhsa_user_sgpr_dispatch_ptr 0
		.amdhsa_user_sgpr_queue_ptr 0
		.amdhsa_user_sgpr_kernarg_segment_ptr 1
		.amdhsa_user_sgpr_dispatch_id 0
		.amdhsa_user_sgpr_private_segment_size 0
		.amdhsa_wavefront_size32 1
		.amdhsa_uses_dynamic_stack 0
		.amdhsa_enable_private_segment 0
		.amdhsa_system_sgpr_workgroup_id_x 1
		.amdhsa_system_sgpr_workgroup_id_y 0
		.amdhsa_system_sgpr_workgroup_id_z 0
		.amdhsa_system_sgpr_workgroup_info 0
		.amdhsa_system_vgpr_workitem_id 0
		.amdhsa_next_free_vgpr 5
		.amdhsa_next_free_sgpr 16
		.amdhsa_reserve_vcc 1
		.amdhsa_float_round_mode_32 0
		.amdhsa_float_round_mode_16_64 0
		.amdhsa_float_denorm_mode_32 3
		.amdhsa_float_denorm_mode_16_64 3
		.amdhsa_dx10_clamp 1
		.amdhsa_ieee_mode 1
		.amdhsa_fp16_overflow 0
		.amdhsa_workgroup_processor_mode 1
		.amdhsa_memory_ordered 1
		.amdhsa_forward_progress 0
		.amdhsa_shared_vgpr_count 0
		.amdhsa_exception_fp_ieee_invalid_op 0
		.amdhsa_exception_fp_denorm_src 0
		.amdhsa_exception_fp_ieee_div_zero 0
		.amdhsa_exception_fp_ieee_overflow 0
		.amdhsa_exception_fp_ieee_underflow 0
		.amdhsa_exception_fp_ieee_inexact 0
		.amdhsa_exception_int_div_zero 0
	.end_amdhsa_kernel
	.section	.text._ZN6thrust23THRUST_200600_302600_NS11hip_rocprim14__parallel_for6kernelILj256ENS1_20__uninitialized_copy7functorINS0_6detail15normal_iteratorINS0_10device_ptrIiEEEENS0_7pointerIiNS1_3tagENS0_11use_defaultESD_EEEEmLj1EEEvT0_T1_SH_,"axG",@progbits,_ZN6thrust23THRUST_200600_302600_NS11hip_rocprim14__parallel_for6kernelILj256ENS1_20__uninitialized_copy7functorINS0_6detail15normal_iteratorINS0_10device_ptrIiEEEENS0_7pointerIiNS1_3tagENS0_11use_defaultESD_EEEEmLj1EEEvT0_T1_SH_,comdat
.Lfunc_end78:
	.size	_ZN6thrust23THRUST_200600_302600_NS11hip_rocprim14__parallel_for6kernelILj256ENS1_20__uninitialized_copy7functorINS0_6detail15normal_iteratorINS0_10device_ptrIiEEEENS0_7pointerIiNS1_3tagENS0_11use_defaultESD_EEEEmLj1EEEvT0_T1_SH_, .Lfunc_end78-_ZN6thrust23THRUST_200600_302600_NS11hip_rocprim14__parallel_for6kernelILj256ENS1_20__uninitialized_copy7functorINS0_6detail15normal_iteratorINS0_10device_ptrIiEEEENS0_7pointerIiNS1_3tagENS0_11use_defaultESD_EEEEmLj1EEEvT0_T1_SH_
                                        ; -- End function
	.section	.AMDGPU.csdata,"",@progbits
; Kernel info:
; codeLenInByte = 260
; NumSgprs: 18
; NumVgprs: 5
; ScratchSize: 0
; MemoryBound: 0
; FloatMode: 240
; IeeeMode: 1
; LDSByteSize: 0 bytes/workgroup (compile time only)
; SGPRBlocks: 2
; VGPRBlocks: 0
; NumSGPRsForWavesPerEU: 18
; NumVGPRsForWavesPerEU: 5
; Occupancy: 16
; WaveLimiterHint : 0
; COMPUTE_PGM_RSRC2:SCRATCH_EN: 0
; COMPUTE_PGM_RSRC2:USER_SGPR: 15
; COMPUTE_PGM_RSRC2:TRAP_HANDLER: 0
; COMPUTE_PGM_RSRC2:TGID_X_EN: 1
; COMPUTE_PGM_RSRC2:TGID_Y_EN: 0
; COMPUTE_PGM_RSRC2:TGID_Z_EN: 0
; COMPUTE_PGM_RSRC2:TIDIG_COMP_CNT: 0
	.section	.text._ZN6thrust23THRUST_200600_302600_NS11hip_rocprim14__parallel_for6kernelILj256ENS1_11__transform17unary_transform_fINS0_6detail15normal_iteratorINS0_10device_ptrIiEEEENS7_INS8_IfEEEENS4_14no_stencil_tagENS0_8identityIiEENS4_21always_true_predicateEEElLj1EEEvT0_T1_SJ_,"axG",@progbits,_ZN6thrust23THRUST_200600_302600_NS11hip_rocprim14__parallel_for6kernelILj256ENS1_11__transform17unary_transform_fINS0_6detail15normal_iteratorINS0_10device_ptrIiEEEENS7_INS8_IfEEEENS4_14no_stencil_tagENS0_8identityIiEENS4_21always_true_predicateEEElLj1EEEvT0_T1_SJ_,comdat
	.protected	_ZN6thrust23THRUST_200600_302600_NS11hip_rocprim14__parallel_for6kernelILj256ENS1_11__transform17unary_transform_fINS0_6detail15normal_iteratorINS0_10device_ptrIiEEEENS7_INS8_IfEEEENS4_14no_stencil_tagENS0_8identityIiEENS4_21always_true_predicateEEElLj1EEEvT0_T1_SJ_ ; -- Begin function _ZN6thrust23THRUST_200600_302600_NS11hip_rocprim14__parallel_for6kernelILj256ENS1_11__transform17unary_transform_fINS0_6detail15normal_iteratorINS0_10device_ptrIiEEEENS7_INS8_IfEEEENS4_14no_stencil_tagENS0_8identityIiEENS4_21always_true_predicateEEElLj1EEEvT0_T1_SJ_
	.globl	_ZN6thrust23THRUST_200600_302600_NS11hip_rocprim14__parallel_for6kernelILj256ENS1_11__transform17unary_transform_fINS0_6detail15normal_iteratorINS0_10device_ptrIiEEEENS7_INS8_IfEEEENS4_14no_stencil_tagENS0_8identityIiEENS4_21always_true_predicateEEElLj1EEEvT0_T1_SJ_
	.p2align	8
	.type	_ZN6thrust23THRUST_200600_302600_NS11hip_rocprim14__parallel_for6kernelILj256ENS1_11__transform17unary_transform_fINS0_6detail15normal_iteratorINS0_10device_ptrIiEEEENS7_INS8_IfEEEENS4_14no_stencil_tagENS0_8identityIiEENS4_21always_true_predicateEEElLj1EEEvT0_T1_SJ_,@function
_ZN6thrust23THRUST_200600_302600_NS11hip_rocprim14__parallel_for6kernelILj256ENS1_11__transform17unary_transform_fINS0_6detail15normal_iteratorINS0_10device_ptrIiEEEENS7_INS8_IfEEEENS4_14no_stencil_tagENS0_8identityIiEENS4_21always_true_predicateEEElLj1EEEvT0_T1_SJ_: ; @_ZN6thrust23THRUST_200600_302600_NS11hip_rocprim14__parallel_for6kernelILj256ENS1_11__transform17unary_transform_fINS0_6detail15normal_iteratorINS0_10device_ptrIiEEEENS7_INS8_IfEEEENS4_14no_stencil_tagENS0_8identityIiEENS4_21always_true_predicateEEElLj1EEEvT0_T1_SJ_
; %bb.0:
	s_clause 0x1
	s_load_b128 s[8:11], s[0:1], 0x18
	s_load_b128 s[0:3], s[0:1], 0x0
	s_lshl_b32 s4, s15, 8
	s_waitcnt lgkmcnt(0)
	s_add_u32 s4, s4, s10
	s_addc_u32 s5, 0, s11
	s_sub_u32 s6, s8, s4
	s_subb_u32 s7, s9, s5
	s_delay_alu instid0(SALU_CYCLE_1) | instskip(NEXT) | instid1(VALU_DEP_1)
	v_cmp_gt_i64_e64 s7, 0x100, s[6:7]
	s_and_b32 s7, s7, exec_lo
	s_cselect_b32 s7, s6, 0x100
	s_mov_b32 s6, -1
	s_cmpk_lg_i32 s7, 0x100
	s_cbranch_scc1 .LBB79_3
; %bb.1:
	s_and_not1_b32 vcc_lo, exec_lo, s6
	s_cbranch_vccz .LBB79_6
.LBB79_2:
	s_endpgm
.LBB79_3:
	s_mov_b32 s6, exec_lo
	v_cmpx_gt_u32_e64 s7, v0
	s_cbranch_execz .LBB79_5
; %bb.4:
	v_add_co_u32 v1, s7, s4, v0
	s_delay_alu instid0(VALU_DEP_1) | instskip(NEXT) | instid1(VALU_DEP_1)
	v_add_co_ci_u32_e64 v2, null, s5, 0, s7
	v_lshlrev_b64 v[1:2], 2, v[1:2]
	s_delay_alu instid0(VALU_DEP_1) | instskip(NEXT) | instid1(VALU_DEP_2)
	v_add_co_u32 v3, vcc_lo, s0, v1
	v_add_co_ci_u32_e32 v4, vcc_lo, s1, v2, vcc_lo
	v_add_co_u32 v1, vcc_lo, s2, v1
	v_add_co_ci_u32_e32 v2, vcc_lo, s3, v2, vcc_lo
	flat_load_b32 v3, v[3:4]
	s_waitcnt vmcnt(0) lgkmcnt(0)
	v_cvt_f32_i32_e32 v3, v3
	flat_store_b32 v[1:2], v3
.LBB79_5:
	s_or_b32 exec_lo, exec_lo, s6
	s_cbranch_execnz .LBB79_2
.LBB79_6:
	v_add_co_u32 v0, s4, s4, v0
	s_delay_alu instid0(VALU_DEP_1) | instskip(NEXT) | instid1(VALU_DEP_1)
	v_add_co_ci_u32_e64 v1, null, s5, 0, s4
	v_lshlrev_b64 v[0:1], 2, v[0:1]
	s_delay_alu instid0(VALU_DEP_1) | instskip(NEXT) | instid1(VALU_DEP_2)
	v_add_co_u32 v2, vcc_lo, s0, v0
	v_add_co_ci_u32_e32 v3, vcc_lo, s1, v1, vcc_lo
	v_add_co_u32 v0, vcc_lo, s2, v0
	v_add_co_ci_u32_e32 v1, vcc_lo, s3, v1, vcc_lo
	flat_load_b32 v2, v[2:3]
	s_waitcnt vmcnt(0) lgkmcnt(0)
	v_cvt_f32_i32_e32 v2, v2
	flat_store_b32 v[0:1], v2
	s_endpgm
	.section	.rodata,"a",@progbits
	.p2align	6, 0x0
	.amdhsa_kernel _ZN6thrust23THRUST_200600_302600_NS11hip_rocprim14__parallel_for6kernelILj256ENS1_11__transform17unary_transform_fINS0_6detail15normal_iteratorINS0_10device_ptrIiEEEENS7_INS8_IfEEEENS4_14no_stencil_tagENS0_8identityIiEENS4_21always_true_predicateEEElLj1EEEvT0_T1_SJ_
		.amdhsa_group_segment_fixed_size 0
		.amdhsa_private_segment_fixed_size 0
		.amdhsa_kernarg_size 40
		.amdhsa_user_sgpr_count 15
		.amdhsa_user_sgpr_dispatch_ptr 0
		.amdhsa_user_sgpr_queue_ptr 0
		.amdhsa_user_sgpr_kernarg_segment_ptr 1
		.amdhsa_user_sgpr_dispatch_id 0
		.amdhsa_user_sgpr_private_segment_size 0
		.amdhsa_wavefront_size32 1
		.amdhsa_uses_dynamic_stack 0
		.amdhsa_enable_private_segment 0
		.amdhsa_system_sgpr_workgroup_id_x 1
		.amdhsa_system_sgpr_workgroup_id_y 0
		.amdhsa_system_sgpr_workgroup_id_z 0
		.amdhsa_system_sgpr_workgroup_info 0
		.amdhsa_system_vgpr_workitem_id 0
		.amdhsa_next_free_vgpr 5
		.amdhsa_next_free_sgpr 16
		.amdhsa_reserve_vcc 1
		.amdhsa_float_round_mode_32 0
		.amdhsa_float_round_mode_16_64 0
		.amdhsa_float_denorm_mode_32 3
		.amdhsa_float_denorm_mode_16_64 3
		.amdhsa_dx10_clamp 1
		.amdhsa_ieee_mode 1
		.amdhsa_fp16_overflow 0
		.amdhsa_workgroup_processor_mode 1
		.amdhsa_memory_ordered 1
		.amdhsa_forward_progress 0
		.amdhsa_shared_vgpr_count 0
		.amdhsa_exception_fp_ieee_invalid_op 0
		.amdhsa_exception_fp_denorm_src 0
		.amdhsa_exception_fp_ieee_div_zero 0
		.amdhsa_exception_fp_ieee_overflow 0
		.amdhsa_exception_fp_ieee_underflow 0
		.amdhsa_exception_fp_ieee_inexact 0
		.amdhsa_exception_int_div_zero 0
	.end_amdhsa_kernel
	.section	.text._ZN6thrust23THRUST_200600_302600_NS11hip_rocprim14__parallel_for6kernelILj256ENS1_11__transform17unary_transform_fINS0_6detail15normal_iteratorINS0_10device_ptrIiEEEENS7_INS8_IfEEEENS4_14no_stencil_tagENS0_8identityIiEENS4_21always_true_predicateEEElLj1EEEvT0_T1_SJ_,"axG",@progbits,_ZN6thrust23THRUST_200600_302600_NS11hip_rocprim14__parallel_for6kernelILj256ENS1_11__transform17unary_transform_fINS0_6detail15normal_iteratorINS0_10device_ptrIiEEEENS7_INS8_IfEEEENS4_14no_stencil_tagENS0_8identityIiEENS4_21always_true_predicateEEElLj1EEEvT0_T1_SJ_,comdat
.Lfunc_end79:
	.size	_ZN6thrust23THRUST_200600_302600_NS11hip_rocprim14__parallel_for6kernelILj256ENS1_11__transform17unary_transform_fINS0_6detail15normal_iteratorINS0_10device_ptrIiEEEENS7_INS8_IfEEEENS4_14no_stencil_tagENS0_8identityIiEENS4_21always_true_predicateEEElLj1EEEvT0_T1_SJ_, .Lfunc_end79-_ZN6thrust23THRUST_200600_302600_NS11hip_rocprim14__parallel_for6kernelILj256ENS1_11__transform17unary_transform_fINS0_6detail15normal_iteratorINS0_10device_ptrIiEEEENS7_INS8_IfEEEENS4_14no_stencil_tagENS0_8identityIiEENS4_21always_true_predicateEEElLj1EEEvT0_T1_SJ_
                                        ; -- End function
	.section	.AMDGPU.csdata,"",@progbits
; Kernel info:
; codeLenInByte = 284
; NumSgprs: 18
; NumVgprs: 5
; ScratchSize: 0
; MemoryBound: 0
; FloatMode: 240
; IeeeMode: 1
; LDSByteSize: 0 bytes/workgroup (compile time only)
; SGPRBlocks: 2
; VGPRBlocks: 0
; NumSGPRsForWavesPerEU: 18
; NumVGPRsForWavesPerEU: 5
; Occupancy: 16
; WaveLimiterHint : 0
; COMPUTE_PGM_RSRC2:SCRATCH_EN: 0
; COMPUTE_PGM_RSRC2:USER_SGPR: 15
; COMPUTE_PGM_RSRC2:TRAP_HANDLER: 0
; COMPUTE_PGM_RSRC2:TGID_X_EN: 1
; COMPUTE_PGM_RSRC2:TGID_Y_EN: 0
; COMPUTE_PGM_RSRC2:TGID_Z_EN: 0
; COMPUTE_PGM_RSRC2:TIDIG_COMP_CNT: 0
	.section	.text._ZN6thrust23THRUST_200600_302600_NS11hip_rocprim14__parallel_for6kernelILj256ENS1_11__transform17unary_transform_fINS0_10device_ptrIiEENS6_IfEENS4_14no_stencil_tagENS0_8identityIiEENS4_21always_true_predicateEEElLj1EEEvT0_T1_SF_,"axG",@progbits,_ZN6thrust23THRUST_200600_302600_NS11hip_rocprim14__parallel_for6kernelILj256ENS1_11__transform17unary_transform_fINS0_10device_ptrIiEENS6_IfEENS4_14no_stencil_tagENS0_8identityIiEENS4_21always_true_predicateEEElLj1EEEvT0_T1_SF_,comdat
	.protected	_ZN6thrust23THRUST_200600_302600_NS11hip_rocprim14__parallel_for6kernelILj256ENS1_11__transform17unary_transform_fINS0_10device_ptrIiEENS6_IfEENS4_14no_stencil_tagENS0_8identityIiEENS4_21always_true_predicateEEElLj1EEEvT0_T1_SF_ ; -- Begin function _ZN6thrust23THRUST_200600_302600_NS11hip_rocprim14__parallel_for6kernelILj256ENS1_11__transform17unary_transform_fINS0_10device_ptrIiEENS6_IfEENS4_14no_stencil_tagENS0_8identityIiEENS4_21always_true_predicateEEElLj1EEEvT0_T1_SF_
	.globl	_ZN6thrust23THRUST_200600_302600_NS11hip_rocprim14__parallel_for6kernelILj256ENS1_11__transform17unary_transform_fINS0_10device_ptrIiEENS6_IfEENS4_14no_stencil_tagENS0_8identityIiEENS4_21always_true_predicateEEElLj1EEEvT0_T1_SF_
	.p2align	8
	.type	_ZN6thrust23THRUST_200600_302600_NS11hip_rocprim14__parallel_for6kernelILj256ENS1_11__transform17unary_transform_fINS0_10device_ptrIiEENS6_IfEENS4_14no_stencil_tagENS0_8identityIiEENS4_21always_true_predicateEEElLj1EEEvT0_T1_SF_,@function
_ZN6thrust23THRUST_200600_302600_NS11hip_rocprim14__parallel_for6kernelILj256ENS1_11__transform17unary_transform_fINS0_10device_ptrIiEENS6_IfEENS4_14no_stencil_tagENS0_8identityIiEENS4_21always_true_predicateEEElLj1EEEvT0_T1_SF_: ; @_ZN6thrust23THRUST_200600_302600_NS11hip_rocprim14__parallel_for6kernelILj256ENS1_11__transform17unary_transform_fINS0_10device_ptrIiEENS6_IfEENS4_14no_stencil_tagENS0_8identityIiEENS4_21always_true_predicateEEElLj1EEEvT0_T1_SF_
; %bb.0:
	s_clause 0x1
	s_load_b128 s[8:11], s[0:1], 0x18
	s_load_b128 s[0:3], s[0:1], 0x0
	s_lshl_b32 s4, s15, 8
	s_waitcnt lgkmcnt(0)
	s_add_u32 s4, s4, s10
	s_addc_u32 s5, 0, s11
	s_sub_u32 s6, s8, s4
	s_subb_u32 s7, s9, s5
	s_delay_alu instid0(SALU_CYCLE_1) | instskip(NEXT) | instid1(VALU_DEP_1)
	v_cmp_gt_i64_e64 s7, 0x100, s[6:7]
	s_and_b32 s7, s7, exec_lo
	s_cselect_b32 s7, s6, 0x100
	s_mov_b32 s6, -1
	s_cmpk_lg_i32 s7, 0x100
	s_cbranch_scc1 .LBB80_3
; %bb.1:
	s_and_not1_b32 vcc_lo, exec_lo, s6
	s_cbranch_vccz .LBB80_6
.LBB80_2:
	s_endpgm
.LBB80_3:
	s_mov_b32 s6, exec_lo
	v_cmpx_gt_u32_e64 s7, v0
	s_cbranch_execz .LBB80_5
; %bb.4:
	v_add_co_u32 v1, s7, s4, v0
	s_delay_alu instid0(VALU_DEP_1) | instskip(NEXT) | instid1(VALU_DEP_1)
	v_add_co_ci_u32_e64 v2, null, s5, 0, s7
	v_lshlrev_b64 v[1:2], 2, v[1:2]
	s_delay_alu instid0(VALU_DEP_1) | instskip(NEXT) | instid1(VALU_DEP_2)
	v_add_co_u32 v3, vcc_lo, s0, v1
	v_add_co_ci_u32_e32 v4, vcc_lo, s1, v2, vcc_lo
	v_add_co_u32 v1, vcc_lo, s2, v1
	v_add_co_ci_u32_e32 v2, vcc_lo, s3, v2, vcc_lo
	flat_load_b32 v3, v[3:4]
	s_waitcnt vmcnt(0) lgkmcnt(0)
	v_cvt_f32_i32_e32 v3, v3
	flat_store_b32 v[1:2], v3
.LBB80_5:
	s_or_b32 exec_lo, exec_lo, s6
	s_cbranch_execnz .LBB80_2
.LBB80_6:
	v_add_co_u32 v0, s4, s4, v0
	s_delay_alu instid0(VALU_DEP_1) | instskip(NEXT) | instid1(VALU_DEP_1)
	v_add_co_ci_u32_e64 v1, null, s5, 0, s4
	v_lshlrev_b64 v[0:1], 2, v[0:1]
	s_delay_alu instid0(VALU_DEP_1) | instskip(NEXT) | instid1(VALU_DEP_2)
	v_add_co_u32 v2, vcc_lo, s0, v0
	v_add_co_ci_u32_e32 v3, vcc_lo, s1, v1, vcc_lo
	v_add_co_u32 v0, vcc_lo, s2, v0
	v_add_co_ci_u32_e32 v1, vcc_lo, s3, v1, vcc_lo
	flat_load_b32 v2, v[2:3]
	s_waitcnt vmcnt(0) lgkmcnt(0)
	v_cvt_f32_i32_e32 v2, v2
	flat_store_b32 v[0:1], v2
	s_endpgm
	.section	.rodata,"a",@progbits
	.p2align	6, 0x0
	.amdhsa_kernel _ZN6thrust23THRUST_200600_302600_NS11hip_rocprim14__parallel_for6kernelILj256ENS1_11__transform17unary_transform_fINS0_10device_ptrIiEENS6_IfEENS4_14no_stencil_tagENS0_8identityIiEENS4_21always_true_predicateEEElLj1EEEvT0_T1_SF_
		.amdhsa_group_segment_fixed_size 0
		.amdhsa_private_segment_fixed_size 0
		.amdhsa_kernarg_size 40
		.amdhsa_user_sgpr_count 15
		.amdhsa_user_sgpr_dispatch_ptr 0
		.amdhsa_user_sgpr_queue_ptr 0
		.amdhsa_user_sgpr_kernarg_segment_ptr 1
		.amdhsa_user_sgpr_dispatch_id 0
		.amdhsa_user_sgpr_private_segment_size 0
		.amdhsa_wavefront_size32 1
		.amdhsa_uses_dynamic_stack 0
		.amdhsa_enable_private_segment 0
		.amdhsa_system_sgpr_workgroup_id_x 1
		.amdhsa_system_sgpr_workgroup_id_y 0
		.amdhsa_system_sgpr_workgroup_id_z 0
		.amdhsa_system_sgpr_workgroup_info 0
		.amdhsa_system_vgpr_workitem_id 0
		.amdhsa_next_free_vgpr 5
		.amdhsa_next_free_sgpr 16
		.amdhsa_reserve_vcc 1
		.amdhsa_float_round_mode_32 0
		.amdhsa_float_round_mode_16_64 0
		.amdhsa_float_denorm_mode_32 3
		.amdhsa_float_denorm_mode_16_64 3
		.amdhsa_dx10_clamp 1
		.amdhsa_ieee_mode 1
		.amdhsa_fp16_overflow 0
		.amdhsa_workgroup_processor_mode 1
		.amdhsa_memory_ordered 1
		.amdhsa_forward_progress 0
		.amdhsa_shared_vgpr_count 0
		.amdhsa_exception_fp_ieee_invalid_op 0
		.amdhsa_exception_fp_denorm_src 0
		.amdhsa_exception_fp_ieee_div_zero 0
		.amdhsa_exception_fp_ieee_overflow 0
		.amdhsa_exception_fp_ieee_underflow 0
		.amdhsa_exception_fp_ieee_inexact 0
		.amdhsa_exception_int_div_zero 0
	.end_amdhsa_kernel
	.section	.text._ZN6thrust23THRUST_200600_302600_NS11hip_rocprim14__parallel_for6kernelILj256ENS1_11__transform17unary_transform_fINS0_10device_ptrIiEENS6_IfEENS4_14no_stencil_tagENS0_8identityIiEENS4_21always_true_predicateEEElLj1EEEvT0_T1_SF_,"axG",@progbits,_ZN6thrust23THRUST_200600_302600_NS11hip_rocprim14__parallel_for6kernelILj256ENS1_11__transform17unary_transform_fINS0_10device_ptrIiEENS6_IfEENS4_14no_stencil_tagENS0_8identityIiEENS4_21always_true_predicateEEElLj1EEEvT0_T1_SF_,comdat
.Lfunc_end80:
	.size	_ZN6thrust23THRUST_200600_302600_NS11hip_rocprim14__parallel_for6kernelILj256ENS1_11__transform17unary_transform_fINS0_10device_ptrIiEENS6_IfEENS4_14no_stencil_tagENS0_8identityIiEENS4_21always_true_predicateEEElLj1EEEvT0_T1_SF_, .Lfunc_end80-_ZN6thrust23THRUST_200600_302600_NS11hip_rocprim14__parallel_for6kernelILj256ENS1_11__transform17unary_transform_fINS0_10device_ptrIiEENS6_IfEENS4_14no_stencil_tagENS0_8identityIiEENS4_21always_true_predicateEEElLj1EEEvT0_T1_SF_
                                        ; -- End function
	.section	.AMDGPU.csdata,"",@progbits
; Kernel info:
; codeLenInByte = 284
; NumSgprs: 18
; NumVgprs: 5
; ScratchSize: 0
; MemoryBound: 0
; FloatMode: 240
; IeeeMode: 1
; LDSByteSize: 0 bytes/workgroup (compile time only)
; SGPRBlocks: 2
; VGPRBlocks: 0
; NumSGPRsForWavesPerEU: 18
; NumVGPRsForWavesPerEU: 5
; Occupancy: 16
; WaveLimiterHint : 0
; COMPUTE_PGM_RSRC2:SCRATCH_EN: 0
; COMPUTE_PGM_RSRC2:USER_SGPR: 15
; COMPUTE_PGM_RSRC2:TRAP_HANDLER: 0
; COMPUTE_PGM_RSRC2:TGID_X_EN: 1
; COMPUTE_PGM_RSRC2:TGID_Y_EN: 0
; COMPUTE_PGM_RSRC2:TGID_Z_EN: 0
; COMPUTE_PGM_RSRC2:TIDIG_COMP_CNT: 0
	.section	.text._ZN6thrust23THRUST_200600_302600_NS11hip_rocprim14__parallel_for6kernelILj256ENS1_20__uninitialized_copy7functorINS0_6detail15normal_iteratorINS0_10device_ptrIsEEEENS0_7pointerIsNS1_3tagENS0_11use_defaultESD_EEEEmLj1EEEvT0_T1_SH_,"axG",@progbits,_ZN6thrust23THRUST_200600_302600_NS11hip_rocprim14__parallel_for6kernelILj256ENS1_20__uninitialized_copy7functorINS0_6detail15normal_iteratorINS0_10device_ptrIsEEEENS0_7pointerIsNS1_3tagENS0_11use_defaultESD_EEEEmLj1EEEvT0_T1_SH_,comdat
	.protected	_ZN6thrust23THRUST_200600_302600_NS11hip_rocprim14__parallel_for6kernelILj256ENS1_20__uninitialized_copy7functorINS0_6detail15normal_iteratorINS0_10device_ptrIsEEEENS0_7pointerIsNS1_3tagENS0_11use_defaultESD_EEEEmLj1EEEvT0_T1_SH_ ; -- Begin function _ZN6thrust23THRUST_200600_302600_NS11hip_rocprim14__parallel_for6kernelILj256ENS1_20__uninitialized_copy7functorINS0_6detail15normal_iteratorINS0_10device_ptrIsEEEENS0_7pointerIsNS1_3tagENS0_11use_defaultESD_EEEEmLj1EEEvT0_T1_SH_
	.globl	_ZN6thrust23THRUST_200600_302600_NS11hip_rocprim14__parallel_for6kernelILj256ENS1_20__uninitialized_copy7functorINS0_6detail15normal_iteratorINS0_10device_ptrIsEEEENS0_7pointerIsNS1_3tagENS0_11use_defaultESD_EEEEmLj1EEEvT0_T1_SH_
	.p2align	8
	.type	_ZN6thrust23THRUST_200600_302600_NS11hip_rocprim14__parallel_for6kernelILj256ENS1_20__uninitialized_copy7functorINS0_6detail15normal_iteratorINS0_10device_ptrIsEEEENS0_7pointerIsNS1_3tagENS0_11use_defaultESD_EEEEmLj1EEEvT0_T1_SH_,@function
_ZN6thrust23THRUST_200600_302600_NS11hip_rocprim14__parallel_for6kernelILj256ENS1_20__uninitialized_copy7functorINS0_6detail15normal_iteratorINS0_10device_ptrIsEEEENS0_7pointerIsNS1_3tagENS0_11use_defaultESD_EEEEmLj1EEEvT0_T1_SH_: ; @_ZN6thrust23THRUST_200600_302600_NS11hip_rocprim14__parallel_for6kernelILj256ENS1_20__uninitialized_copy7functorINS0_6detail15normal_iteratorINS0_10device_ptrIsEEEENS0_7pointerIsNS1_3tagENS0_11use_defaultESD_EEEEmLj1EEEvT0_T1_SH_
; %bb.0:
	s_load_b256 s[0:7], s[0:1], 0x0
	s_lshl_b32 s8, s15, 8
	s_waitcnt lgkmcnt(0)
	s_add_u32 s6, s8, s6
	s_addc_u32 s7, 0, s7
	s_sub_u32 s4, s4, s6
	s_subb_u32 s5, s5, s7
	s_delay_alu instid0(SALU_CYCLE_1) | instskip(NEXT) | instid1(VALU_DEP_1)
	v_cmp_gt_u64_e64 s5, 0x100, s[4:5]
	s_and_b32 vcc_lo, exec_lo, s5
	s_mov_b32 s5, 0
	s_cbranch_vccz .LBB81_4
; %bb.1:
	v_cmp_gt_u32_e32 vcc_lo, s4, v0
	s_mov_b32 s4, 0
                                        ; implicit-def: $vgpr1_vgpr2
                                        ; implicit-def: $vgpr3_vgpr4
	s_and_saveexec_b32 s8, vcc_lo
	s_delay_alu instid0(SALU_CYCLE_1)
	s_xor_b32 s8, exec_lo, s8
; %bb.2:
	v_add_co_u32 v1, s9, s6, v0
	s_delay_alu instid0(VALU_DEP_1) | instskip(SKIP_1) | instid1(VALU_DEP_1)
	v_add_co_ci_u32_e64 v2, null, s7, 0, s9
	s_mov_b32 s5, exec_lo
	v_lshlrev_b64 v[3:4], 1, v[1:2]
	s_delay_alu instid0(VALU_DEP_1) | instskip(NEXT) | instid1(VALU_DEP_2)
	v_add_co_u32 v1, vcc_lo, s2, v3
	v_add_co_ci_u32_e32 v2, vcc_lo, s3, v4, vcc_lo
	v_add_co_u32 v3, vcc_lo, s0, v3
	v_add_co_ci_u32_e32 v4, vcc_lo, s1, v4, vcc_lo
; %bb.3:
	s_or_b32 exec_lo, exec_lo, s8
	s_delay_alu instid0(SALU_CYCLE_1)
	s_and_b32 vcc_lo, exec_lo, s4
	s_cbranch_vccnz .LBB81_5
	s_branch .LBB81_6
.LBB81_4:
                                        ; implicit-def: $vgpr1_vgpr2
                                        ; implicit-def: $vgpr3_vgpr4
	s_cbranch_execz .LBB81_6
.LBB81_5:
	v_add_co_u32 v0, s4, s6, v0
	s_delay_alu instid0(VALU_DEP_1) | instskip(SKIP_1) | instid1(VALU_DEP_1)
	v_add_co_ci_u32_e64 v1, null, s7, 0, s4
	s_or_b32 s5, s5, exec_lo
	v_lshlrev_b64 v[1:2], 1, v[0:1]
	s_delay_alu instid0(VALU_DEP_1) | instskip(NEXT) | instid1(VALU_DEP_2)
	v_add_co_u32 v3, vcc_lo, s0, v1
	v_add_co_ci_u32_e32 v4, vcc_lo, s1, v2, vcc_lo
	v_add_co_u32 v1, vcc_lo, s2, v1
	v_add_co_ci_u32_e32 v2, vcc_lo, s3, v2, vcc_lo
.LBB81_6:
	s_and_saveexec_b32 s0, s5
	s_cbranch_execnz .LBB81_8
; %bb.7:
	s_endpgm
.LBB81_8:
	flat_load_u16 v0, v[3:4]
	s_waitcnt vmcnt(0) lgkmcnt(0)
	flat_store_b16 v[1:2], v0
	s_endpgm
	.section	.rodata,"a",@progbits
	.p2align	6, 0x0
	.amdhsa_kernel _ZN6thrust23THRUST_200600_302600_NS11hip_rocprim14__parallel_for6kernelILj256ENS1_20__uninitialized_copy7functorINS0_6detail15normal_iteratorINS0_10device_ptrIsEEEENS0_7pointerIsNS1_3tagENS0_11use_defaultESD_EEEEmLj1EEEvT0_T1_SH_
		.amdhsa_group_segment_fixed_size 0
		.amdhsa_private_segment_fixed_size 0
		.amdhsa_kernarg_size 32
		.amdhsa_user_sgpr_count 15
		.amdhsa_user_sgpr_dispatch_ptr 0
		.amdhsa_user_sgpr_queue_ptr 0
		.amdhsa_user_sgpr_kernarg_segment_ptr 1
		.amdhsa_user_sgpr_dispatch_id 0
		.amdhsa_user_sgpr_private_segment_size 0
		.amdhsa_wavefront_size32 1
		.amdhsa_uses_dynamic_stack 0
		.amdhsa_enable_private_segment 0
		.amdhsa_system_sgpr_workgroup_id_x 1
		.amdhsa_system_sgpr_workgroup_id_y 0
		.amdhsa_system_sgpr_workgroup_id_z 0
		.amdhsa_system_sgpr_workgroup_info 0
		.amdhsa_system_vgpr_workitem_id 0
		.amdhsa_next_free_vgpr 5
		.amdhsa_next_free_sgpr 16
		.amdhsa_reserve_vcc 1
		.amdhsa_float_round_mode_32 0
		.amdhsa_float_round_mode_16_64 0
		.amdhsa_float_denorm_mode_32 3
		.amdhsa_float_denorm_mode_16_64 3
		.amdhsa_dx10_clamp 1
		.amdhsa_ieee_mode 1
		.amdhsa_fp16_overflow 0
		.amdhsa_workgroup_processor_mode 1
		.amdhsa_memory_ordered 1
		.amdhsa_forward_progress 0
		.amdhsa_shared_vgpr_count 0
		.amdhsa_exception_fp_ieee_invalid_op 0
		.amdhsa_exception_fp_denorm_src 0
		.amdhsa_exception_fp_ieee_div_zero 0
		.amdhsa_exception_fp_ieee_overflow 0
		.amdhsa_exception_fp_ieee_underflow 0
		.amdhsa_exception_fp_ieee_inexact 0
		.amdhsa_exception_int_div_zero 0
	.end_amdhsa_kernel
	.section	.text._ZN6thrust23THRUST_200600_302600_NS11hip_rocprim14__parallel_for6kernelILj256ENS1_20__uninitialized_copy7functorINS0_6detail15normal_iteratorINS0_10device_ptrIsEEEENS0_7pointerIsNS1_3tagENS0_11use_defaultESD_EEEEmLj1EEEvT0_T1_SH_,"axG",@progbits,_ZN6thrust23THRUST_200600_302600_NS11hip_rocprim14__parallel_for6kernelILj256ENS1_20__uninitialized_copy7functorINS0_6detail15normal_iteratorINS0_10device_ptrIsEEEENS0_7pointerIsNS1_3tagENS0_11use_defaultESD_EEEEmLj1EEEvT0_T1_SH_,comdat
.Lfunc_end81:
	.size	_ZN6thrust23THRUST_200600_302600_NS11hip_rocprim14__parallel_for6kernelILj256ENS1_20__uninitialized_copy7functorINS0_6detail15normal_iteratorINS0_10device_ptrIsEEEENS0_7pointerIsNS1_3tagENS0_11use_defaultESD_EEEEmLj1EEEvT0_T1_SH_, .Lfunc_end81-_ZN6thrust23THRUST_200600_302600_NS11hip_rocprim14__parallel_for6kernelILj256ENS1_20__uninitialized_copy7functorINS0_6detail15normal_iteratorINS0_10device_ptrIsEEEENS0_7pointerIsNS1_3tagENS0_11use_defaultESD_EEEEmLj1EEEvT0_T1_SH_
                                        ; -- End function
	.section	.AMDGPU.csdata,"",@progbits
; Kernel info:
; codeLenInByte = 260
; NumSgprs: 18
; NumVgprs: 5
; ScratchSize: 0
; MemoryBound: 0
; FloatMode: 240
; IeeeMode: 1
; LDSByteSize: 0 bytes/workgroup (compile time only)
; SGPRBlocks: 2
; VGPRBlocks: 0
; NumSGPRsForWavesPerEU: 18
; NumVGPRsForWavesPerEU: 5
; Occupancy: 16
; WaveLimiterHint : 0
; COMPUTE_PGM_RSRC2:SCRATCH_EN: 0
; COMPUTE_PGM_RSRC2:USER_SGPR: 15
; COMPUTE_PGM_RSRC2:TRAP_HANDLER: 0
; COMPUTE_PGM_RSRC2:TGID_X_EN: 1
; COMPUTE_PGM_RSRC2:TGID_Y_EN: 0
; COMPUTE_PGM_RSRC2:TGID_Z_EN: 0
; COMPUTE_PGM_RSRC2:TIDIG_COMP_CNT: 0
	.section	.text._ZN6thrust23THRUST_200600_302600_NS11hip_rocprim14__parallel_for6kernelILj256ENS1_11__transform17unary_transform_fINS0_6detail15normal_iteratorINS0_10device_ptrIsEEEENS7_INS8_IfEEEENS4_14no_stencil_tagENS0_8identityIsEENS4_21always_true_predicateEEElLj1EEEvT0_T1_SJ_,"axG",@progbits,_ZN6thrust23THRUST_200600_302600_NS11hip_rocprim14__parallel_for6kernelILj256ENS1_11__transform17unary_transform_fINS0_6detail15normal_iteratorINS0_10device_ptrIsEEEENS7_INS8_IfEEEENS4_14no_stencil_tagENS0_8identityIsEENS4_21always_true_predicateEEElLj1EEEvT0_T1_SJ_,comdat
	.protected	_ZN6thrust23THRUST_200600_302600_NS11hip_rocprim14__parallel_for6kernelILj256ENS1_11__transform17unary_transform_fINS0_6detail15normal_iteratorINS0_10device_ptrIsEEEENS7_INS8_IfEEEENS4_14no_stencil_tagENS0_8identityIsEENS4_21always_true_predicateEEElLj1EEEvT0_T1_SJ_ ; -- Begin function _ZN6thrust23THRUST_200600_302600_NS11hip_rocprim14__parallel_for6kernelILj256ENS1_11__transform17unary_transform_fINS0_6detail15normal_iteratorINS0_10device_ptrIsEEEENS7_INS8_IfEEEENS4_14no_stencil_tagENS0_8identityIsEENS4_21always_true_predicateEEElLj1EEEvT0_T1_SJ_
	.globl	_ZN6thrust23THRUST_200600_302600_NS11hip_rocprim14__parallel_for6kernelILj256ENS1_11__transform17unary_transform_fINS0_6detail15normal_iteratorINS0_10device_ptrIsEEEENS7_INS8_IfEEEENS4_14no_stencil_tagENS0_8identityIsEENS4_21always_true_predicateEEElLj1EEEvT0_T1_SJ_
	.p2align	8
	.type	_ZN6thrust23THRUST_200600_302600_NS11hip_rocprim14__parallel_for6kernelILj256ENS1_11__transform17unary_transform_fINS0_6detail15normal_iteratorINS0_10device_ptrIsEEEENS7_INS8_IfEEEENS4_14no_stencil_tagENS0_8identityIsEENS4_21always_true_predicateEEElLj1EEEvT0_T1_SJ_,@function
_ZN6thrust23THRUST_200600_302600_NS11hip_rocprim14__parallel_for6kernelILj256ENS1_11__transform17unary_transform_fINS0_6detail15normal_iteratorINS0_10device_ptrIsEEEENS7_INS8_IfEEEENS4_14no_stencil_tagENS0_8identityIsEENS4_21always_true_predicateEEElLj1EEEvT0_T1_SJ_: ; @_ZN6thrust23THRUST_200600_302600_NS11hip_rocprim14__parallel_for6kernelILj256ENS1_11__transform17unary_transform_fINS0_6detail15normal_iteratorINS0_10device_ptrIsEEEENS7_INS8_IfEEEENS4_14no_stencil_tagENS0_8identityIsEENS4_21always_true_predicateEEElLj1EEEvT0_T1_SJ_
; %bb.0:
	s_clause 0x1
	s_load_b128 s[8:11], s[0:1], 0x18
	s_load_b128 s[0:3], s[0:1], 0x0
	s_lshl_b32 s4, s15, 8
	s_waitcnt lgkmcnt(0)
	s_add_u32 s4, s4, s10
	s_addc_u32 s5, 0, s11
	s_sub_u32 s6, s8, s4
	s_subb_u32 s7, s9, s5
	s_delay_alu instid0(SALU_CYCLE_1) | instskip(NEXT) | instid1(VALU_DEP_1)
	v_cmp_gt_i64_e64 s7, 0x100, s[6:7]
	s_and_b32 s7, s7, exec_lo
	s_cselect_b32 s7, s6, 0x100
	s_mov_b32 s6, -1
	s_cmpk_lg_i32 s7, 0x100
	s_cbranch_scc1 .LBB82_3
; %bb.1:
	s_and_not1_b32 vcc_lo, exec_lo, s6
	s_cbranch_vccz .LBB82_6
.LBB82_2:
	s_endpgm
.LBB82_3:
	s_mov_b32 s6, exec_lo
	v_cmpx_gt_u32_e64 s7, v0
	s_cbranch_execz .LBB82_5
; %bb.4:
	v_add_co_u32 v1, s7, s4, v0
	s_delay_alu instid0(VALU_DEP_1) | instskip(NEXT) | instid1(VALU_DEP_1)
	v_add_co_ci_u32_e64 v2, null, s5, 0, s7
	v_lshlrev_b64 v[3:4], 1, v[1:2]
	v_lshlrev_b64 v[1:2], 2, v[1:2]
	s_delay_alu instid0(VALU_DEP_2) | instskip(NEXT) | instid1(VALU_DEP_3)
	v_add_co_u32 v3, vcc_lo, s0, v3
	v_add_co_ci_u32_e32 v4, vcc_lo, s1, v4, vcc_lo
	s_delay_alu instid0(VALU_DEP_3) | instskip(NEXT) | instid1(VALU_DEP_4)
	v_add_co_u32 v1, vcc_lo, s2, v1
	v_add_co_ci_u32_e32 v2, vcc_lo, s3, v2, vcc_lo
	flat_load_i16 v3, v[3:4]
	s_waitcnt vmcnt(0) lgkmcnt(0)
	v_cvt_f32_i32_e32 v3, v3
	flat_store_b32 v[1:2], v3
.LBB82_5:
	s_or_b32 exec_lo, exec_lo, s6
	s_cbranch_execnz .LBB82_2
.LBB82_6:
	v_add_co_u32 v0, s4, s4, v0
	s_delay_alu instid0(VALU_DEP_1) | instskip(NEXT) | instid1(VALU_DEP_1)
	v_add_co_ci_u32_e64 v1, null, s5, 0, s4
	v_lshlrev_b64 v[2:3], 1, v[0:1]
	v_lshlrev_b64 v[0:1], 2, v[0:1]
	s_delay_alu instid0(VALU_DEP_2) | instskip(NEXT) | instid1(VALU_DEP_3)
	v_add_co_u32 v2, vcc_lo, s0, v2
	v_add_co_ci_u32_e32 v3, vcc_lo, s1, v3, vcc_lo
	s_delay_alu instid0(VALU_DEP_3) | instskip(NEXT) | instid1(VALU_DEP_4)
	v_add_co_u32 v0, vcc_lo, s2, v0
	v_add_co_ci_u32_e32 v1, vcc_lo, s3, v1, vcc_lo
	flat_load_i16 v2, v[2:3]
	s_waitcnt vmcnt(0) lgkmcnt(0)
	v_cvt_f32_i32_e32 v2, v2
	flat_store_b32 v[0:1], v2
	s_endpgm
	.section	.rodata,"a",@progbits
	.p2align	6, 0x0
	.amdhsa_kernel _ZN6thrust23THRUST_200600_302600_NS11hip_rocprim14__parallel_for6kernelILj256ENS1_11__transform17unary_transform_fINS0_6detail15normal_iteratorINS0_10device_ptrIsEEEENS7_INS8_IfEEEENS4_14no_stencil_tagENS0_8identityIsEENS4_21always_true_predicateEEElLj1EEEvT0_T1_SJ_
		.amdhsa_group_segment_fixed_size 0
		.amdhsa_private_segment_fixed_size 0
		.amdhsa_kernarg_size 40
		.amdhsa_user_sgpr_count 15
		.amdhsa_user_sgpr_dispatch_ptr 0
		.amdhsa_user_sgpr_queue_ptr 0
		.amdhsa_user_sgpr_kernarg_segment_ptr 1
		.amdhsa_user_sgpr_dispatch_id 0
		.amdhsa_user_sgpr_private_segment_size 0
		.amdhsa_wavefront_size32 1
		.amdhsa_uses_dynamic_stack 0
		.amdhsa_enable_private_segment 0
		.amdhsa_system_sgpr_workgroup_id_x 1
		.amdhsa_system_sgpr_workgroup_id_y 0
		.amdhsa_system_sgpr_workgroup_id_z 0
		.amdhsa_system_sgpr_workgroup_info 0
		.amdhsa_system_vgpr_workitem_id 0
		.amdhsa_next_free_vgpr 5
		.amdhsa_next_free_sgpr 16
		.amdhsa_reserve_vcc 1
		.amdhsa_float_round_mode_32 0
		.amdhsa_float_round_mode_16_64 0
		.amdhsa_float_denorm_mode_32 3
		.amdhsa_float_denorm_mode_16_64 3
		.amdhsa_dx10_clamp 1
		.amdhsa_ieee_mode 1
		.amdhsa_fp16_overflow 0
		.amdhsa_workgroup_processor_mode 1
		.amdhsa_memory_ordered 1
		.amdhsa_forward_progress 0
		.amdhsa_shared_vgpr_count 0
		.amdhsa_exception_fp_ieee_invalid_op 0
		.amdhsa_exception_fp_denorm_src 0
		.amdhsa_exception_fp_ieee_div_zero 0
		.amdhsa_exception_fp_ieee_overflow 0
		.amdhsa_exception_fp_ieee_underflow 0
		.amdhsa_exception_fp_ieee_inexact 0
		.amdhsa_exception_int_div_zero 0
	.end_amdhsa_kernel
	.section	.text._ZN6thrust23THRUST_200600_302600_NS11hip_rocprim14__parallel_for6kernelILj256ENS1_11__transform17unary_transform_fINS0_6detail15normal_iteratorINS0_10device_ptrIsEEEENS7_INS8_IfEEEENS4_14no_stencil_tagENS0_8identityIsEENS4_21always_true_predicateEEElLj1EEEvT0_T1_SJ_,"axG",@progbits,_ZN6thrust23THRUST_200600_302600_NS11hip_rocprim14__parallel_for6kernelILj256ENS1_11__transform17unary_transform_fINS0_6detail15normal_iteratorINS0_10device_ptrIsEEEENS7_INS8_IfEEEENS4_14no_stencil_tagENS0_8identityIsEENS4_21always_true_predicateEEElLj1EEEvT0_T1_SJ_,comdat
.Lfunc_end82:
	.size	_ZN6thrust23THRUST_200600_302600_NS11hip_rocprim14__parallel_for6kernelILj256ENS1_11__transform17unary_transform_fINS0_6detail15normal_iteratorINS0_10device_ptrIsEEEENS7_INS8_IfEEEENS4_14no_stencil_tagENS0_8identityIsEENS4_21always_true_predicateEEElLj1EEEvT0_T1_SJ_, .Lfunc_end82-_ZN6thrust23THRUST_200600_302600_NS11hip_rocprim14__parallel_for6kernelILj256ENS1_11__transform17unary_transform_fINS0_6detail15normal_iteratorINS0_10device_ptrIsEEEENS7_INS8_IfEEEENS4_14no_stencil_tagENS0_8identityIsEENS4_21always_true_predicateEEElLj1EEEvT0_T1_SJ_
                                        ; -- End function
	.section	.AMDGPU.csdata,"",@progbits
; Kernel info:
; codeLenInByte = 308
; NumSgprs: 18
; NumVgprs: 5
; ScratchSize: 0
; MemoryBound: 0
; FloatMode: 240
; IeeeMode: 1
; LDSByteSize: 0 bytes/workgroup (compile time only)
; SGPRBlocks: 2
; VGPRBlocks: 0
; NumSGPRsForWavesPerEU: 18
; NumVGPRsForWavesPerEU: 5
; Occupancy: 16
; WaveLimiterHint : 0
; COMPUTE_PGM_RSRC2:SCRATCH_EN: 0
; COMPUTE_PGM_RSRC2:USER_SGPR: 15
; COMPUTE_PGM_RSRC2:TRAP_HANDLER: 0
; COMPUTE_PGM_RSRC2:TGID_X_EN: 1
; COMPUTE_PGM_RSRC2:TGID_Y_EN: 0
; COMPUTE_PGM_RSRC2:TGID_Z_EN: 0
; COMPUTE_PGM_RSRC2:TIDIG_COMP_CNT: 0
	.section	.text._ZN6thrust23THRUST_200600_302600_NS11hip_rocprim14__parallel_for6kernelILj256ENS1_11__transform17unary_transform_fINS0_10device_ptrIsEENS6_IfEENS4_14no_stencil_tagENS0_8identityIsEENS4_21always_true_predicateEEElLj1EEEvT0_T1_SF_,"axG",@progbits,_ZN6thrust23THRUST_200600_302600_NS11hip_rocprim14__parallel_for6kernelILj256ENS1_11__transform17unary_transform_fINS0_10device_ptrIsEENS6_IfEENS4_14no_stencil_tagENS0_8identityIsEENS4_21always_true_predicateEEElLj1EEEvT0_T1_SF_,comdat
	.protected	_ZN6thrust23THRUST_200600_302600_NS11hip_rocprim14__parallel_for6kernelILj256ENS1_11__transform17unary_transform_fINS0_10device_ptrIsEENS6_IfEENS4_14no_stencil_tagENS0_8identityIsEENS4_21always_true_predicateEEElLj1EEEvT0_T1_SF_ ; -- Begin function _ZN6thrust23THRUST_200600_302600_NS11hip_rocprim14__parallel_for6kernelILj256ENS1_11__transform17unary_transform_fINS0_10device_ptrIsEENS6_IfEENS4_14no_stencil_tagENS0_8identityIsEENS4_21always_true_predicateEEElLj1EEEvT0_T1_SF_
	.globl	_ZN6thrust23THRUST_200600_302600_NS11hip_rocprim14__parallel_for6kernelILj256ENS1_11__transform17unary_transform_fINS0_10device_ptrIsEENS6_IfEENS4_14no_stencil_tagENS0_8identityIsEENS4_21always_true_predicateEEElLj1EEEvT0_T1_SF_
	.p2align	8
	.type	_ZN6thrust23THRUST_200600_302600_NS11hip_rocprim14__parallel_for6kernelILj256ENS1_11__transform17unary_transform_fINS0_10device_ptrIsEENS6_IfEENS4_14no_stencil_tagENS0_8identityIsEENS4_21always_true_predicateEEElLj1EEEvT0_T1_SF_,@function
_ZN6thrust23THRUST_200600_302600_NS11hip_rocprim14__parallel_for6kernelILj256ENS1_11__transform17unary_transform_fINS0_10device_ptrIsEENS6_IfEENS4_14no_stencil_tagENS0_8identityIsEENS4_21always_true_predicateEEElLj1EEEvT0_T1_SF_: ; @_ZN6thrust23THRUST_200600_302600_NS11hip_rocprim14__parallel_for6kernelILj256ENS1_11__transform17unary_transform_fINS0_10device_ptrIsEENS6_IfEENS4_14no_stencil_tagENS0_8identityIsEENS4_21always_true_predicateEEElLj1EEEvT0_T1_SF_
; %bb.0:
	s_clause 0x1
	s_load_b128 s[8:11], s[0:1], 0x18
	s_load_b128 s[0:3], s[0:1], 0x0
	s_lshl_b32 s4, s15, 8
	s_waitcnt lgkmcnt(0)
	s_add_u32 s4, s4, s10
	s_addc_u32 s5, 0, s11
	s_sub_u32 s6, s8, s4
	s_subb_u32 s7, s9, s5
	s_delay_alu instid0(SALU_CYCLE_1) | instskip(NEXT) | instid1(VALU_DEP_1)
	v_cmp_gt_i64_e64 s7, 0x100, s[6:7]
	s_and_b32 s7, s7, exec_lo
	s_cselect_b32 s7, s6, 0x100
	s_mov_b32 s6, -1
	s_cmpk_lg_i32 s7, 0x100
	s_cbranch_scc1 .LBB83_3
; %bb.1:
	s_and_not1_b32 vcc_lo, exec_lo, s6
	s_cbranch_vccz .LBB83_6
.LBB83_2:
	s_endpgm
.LBB83_3:
	s_mov_b32 s6, exec_lo
	v_cmpx_gt_u32_e64 s7, v0
	s_cbranch_execz .LBB83_5
; %bb.4:
	v_add_co_u32 v1, s7, s4, v0
	s_delay_alu instid0(VALU_DEP_1) | instskip(NEXT) | instid1(VALU_DEP_1)
	v_add_co_ci_u32_e64 v2, null, s5, 0, s7
	v_lshlrev_b64 v[3:4], 1, v[1:2]
	v_lshlrev_b64 v[1:2], 2, v[1:2]
	s_delay_alu instid0(VALU_DEP_2) | instskip(NEXT) | instid1(VALU_DEP_3)
	v_add_co_u32 v3, vcc_lo, s0, v3
	v_add_co_ci_u32_e32 v4, vcc_lo, s1, v4, vcc_lo
	s_delay_alu instid0(VALU_DEP_3) | instskip(NEXT) | instid1(VALU_DEP_4)
	v_add_co_u32 v1, vcc_lo, s2, v1
	v_add_co_ci_u32_e32 v2, vcc_lo, s3, v2, vcc_lo
	flat_load_i16 v3, v[3:4]
	s_waitcnt vmcnt(0) lgkmcnt(0)
	v_cvt_f32_i32_e32 v3, v3
	flat_store_b32 v[1:2], v3
.LBB83_5:
	s_or_b32 exec_lo, exec_lo, s6
	s_cbranch_execnz .LBB83_2
.LBB83_6:
	v_add_co_u32 v0, s4, s4, v0
	s_delay_alu instid0(VALU_DEP_1) | instskip(NEXT) | instid1(VALU_DEP_1)
	v_add_co_ci_u32_e64 v1, null, s5, 0, s4
	v_lshlrev_b64 v[2:3], 1, v[0:1]
	v_lshlrev_b64 v[0:1], 2, v[0:1]
	s_delay_alu instid0(VALU_DEP_2) | instskip(NEXT) | instid1(VALU_DEP_3)
	v_add_co_u32 v2, vcc_lo, s0, v2
	v_add_co_ci_u32_e32 v3, vcc_lo, s1, v3, vcc_lo
	s_delay_alu instid0(VALU_DEP_3) | instskip(NEXT) | instid1(VALU_DEP_4)
	v_add_co_u32 v0, vcc_lo, s2, v0
	v_add_co_ci_u32_e32 v1, vcc_lo, s3, v1, vcc_lo
	flat_load_i16 v2, v[2:3]
	s_waitcnt vmcnt(0) lgkmcnt(0)
	v_cvt_f32_i32_e32 v2, v2
	flat_store_b32 v[0:1], v2
	s_endpgm
	.section	.rodata,"a",@progbits
	.p2align	6, 0x0
	.amdhsa_kernel _ZN6thrust23THRUST_200600_302600_NS11hip_rocprim14__parallel_for6kernelILj256ENS1_11__transform17unary_transform_fINS0_10device_ptrIsEENS6_IfEENS4_14no_stencil_tagENS0_8identityIsEENS4_21always_true_predicateEEElLj1EEEvT0_T1_SF_
		.amdhsa_group_segment_fixed_size 0
		.amdhsa_private_segment_fixed_size 0
		.amdhsa_kernarg_size 40
		.amdhsa_user_sgpr_count 15
		.amdhsa_user_sgpr_dispatch_ptr 0
		.amdhsa_user_sgpr_queue_ptr 0
		.amdhsa_user_sgpr_kernarg_segment_ptr 1
		.amdhsa_user_sgpr_dispatch_id 0
		.amdhsa_user_sgpr_private_segment_size 0
		.amdhsa_wavefront_size32 1
		.amdhsa_uses_dynamic_stack 0
		.amdhsa_enable_private_segment 0
		.amdhsa_system_sgpr_workgroup_id_x 1
		.amdhsa_system_sgpr_workgroup_id_y 0
		.amdhsa_system_sgpr_workgroup_id_z 0
		.amdhsa_system_sgpr_workgroup_info 0
		.amdhsa_system_vgpr_workitem_id 0
		.amdhsa_next_free_vgpr 5
		.amdhsa_next_free_sgpr 16
		.amdhsa_reserve_vcc 1
		.amdhsa_float_round_mode_32 0
		.amdhsa_float_round_mode_16_64 0
		.amdhsa_float_denorm_mode_32 3
		.amdhsa_float_denorm_mode_16_64 3
		.amdhsa_dx10_clamp 1
		.amdhsa_ieee_mode 1
		.amdhsa_fp16_overflow 0
		.amdhsa_workgroup_processor_mode 1
		.amdhsa_memory_ordered 1
		.amdhsa_forward_progress 0
		.amdhsa_shared_vgpr_count 0
		.amdhsa_exception_fp_ieee_invalid_op 0
		.amdhsa_exception_fp_denorm_src 0
		.amdhsa_exception_fp_ieee_div_zero 0
		.amdhsa_exception_fp_ieee_overflow 0
		.amdhsa_exception_fp_ieee_underflow 0
		.amdhsa_exception_fp_ieee_inexact 0
		.amdhsa_exception_int_div_zero 0
	.end_amdhsa_kernel
	.section	.text._ZN6thrust23THRUST_200600_302600_NS11hip_rocprim14__parallel_for6kernelILj256ENS1_11__transform17unary_transform_fINS0_10device_ptrIsEENS6_IfEENS4_14no_stencil_tagENS0_8identityIsEENS4_21always_true_predicateEEElLj1EEEvT0_T1_SF_,"axG",@progbits,_ZN6thrust23THRUST_200600_302600_NS11hip_rocprim14__parallel_for6kernelILj256ENS1_11__transform17unary_transform_fINS0_10device_ptrIsEENS6_IfEENS4_14no_stencil_tagENS0_8identityIsEENS4_21always_true_predicateEEElLj1EEEvT0_T1_SF_,comdat
.Lfunc_end83:
	.size	_ZN6thrust23THRUST_200600_302600_NS11hip_rocprim14__parallel_for6kernelILj256ENS1_11__transform17unary_transform_fINS0_10device_ptrIsEENS6_IfEENS4_14no_stencil_tagENS0_8identityIsEENS4_21always_true_predicateEEElLj1EEEvT0_T1_SF_, .Lfunc_end83-_ZN6thrust23THRUST_200600_302600_NS11hip_rocprim14__parallel_for6kernelILj256ENS1_11__transform17unary_transform_fINS0_10device_ptrIsEENS6_IfEENS4_14no_stencil_tagENS0_8identityIsEENS4_21always_true_predicateEEElLj1EEEvT0_T1_SF_
                                        ; -- End function
	.section	.AMDGPU.csdata,"",@progbits
; Kernel info:
; codeLenInByte = 308
; NumSgprs: 18
; NumVgprs: 5
; ScratchSize: 0
; MemoryBound: 0
; FloatMode: 240
; IeeeMode: 1
; LDSByteSize: 0 bytes/workgroup (compile time only)
; SGPRBlocks: 2
; VGPRBlocks: 0
; NumSGPRsForWavesPerEU: 18
; NumVGPRsForWavesPerEU: 5
; Occupancy: 16
; WaveLimiterHint : 0
; COMPUTE_PGM_RSRC2:SCRATCH_EN: 0
; COMPUTE_PGM_RSRC2:USER_SGPR: 15
; COMPUTE_PGM_RSRC2:TRAP_HANDLER: 0
; COMPUTE_PGM_RSRC2:TGID_X_EN: 1
; COMPUTE_PGM_RSRC2:TGID_Y_EN: 0
; COMPUTE_PGM_RSRC2:TGID_Z_EN: 0
; COMPUTE_PGM_RSRC2:TIDIG_COMP_CNT: 0
	.section	.text._ZN6thrust23THRUST_200600_302600_NS11hip_rocprim14__parallel_for6kernelILj256ENS1_11__transform17unary_transform_fINS0_7pointerIdNS1_3tagENS0_11use_defaultES8_EENS0_6detail15normal_iteratorINS0_10device_ptrIfEEEENS4_14no_stencil_tagENS0_8identityIdEENS4_21always_true_predicateEEElLj1EEEvT0_T1_SL_,"axG",@progbits,_ZN6thrust23THRUST_200600_302600_NS11hip_rocprim14__parallel_for6kernelILj256ENS1_11__transform17unary_transform_fINS0_7pointerIdNS1_3tagENS0_11use_defaultES8_EENS0_6detail15normal_iteratorINS0_10device_ptrIfEEEENS4_14no_stencil_tagENS0_8identityIdEENS4_21always_true_predicateEEElLj1EEEvT0_T1_SL_,comdat
	.protected	_ZN6thrust23THRUST_200600_302600_NS11hip_rocprim14__parallel_for6kernelILj256ENS1_11__transform17unary_transform_fINS0_7pointerIdNS1_3tagENS0_11use_defaultES8_EENS0_6detail15normal_iteratorINS0_10device_ptrIfEEEENS4_14no_stencil_tagENS0_8identityIdEENS4_21always_true_predicateEEElLj1EEEvT0_T1_SL_ ; -- Begin function _ZN6thrust23THRUST_200600_302600_NS11hip_rocprim14__parallel_for6kernelILj256ENS1_11__transform17unary_transform_fINS0_7pointerIdNS1_3tagENS0_11use_defaultES8_EENS0_6detail15normal_iteratorINS0_10device_ptrIfEEEENS4_14no_stencil_tagENS0_8identityIdEENS4_21always_true_predicateEEElLj1EEEvT0_T1_SL_
	.globl	_ZN6thrust23THRUST_200600_302600_NS11hip_rocprim14__parallel_for6kernelILj256ENS1_11__transform17unary_transform_fINS0_7pointerIdNS1_3tagENS0_11use_defaultES8_EENS0_6detail15normal_iteratorINS0_10device_ptrIfEEEENS4_14no_stencil_tagENS0_8identityIdEENS4_21always_true_predicateEEElLj1EEEvT0_T1_SL_
	.p2align	8
	.type	_ZN6thrust23THRUST_200600_302600_NS11hip_rocprim14__parallel_for6kernelILj256ENS1_11__transform17unary_transform_fINS0_7pointerIdNS1_3tagENS0_11use_defaultES8_EENS0_6detail15normal_iteratorINS0_10device_ptrIfEEEENS4_14no_stencil_tagENS0_8identityIdEENS4_21always_true_predicateEEElLj1EEEvT0_T1_SL_,@function
_ZN6thrust23THRUST_200600_302600_NS11hip_rocprim14__parallel_for6kernelILj256ENS1_11__transform17unary_transform_fINS0_7pointerIdNS1_3tagENS0_11use_defaultES8_EENS0_6detail15normal_iteratorINS0_10device_ptrIfEEEENS4_14no_stencil_tagENS0_8identityIdEENS4_21always_true_predicateEEElLj1EEEvT0_T1_SL_: ; @_ZN6thrust23THRUST_200600_302600_NS11hip_rocprim14__parallel_for6kernelILj256ENS1_11__transform17unary_transform_fINS0_7pointerIdNS1_3tagENS0_11use_defaultES8_EENS0_6detail15normal_iteratorINS0_10device_ptrIfEEEENS4_14no_stencil_tagENS0_8identityIdEENS4_21always_true_predicateEEElLj1EEEvT0_T1_SL_
; %bb.0:
	s_clause 0x1
	s_load_b128 s[8:11], s[0:1], 0x18
	s_load_b128 s[0:3], s[0:1], 0x0
	s_lshl_b32 s4, s15, 8
	s_waitcnt lgkmcnt(0)
	s_add_u32 s4, s4, s10
	s_addc_u32 s5, 0, s11
	s_sub_u32 s6, s8, s4
	s_subb_u32 s7, s9, s5
	s_delay_alu instid0(SALU_CYCLE_1) | instskip(NEXT) | instid1(VALU_DEP_1)
	v_cmp_gt_i64_e64 s7, 0x100, s[6:7]
	s_and_b32 s7, s7, exec_lo
	s_cselect_b32 s7, s6, 0x100
	s_mov_b32 s6, -1
	s_cmpk_lg_i32 s7, 0x100
	s_cbranch_scc1 .LBB84_3
; %bb.1:
	s_and_not1_b32 vcc_lo, exec_lo, s6
	s_cbranch_vccz .LBB84_6
.LBB84_2:
	s_endpgm
.LBB84_3:
	s_mov_b32 s6, exec_lo
	v_cmpx_gt_u32_e64 s7, v0
	s_cbranch_execz .LBB84_5
; %bb.4:
	v_add_co_u32 v1, s7, s4, v0
	s_delay_alu instid0(VALU_DEP_1) | instskip(NEXT) | instid1(VALU_DEP_1)
	v_add_co_ci_u32_e64 v2, null, s5, 0, s7
	v_lshlrev_b64 v[3:4], 3, v[1:2]
	v_lshlrev_b64 v[1:2], 2, v[1:2]
	s_delay_alu instid0(VALU_DEP_2) | instskip(NEXT) | instid1(VALU_DEP_3)
	v_add_co_u32 v3, vcc_lo, s0, v3
	v_add_co_ci_u32_e32 v4, vcc_lo, s1, v4, vcc_lo
	s_delay_alu instid0(VALU_DEP_3) | instskip(NEXT) | instid1(VALU_DEP_4)
	v_add_co_u32 v1, vcc_lo, s2, v1
	v_add_co_ci_u32_e32 v2, vcc_lo, s3, v2, vcc_lo
	flat_load_b64 v[3:4], v[3:4]
	s_waitcnt vmcnt(0) lgkmcnt(0)
	v_cvt_f32_f64_e32 v3, v[3:4]
	flat_store_b32 v[1:2], v3
.LBB84_5:
	s_or_b32 exec_lo, exec_lo, s6
	s_cbranch_execnz .LBB84_2
.LBB84_6:
	v_add_co_u32 v0, s4, s4, v0
	s_delay_alu instid0(VALU_DEP_1) | instskip(NEXT) | instid1(VALU_DEP_1)
	v_add_co_ci_u32_e64 v1, null, s5, 0, s4
	v_lshlrev_b64 v[2:3], 3, v[0:1]
	v_lshlrev_b64 v[0:1], 2, v[0:1]
	s_delay_alu instid0(VALU_DEP_2) | instskip(NEXT) | instid1(VALU_DEP_3)
	v_add_co_u32 v2, vcc_lo, s0, v2
	v_add_co_ci_u32_e32 v3, vcc_lo, s1, v3, vcc_lo
	s_delay_alu instid0(VALU_DEP_3) | instskip(NEXT) | instid1(VALU_DEP_4)
	v_add_co_u32 v0, vcc_lo, s2, v0
	v_add_co_ci_u32_e32 v1, vcc_lo, s3, v1, vcc_lo
	flat_load_b64 v[2:3], v[2:3]
	s_waitcnt vmcnt(0) lgkmcnt(0)
	v_cvt_f32_f64_e32 v2, v[2:3]
	flat_store_b32 v[0:1], v2
	s_endpgm
	.section	.rodata,"a",@progbits
	.p2align	6, 0x0
	.amdhsa_kernel _ZN6thrust23THRUST_200600_302600_NS11hip_rocprim14__parallel_for6kernelILj256ENS1_11__transform17unary_transform_fINS0_7pointerIdNS1_3tagENS0_11use_defaultES8_EENS0_6detail15normal_iteratorINS0_10device_ptrIfEEEENS4_14no_stencil_tagENS0_8identityIdEENS4_21always_true_predicateEEElLj1EEEvT0_T1_SL_
		.amdhsa_group_segment_fixed_size 0
		.amdhsa_private_segment_fixed_size 0
		.amdhsa_kernarg_size 40
		.amdhsa_user_sgpr_count 15
		.amdhsa_user_sgpr_dispatch_ptr 0
		.amdhsa_user_sgpr_queue_ptr 0
		.amdhsa_user_sgpr_kernarg_segment_ptr 1
		.amdhsa_user_sgpr_dispatch_id 0
		.amdhsa_user_sgpr_private_segment_size 0
		.amdhsa_wavefront_size32 1
		.amdhsa_uses_dynamic_stack 0
		.amdhsa_enable_private_segment 0
		.amdhsa_system_sgpr_workgroup_id_x 1
		.amdhsa_system_sgpr_workgroup_id_y 0
		.amdhsa_system_sgpr_workgroup_id_z 0
		.amdhsa_system_sgpr_workgroup_info 0
		.amdhsa_system_vgpr_workitem_id 0
		.amdhsa_next_free_vgpr 5
		.amdhsa_next_free_sgpr 16
		.amdhsa_reserve_vcc 1
		.amdhsa_float_round_mode_32 0
		.amdhsa_float_round_mode_16_64 0
		.amdhsa_float_denorm_mode_32 3
		.amdhsa_float_denorm_mode_16_64 3
		.amdhsa_dx10_clamp 1
		.amdhsa_ieee_mode 1
		.amdhsa_fp16_overflow 0
		.amdhsa_workgroup_processor_mode 1
		.amdhsa_memory_ordered 1
		.amdhsa_forward_progress 0
		.amdhsa_shared_vgpr_count 0
		.amdhsa_exception_fp_ieee_invalid_op 0
		.amdhsa_exception_fp_denorm_src 0
		.amdhsa_exception_fp_ieee_div_zero 0
		.amdhsa_exception_fp_ieee_overflow 0
		.amdhsa_exception_fp_ieee_underflow 0
		.amdhsa_exception_fp_ieee_inexact 0
		.amdhsa_exception_int_div_zero 0
	.end_amdhsa_kernel
	.section	.text._ZN6thrust23THRUST_200600_302600_NS11hip_rocprim14__parallel_for6kernelILj256ENS1_11__transform17unary_transform_fINS0_7pointerIdNS1_3tagENS0_11use_defaultES8_EENS0_6detail15normal_iteratorINS0_10device_ptrIfEEEENS4_14no_stencil_tagENS0_8identityIdEENS4_21always_true_predicateEEElLj1EEEvT0_T1_SL_,"axG",@progbits,_ZN6thrust23THRUST_200600_302600_NS11hip_rocprim14__parallel_for6kernelILj256ENS1_11__transform17unary_transform_fINS0_7pointerIdNS1_3tagENS0_11use_defaultES8_EENS0_6detail15normal_iteratorINS0_10device_ptrIfEEEENS4_14no_stencil_tagENS0_8identityIdEENS4_21always_true_predicateEEElLj1EEEvT0_T1_SL_,comdat
.Lfunc_end84:
	.size	_ZN6thrust23THRUST_200600_302600_NS11hip_rocprim14__parallel_for6kernelILj256ENS1_11__transform17unary_transform_fINS0_7pointerIdNS1_3tagENS0_11use_defaultES8_EENS0_6detail15normal_iteratorINS0_10device_ptrIfEEEENS4_14no_stencil_tagENS0_8identityIdEENS4_21always_true_predicateEEElLj1EEEvT0_T1_SL_, .Lfunc_end84-_ZN6thrust23THRUST_200600_302600_NS11hip_rocprim14__parallel_for6kernelILj256ENS1_11__transform17unary_transform_fINS0_7pointerIdNS1_3tagENS0_11use_defaultES8_EENS0_6detail15normal_iteratorINS0_10device_ptrIfEEEENS4_14no_stencil_tagENS0_8identityIdEENS4_21always_true_predicateEEElLj1EEEvT0_T1_SL_
                                        ; -- End function
	.section	.AMDGPU.csdata,"",@progbits
; Kernel info:
; codeLenInByte = 308
; NumSgprs: 18
; NumVgprs: 5
; ScratchSize: 0
; MemoryBound: 0
; FloatMode: 240
; IeeeMode: 1
; LDSByteSize: 0 bytes/workgroup (compile time only)
; SGPRBlocks: 2
; VGPRBlocks: 0
; NumSGPRsForWavesPerEU: 18
; NumVGPRsForWavesPerEU: 5
; Occupancy: 16
; WaveLimiterHint : 0
; COMPUTE_PGM_RSRC2:SCRATCH_EN: 0
; COMPUTE_PGM_RSRC2:USER_SGPR: 15
; COMPUTE_PGM_RSRC2:TRAP_HANDLER: 0
; COMPUTE_PGM_RSRC2:TGID_X_EN: 1
; COMPUTE_PGM_RSRC2:TGID_Y_EN: 0
; COMPUTE_PGM_RSRC2:TGID_Z_EN: 0
; COMPUTE_PGM_RSRC2:TIDIG_COMP_CNT: 0
	.section	.text._ZN6thrust23THRUST_200600_302600_NS11hip_rocprim14__parallel_for6kernelILj256ENS1_11__transform17unary_transform_fINS0_7pointerIyNS1_3tagENS0_11use_defaultES8_EENS0_6detail15normal_iteratorINS0_10device_ptrIfEEEENS4_14no_stencil_tagENS0_8identityIyEENS4_21always_true_predicateEEElLj1EEEvT0_T1_SL_,"axG",@progbits,_ZN6thrust23THRUST_200600_302600_NS11hip_rocprim14__parallel_for6kernelILj256ENS1_11__transform17unary_transform_fINS0_7pointerIyNS1_3tagENS0_11use_defaultES8_EENS0_6detail15normal_iteratorINS0_10device_ptrIfEEEENS4_14no_stencil_tagENS0_8identityIyEENS4_21always_true_predicateEEElLj1EEEvT0_T1_SL_,comdat
	.protected	_ZN6thrust23THRUST_200600_302600_NS11hip_rocprim14__parallel_for6kernelILj256ENS1_11__transform17unary_transform_fINS0_7pointerIyNS1_3tagENS0_11use_defaultES8_EENS0_6detail15normal_iteratorINS0_10device_ptrIfEEEENS4_14no_stencil_tagENS0_8identityIyEENS4_21always_true_predicateEEElLj1EEEvT0_T1_SL_ ; -- Begin function _ZN6thrust23THRUST_200600_302600_NS11hip_rocprim14__parallel_for6kernelILj256ENS1_11__transform17unary_transform_fINS0_7pointerIyNS1_3tagENS0_11use_defaultES8_EENS0_6detail15normal_iteratorINS0_10device_ptrIfEEEENS4_14no_stencil_tagENS0_8identityIyEENS4_21always_true_predicateEEElLj1EEEvT0_T1_SL_
	.globl	_ZN6thrust23THRUST_200600_302600_NS11hip_rocprim14__parallel_for6kernelILj256ENS1_11__transform17unary_transform_fINS0_7pointerIyNS1_3tagENS0_11use_defaultES8_EENS0_6detail15normal_iteratorINS0_10device_ptrIfEEEENS4_14no_stencil_tagENS0_8identityIyEENS4_21always_true_predicateEEElLj1EEEvT0_T1_SL_
	.p2align	8
	.type	_ZN6thrust23THRUST_200600_302600_NS11hip_rocprim14__parallel_for6kernelILj256ENS1_11__transform17unary_transform_fINS0_7pointerIyNS1_3tagENS0_11use_defaultES8_EENS0_6detail15normal_iteratorINS0_10device_ptrIfEEEENS4_14no_stencil_tagENS0_8identityIyEENS4_21always_true_predicateEEElLj1EEEvT0_T1_SL_,@function
_ZN6thrust23THRUST_200600_302600_NS11hip_rocprim14__parallel_for6kernelILj256ENS1_11__transform17unary_transform_fINS0_7pointerIyNS1_3tagENS0_11use_defaultES8_EENS0_6detail15normal_iteratorINS0_10device_ptrIfEEEENS4_14no_stencil_tagENS0_8identityIyEENS4_21always_true_predicateEEElLj1EEEvT0_T1_SL_: ; @_ZN6thrust23THRUST_200600_302600_NS11hip_rocprim14__parallel_for6kernelILj256ENS1_11__transform17unary_transform_fINS0_7pointerIyNS1_3tagENS0_11use_defaultES8_EENS0_6detail15normal_iteratorINS0_10device_ptrIfEEEENS4_14no_stencil_tagENS0_8identityIyEENS4_21always_true_predicateEEElLj1EEEvT0_T1_SL_
; %bb.0:
	s_clause 0x1
	s_load_b128 s[8:11], s[0:1], 0x18
	s_load_b128 s[0:3], s[0:1], 0x0
	s_lshl_b32 s4, s15, 8
	s_waitcnt lgkmcnt(0)
	s_add_u32 s4, s4, s10
	s_addc_u32 s5, 0, s11
	s_sub_u32 s6, s8, s4
	s_subb_u32 s7, s9, s5
	s_delay_alu instid0(SALU_CYCLE_1) | instskip(NEXT) | instid1(VALU_DEP_1)
	v_cmp_gt_i64_e64 s7, 0x100, s[6:7]
	s_and_b32 s7, s7, exec_lo
	s_cselect_b32 s7, s6, 0x100
	s_mov_b32 s6, -1
	s_cmpk_lg_i32 s7, 0x100
	s_cbranch_scc1 .LBB85_3
; %bb.1:
	s_and_not1_b32 vcc_lo, exec_lo, s6
	s_cbranch_vccz .LBB85_6
.LBB85_2:
	s_endpgm
.LBB85_3:
	s_mov_b32 s6, exec_lo
	v_cmpx_gt_u32_e64 s7, v0
	s_cbranch_execz .LBB85_5
; %bb.4:
	v_add_co_u32 v1, s7, s4, v0
	s_delay_alu instid0(VALU_DEP_1) | instskip(NEXT) | instid1(VALU_DEP_1)
	v_add_co_ci_u32_e64 v2, null, s5, 0, s7
	v_lshlrev_b64 v[3:4], 3, v[1:2]
	v_lshlrev_b64 v[1:2], 2, v[1:2]
	s_delay_alu instid0(VALU_DEP_2) | instskip(NEXT) | instid1(VALU_DEP_3)
	v_add_co_u32 v3, vcc_lo, s0, v3
	v_add_co_ci_u32_e32 v4, vcc_lo, s1, v4, vcc_lo
	s_delay_alu instid0(VALU_DEP_3) | instskip(NEXT) | instid1(VALU_DEP_4)
	v_add_co_u32 v1, vcc_lo, s2, v1
	v_add_co_ci_u32_e32 v2, vcc_lo, s3, v2, vcc_lo
	flat_load_b64 v[3:4], v[3:4]
	s_waitcnt vmcnt(0) lgkmcnt(0)
	v_clz_i32_u32_e32 v5, v4
	s_delay_alu instid0(VALU_DEP_1) | instskip(NEXT) | instid1(VALU_DEP_1)
	v_min_u32_e32 v5, 32, v5
	v_lshlrev_b64 v[3:4], v5, v[3:4]
	s_delay_alu instid0(VALU_DEP_1) | instskip(NEXT) | instid1(VALU_DEP_1)
	v_min_u32_e32 v3, 1, v3
	v_or_b32_e32 v3, v4, v3
	v_sub_nc_u32_e32 v4, 32, v5
	s_delay_alu instid0(VALU_DEP_2) | instskip(NEXT) | instid1(VALU_DEP_1)
	v_cvt_f32_u32_e32 v3, v3
	v_ldexp_f32 v3, v3, v4
	flat_store_b32 v[1:2], v3
.LBB85_5:
	s_or_b32 exec_lo, exec_lo, s6
	s_cbranch_execnz .LBB85_2
.LBB85_6:
	v_add_co_u32 v0, s4, s4, v0
	s_delay_alu instid0(VALU_DEP_1) | instskip(NEXT) | instid1(VALU_DEP_1)
	v_add_co_ci_u32_e64 v1, null, s5, 0, s4
	v_lshlrev_b64 v[2:3], 3, v[0:1]
	v_lshlrev_b64 v[0:1], 2, v[0:1]
	s_delay_alu instid0(VALU_DEP_2) | instskip(NEXT) | instid1(VALU_DEP_3)
	v_add_co_u32 v2, vcc_lo, s0, v2
	v_add_co_ci_u32_e32 v3, vcc_lo, s1, v3, vcc_lo
	s_delay_alu instid0(VALU_DEP_3) | instskip(NEXT) | instid1(VALU_DEP_4)
	v_add_co_u32 v0, vcc_lo, s2, v0
	v_add_co_ci_u32_e32 v1, vcc_lo, s3, v1, vcc_lo
	flat_load_b64 v[2:3], v[2:3]
	s_waitcnt vmcnt(0) lgkmcnt(0)
	v_clz_i32_u32_e32 v4, v3
	s_delay_alu instid0(VALU_DEP_1) | instskip(NEXT) | instid1(VALU_DEP_1)
	v_min_u32_e32 v4, 32, v4
	v_lshlrev_b64 v[2:3], v4, v[2:3]
	s_delay_alu instid0(VALU_DEP_1) | instskip(NEXT) | instid1(VALU_DEP_1)
	v_min_u32_e32 v2, 1, v2
	v_or_b32_e32 v2, v3, v2
	v_sub_nc_u32_e32 v3, 32, v4
	s_delay_alu instid0(VALU_DEP_2) | instskip(NEXT) | instid1(VALU_DEP_1)
	v_cvt_f32_u32_e32 v2, v2
	v_ldexp_f32 v2, v2, v3
	flat_store_b32 v[0:1], v2
	s_endpgm
	.section	.rodata,"a",@progbits
	.p2align	6, 0x0
	.amdhsa_kernel _ZN6thrust23THRUST_200600_302600_NS11hip_rocprim14__parallel_for6kernelILj256ENS1_11__transform17unary_transform_fINS0_7pointerIyNS1_3tagENS0_11use_defaultES8_EENS0_6detail15normal_iteratorINS0_10device_ptrIfEEEENS4_14no_stencil_tagENS0_8identityIyEENS4_21always_true_predicateEEElLj1EEEvT0_T1_SL_
		.amdhsa_group_segment_fixed_size 0
		.amdhsa_private_segment_fixed_size 0
		.amdhsa_kernarg_size 40
		.amdhsa_user_sgpr_count 15
		.amdhsa_user_sgpr_dispatch_ptr 0
		.amdhsa_user_sgpr_queue_ptr 0
		.amdhsa_user_sgpr_kernarg_segment_ptr 1
		.amdhsa_user_sgpr_dispatch_id 0
		.amdhsa_user_sgpr_private_segment_size 0
		.amdhsa_wavefront_size32 1
		.amdhsa_uses_dynamic_stack 0
		.amdhsa_enable_private_segment 0
		.amdhsa_system_sgpr_workgroup_id_x 1
		.amdhsa_system_sgpr_workgroup_id_y 0
		.amdhsa_system_sgpr_workgroup_id_z 0
		.amdhsa_system_sgpr_workgroup_info 0
		.amdhsa_system_vgpr_workitem_id 0
		.amdhsa_next_free_vgpr 6
		.amdhsa_next_free_sgpr 16
		.amdhsa_reserve_vcc 1
		.amdhsa_float_round_mode_32 0
		.amdhsa_float_round_mode_16_64 0
		.amdhsa_float_denorm_mode_32 3
		.amdhsa_float_denorm_mode_16_64 3
		.amdhsa_dx10_clamp 1
		.amdhsa_ieee_mode 1
		.amdhsa_fp16_overflow 0
		.amdhsa_workgroup_processor_mode 1
		.amdhsa_memory_ordered 1
		.amdhsa_forward_progress 0
		.amdhsa_shared_vgpr_count 0
		.amdhsa_exception_fp_ieee_invalid_op 0
		.amdhsa_exception_fp_denorm_src 0
		.amdhsa_exception_fp_ieee_div_zero 0
		.amdhsa_exception_fp_ieee_overflow 0
		.amdhsa_exception_fp_ieee_underflow 0
		.amdhsa_exception_fp_ieee_inexact 0
		.amdhsa_exception_int_div_zero 0
	.end_amdhsa_kernel
	.section	.text._ZN6thrust23THRUST_200600_302600_NS11hip_rocprim14__parallel_for6kernelILj256ENS1_11__transform17unary_transform_fINS0_7pointerIyNS1_3tagENS0_11use_defaultES8_EENS0_6detail15normal_iteratorINS0_10device_ptrIfEEEENS4_14no_stencil_tagENS0_8identityIyEENS4_21always_true_predicateEEElLj1EEEvT0_T1_SL_,"axG",@progbits,_ZN6thrust23THRUST_200600_302600_NS11hip_rocprim14__parallel_for6kernelILj256ENS1_11__transform17unary_transform_fINS0_7pointerIyNS1_3tagENS0_11use_defaultES8_EENS0_6detail15normal_iteratorINS0_10device_ptrIfEEEENS4_14no_stencil_tagENS0_8identityIyEENS4_21always_true_predicateEEElLj1EEEvT0_T1_SL_,comdat
.Lfunc_end85:
	.size	_ZN6thrust23THRUST_200600_302600_NS11hip_rocprim14__parallel_for6kernelILj256ENS1_11__transform17unary_transform_fINS0_7pointerIyNS1_3tagENS0_11use_defaultES8_EENS0_6detail15normal_iteratorINS0_10device_ptrIfEEEENS4_14no_stencil_tagENS0_8identityIyEENS4_21always_true_predicateEEElLj1EEEvT0_T1_SL_, .Lfunc_end85-_ZN6thrust23THRUST_200600_302600_NS11hip_rocprim14__parallel_for6kernelILj256ENS1_11__transform17unary_transform_fINS0_7pointerIyNS1_3tagENS0_11use_defaultES8_EENS0_6detail15normal_iteratorINS0_10device_ptrIfEEEENS4_14no_stencil_tagENS0_8identityIyEENS4_21always_true_predicateEEElLj1EEEvT0_T1_SL_
                                        ; -- End function
	.section	.AMDGPU.csdata,"",@progbits
; Kernel info:
; codeLenInByte = 404
; NumSgprs: 18
; NumVgprs: 6
; ScratchSize: 0
; MemoryBound: 0
; FloatMode: 240
; IeeeMode: 1
; LDSByteSize: 0 bytes/workgroup (compile time only)
; SGPRBlocks: 2
; VGPRBlocks: 0
; NumSGPRsForWavesPerEU: 18
; NumVGPRsForWavesPerEU: 6
; Occupancy: 16
; WaveLimiterHint : 0
; COMPUTE_PGM_RSRC2:SCRATCH_EN: 0
; COMPUTE_PGM_RSRC2:USER_SGPR: 15
; COMPUTE_PGM_RSRC2:TRAP_HANDLER: 0
; COMPUTE_PGM_RSRC2:TGID_X_EN: 1
; COMPUTE_PGM_RSRC2:TGID_Y_EN: 0
; COMPUTE_PGM_RSRC2:TGID_Z_EN: 0
; COMPUTE_PGM_RSRC2:TIDIG_COMP_CNT: 0
	.section	.text._ZN6thrust23THRUST_200600_302600_NS11hip_rocprim14__parallel_for6kernelILj256ENS1_11__transform17unary_transform_fINS0_7pointerIjNS1_3tagENS0_11use_defaultES8_EENS0_6detail15normal_iteratorINS0_10device_ptrIfEEEENS4_14no_stencil_tagENS0_8identityIjEENS4_21always_true_predicateEEElLj1EEEvT0_T1_SL_,"axG",@progbits,_ZN6thrust23THRUST_200600_302600_NS11hip_rocprim14__parallel_for6kernelILj256ENS1_11__transform17unary_transform_fINS0_7pointerIjNS1_3tagENS0_11use_defaultES8_EENS0_6detail15normal_iteratorINS0_10device_ptrIfEEEENS4_14no_stencil_tagENS0_8identityIjEENS4_21always_true_predicateEEElLj1EEEvT0_T1_SL_,comdat
	.protected	_ZN6thrust23THRUST_200600_302600_NS11hip_rocprim14__parallel_for6kernelILj256ENS1_11__transform17unary_transform_fINS0_7pointerIjNS1_3tagENS0_11use_defaultES8_EENS0_6detail15normal_iteratorINS0_10device_ptrIfEEEENS4_14no_stencil_tagENS0_8identityIjEENS4_21always_true_predicateEEElLj1EEEvT0_T1_SL_ ; -- Begin function _ZN6thrust23THRUST_200600_302600_NS11hip_rocprim14__parallel_for6kernelILj256ENS1_11__transform17unary_transform_fINS0_7pointerIjNS1_3tagENS0_11use_defaultES8_EENS0_6detail15normal_iteratorINS0_10device_ptrIfEEEENS4_14no_stencil_tagENS0_8identityIjEENS4_21always_true_predicateEEElLj1EEEvT0_T1_SL_
	.globl	_ZN6thrust23THRUST_200600_302600_NS11hip_rocprim14__parallel_for6kernelILj256ENS1_11__transform17unary_transform_fINS0_7pointerIjNS1_3tagENS0_11use_defaultES8_EENS0_6detail15normal_iteratorINS0_10device_ptrIfEEEENS4_14no_stencil_tagENS0_8identityIjEENS4_21always_true_predicateEEElLj1EEEvT0_T1_SL_
	.p2align	8
	.type	_ZN6thrust23THRUST_200600_302600_NS11hip_rocprim14__parallel_for6kernelILj256ENS1_11__transform17unary_transform_fINS0_7pointerIjNS1_3tagENS0_11use_defaultES8_EENS0_6detail15normal_iteratorINS0_10device_ptrIfEEEENS4_14no_stencil_tagENS0_8identityIjEENS4_21always_true_predicateEEElLj1EEEvT0_T1_SL_,@function
_ZN6thrust23THRUST_200600_302600_NS11hip_rocprim14__parallel_for6kernelILj256ENS1_11__transform17unary_transform_fINS0_7pointerIjNS1_3tagENS0_11use_defaultES8_EENS0_6detail15normal_iteratorINS0_10device_ptrIfEEEENS4_14no_stencil_tagENS0_8identityIjEENS4_21always_true_predicateEEElLj1EEEvT0_T1_SL_: ; @_ZN6thrust23THRUST_200600_302600_NS11hip_rocprim14__parallel_for6kernelILj256ENS1_11__transform17unary_transform_fINS0_7pointerIjNS1_3tagENS0_11use_defaultES8_EENS0_6detail15normal_iteratorINS0_10device_ptrIfEEEENS4_14no_stencil_tagENS0_8identityIjEENS4_21always_true_predicateEEElLj1EEEvT0_T1_SL_
; %bb.0:
	s_clause 0x1
	s_load_b128 s[8:11], s[0:1], 0x18
	s_load_b128 s[0:3], s[0:1], 0x0
	s_lshl_b32 s4, s15, 8
	s_waitcnt lgkmcnt(0)
	s_add_u32 s4, s4, s10
	s_addc_u32 s5, 0, s11
	s_sub_u32 s6, s8, s4
	s_subb_u32 s7, s9, s5
	s_delay_alu instid0(SALU_CYCLE_1) | instskip(NEXT) | instid1(VALU_DEP_1)
	v_cmp_gt_i64_e64 s7, 0x100, s[6:7]
	s_and_b32 s7, s7, exec_lo
	s_cselect_b32 s7, s6, 0x100
	s_mov_b32 s6, -1
	s_cmpk_lg_i32 s7, 0x100
	s_cbranch_scc1 .LBB86_3
; %bb.1:
	s_and_not1_b32 vcc_lo, exec_lo, s6
	s_cbranch_vccz .LBB86_6
.LBB86_2:
	s_endpgm
.LBB86_3:
	s_mov_b32 s6, exec_lo
	v_cmpx_gt_u32_e64 s7, v0
	s_cbranch_execz .LBB86_5
; %bb.4:
	v_add_co_u32 v1, s7, s4, v0
	s_delay_alu instid0(VALU_DEP_1) | instskip(NEXT) | instid1(VALU_DEP_1)
	v_add_co_ci_u32_e64 v2, null, s5, 0, s7
	v_lshlrev_b64 v[1:2], 2, v[1:2]
	s_delay_alu instid0(VALU_DEP_1) | instskip(NEXT) | instid1(VALU_DEP_2)
	v_add_co_u32 v3, vcc_lo, s0, v1
	v_add_co_ci_u32_e32 v4, vcc_lo, s1, v2, vcc_lo
	v_add_co_u32 v1, vcc_lo, s2, v1
	v_add_co_ci_u32_e32 v2, vcc_lo, s3, v2, vcc_lo
	flat_load_b32 v3, v[3:4]
	s_waitcnt vmcnt(0) lgkmcnt(0)
	v_cvt_f32_u32_e32 v3, v3
	flat_store_b32 v[1:2], v3
.LBB86_5:
	s_or_b32 exec_lo, exec_lo, s6
	s_cbranch_execnz .LBB86_2
.LBB86_6:
	v_add_co_u32 v0, s4, s4, v0
	s_delay_alu instid0(VALU_DEP_1) | instskip(NEXT) | instid1(VALU_DEP_1)
	v_add_co_ci_u32_e64 v1, null, s5, 0, s4
	v_lshlrev_b64 v[0:1], 2, v[0:1]
	s_delay_alu instid0(VALU_DEP_1) | instskip(NEXT) | instid1(VALU_DEP_2)
	v_add_co_u32 v2, vcc_lo, s0, v0
	v_add_co_ci_u32_e32 v3, vcc_lo, s1, v1, vcc_lo
	v_add_co_u32 v0, vcc_lo, s2, v0
	v_add_co_ci_u32_e32 v1, vcc_lo, s3, v1, vcc_lo
	flat_load_b32 v2, v[2:3]
	s_waitcnt vmcnt(0) lgkmcnt(0)
	v_cvt_f32_u32_e32 v2, v2
	flat_store_b32 v[0:1], v2
	s_endpgm
	.section	.rodata,"a",@progbits
	.p2align	6, 0x0
	.amdhsa_kernel _ZN6thrust23THRUST_200600_302600_NS11hip_rocprim14__parallel_for6kernelILj256ENS1_11__transform17unary_transform_fINS0_7pointerIjNS1_3tagENS0_11use_defaultES8_EENS0_6detail15normal_iteratorINS0_10device_ptrIfEEEENS4_14no_stencil_tagENS0_8identityIjEENS4_21always_true_predicateEEElLj1EEEvT0_T1_SL_
		.amdhsa_group_segment_fixed_size 0
		.amdhsa_private_segment_fixed_size 0
		.amdhsa_kernarg_size 40
		.amdhsa_user_sgpr_count 15
		.amdhsa_user_sgpr_dispatch_ptr 0
		.amdhsa_user_sgpr_queue_ptr 0
		.amdhsa_user_sgpr_kernarg_segment_ptr 1
		.amdhsa_user_sgpr_dispatch_id 0
		.amdhsa_user_sgpr_private_segment_size 0
		.amdhsa_wavefront_size32 1
		.amdhsa_uses_dynamic_stack 0
		.amdhsa_enable_private_segment 0
		.amdhsa_system_sgpr_workgroup_id_x 1
		.amdhsa_system_sgpr_workgroup_id_y 0
		.amdhsa_system_sgpr_workgroup_id_z 0
		.amdhsa_system_sgpr_workgroup_info 0
		.amdhsa_system_vgpr_workitem_id 0
		.amdhsa_next_free_vgpr 5
		.amdhsa_next_free_sgpr 16
		.amdhsa_reserve_vcc 1
		.amdhsa_float_round_mode_32 0
		.amdhsa_float_round_mode_16_64 0
		.amdhsa_float_denorm_mode_32 3
		.amdhsa_float_denorm_mode_16_64 3
		.amdhsa_dx10_clamp 1
		.amdhsa_ieee_mode 1
		.amdhsa_fp16_overflow 0
		.amdhsa_workgroup_processor_mode 1
		.amdhsa_memory_ordered 1
		.amdhsa_forward_progress 0
		.amdhsa_shared_vgpr_count 0
		.amdhsa_exception_fp_ieee_invalid_op 0
		.amdhsa_exception_fp_denorm_src 0
		.amdhsa_exception_fp_ieee_div_zero 0
		.amdhsa_exception_fp_ieee_overflow 0
		.amdhsa_exception_fp_ieee_underflow 0
		.amdhsa_exception_fp_ieee_inexact 0
		.amdhsa_exception_int_div_zero 0
	.end_amdhsa_kernel
	.section	.text._ZN6thrust23THRUST_200600_302600_NS11hip_rocprim14__parallel_for6kernelILj256ENS1_11__transform17unary_transform_fINS0_7pointerIjNS1_3tagENS0_11use_defaultES8_EENS0_6detail15normal_iteratorINS0_10device_ptrIfEEEENS4_14no_stencil_tagENS0_8identityIjEENS4_21always_true_predicateEEElLj1EEEvT0_T1_SL_,"axG",@progbits,_ZN6thrust23THRUST_200600_302600_NS11hip_rocprim14__parallel_for6kernelILj256ENS1_11__transform17unary_transform_fINS0_7pointerIjNS1_3tagENS0_11use_defaultES8_EENS0_6detail15normal_iteratorINS0_10device_ptrIfEEEENS4_14no_stencil_tagENS0_8identityIjEENS4_21always_true_predicateEEElLj1EEEvT0_T1_SL_,comdat
.Lfunc_end86:
	.size	_ZN6thrust23THRUST_200600_302600_NS11hip_rocprim14__parallel_for6kernelILj256ENS1_11__transform17unary_transform_fINS0_7pointerIjNS1_3tagENS0_11use_defaultES8_EENS0_6detail15normal_iteratorINS0_10device_ptrIfEEEENS4_14no_stencil_tagENS0_8identityIjEENS4_21always_true_predicateEEElLj1EEEvT0_T1_SL_, .Lfunc_end86-_ZN6thrust23THRUST_200600_302600_NS11hip_rocprim14__parallel_for6kernelILj256ENS1_11__transform17unary_transform_fINS0_7pointerIjNS1_3tagENS0_11use_defaultES8_EENS0_6detail15normal_iteratorINS0_10device_ptrIfEEEENS4_14no_stencil_tagENS0_8identityIjEENS4_21always_true_predicateEEElLj1EEEvT0_T1_SL_
                                        ; -- End function
	.section	.AMDGPU.csdata,"",@progbits
; Kernel info:
; codeLenInByte = 284
; NumSgprs: 18
; NumVgprs: 5
; ScratchSize: 0
; MemoryBound: 0
; FloatMode: 240
; IeeeMode: 1
; LDSByteSize: 0 bytes/workgroup (compile time only)
; SGPRBlocks: 2
; VGPRBlocks: 0
; NumSGPRsForWavesPerEU: 18
; NumVGPRsForWavesPerEU: 5
; Occupancy: 16
; WaveLimiterHint : 0
; COMPUTE_PGM_RSRC2:SCRATCH_EN: 0
; COMPUTE_PGM_RSRC2:USER_SGPR: 15
; COMPUTE_PGM_RSRC2:TRAP_HANDLER: 0
; COMPUTE_PGM_RSRC2:TGID_X_EN: 1
; COMPUTE_PGM_RSRC2:TGID_Y_EN: 0
; COMPUTE_PGM_RSRC2:TGID_Z_EN: 0
; COMPUTE_PGM_RSRC2:TIDIG_COMP_CNT: 0
	.section	.text._ZN6thrust23THRUST_200600_302600_NS11hip_rocprim14__parallel_for6kernelILj256ENS1_11__transform17unary_transform_fINS0_7pointerItNS1_3tagENS0_11use_defaultES8_EENS0_6detail15normal_iteratorINS0_10device_ptrIfEEEENS4_14no_stencil_tagENS0_8identityItEENS4_21always_true_predicateEEElLj1EEEvT0_T1_SL_,"axG",@progbits,_ZN6thrust23THRUST_200600_302600_NS11hip_rocprim14__parallel_for6kernelILj256ENS1_11__transform17unary_transform_fINS0_7pointerItNS1_3tagENS0_11use_defaultES8_EENS0_6detail15normal_iteratorINS0_10device_ptrIfEEEENS4_14no_stencil_tagENS0_8identityItEENS4_21always_true_predicateEEElLj1EEEvT0_T1_SL_,comdat
	.protected	_ZN6thrust23THRUST_200600_302600_NS11hip_rocprim14__parallel_for6kernelILj256ENS1_11__transform17unary_transform_fINS0_7pointerItNS1_3tagENS0_11use_defaultES8_EENS0_6detail15normal_iteratorINS0_10device_ptrIfEEEENS4_14no_stencil_tagENS0_8identityItEENS4_21always_true_predicateEEElLj1EEEvT0_T1_SL_ ; -- Begin function _ZN6thrust23THRUST_200600_302600_NS11hip_rocprim14__parallel_for6kernelILj256ENS1_11__transform17unary_transform_fINS0_7pointerItNS1_3tagENS0_11use_defaultES8_EENS0_6detail15normal_iteratorINS0_10device_ptrIfEEEENS4_14no_stencil_tagENS0_8identityItEENS4_21always_true_predicateEEElLj1EEEvT0_T1_SL_
	.globl	_ZN6thrust23THRUST_200600_302600_NS11hip_rocprim14__parallel_for6kernelILj256ENS1_11__transform17unary_transform_fINS0_7pointerItNS1_3tagENS0_11use_defaultES8_EENS0_6detail15normal_iteratorINS0_10device_ptrIfEEEENS4_14no_stencil_tagENS0_8identityItEENS4_21always_true_predicateEEElLj1EEEvT0_T1_SL_
	.p2align	8
	.type	_ZN6thrust23THRUST_200600_302600_NS11hip_rocprim14__parallel_for6kernelILj256ENS1_11__transform17unary_transform_fINS0_7pointerItNS1_3tagENS0_11use_defaultES8_EENS0_6detail15normal_iteratorINS0_10device_ptrIfEEEENS4_14no_stencil_tagENS0_8identityItEENS4_21always_true_predicateEEElLj1EEEvT0_T1_SL_,@function
_ZN6thrust23THRUST_200600_302600_NS11hip_rocprim14__parallel_for6kernelILj256ENS1_11__transform17unary_transform_fINS0_7pointerItNS1_3tagENS0_11use_defaultES8_EENS0_6detail15normal_iteratorINS0_10device_ptrIfEEEENS4_14no_stencil_tagENS0_8identityItEENS4_21always_true_predicateEEElLj1EEEvT0_T1_SL_: ; @_ZN6thrust23THRUST_200600_302600_NS11hip_rocprim14__parallel_for6kernelILj256ENS1_11__transform17unary_transform_fINS0_7pointerItNS1_3tagENS0_11use_defaultES8_EENS0_6detail15normal_iteratorINS0_10device_ptrIfEEEENS4_14no_stencil_tagENS0_8identityItEENS4_21always_true_predicateEEElLj1EEEvT0_T1_SL_
; %bb.0:
	s_clause 0x1
	s_load_b128 s[8:11], s[0:1], 0x18
	s_load_b128 s[0:3], s[0:1], 0x0
	s_lshl_b32 s4, s15, 8
	s_waitcnt lgkmcnt(0)
	s_add_u32 s4, s4, s10
	s_addc_u32 s5, 0, s11
	s_sub_u32 s6, s8, s4
	s_subb_u32 s7, s9, s5
	s_delay_alu instid0(SALU_CYCLE_1) | instskip(NEXT) | instid1(VALU_DEP_1)
	v_cmp_gt_i64_e64 s7, 0x100, s[6:7]
	s_and_b32 s7, s7, exec_lo
	s_cselect_b32 s7, s6, 0x100
	s_mov_b32 s6, -1
	s_cmpk_lg_i32 s7, 0x100
	s_cbranch_scc1 .LBB87_3
; %bb.1:
	s_and_not1_b32 vcc_lo, exec_lo, s6
	s_cbranch_vccz .LBB87_6
.LBB87_2:
	s_endpgm
.LBB87_3:
	s_mov_b32 s6, exec_lo
	v_cmpx_gt_u32_e64 s7, v0
	s_cbranch_execz .LBB87_5
; %bb.4:
	v_add_co_u32 v1, s7, s4, v0
	s_delay_alu instid0(VALU_DEP_1) | instskip(NEXT) | instid1(VALU_DEP_1)
	v_add_co_ci_u32_e64 v2, null, s5, 0, s7
	v_lshlrev_b64 v[3:4], 1, v[1:2]
	v_lshlrev_b64 v[1:2], 2, v[1:2]
	s_delay_alu instid0(VALU_DEP_2) | instskip(NEXT) | instid1(VALU_DEP_3)
	v_add_co_u32 v3, vcc_lo, s0, v3
	v_add_co_ci_u32_e32 v4, vcc_lo, s1, v4, vcc_lo
	s_delay_alu instid0(VALU_DEP_3) | instskip(NEXT) | instid1(VALU_DEP_4)
	v_add_co_u32 v1, vcc_lo, s2, v1
	v_add_co_ci_u32_e32 v2, vcc_lo, s3, v2, vcc_lo
	flat_load_u16 v3, v[3:4]
	s_waitcnt vmcnt(0) lgkmcnt(0)
	v_cvt_f32_u32_e32 v3, v3
	flat_store_b32 v[1:2], v3
.LBB87_5:
	s_or_b32 exec_lo, exec_lo, s6
	s_cbranch_execnz .LBB87_2
.LBB87_6:
	v_add_co_u32 v0, s4, s4, v0
	s_delay_alu instid0(VALU_DEP_1) | instskip(NEXT) | instid1(VALU_DEP_1)
	v_add_co_ci_u32_e64 v1, null, s5, 0, s4
	v_lshlrev_b64 v[2:3], 1, v[0:1]
	v_lshlrev_b64 v[0:1], 2, v[0:1]
	s_delay_alu instid0(VALU_DEP_2) | instskip(NEXT) | instid1(VALU_DEP_3)
	v_add_co_u32 v2, vcc_lo, s0, v2
	v_add_co_ci_u32_e32 v3, vcc_lo, s1, v3, vcc_lo
	s_delay_alu instid0(VALU_DEP_3) | instskip(NEXT) | instid1(VALU_DEP_4)
	v_add_co_u32 v0, vcc_lo, s2, v0
	v_add_co_ci_u32_e32 v1, vcc_lo, s3, v1, vcc_lo
	flat_load_u16 v2, v[2:3]
	s_waitcnt vmcnt(0) lgkmcnt(0)
	v_cvt_f32_u32_e32 v2, v2
	flat_store_b32 v[0:1], v2
	s_endpgm
	.section	.rodata,"a",@progbits
	.p2align	6, 0x0
	.amdhsa_kernel _ZN6thrust23THRUST_200600_302600_NS11hip_rocprim14__parallel_for6kernelILj256ENS1_11__transform17unary_transform_fINS0_7pointerItNS1_3tagENS0_11use_defaultES8_EENS0_6detail15normal_iteratorINS0_10device_ptrIfEEEENS4_14no_stencil_tagENS0_8identityItEENS4_21always_true_predicateEEElLj1EEEvT0_T1_SL_
		.amdhsa_group_segment_fixed_size 0
		.amdhsa_private_segment_fixed_size 0
		.amdhsa_kernarg_size 40
		.amdhsa_user_sgpr_count 15
		.amdhsa_user_sgpr_dispatch_ptr 0
		.amdhsa_user_sgpr_queue_ptr 0
		.amdhsa_user_sgpr_kernarg_segment_ptr 1
		.amdhsa_user_sgpr_dispatch_id 0
		.amdhsa_user_sgpr_private_segment_size 0
		.amdhsa_wavefront_size32 1
		.amdhsa_uses_dynamic_stack 0
		.amdhsa_enable_private_segment 0
		.amdhsa_system_sgpr_workgroup_id_x 1
		.amdhsa_system_sgpr_workgroup_id_y 0
		.amdhsa_system_sgpr_workgroup_id_z 0
		.amdhsa_system_sgpr_workgroup_info 0
		.amdhsa_system_vgpr_workitem_id 0
		.amdhsa_next_free_vgpr 5
		.amdhsa_next_free_sgpr 16
		.amdhsa_reserve_vcc 1
		.amdhsa_float_round_mode_32 0
		.amdhsa_float_round_mode_16_64 0
		.amdhsa_float_denorm_mode_32 3
		.amdhsa_float_denorm_mode_16_64 3
		.amdhsa_dx10_clamp 1
		.amdhsa_ieee_mode 1
		.amdhsa_fp16_overflow 0
		.amdhsa_workgroup_processor_mode 1
		.amdhsa_memory_ordered 1
		.amdhsa_forward_progress 0
		.amdhsa_shared_vgpr_count 0
		.amdhsa_exception_fp_ieee_invalid_op 0
		.amdhsa_exception_fp_denorm_src 0
		.amdhsa_exception_fp_ieee_div_zero 0
		.amdhsa_exception_fp_ieee_overflow 0
		.amdhsa_exception_fp_ieee_underflow 0
		.amdhsa_exception_fp_ieee_inexact 0
		.amdhsa_exception_int_div_zero 0
	.end_amdhsa_kernel
	.section	.text._ZN6thrust23THRUST_200600_302600_NS11hip_rocprim14__parallel_for6kernelILj256ENS1_11__transform17unary_transform_fINS0_7pointerItNS1_3tagENS0_11use_defaultES8_EENS0_6detail15normal_iteratorINS0_10device_ptrIfEEEENS4_14no_stencil_tagENS0_8identityItEENS4_21always_true_predicateEEElLj1EEEvT0_T1_SL_,"axG",@progbits,_ZN6thrust23THRUST_200600_302600_NS11hip_rocprim14__parallel_for6kernelILj256ENS1_11__transform17unary_transform_fINS0_7pointerItNS1_3tagENS0_11use_defaultES8_EENS0_6detail15normal_iteratorINS0_10device_ptrIfEEEENS4_14no_stencil_tagENS0_8identityItEENS4_21always_true_predicateEEElLj1EEEvT0_T1_SL_,comdat
.Lfunc_end87:
	.size	_ZN6thrust23THRUST_200600_302600_NS11hip_rocprim14__parallel_for6kernelILj256ENS1_11__transform17unary_transform_fINS0_7pointerItNS1_3tagENS0_11use_defaultES8_EENS0_6detail15normal_iteratorINS0_10device_ptrIfEEEENS4_14no_stencil_tagENS0_8identityItEENS4_21always_true_predicateEEElLj1EEEvT0_T1_SL_, .Lfunc_end87-_ZN6thrust23THRUST_200600_302600_NS11hip_rocprim14__parallel_for6kernelILj256ENS1_11__transform17unary_transform_fINS0_7pointerItNS1_3tagENS0_11use_defaultES8_EENS0_6detail15normal_iteratorINS0_10device_ptrIfEEEENS4_14no_stencil_tagENS0_8identityItEENS4_21always_true_predicateEEElLj1EEEvT0_T1_SL_
                                        ; -- End function
	.section	.AMDGPU.csdata,"",@progbits
; Kernel info:
; codeLenInByte = 308
; NumSgprs: 18
; NumVgprs: 5
; ScratchSize: 0
; MemoryBound: 0
; FloatMode: 240
; IeeeMode: 1
; LDSByteSize: 0 bytes/workgroup (compile time only)
; SGPRBlocks: 2
; VGPRBlocks: 0
; NumSGPRsForWavesPerEU: 18
; NumVGPRsForWavesPerEU: 5
; Occupancy: 16
; WaveLimiterHint : 0
; COMPUTE_PGM_RSRC2:SCRATCH_EN: 0
; COMPUTE_PGM_RSRC2:USER_SGPR: 15
; COMPUTE_PGM_RSRC2:TRAP_HANDLER: 0
; COMPUTE_PGM_RSRC2:TGID_X_EN: 1
; COMPUTE_PGM_RSRC2:TGID_Y_EN: 0
; COMPUTE_PGM_RSRC2:TGID_Z_EN: 0
; COMPUTE_PGM_RSRC2:TIDIG_COMP_CNT: 0
	.section	.text._ZN6thrust23THRUST_200600_302600_NS11hip_rocprim14__parallel_for6kernelILj256ENS1_11__transform17unary_transform_fINS0_7pointerIxNS1_3tagENS0_11use_defaultES8_EENS0_6detail15normal_iteratorINS0_10device_ptrIfEEEENS4_14no_stencil_tagENS0_8identityIxEENS4_21always_true_predicateEEElLj1EEEvT0_T1_SL_,"axG",@progbits,_ZN6thrust23THRUST_200600_302600_NS11hip_rocprim14__parallel_for6kernelILj256ENS1_11__transform17unary_transform_fINS0_7pointerIxNS1_3tagENS0_11use_defaultES8_EENS0_6detail15normal_iteratorINS0_10device_ptrIfEEEENS4_14no_stencil_tagENS0_8identityIxEENS4_21always_true_predicateEEElLj1EEEvT0_T1_SL_,comdat
	.protected	_ZN6thrust23THRUST_200600_302600_NS11hip_rocprim14__parallel_for6kernelILj256ENS1_11__transform17unary_transform_fINS0_7pointerIxNS1_3tagENS0_11use_defaultES8_EENS0_6detail15normal_iteratorINS0_10device_ptrIfEEEENS4_14no_stencil_tagENS0_8identityIxEENS4_21always_true_predicateEEElLj1EEEvT0_T1_SL_ ; -- Begin function _ZN6thrust23THRUST_200600_302600_NS11hip_rocprim14__parallel_for6kernelILj256ENS1_11__transform17unary_transform_fINS0_7pointerIxNS1_3tagENS0_11use_defaultES8_EENS0_6detail15normal_iteratorINS0_10device_ptrIfEEEENS4_14no_stencil_tagENS0_8identityIxEENS4_21always_true_predicateEEElLj1EEEvT0_T1_SL_
	.globl	_ZN6thrust23THRUST_200600_302600_NS11hip_rocprim14__parallel_for6kernelILj256ENS1_11__transform17unary_transform_fINS0_7pointerIxNS1_3tagENS0_11use_defaultES8_EENS0_6detail15normal_iteratorINS0_10device_ptrIfEEEENS4_14no_stencil_tagENS0_8identityIxEENS4_21always_true_predicateEEElLj1EEEvT0_T1_SL_
	.p2align	8
	.type	_ZN6thrust23THRUST_200600_302600_NS11hip_rocprim14__parallel_for6kernelILj256ENS1_11__transform17unary_transform_fINS0_7pointerIxNS1_3tagENS0_11use_defaultES8_EENS0_6detail15normal_iteratorINS0_10device_ptrIfEEEENS4_14no_stencil_tagENS0_8identityIxEENS4_21always_true_predicateEEElLj1EEEvT0_T1_SL_,@function
_ZN6thrust23THRUST_200600_302600_NS11hip_rocprim14__parallel_for6kernelILj256ENS1_11__transform17unary_transform_fINS0_7pointerIxNS1_3tagENS0_11use_defaultES8_EENS0_6detail15normal_iteratorINS0_10device_ptrIfEEEENS4_14no_stencil_tagENS0_8identityIxEENS4_21always_true_predicateEEElLj1EEEvT0_T1_SL_: ; @_ZN6thrust23THRUST_200600_302600_NS11hip_rocprim14__parallel_for6kernelILj256ENS1_11__transform17unary_transform_fINS0_7pointerIxNS1_3tagENS0_11use_defaultES8_EENS0_6detail15normal_iteratorINS0_10device_ptrIfEEEENS4_14no_stencil_tagENS0_8identityIxEENS4_21always_true_predicateEEElLj1EEEvT0_T1_SL_
; %bb.0:
	s_clause 0x1
	s_load_b128 s[8:11], s[0:1], 0x18
	s_load_b128 s[0:3], s[0:1], 0x0
	s_lshl_b32 s4, s15, 8
	s_waitcnt lgkmcnt(0)
	s_add_u32 s4, s4, s10
	s_addc_u32 s5, 0, s11
	s_sub_u32 s6, s8, s4
	s_subb_u32 s7, s9, s5
	s_delay_alu instid0(SALU_CYCLE_1) | instskip(NEXT) | instid1(VALU_DEP_1)
	v_cmp_gt_i64_e64 s7, 0x100, s[6:7]
	s_and_b32 s7, s7, exec_lo
	s_cselect_b32 s7, s6, 0x100
	s_mov_b32 s6, -1
	s_cmpk_lg_i32 s7, 0x100
	s_cbranch_scc1 .LBB88_3
; %bb.1:
	s_and_not1_b32 vcc_lo, exec_lo, s6
	s_cbranch_vccz .LBB88_6
.LBB88_2:
	s_endpgm
.LBB88_3:
	s_mov_b32 s6, exec_lo
	v_cmpx_gt_u32_e64 s7, v0
	s_cbranch_execz .LBB88_5
; %bb.4:
	v_add_co_u32 v1, s7, s4, v0
	s_delay_alu instid0(VALU_DEP_1) | instskip(NEXT) | instid1(VALU_DEP_1)
	v_add_co_ci_u32_e64 v2, null, s5, 0, s7
	v_lshlrev_b64 v[3:4], 3, v[1:2]
	v_lshlrev_b64 v[1:2], 2, v[1:2]
	s_delay_alu instid0(VALU_DEP_2) | instskip(NEXT) | instid1(VALU_DEP_3)
	v_add_co_u32 v3, vcc_lo, s0, v3
	v_add_co_ci_u32_e32 v4, vcc_lo, s1, v4, vcc_lo
	s_delay_alu instid0(VALU_DEP_3) | instskip(NEXT) | instid1(VALU_DEP_4)
	v_add_co_u32 v1, vcc_lo, s2, v1
	v_add_co_ci_u32_e32 v2, vcc_lo, s3, v2, vcc_lo
	flat_load_b64 v[3:4], v[3:4]
	s_waitcnt vmcnt(0) lgkmcnt(0)
	v_xor_b32_e32 v5, v3, v4
	v_cls_i32_e32 v6, v4
	s_delay_alu instid0(VALU_DEP_2) | instskip(NEXT) | instid1(VALU_DEP_2)
	v_ashrrev_i32_e32 v5, 31, v5
	v_add_nc_u32_e32 v6, -1, v6
	s_delay_alu instid0(VALU_DEP_2) | instskip(NEXT) | instid1(VALU_DEP_1)
	v_add_nc_u32_e32 v5, 32, v5
	v_min_u32_e32 v5, v6, v5
	s_delay_alu instid0(VALU_DEP_1) | instskip(NEXT) | instid1(VALU_DEP_1)
	v_lshlrev_b64 v[3:4], v5, v[3:4]
	v_min_u32_e32 v3, 1, v3
	s_delay_alu instid0(VALU_DEP_1) | instskip(SKIP_1) | instid1(VALU_DEP_2)
	v_or_b32_e32 v3, v4, v3
	v_sub_nc_u32_e32 v4, 32, v5
	v_cvt_f32_i32_e32 v3, v3
	s_delay_alu instid0(VALU_DEP_1)
	v_ldexp_f32 v3, v3, v4
	flat_store_b32 v[1:2], v3
.LBB88_5:
	s_or_b32 exec_lo, exec_lo, s6
	s_cbranch_execnz .LBB88_2
.LBB88_6:
	v_add_co_u32 v0, s4, s4, v0
	s_delay_alu instid0(VALU_DEP_1) | instskip(NEXT) | instid1(VALU_DEP_1)
	v_add_co_ci_u32_e64 v1, null, s5, 0, s4
	v_lshlrev_b64 v[2:3], 3, v[0:1]
	v_lshlrev_b64 v[0:1], 2, v[0:1]
	s_delay_alu instid0(VALU_DEP_2) | instskip(NEXT) | instid1(VALU_DEP_3)
	v_add_co_u32 v2, vcc_lo, s0, v2
	v_add_co_ci_u32_e32 v3, vcc_lo, s1, v3, vcc_lo
	s_delay_alu instid0(VALU_DEP_3) | instskip(NEXT) | instid1(VALU_DEP_4)
	v_add_co_u32 v0, vcc_lo, s2, v0
	v_add_co_ci_u32_e32 v1, vcc_lo, s3, v1, vcc_lo
	flat_load_b64 v[2:3], v[2:3]
	s_waitcnt vmcnt(0) lgkmcnt(0)
	v_xor_b32_e32 v4, v2, v3
	v_cls_i32_e32 v5, v3
	s_delay_alu instid0(VALU_DEP_2) | instskip(NEXT) | instid1(VALU_DEP_2)
	v_ashrrev_i32_e32 v4, 31, v4
	v_add_nc_u32_e32 v5, -1, v5
	s_delay_alu instid0(VALU_DEP_2) | instskip(NEXT) | instid1(VALU_DEP_1)
	v_add_nc_u32_e32 v4, 32, v4
	v_min_u32_e32 v4, v5, v4
	s_delay_alu instid0(VALU_DEP_1) | instskip(NEXT) | instid1(VALU_DEP_1)
	v_lshlrev_b64 v[2:3], v4, v[2:3]
	v_min_u32_e32 v2, 1, v2
	s_delay_alu instid0(VALU_DEP_1) | instskip(SKIP_1) | instid1(VALU_DEP_2)
	v_or_b32_e32 v2, v3, v2
	v_sub_nc_u32_e32 v3, 32, v4
	v_cvt_f32_i32_e32 v2, v2
	s_delay_alu instid0(VALU_DEP_1)
	v_ldexp_f32 v2, v2, v3
	flat_store_b32 v[0:1], v2
	s_endpgm
	.section	.rodata,"a",@progbits
	.p2align	6, 0x0
	.amdhsa_kernel _ZN6thrust23THRUST_200600_302600_NS11hip_rocprim14__parallel_for6kernelILj256ENS1_11__transform17unary_transform_fINS0_7pointerIxNS1_3tagENS0_11use_defaultES8_EENS0_6detail15normal_iteratorINS0_10device_ptrIfEEEENS4_14no_stencil_tagENS0_8identityIxEENS4_21always_true_predicateEEElLj1EEEvT0_T1_SL_
		.amdhsa_group_segment_fixed_size 0
		.amdhsa_private_segment_fixed_size 0
		.amdhsa_kernarg_size 40
		.amdhsa_user_sgpr_count 15
		.amdhsa_user_sgpr_dispatch_ptr 0
		.amdhsa_user_sgpr_queue_ptr 0
		.amdhsa_user_sgpr_kernarg_segment_ptr 1
		.amdhsa_user_sgpr_dispatch_id 0
		.amdhsa_user_sgpr_private_segment_size 0
		.amdhsa_wavefront_size32 1
		.amdhsa_uses_dynamic_stack 0
		.amdhsa_enable_private_segment 0
		.amdhsa_system_sgpr_workgroup_id_x 1
		.amdhsa_system_sgpr_workgroup_id_y 0
		.amdhsa_system_sgpr_workgroup_id_z 0
		.amdhsa_system_sgpr_workgroup_info 0
		.amdhsa_system_vgpr_workitem_id 0
		.amdhsa_next_free_vgpr 7
		.amdhsa_next_free_sgpr 16
		.amdhsa_reserve_vcc 1
		.amdhsa_float_round_mode_32 0
		.amdhsa_float_round_mode_16_64 0
		.amdhsa_float_denorm_mode_32 3
		.amdhsa_float_denorm_mode_16_64 3
		.amdhsa_dx10_clamp 1
		.amdhsa_ieee_mode 1
		.amdhsa_fp16_overflow 0
		.amdhsa_workgroup_processor_mode 1
		.amdhsa_memory_ordered 1
		.amdhsa_forward_progress 0
		.amdhsa_shared_vgpr_count 0
		.amdhsa_exception_fp_ieee_invalid_op 0
		.amdhsa_exception_fp_denorm_src 0
		.amdhsa_exception_fp_ieee_div_zero 0
		.amdhsa_exception_fp_ieee_overflow 0
		.amdhsa_exception_fp_ieee_underflow 0
		.amdhsa_exception_fp_ieee_inexact 0
		.amdhsa_exception_int_div_zero 0
	.end_amdhsa_kernel
	.section	.text._ZN6thrust23THRUST_200600_302600_NS11hip_rocprim14__parallel_for6kernelILj256ENS1_11__transform17unary_transform_fINS0_7pointerIxNS1_3tagENS0_11use_defaultES8_EENS0_6detail15normal_iteratorINS0_10device_ptrIfEEEENS4_14no_stencil_tagENS0_8identityIxEENS4_21always_true_predicateEEElLj1EEEvT0_T1_SL_,"axG",@progbits,_ZN6thrust23THRUST_200600_302600_NS11hip_rocprim14__parallel_for6kernelILj256ENS1_11__transform17unary_transform_fINS0_7pointerIxNS1_3tagENS0_11use_defaultES8_EENS0_6detail15normal_iteratorINS0_10device_ptrIfEEEENS4_14no_stencil_tagENS0_8identityIxEENS4_21always_true_predicateEEElLj1EEEvT0_T1_SL_,comdat
.Lfunc_end88:
	.size	_ZN6thrust23THRUST_200600_302600_NS11hip_rocprim14__parallel_for6kernelILj256ENS1_11__transform17unary_transform_fINS0_7pointerIxNS1_3tagENS0_11use_defaultES8_EENS0_6detail15normal_iteratorINS0_10device_ptrIfEEEENS4_14no_stencil_tagENS0_8identityIxEENS4_21always_true_predicateEEElLj1EEEvT0_T1_SL_, .Lfunc_end88-_ZN6thrust23THRUST_200600_302600_NS11hip_rocprim14__parallel_for6kernelILj256ENS1_11__transform17unary_transform_fINS0_7pointerIxNS1_3tagENS0_11use_defaultES8_EENS0_6detail15normal_iteratorINS0_10device_ptrIfEEEENS4_14no_stencil_tagENS0_8identityIxEENS4_21always_true_predicateEEElLj1EEEvT0_T1_SL_
                                        ; -- End function
	.section	.AMDGPU.csdata,"",@progbits
; Kernel info:
; codeLenInByte = 452
; NumSgprs: 18
; NumVgprs: 7
; ScratchSize: 0
; MemoryBound: 0
; FloatMode: 240
; IeeeMode: 1
; LDSByteSize: 0 bytes/workgroup (compile time only)
; SGPRBlocks: 2
; VGPRBlocks: 0
; NumSGPRsForWavesPerEU: 18
; NumVGPRsForWavesPerEU: 7
; Occupancy: 16
; WaveLimiterHint : 0
; COMPUTE_PGM_RSRC2:SCRATCH_EN: 0
; COMPUTE_PGM_RSRC2:USER_SGPR: 15
; COMPUTE_PGM_RSRC2:TRAP_HANDLER: 0
; COMPUTE_PGM_RSRC2:TGID_X_EN: 1
; COMPUTE_PGM_RSRC2:TGID_Y_EN: 0
; COMPUTE_PGM_RSRC2:TGID_Z_EN: 0
; COMPUTE_PGM_RSRC2:TIDIG_COMP_CNT: 0
	.section	.text._ZN6thrust23THRUST_200600_302600_NS11hip_rocprim14__parallel_for6kernelILj256ENS1_11__transform17unary_transform_fINS0_7pointerIiNS1_3tagENS0_11use_defaultES8_EENS0_6detail15normal_iteratorINS0_10device_ptrIfEEEENS4_14no_stencil_tagENS0_8identityIiEENS4_21always_true_predicateEEElLj1EEEvT0_T1_SL_,"axG",@progbits,_ZN6thrust23THRUST_200600_302600_NS11hip_rocprim14__parallel_for6kernelILj256ENS1_11__transform17unary_transform_fINS0_7pointerIiNS1_3tagENS0_11use_defaultES8_EENS0_6detail15normal_iteratorINS0_10device_ptrIfEEEENS4_14no_stencil_tagENS0_8identityIiEENS4_21always_true_predicateEEElLj1EEEvT0_T1_SL_,comdat
	.protected	_ZN6thrust23THRUST_200600_302600_NS11hip_rocprim14__parallel_for6kernelILj256ENS1_11__transform17unary_transform_fINS0_7pointerIiNS1_3tagENS0_11use_defaultES8_EENS0_6detail15normal_iteratorINS0_10device_ptrIfEEEENS4_14no_stencil_tagENS0_8identityIiEENS4_21always_true_predicateEEElLj1EEEvT0_T1_SL_ ; -- Begin function _ZN6thrust23THRUST_200600_302600_NS11hip_rocprim14__parallel_for6kernelILj256ENS1_11__transform17unary_transform_fINS0_7pointerIiNS1_3tagENS0_11use_defaultES8_EENS0_6detail15normal_iteratorINS0_10device_ptrIfEEEENS4_14no_stencil_tagENS0_8identityIiEENS4_21always_true_predicateEEElLj1EEEvT0_T1_SL_
	.globl	_ZN6thrust23THRUST_200600_302600_NS11hip_rocprim14__parallel_for6kernelILj256ENS1_11__transform17unary_transform_fINS0_7pointerIiNS1_3tagENS0_11use_defaultES8_EENS0_6detail15normal_iteratorINS0_10device_ptrIfEEEENS4_14no_stencil_tagENS0_8identityIiEENS4_21always_true_predicateEEElLj1EEEvT0_T1_SL_
	.p2align	8
	.type	_ZN6thrust23THRUST_200600_302600_NS11hip_rocprim14__parallel_for6kernelILj256ENS1_11__transform17unary_transform_fINS0_7pointerIiNS1_3tagENS0_11use_defaultES8_EENS0_6detail15normal_iteratorINS0_10device_ptrIfEEEENS4_14no_stencil_tagENS0_8identityIiEENS4_21always_true_predicateEEElLj1EEEvT0_T1_SL_,@function
_ZN6thrust23THRUST_200600_302600_NS11hip_rocprim14__parallel_for6kernelILj256ENS1_11__transform17unary_transform_fINS0_7pointerIiNS1_3tagENS0_11use_defaultES8_EENS0_6detail15normal_iteratorINS0_10device_ptrIfEEEENS4_14no_stencil_tagENS0_8identityIiEENS4_21always_true_predicateEEElLj1EEEvT0_T1_SL_: ; @_ZN6thrust23THRUST_200600_302600_NS11hip_rocprim14__parallel_for6kernelILj256ENS1_11__transform17unary_transform_fINS0_7pointerIiNS1_3tagENS0_11use_defaultES8_EENS0_6detail15normal_iteratorINS0_10device_ptrIfEEEENS4_14no_stencil_tagENS0_8identityIiEENS4_21always_true_predicateEEElLj1EEEvT0_T1_SL_
; %bb.0:
	s_clause 0x1
	s_load_b128 s[8:11], s[0:1], 0x18
	s_load_b128 s[0:3], s[0:1], 0x0
	s_lshl_b32 s4, s15, 8
	s_waitcnt lgkmcnt(0)
	s_add_u32 s4, s4, s10
	s_addc_u32 s5, 0, s11
	s_sub_u32 s6, s8, s4
	s_subb_u32 s7, s9, s5
	s_delay_alu instid0(SALU_CYCLE_1) | instskip(NEXT) | instid1(VALU_DEP_1)
	v_cmp_gt_i64_e64 s7, 0x100, s[6:7]
	s_and_b32 s7, s7, exec_lo
	s_cselect_b32 s7, s6, 0x100
	s_mov_b32 s6, -1
	s_cmpk_lg_i32 s7, 0x100
	s_cbranch_scc1 .LBB89_3
; %bb.1:
	s_and_not1_b32 vcc_lo, exec_lo, s6
	s_cbranch_vccz .LBB89_6
.LBB89_2:
	s_endpgm
.LBB89_3:
	s_mov_b32 s6, exec_lo
	v_cmpx_gt_u32_e64 s7, v0
	s_cbranch_execz .LBB89_5
; %bb.4:
	v_add_co_u32 v1, s7, s4, v0
	s_delay_alu instid0(VALU_DEP_1) | instskip(NEXT) | instid1(VALU_DEP_1)
	v_add_co_ci_u32_e64 v2, null, s5, 0, s7
	v_lshlrev_b64 v[1:2], 2, v[1:2]
	s_delay_alu instid0(VALU_DEP_1) | instskip(NEXT) | instid1(VALU_DEP_2)
	v_add_co_u32 v3, vcc_lo, s0, v1
	v_add_co_ci_u32_e32 v4, vcc_lo, s1, v2, vcc_lo
	v_add_co_u32 v1, vcc_lo, s2, v1
	v_add_co_ci_u32_e32 v2, vcc_lo, s3, v2, vcc_lo
	flat_load_b32 v3, v[3:4]
	s_waitcnt vmcnt(0) lgkmcnt(0)
	v_cvt_f32_i32_e32 v3, v3
	flat_store_b32 v[1:2], v3
.LBB89_5:
	s_or_b32 exec_lo, exec_lo, s6
	s_cbranch_execnz .LBB89_2
.LBB89_6:
	v_add_co_u32 v0, s4, s4, v0
	s_delay_alu instid0(VALU_DEP_1) | instskip(NEXT) | instid1(VALU_DEP_1)
	v_add_co_ci_u32_e64 v1, null, s5, 0, s4
	v_lshlrev_b64 v[0:1], 2, v[0:1]
	s_delay_alu instid0(VALU_DEP_1) | instskip(NEXT) | instid1(VALU_DEP_2)
	v_add_co_u32 v2, vcc_lo, s0, v0
	v_add_co_ci_u32_e32 v3, vcc_lo, s1, v1, vcc_lo
	v_add_co_u32 v0, vcc_lo, s2, v0
	v_add_co_ci_u32_e32 v1, vcc_lo, s3, v1, vcc_lo
	flat_load_b32 v2, v[2:3]
	s_waitcnt vmcnt(0) lgkmcnt(0)
	v_cvt_f32_i32_e32 v2, v2
	flat_store_b32 v[0:1], v2
	s_endpgm
	.section	.rodata,"a",@progbits
	.p2align	6, 0x0
	.amdhsa_kernel _ZN6thrust23THRUST_200600_302600_NS11hip_rocprim14__parallel_for6kernelILj256ENS1_11__transform17unary_transform_fINS0_7pointerIiNS1_3tagENS0_11use_defaultES8_EENS0_6detail15normal_iteratorINS0_10device_ptrIfEEEENS4_14no_stencil_tagENS0_8identityIiEENS4_21always_true_predicateEEElLj1EEEvT0_T1_SL_
		.amdhsa_group_segment_fixed_size 0
		.amdhsa_private_segment_fixed_size 0
		.amdhsa_kernarg_size 40
		.amdhsa_user_sgpr_count 15
		.amdhsa_user_sgpr_dispatch_ptr 0
		.amdhsa_user_sgpr_queue_ptr 0
		.amdhsa_user_sgpr_kernarg_segment_ptr 1
		.amdhsa_user_sgpr_dispatch_id 0
		.amdhsa_user_sgpr_private_segment_size 0
		.amdhsa_wavefront_size32 1
		.amdhsa_uses_dynamic_stack 0
		.amdhsa_enable_private_segment 0
		.amdhsa_system_sgpr_workgroup_id_x 1
		.amdhsa_system_sgpr_workgroup_id_y 0
		.amdhsa_system_sgpr_workgroup_id_z 0
		.amdhsa_system_sgpr_workgroup_info 0
		.amdhsa_system_vgpr_workitem_id 0
		.amdhsa_next_free_vgpr 5
		.amdhsa_next_free_sgpr 16
		.amdhsa_reserve_vcc 1
		.amdhsa_float_round_mode_32 0
		.amdhsa_float_round_mode_16_64 0
		.amdhsa_float_denorm_mode_32 3
		.amdhsa_float_denorm_mode_16_64 3
		.amdhsa_dx10_clamp 1
		.amdhsa_ieee_mode 1
		.amdhsa_fp16_overflow 0
		.amdhsa_workgroup_processor_mode 1
		.amdhsa_memory_ordered 1
		.amdhsa_forward_progress 0
		.amdhsa_shared_vgpr_count 0
		.amdhsa_exception_fp_ieee_invalid_op 0
		.amdhsa_exception_fp_denorm_src 0
		.amdhsa_exception_fp_ieee_div_zero 0
		.amdhsa_exception_fp_ieee_overflow 0
		.amdhsa_exception_fp_ieee_underflow 0
		.amdhsa_exception_fp_ieee_inexact 0
		.amdhsa_exception_int_div_zero 0
	.end_amdhsa_kernel
	.section	.text._ZN6thrust23THRUST_200600_302600_NS11hip_rocprim14__parallel_for6kernelILj256ENS1_11__transform17unary_transform_fINS0_7pointerIiNS1_3tagENS0_11use_defaultES8_EENS0_6detail15normal_iteratorINS0_10device_ptrIfEEEENS4_14no_stencil_tagENS0_8identityIiEENS4_21always_true_predicateEEElLj1EEEvT0_T1_SL_,"axG",@progbits,_ZN6thrust23THRUST_200600_302600_NS11hip_rocprim14__parallel_for6kernelILj256ENS1_11__transform17unary_transform_fINS0_7pointerIiNS1_3tagENS0_11use_defaultES8_EENS0_6detail15normal_iteratorINS0_10device_ptrIfEEEENS4_14no_stencil_tagENS0_8identityIiEENS4_21always_true_predicateEEElLj1EEEvT0_T1_SL_,comdat
.Lfunc_end89:
	.size	_ZN6thrust23THRUST_200600_302600_NS11hip_rocprim14__parallel_for6kernelILj256ENS1_11__transform17unary_transform_fINS0_7pointerIiNS1_3tagENS0_11use_defaultES8_EENS0_6detail15normal_iteratorINS0_10device_ptrIfEEEENS4_14no_stencil_tagENS0_8identityIiEENS4_21always_true_predicateEEElLj1EEEvT0_T1_SL_, .Lfunc_end89-_ZN6thrust23THRUST_200600_302600_NS11hip_rocprim14__parallel_for6kernelILj256ENS1_11__transform17unary_transform_fINS0_7pointerIiNS1_3tagENS0_11use_defaultES8_EENS0_6detail15normal_iteratorINS0_10device_ptrIfEEEENS4_14no_stencil_tagENS0_8identityIiEENS4_21always_true_predicateEEElLj1EEEvT0_T1_SL_
                                        ; -- End function
	.section	.AMDGPU.csdata,"",@progbits
; Kernel info:
; codeLenInByte = 284
; NumSgprs: 18
; NumVgprs: 5
; ScratchSize: 0
; MemoryBound: 0
; FloatMode: 240
; IeeeMode: 1
; LDSByteSize: 0 bytes/workgroup (compile time only)
; SGPRBlocks: 2
; VGPRBlocks: 0
; NumSGPRsForWavesPerEU: 18
; NumVGPRsForWavesPerEU: 5
; Occupancy: 16
; WaveLimiterHint : 0
; COMPUTE_PGM_RSRC2:SCRATCH_EN: 0
; COMPUTE_PGM_RSRC2:USER_SGPR: 15
; COMPUTE_PGM_RSRC2:TRAP_HANDLER: 0
; COMPUTE_PGM_RSRC2:TGID_X_EN: 1
; COMPUTE_PGM_RSRC2:TGID_Y_EN: 0
; COMPUTE_PGM_RSRC2:TGID_Z_EN: 0
; COMPUTE_PGM_RSRC2:TIDIG_COMP_CNT: 0
	.section	.text._ZN6thrust23THRUST_200600_302600_NS11hip_rocprim14__parallel_for6kernelILj256ENS1_11__transform17unary_transform_fINS0_7pointerIsNS1_3tagENS0_11use_defaultES8_EENS0_6detail15normal_iteratorINS0_10device_ptrIfEEEENS4_14no_stencil_tagENS0_8identityIsEENS4_21always_true_predicateEEElLj1EEEvT0_T1_SL_,"axG",@progbits,_ZN6thrust23THRUST_200600_302600_NS11hip_rocprim14__parallel_for6kernelILj256ENS1_11__transform17unary_transform_fINS0_7pointerIsNS1_3tagENS0_11use_defaultES8_EENS0_6detail15normal_iteratorINS0_10device_ptrIfEEEENS4_14no_stencil_tagENS0_8identityIsEENS4_21always_true_predicateEEElLj1EEEvT0_T1_SL_,comdat
	.protected	_ZN6thrust23THRUST_200600_302600_NS11hip_rocprim14__parallel_for6kernelILj256ENS1_11__transform17unary_transform_fINS0_7pointerIsNS1_3tagENS0_11use_defaultES8_EENS0_6detail15normal_iteratorINS0_10device_ptrIfEEEENS4_14no_stencil_tagENS0_8identityIsEENS4_21always_true_predicateEEElLj1EEEvT0_T1_SL_ ; -- Begin function _ZN6thrust23THRUST_200600_302600_NS11hip_rocprim14__parallel_for6kernelILj256ENS1_11__transform17unary_transform_fINS0_7pointerIsNS1_3tagENS0_11use_defaultES8_EENS0_6detail15normal_iteratorINS0_10device_ptrIfEEEENS4_14no_stencil_tagENS0_8identityIsEENS4_21always_true_predicateEEElLj1EEEvT0_T1_SL_
	.globl	_ZN6thrust23THRUST_200600_302600_NS11hip_rocprim14__parallel_for6kernelILj256ENS1_11__transform17unary_transform_fINS0_7pointerIsNS1_3tagENS0_11use_defaultES8_EENS0_6detail15normal_iteratorINS0_10device_ptrIfEEEENS4_14no_stencil_tagENS0_8identityIsEENS4_21always_true_predicateEEElLj1EEEvT0_T1_SL_
	.p2align	8
	.type	_ZN6thrust23THRUST_200600_302600_NS11hip_rocprim14__parallel_for6kernelILj256ENS1_11__transform17unary_transform_fINS0_7pointerIsNS1_3tagENS0_11use_defaultES8_EENS0_6detail15normal_iteratorINS0_10device_ptrIfEEEENS4_14no_stencil_tagENS0_8identityIsEENS4_21always_true_predicateEEElLj1EEEvT0_T1_SL_,@function
_ZN6thrust23THRUST_200600_302600_NS11hip_rocprim14__parallel_for6kernelILj256ENS1_11__transform17unary_transform_fINS0_7pointerIsNS1_3tagENS0_11use_defaultES8_EENS0_6detail15normal_iteratorINS0_10device_ptrIfEEEENS4_14no_stencil_tagENS0_8identityIsEENS4_21always_true_predicateEEElLj1EEEvT0_T1_SL_: ; @_ZN6thrust23THRUST_200600_302600_NS11hip_rocprim14__parallel_for6kernelILj256ENS1_11__transform17unary_transform_fINS0_7pointerIsNS1_3tagENS0_11use_defaultES8_EENS0_6detail15normal_iteratorINS0_10device_ptrIfEEEENS4_14no_stencil_tagENS0_8identityIsEENS4_21always_true_predicateEEElLj1EEEvT0_T1_SL_
; %bb.0:
	s_clause 0x1
	s_load_b128 s[8:11], s[0:1], 0x18
	s_load_b128 s[0:3], s[0:1], 0x0
	s_lshl_b32 s4, s15, 8
	s_waitcnt lgkmcnt(0)
	s_add_u32 s4, s4, s10
	s_addc_u32 s5, 0, s11
	s_sub_u32 s6, s8, s4
	s_subb_u32 s7, s9, s5
	s_delay_alu instid0(SALU_CYCLE_1) | instskip(NEXT) | instid1(VALU_DEP_1)
	v_cmp_gt_i64_e64 s7, 0x100, s[6:7]
	s_and_b32 s7, s7, exec_lo
	s_cselect_b32 s7, s6, 0x100
	s_mov_b32 s6, -1
	s_cmpk_lg_i32 s7, 0x100
	s_cbranch_scc1 .LBB90_3
; %bb.1:
	s_and_not1_b32 vcc_lo, exec_lo, s6
	s_cbranch_vccz .LBB90_6
.LBB90_2:
	s_endpgm
.LBB90_3:
	s_mov_b32 s6, exec_lo
	v_cmpx_gt_u32_e64 s7, v0
	s_cbranch_execz .LBB90_5
; %bb.4:
	v_add_co_u32 v1, s7, s4, v0
	s_delay_alu instid0(VALU_DEP_1) | instskip(NEXT) | instid1(VALU_DEP_1)
	v_add_co_ci_u32_e64 v2, null, s5, 0, s7
	v_lshlrev_b64 v[3:4], 1, v[1:2]
	v_lshlrev_b64 v[1:2], 2, v[1:2]
	s_delay_alu instid0(VALU_DEP_2) | instskip(NEXT) | instid1(VALU_DEP_3)
	v_add_co_u32 v3, vcc_lo, s0, v3
	v_add_co_ci_u32_e32 v4, vcc_lo, s1, v4, vcc_lo
	s_delay_alu instid0(VALU_DEP_3) | instskip(NEXT) | instid1(VALU_DEP_4)
	v_add_co_u32 v1, vcc_lo, s2, v1
	v_add_co_ci_u32_e32 v2, vcc_lo, s3, v2, vcc_lo
	flat_load_i16 v3, v[3:4]
	s_waitcnt vmcnt(0) lgkmcnt(0)
	v_cvt_f32_i32_e32 v3, v3
	flat_store_b32 v[1:2], v3
.LBB90_5:
	s_or_b32 exec_lo, exec_lo, s6
	s_cbranch_execnz .LBB90_2
.LBB90_6:
	v_add_co_u32 v0, s4, s4, v0
	s_delay_alu instid0(VALU_DEP_1) | instskip(NEXT) | instid1(VALU_DEP_1)
	v_add_co_ci_u32_e64 v1, null, s5, 0, s4
	v_lshlrev_b64 v[2:3], 1, v[0:1]
	v_lshlrev_b64 v[0:1], 2, v[0:1]
	s_delay_alu instid0(VALU_DEP_2) | instskip(NEXT) | instid1(VALU_DEP_3)
	v_add_co_u32 v2, vcc_lo, s0, v2
	v_add_co_ci_u32_e32 v3, vcc_lo, s1, v3, vcc_lo
	s_delay_alu instid0(VALU_DEP_3) | instskip(NEXT) | instid1(VALU_DEP_4)
	v_add_co_u32 v0, vcc_lo, s2, v0
	v_add_co_ci_u32_e32 v1, vcc_lo, s3, v1, vcc_lo
	flat_load_i16 v2, v[2:3]
	s_waitcnt vmcnt(0) lgkmcnt(0)
	v_cvt_f32_i32_e32 v2, v2
	flat_store_b32 v[0:1], v2
	s_endpgm
	.section	.rodata,"a",@progbits
	.p2align	6, 0x0
	.amdhsa_kernel _ZN6thrust23THRUST_200600_302600_NS11hip_rocprim14__parallel_for6kernelILj256ENS1_11__transform17unary_transform_fINS0_7pointerIsNS1_3tagENS0_11use_defaultES8_EENS0_6detail15normal_iteratorINS0_10device_ptrIfEEEENS4_14no_stencil_tagENS0_8identityIsEENS4_21always_true_predicateEEElLj1EEEvT0_T1_SL_
		.amdhsa_group_segment_fixed_size 0
		.amdhsa_private_segment_fixed_size 0
		.amdhsa_kernarg_size 40
		.amdhsa_user_sgpr_count 15
		.amdhsa_user_sgpr_dispatch_ptr 0
		.amdhsa_user_sgpr_queue_ptr 0
		.amdhsa_user_sgpr_kernarg_segment_ptr 1
		.amdhsa_user_sgpr_dispatch_id 0
		.amdhsa_user_sgpr_private_segment_size 0
		.amdhsa_wavefront_size32 1
		.amdhsa_uses_dynamic_stack 0
		.amdhsa_enable_private_segment 0
		.amdhsa_system_sgpr_workgroup_id_x 1
		.amdhsa_system_sgpr_workgroup_id_y 0
		.amdhsa_system_sgpr_workgroup_id_z 0
		.amdhsa_system_sgpr_workgroup_info 0
		.amdhsa_system_vgpr_workitem_id 0
		.amdhsa_next_free_vgpr 5
		.amdhsa_next_free_sgpr 16
		.amdhsa_reserve_vcc 1
		.amdhsa_float_round_mode_32 0
		.amdhsa_float_round_mode_16_64 0
		.amdhsa_float_denorm_mode_32 3
		.amdhsa_float_denorm_mode_16_64 3
		.amdhsa_dx10_clamp 1
		.amdhsa_ieee_mode 1
		.amdhsa_fp16_overflow 0
		.amdhsa_workgroup_processor_mode 1
		.amdhsa_memory_ordered 1
		.amdhsa_forward_progress 0
		.amdhsa_shared_vgpr_count 0
		.amdhsa_exception_fp_ieee_invalid_op 0
		.amdhsa_exception_fp_denorm_src 0
		.amdhsa_exception_fp_ieee_div_zero 0
		.amdhsa_exception_fp_ieee_overflow 0
		.amdhsa_exception_fp_ieee_underflow 0
		.amdhsa_exception_fp_ieee_inexact 0
		.amdhsa_exception_int_div_zero 0
	.end_amdhsa_kernel
	.section	.text._ZN6thrust23THRUST_200600_302600_NS11hip_rocprim14__parallel_for6kernelILj256ENS1_11__transform17unary_transform_fINS0_7pointerIsNS1_3tagENS0_11use_defaultES8_EENS0_6detail15normal_iteratorINS0_10device_ptrIfEEEENS4_14no_stencil_tagENS0_8identityIsEENS4_21always_true_predicateEEElLj1EEEvT0_T1_SL_,"axG",@progbits,_ZN6thrust23THRUST_200600_302600_NS11hip_rocprim14__parallel_for6kernelILj256ENS1_11__transform17unary_transform_fINS0_7pointerIsNS1_3tagENS0_11use_defaultES8_EENS0_6detail15normal_iteratorINS0_10device_ptrIfEEEENS4_14no_stencil_tagENS0_8identityIsEENS4_21always_true_predicateEEElLj1EEEvT0_T1_SL_,comdat
.Lfunc_end90:
	.size	_ZN6thrust23THRUST_200600_302600_NS11hip_rocprim14__parallel_for6kernelILj256ENS1_11__transform17unary_transform_fINS0_7pointerIsNS1_3tagENS0_11use_defaultES8_EENS0_6detail15normal_iteratorINS0_10device_ptrIfEEEENS4_14no_stencil_tagENS0_8identityIsEENS4_21always_true_predicateEEElLj1EEEvT0_T1_SL_, .Lfunc_end90-_ZN6thrust23THRUST_200600_302600_NS11hip_rocprim14__parallel_for6kernelILj256ENS1_11__transform17unary_transform_fINS0_7pointerIsNS1_3tagENS0_11use_defaultES8_EENS0_6detail15normal_iteratorINS0_10device_ptrIfEEEENS4_14no_stencil_tagENS0_8identityIsEENS4_21always_true_predicateEEElLj1EEEvT0_T1_SL_
                                        ; -- End function
	.section	.AMDGPU.csdata,"",@progbits
; Kernel info:
; codeLenInByte = 308
; NumSgprs: 18
; NumVgprs: 5
; ScratchSize: 0
; MemoryBound: 0
; FloatMode: 240
; IeeeMode: 1
; LDSByteSize: 0 bytes/workgroup (compile time only)
; SGPRBlocks: 2
; VGPRBlocks: 0
; NumSGPRsForWavesPerEU: 18
; NumVGPRsForWavesPerEU: 5
; Occupancy: 16
; WaveLimiterHint : 0
; COMPUTE_PGM_RSRC2:SCRATCH_EN: 0
; COMPUTE_PGM_RSRC2:USER_SGPR: 15
; COMPUTE_PGM_RSRC2:TRAP_HANDLER: 0
; COMPUTE_PGM_RSRC2:TGID_X_EN: 1
; COMPUTE_PGM_RSRC2:TGID_Y_EN: 0
; COMPUTE_PGM_RSRC2:TGID_Z_EN: 0
; COMPUTE_PGM_RSRC2:TIDIG_COMP_CNT: 0
	.section	.text._ZN6thrust23THRUST_200600_302600_NS11hip_rocprim14__parallel_for6kernelILj256ENS1_20__uninitialized_fill7functorINS0_10device_ptrIbEEbEEmLj1EEEvT0_T1_SA_,"axG",@progbits,_ZN6thrust23THRUST_200600_302600_NS11hip_rocprim14__parallel_for6kernelILj256ENS1_20__uninitialized_fill7functorINS0_10device_ptrIbEEbEEmLj1EEEvT0_T1_SA_,comdat
	.protected	_ZN6thrust23THRUST_200600_302600_NS11hip_rocprim14__parallel_for6kernelILj256ENS1_20__uninitialized_fill7functorINS0_10device_ptrIbEEbEEmLj1EEEvT0_T1_SA_ ; -- Begin function _ZN6thrust23THRUST_200600_302600_NS11hip_rocprim14__parallel_for6kernelILj256ENS1_20__uninitialized_fill7functorINS0_10device_ptrIbEEbEEmLj1EEEvT0_T1_SA_
	.globl	_ZN6thrust23THRUST_200600_302600_NS11hip_rocprim14__parallel_for6kernelILj256ENS1_20__uninitialized_fill7functorINS0_10device_ptrIbEEbEEmLj1EEEvT0_T1_SA_
	.p2align	8
	.type	_ZN6thrust23THRUST_200600_302600_NS11hip_rocprim14__parallel_for6kernelILj256ENS1_20__uninitialized_fill7functorINS0_10device_ptrIbEEbEEmLj1EEEvT0_T1_SA_,@function
_ZN6thrust23THRUST_200600_302600_NS11hip_rocprim14__parallel_for6kernelILj256ENS1_20__uninitialized_fill7functorINS0_10device_ptrIbEEbEEmLj1EEEvT0_T1_SA_: ; @_ZN6thrust23THRUST_200600_302600_NS11hip_rocprim14__parallel_for6kernelILj256ENS1_20__uninitialized_fill7functorINS0_10device_ptrIbEEbEEmLj1EEEvT0_T1_SA_
; %bb.0:
	s_load_b128 s[8:11], s[0:1], 0x10
	s_lshl_b32 s2, s15, 8
	s_waitcnt lgkmcnt(0)
	s_add_u32 s4, s2, s10
	s_addc_u32 s5, 0, s11
	s_sub_u32 s2, s8, s4
	s_subb_u32 s3, s9, s5
	s_delay_alu instid0(SALU_CYCLE_1) | instskip(NEXT) | instid1(VALU_DEP_1)
	v_cmp_gt_u64_e64 s3, 0x100, s[2:3]
	s_and_b32 vcc_lo, exec_lo, s3
	s_mov_b32 s3, 0
	s_cbranch_vccz .LBB91_2
; %bb.1:
	v_cmp_gt_u32_e32 vcc_lo, s2, v0
	s_and_b32 s3, vcc_lo, exec_lo
	s_cbranch_execz .LBB91_3
	s_branch .LBB91_4
.LBB91_2:
.LBB91_3:
	s_or_b32 s3, s3, exec_lo
.LBB91_4:
	s_delay_alu instid0(SALU_CYCLE_1)
	s_and_saveexec_b32 s2, s3
	s_cbranch_execnz .LBB91_6
; %bb.5:
	s_endpgm
.LBB91_6:
	s_clause 0x1
	s_load_b64 s[2:3], s[0:1], 0x0
	s_load_b32 s0, s[0:1], 0x8
	s_waitcnt lgkmcnt(0)
	s_add_u32 s1, s2, s4
	s_addc_u32 s2, s3, s5
	v_add_co_u32 v0, s1, s1, v0
	s_delay_alu instid0(VALU_DEP_1)
	v_add_co_ci_u32_e64 v1, null, s2, 0, s1
	v_mov_b32_e32 v2, s0
	flat_store_b8 v[0:1], v2
	s_endpgm
	.section	.rodata,"a",@progbits
	.p2align	6, 0x0
	.amdhsa_kernel _ZN6thrust23THRUST_200600_302600_NS11hip_rocprim14__parallel_for6kernelILj256ENS1_20__uninitialized_fill7functorINS0_10device_ptrIbEEbEEmLj1EEEvT0_T1_SA_
		.amdhsa_group_segment_fixed_size 0
		.amdhsa_private_segment_fixed_size 0
		.amdhsa_kernarg_size 32
		.amdhsa_user_sgpr_count 15
		.amdhsa_user_sgpr_dispatch_ptr 0
		.amdhsa_user_sgpr_queue_ptr 0
		.amdhsa_user_sgpr_kernarg_segment_ptr 1
		.amdhsa_user_sgpr_dispatch_id 0
		.amdhsa_user_sgpr_private_segment_size 0
		.amdhsa_wavefront_size32 1
		.amdhsa_uses_dynamic_stack 0
		.amdhsa_enable_private_segment 0
		.amdhsa_system_sgpr_workgroup_id_x 1
		.amdhsa_system_sgpr_workgroup_id_y 0
		.amdhsa_system_sgpr_workgroup_id_z 0
		.amdhsa_system_sgpr_workgroup_info 0
		.amdhsa_system_vgpr_workitem_id 0
		.amdhsa_next_free_vgpr 3
		.amdhsa_next_free_sgpr 16
		.amdhsa_reserve_vcc 1
		.amdhsa_float_round_mode_32 0
		.amdhsa_float_round_mode_16_64 0
		.amdhsa_float_denorm_mode_32 3
		.amdhsa_float_denorm_mode_16_64 3
		.amdhsa_dx10_clamp 1
		.amdhsa_ieee_mode 1
		.amdhsa_fp16_overflow 0
		.amdhsa_workgroup_processor_mode 1
		.amdhsa_memory_ordered 1
		.amdhsa_forward_progress 0
		.amdhsa_shared_vgpr_count 0
		.amdhsa_exception_fp_ieee_invalid_op 0
		.amdhsa_exception_fp_denorm_src 0
		.amdhsa_exception_fp_ieee_div_zero 0
		.amdhsa_exception_fp_ieee_overflow 0
		.amdhsa_exception_fp_ieee_underflow 0
		.amdhsa_exception_fp_ieee_inexact 0
		.amdhsa_exception_int_div_zero 0
	.end_amdhsa_kernel
	.section	.text._ZN6thrust23THRUST_200600_302600_NS11hip_rocprim14__parallel_for6kernelILj256ENS1_20__uninitialized_fill7functorINS0_10device_ptrIbEEbEEmLj1EEEvT0_T1_SA_,"axG",@progbits,_ZN6thrust23THRUST_200600_302600_NS11hip_rocprim14__parallel_for6kernelILj256ENS1_20__uninitialized_fill7functorINS0_10device_ptrIbEEbEEmLj1EEEvT0_T1_SA_,comdat
.Lfunc_end91:
	.size	_ZN6thrust23THRUST_200600_302600_NS11hip_rocprim14__parallel_for6kernelILj256ENS1_20__uninitialized_fill7functorINS0_10device_ptrIbEEbEEmLj1EEEvT0_T1_SA_, .Lfunc_end91-_ZN6thrust23THRUST_200600_302600_NS11hip_rocprim14__parallel_for6kernelILj256ENS1_20__uninitialized_fill7functorINS0_10device_ptrIbEEbEEmLj1EEEvT0_T1_SA_
                                        ; -- End function
	.section	.AMDGPU.csdata,"",@progbits
; Kernel info:
; codeLenInByte = 164
; NumSgprs: 18
; NumVgprs: 3
; ScratchSize: 0
; MemoryBound: 0
; FloatMode: 240
; IeeeMode: 1
; LDSByteSize: 0 bytes/workgroup (compile time only)
; SGPRBlocks: 2
; VGPRBlocks: 0
; NumSGPRsForWavesPerEU: 18
; NumVGPRsForWavesPerEU: 3
; Occupancy: 16
; WaveLimiterHint : 0
; COMPUTE_PGM_RSRC2:SCRATCH_EN: 0
; COMPUTE_PGM_RSRC2:USER_SGPR: 15
; COMPUTE_PGM_RSRC2:TRAP_HANDLER: 0
; COMPUTE_PGM_RSRC2:TGID_X_EN: 1
; COMPUTE_PGM_RSRC2:TGID_Y_EN: 0
; COMPUTE_PGM_RSRC2:TGID_Z_EN: 0
; COMPUTE_PGM_RSRC2:TIDIG_COMP_CNT: 0
	.section	.text._ZN6thrust23THRUST_200600_302600_NS11hip_rocprim14__parallel_for6kernelILj256ENS1_11__transform17unary_transform_fINS0_7pointerI10large_dataNS1_3tagENS0_11use_defaultES9_EENS0_6detail15normal_iteratorINS0_10device_ptrIS7_EEEENS4_14no_stencil_tagENS0_8identityIS7_EENS4_21always_true_predicateEEElLj1EEEvT0_T1_SM_,"axG",@progbits,_ZN6thrust23THRUST_200600_302600_NS11hip_rocprim14__parallel_for6kernelILj256ENS1_11__transform17unary_transform_fINS0_7pointerI10large_dataNS1_3tagENS0_11use_defaultES9_EENS0_6detail15normal_iteratorINS0_10device_ptrIS7_EEEENS4_14no_stencil_tagENS0_8identityIS7_EENS4_21always_true_predicateEEElLj1EEEvT0_T1_SM_,comdat
	.protected	_ZN6thrust23THRUST_200600_302600_NS11hip_rocprim14__parallel_for6kernelILj256ENS1_11__transform17unary_transform_fINS0_7pointerI10large_dataNS1_3tagENS0_11use_defaultES9_EENS0_6detail15normal_iteratorINS0_10device_ptrIS7_EEEENS4_14no_stencil_tagENS0_8identityIS7_EENS4_21always_true_predicateEEElLj1EEEvT0_T1_SM_ ; -- Begin function _ZN6thrust23THRUST_200600_302600_NS11hip_rocprim14__parallel_for6kernelILj256ENS1_11__transform17unary_transform_fINS0_7pointerI10large_dataNS1_3tagENS0_11use_defaultES9_EENS0_6detail15normal_iteratorINS0_10device_ptrIS7_EEEENS4_14no_stencil_tagENS0_8identityIS7_EENS4_21always_true_predicateEEElLj1EEEvT0_T1_SM_
	.globl	_ZN6thrust23THRUST_200600_302600_NS11hip_rocprim14__parallel_for6kernelILj256ENS1_11__transform17unary_transform_fINS0_7pointerI10large_dataNS1_3tagENS0_11use_defaultES9_EENS0_6detail15normal_iteratorINS0_10device_ptrIS7_EEEENS4_14no_stencil_tagENS0_8identityIS7_EENS4_21always_true_predicateEEElLj1EEEvT0_T1_SM_
	.p2align	8
	.type	_ZN6thrust23THRUST_200600_302600_NS11hip_rocprim14__parallel_for6kernelILj256ENS1_11__transform17unary_transform_fINS0_7pointerI10large_dataNS1_3tagENS0_11use_defaultES9_EENS0_6detail15normal_iteratorINS0_10device_ptrIS7_EEEENS4_14no_stencil_tagENS0_8identityIS7_EENS4_21always_true_predicateEEElLj1EEEvT0_T1_SM_,@function
_ZN6thrust23THRUST_200600_302600_NS11hip_rocprim14__parallel_for6kernelILj256ENS1_11__transform17unary_transform_fINS0_7pointerI10large_dataNS1_3tagENS0_11use_defaultES9_EENS0_6detail15normal_iteratorINS0_10device_ptrIS7_EEEENS4_14no_stencil_tagENS0_8identityIS7_EENS4_21always_true_predicateEEElLj1EEEvT0_T1_SM_: ; @_ZN6thrust23THRUST_200600_302600_NS11hip_rocprim14__parallel_for6kernelILj256ENS1_11__transform17unary_transform_fINS0_7pointerI10large_dataNS1_3tagENS0_11use_defaultES9_EENS0_6detail15normal_iteratorINS0_10device_ptrIS7_EEEENS4_14no_stencil_tagENS0_8identityIS7_EENS4_21always_true_predicateEEElLj1EEEvT0_T1_SM_
; %bb.0:
	s_clause 0x1
	s_load_b128 s[8:11], s[0:1], 0x18
	s_load_b128 s[0:3], s[0:1], 0x0
	s_lshl_b32 s4, s15, 8
	s_waitcnt lgkmcnt(0)
	s_add_u32 s5, s4, s10
	s_addc_u32 s6, 0, s11
	s_sub_u32 s8, s8, s5
	s_subb_u32 s9, s9, s6
	s_delay_alu instid0(SALU_CYCLE_1) | instskip(NEXT) | instid1(VALU_DEP_1)
	v_cmp_gt_i64_e64 s4, 0x100, s[8:9]
	s_and_b32 s4, s4, exec_lo
	s_cselect_b32 s7, s8, 0x100
	s_mov_b32 s4, 0
	s_cmpk_lg_i32 s7, 0x100
	s_cbranch_scc0 .LBB92_4
; %bb.1:
	v_cmp_gt_u32_e32 vcc_lo, s7, v0
	s_mov_b32 s7, 0
                                        ; implicit-def: $vgpr1_vgpr2
                                        ; implicit-def: $vgpr3_vgpr4
	s_and_saveexec_b32 s8, vcc_lo
	s_delay_alu instid0(SALU_CYCLE_1)
	s_xor_b32 s8, exec_lo, s8
; %bb.2:
	v_add_co_u32 v1, s9, s5, v0
	s_delay_alu instid0(VALU_DEP_1) | instskip(SKIP_1) | instid1(VALU_DEP_1)
	v_add_co_ci_u32_e64 v2, null, s6, 0, s9
	s_mov_b32 s4, exec_lo
	v_lshlrev_b64 v[3:4], 9, v[1:2]
	s_delay_alu instid0(VALU_DEP_1) | instskip(NEXT) | instid1(VALU_DEP_2)
	v_add_co_u32 v1, vcc_lo, s2, v3
	v_add_co_ci_u32_e32 v2, vcc_lo, s3, v4, vcc_lo
	v_add_co_u32 v3, vcc_lo, s0, v3
	v_add_co_ci_u32_e32 v4, vcc_lo, s1, v4, vcc_lo
; %bb.3:
	s_or_b32 exec_lo, exec_lo, s8
	s_delay_alu instid0(SALU_CYCLE_1)
	s_and_b32 vcc_lo, exec_lo, s7
	s_cbranch_vccnz .LBB92_5
	s_branch .LBB92_6
.LBB92_4:
                                        ; implicit-def: $vgpr1_vgpr2
                                        ; implicit-def: $vgpr3_vgpr4
	s_cbranch_execz .LBB92_6
.LBB92_5:
	v_add_co_u32 v0, s5, s5, v0
	s_delay_alu instid0(VALU_DEP_1) | instskip(SKIP_1) | instid1(VALU_DEP_1)
	v_add_co_ci_u32_e64 v1, null, s6, 0, s5
	s_or_b32 s4, s4, exec_lo
	v_lshlrev_b64 v[1:2], 9, v[0:1]
	s_delay_alu instid0(VALU_DEP_1) | instskip(NEXT) | instid1(VALU_DEP_2)
	v_add_co_u32 v3, vcc_lo, s0, v1
	v_add_co_ci_u32_e32 v4, vcc_lo, s1, v2, vcc_lo
	v_add_co_u32 v1, vcc_lo, s2, v1
	v_add_co_ci_u32_e32 v2, vcc_lo, s3, v2, vcc_lo
.LBB92_6:
	s_and_saveexec_b32 s0, s4
	s_cbranch_execnz .LBB92_8
; %bb.7:
	s_endpgm
.LBB92_8:
	flat_load_u8 v0, v[3:4]
	s_waitcnt vmcnt(0) lgkmcnt(0)
	flat_store_b8 v[1:2], v0
	s_endpgm
	.section	.rodata,"a",@progbits
	.p2align	6, 0x0
	.amdhsa_kernel _ZN6thrust23THRUST_200600_302600_NS11hip_rocprim14__parallel_for6kernelILj256ENS1_11__transform17unary_transform_fINS0_7pointerI10large_dataNS1_3tagENS0_11use_defaultES9_EENS0_6detail15normal_iteratorINS0_10device_ptrIS7_EEEENS4_14no_stencil_tagENS0_8identityIS7_EENS4_21always_true_predicateEEElLj1EEEvT0_T1_SM_
		.amdhsa_group_segment_fixed_size 0
		.amdhsa_private_segment_fixed_size 0
		.amdhsa_kernarg_size 40
		.amdhsa_user_sgpr_count 15
		.amdhsa_user_sgpr_dispatch_ptr 0
		.amdhsa_user_sgpr_queue_ptr 0
		.amdhsa_user_sgpr_kernarg_segment_ptr 1
		.amdhsa_user_sgpr_dispatch_id 0
		.amdhsa_user_sgpr_private_segment_size 0
		.amdhsa_wavefront_size32 1
		.amdhsa_uses_dynamic_stack 0
		.amdhsa_enable_private_segment 0
		.amdhsa_system_sgpr_workgroup_id_x 1
		.amdhsa_system_sgpr_workgroup_id_y 0
		.amdhsa_system_sgpr_workgroup_id_z 0
		.amdhsa_system_sgpr_workgroup_info 0
		.amdhsa_system_vgpr_workitem_id 0
		.amdhsa_next_free_vgpr 5
		.amdhsa_next_free_sgpr 16
		.amdhsa_reserve_vcc 1
		.amdhsa_float_round_mode_32 0
		.amdhsa_float_round_mode_16_64 0
		.amdhsa_float_denorm_mode_32 3
		.amdhsa_float_denorm_mode_16_64 3
		.amdhsa_dx10_clamp 1
		.amdhsa_ieee_mode 1
		.amdhsa_fp16_overflow 0
		.amdhsa_workgroup_processor_mode 1
		.amdhsa_memory_ordered 1
		.amdhsa_forward_progress 0
		.amdhsa_shared_vgpr_count 0
		.amdhsa_exception_fp_ieee_invalid_op 0
		.amdhsa_exception_fp_denorm_src 0
		.amdhsa_exception_fp_ieee_div_zero 0
		.amdhsa_exception_fp_ieee_overflow 0
		.amdhsa_exception_fp_ieee_underflow 0
		.amdhsa_exception_fp_ieee_inexact 0
		.amdhsa_exception_int_div_zero 0
	.end_amdhsa_kernel
	.section	.text._ZN6thrust23THRUST_200600_302600_NS11hip_rocprim14__parallel_for6kernelILj256ENS1_11__transform17unary_transform_fINS0_7pointerI10large_dataNS1_3tagENS0_11use_defaultES9_EENS0_6detail15normal_iteratorINS0_10device_ptrIS7_EEEENS4_14no_stencil_tagENS0_8identityIS7_EENS4_21always_true_predicateEEElLj1EEEvT0_T1_SM_,"axG",@progbits,_ZN6thrust23THRUST_200600_302600_NS11hip_rocprim14__parallel_for6kernelILj256ENS1_11__transform17unary_transform_fINS0_7pointerI10large_dataNS1_3tagENS0_11use_defaultES9_EENS0_6detail15normal_iteratorINS0_10device_ptrIS7_EEEENS4_14no_stencil_tagENS0_8identityIS7_EENS4_21always_true_predicateEEElLj1EEEvT0_T1_SM_,comdat
.Lfunc_end92:
	.size	_ZN6thrust23THRUST_200600_302600_NS11hip_rocprim14__parallel_for6kernelILj256ENS1_11__transform17unary_transform_fINS0_7pointerI10large_dataNS1_3tagENS0_11use_defaultES9_EENS0_6detail15normal_iteratorINS0_10device_ptrIS7_EEEENS4_14no_stencil_tagENS0_8identityIS7_EENS4_21always_true_predicateEEElLj1EEEvT0_T1_SM_, .Lfunc_end92-_ZN6thrust23THRUST_200600_302600_NS11hip_rocprim14__parallel_for6kernelILj256ENS1_11__transform17unary_transform_fINS0_7pointerI10large_dataNS1_3tagENS0_11use_defaultES9_EENS0_6detail15normal_iteratorINS0_10device_ptrIS7_EEEENS4_14no_stencil_tagENS0_8identityIS7_EENS4_21always_true_predicateEEElLj1EEEvT0_T1_SM_
                                        ; -- End function
	.section	.AMDGPU.csdata,"",@progbits
; Kernel info:
; codeLenInByte = 284
; NumSgprs: 18
; NumVgprs: 5
; ScratchSize: 0
; MemoryBound: 0
; FloatMode: 240
; IeeeMode: 1
; LDSByteSize: 0 bytes/workgroup (compile time only)
; SGPRBlocks: 2
; VGPRBlocks: 0
; NumSGPRsForWavesPerEU: 18
; NumVGPRsForWavesPerEU: 5
; Occupancy: 16
; WaveLimiterHint : 0
; COMPUTE_PGM_RSRC2:SCRATCH_EN: 0
; COMPUTE_PGM_RSRC2:USER_SGPR: 15
; COMPUTE_PGM_RSRC2:TRAP_HANDLER: 0
; COMPUTE_PGM_RSRC2:TGID_X_EN: 1
; COMPUTE_PGM_RSRC2:TGID_Y_EN: 0
; COMPUTE_PGM_RSRC2:TGID_Z_EN: 0
; COMPUTE_PGM_RSRC2:TIDIG_COMP_CNT: 0
	.section	.text._ZN6thrust23THRUST_200600_302600_NS11hip_rocprim14__parallel_for6kernelILj256ENS1_20__uninitialized_copy7functorINS0_6detail15normal_iteratorINS0_10device_ptrIfEEEENS0_7pointerIfNS1_3tagENS0_11use_defaultESD_EEEEmLj1EEEvT0_T1_SH_,"axG",@progbits,_ZN6thrust23THRUST_200600_302600_NS11hip_rocprim14__parallel_for6kernelILj256ENS1_20__uninitialized_copy7functorINS0_6detail15normal_iteratorINS0_10device_ptrIfEEEENS0_7pointerIfNS1_3tagENS0_11use_defaultESD_EEEEmLj1EEEvT0_T1_SH_,comdat
	.protected	_ZN6thrust23THRUST_200600_302600_NS11hip_rocprim14__parallel_for6kernelILj256ENS1_20__uninitialized_copy7functorINS0_6detail15normal_iteratorINS0_10device_ptrIfEEEENS0_7pointerIfNS1_3tagENS0_11use_defaultESD_EEEEmLj1EEEvT0_T1_SH_ ; -- Begin function _ZN6thrust23THRUST_200600_302600_NS11hip_rocprim14__parallel_for6kernelILj256ENS1_20__uninitialized_copy7functorINS0_6detail15normal_iteratorINS0_10device_ptrIfEEEENS0_7pointerIfNS1_3tagENS0_11use_defaultESD_EEEEmLj1EEEvT0_T1_SH_
	.globl	_ZN6thrust23THRUST_200600_302600_NS11hip_rocprim14__parallel_for6kernelILj256ENS1_20__uninitialized_copy7functorINS0_6detail15normal_iteratorINS0_10device_ptrIfEEEENS0_7pointerIfNS1_3tagENS0_11use_defaultESD_EEEEmLj1EEEvT0_T1_SH_
	.p2align	8
	.type	_ZN6thrust23THRUST_200600_302600_NS11hip_rocprim14__parallel_for6kernelILj256ENS1_20__uninitialized_copy7functorINS0_6detail15normal_iteratorINS0_10device_ptrIfEEEENS0_7pointerIfNS1_3tagENS0_11use_defaultESD_EEEEmLj1EEEvT0_T1_SH_,@function
_ZN6thrust23THRUST_200600_302600_NS11hip_rocprim14__parallel_for6kernelILj256ENS1_20__uninitialized_copy7functorINS0_6detail15normal_iteratorINS0_10device_ptrIfEEEENS0_7pointerIfNS1_3tagENS0_11use_defaultESD_EEEEmLj1EEEvT0_T1_SH_: ; @_ZN6thrust23THRUST_200600_302600_NS11hip_rocprim14__parallel_for6kernelILj256ENS1_20__uninitialized_copy7functorINS0_6detail15normal_iteratorINS0_10device_ptrIfEEEENS0_7pointerIfNS1_3tagENS0_11use_defaultESD_EEEEmLj1EEEvT0_T1_SH_
; %bb.0:
	s_load_b256 s[0:7], s[0:1], 0x0
	s_lshl_b32 s8, s15, 8
	s_waitcnt lgkmcnt(0)
	s_add_u32 s6, s8, s6
	s_addc_u32 s7, 0, s7
	s_sub_u32 s4, s4, s6
	s_subb_u32 s5, s5, s7
	s_delay_alu instid0(SALU_CYCLE_1) | instskip(NEXT) | instid1(VALU_DEP_1)
	v_cmp_gt_u64_e64 s5, 0x100, s[4:5]
	s_and_b32 vcc_lo, exec_lo, s5
	s_mov_b32 s5, 0
	s_cbranch_vccz .LBB93_4
; %bb.1:
	v_cmp_gt_u32_e32 vcc_lo, s4, v0
	s_mov_b32 s4, 0
                                        ; implicit-def: $vgpr1_vgpr2
                                        ; implicit-def: $vgpr3_vgpr4
	s_and_saveexec_b32 s8, vcc_lo
	s_delay_alu instid0(SALU_CYCLE_1)
	s_xor_b32 s8, exec_lo, s8
; %bb.2:
	v_add_co_u32 v1, s9, s6, v0
	s_delay_alu instid0(VALU_DEP_1) | instskip(SKIP_1) | instid1(VALU_DEP_1)
	v_add_co_ci_u32_e64 v2, null, s7, 0, s9
	s_mov_b32 s5, exec_lo
	v_lshlrev_b64 v[3:4], 2, v[1:2]
	s_delay_alu instid0(VALU_DEP_1) | instskip(NEXT) | instid1(VALU_DEP_2)
	v_add_co_u32 v1, vcc_lo, s2, v3
	v_add_co_ci_u32_e32 v2, vcc_lo, s3, v4, vcc_lo
	v_add_co_u32 v3, vcc_lo, s0, v3
	v_add_co_ci_u32_e32 v4, vcc_lo, s1, v4, vcc_lo
; %bb.3:
	s_or_b32 exec_lo, exec_lo, s8
	s_delay_alu instid0(SALU_CYCLE_1)
	s_and_b32 vcc_lo, exec_lo, s4
	s_cbranch_vccnz .LBB93_5
	s_branch .LBB93_6
.LBB93_4:
                                        ; implicit-def: $vgpr1_vgpr2
                                        ; implicit-def: $vgpr3_vgpr4
	s_cbranch_execz .LBB93_6
.LBB93_5:
	v_add_co_u32 v0, s4, s6, v0
	s_delay_alu instid0(VALU_DEP_1) | instskip(SKIP_1) | instid1(VALU_DEP_1)
	v_add_co_ci_u32_e64 v1, null, s7, 0, s4
	s_or_b32 s5, s5, exec_lo
	v_lshlrev_b64 v[1:2], 2, v[0:1]
	s_delay_alu instid0(VALU_DEP_1) | instskip(NEXT) | instid1(VALU_DEP_2)
	v_add_co_u32 v3, vcc_lo, s0, v1
	v_add_co_ci_u32_e32 v4, vcc_lo, s1, v2, vcc_lo
	v_add_co_u32 v1, vcc_lo, s2, v1
	v_add_co_ci_u32_e32 v2, vcc_lo, s3, v2, vcc_lo
.LBB93_6:
	s_and_saveexec_b32 s0, s5
	s_cbranch_execnz .LBB93_8
; %bb.7:
	s_endpgm
.LBB93_8:
	flat_load_b32 v0, v[3:4]
	s_waitcnt vmcnt(0) lgkmcnt(0)
	flat_store_b32 v[1:2], v0
	s_endpgm
	.section	.rodata,"a",@progbits
	.p2align	6, 0x0
	.amdhsa_kernel _ZN6thrust23THRUST_200600_302600_NS11hip_rocprim14__parallel_for6kernelILj256ENS1_20__uninitialized_copy7functorINS0_6detail15normal_iteratorINS0_10device_ptrIfEEEENS0_7pointerIfNS1_3tagENS0_11use_defaultESD_EEEEmLj1EEEvT0_T1_SH_
		.amdhsa_group_segment_fixed_size 0
		.amdhsa_private_segment_fixed_size 0
		.amdhsa_kernarg_size 32
		.amdhsa_user_sgpr_count 15
		.amdhsa_user_sgpr_dispatch_ptr 0
		.amdhsa_user_sgpr_queue_ptr 0
		.amdhsa_user_sgpr_kernarg_segment_ptr 1
		.amdhsa_user_sgpr_dispatch_id 0
		.amdhsa_user_sgpr_private_segment_size 0
		.amdhsa_wavefront_size32 1
		.amdhsa_uses_dynamic_stack 0
		.amdhsa_enable_private_segment 0
		.amdhsa_system_sgpr_workgroup_id_x 1
		.amdhsa_system_sgpr_workgroup_id_y 0
		.amdhsa_system_sgpr_workgroup_id_z 0
		.amdhsa_system_sgpr_workgroup_info 0
		.amdhsa_system_vgpr_workitem_id 0
		.amdhsa_next_free_vgpr 5
		.amdhsa_next_free_sgpr 16
		.amdhsa_reserve_vcc 1
		.amdhsa_float_round_mode_32 0
		.amdhsa_float_round_mode_16_64 0
		.amdhsa_float_denorm_mode_32 3
		.amdhsa_float_denorm_mode_16_64 3
		.amdhsa_dx10_clamp 1
		.amdhsa_ieee_mode 1
		.amdhsa_fp16_overflow 0
		.amdhsa_workgroup_processor_mode 1
		.amdhsa_memory_ordered 1
		.amdhsa_forward_progress 0
		.amdhsa_shared_vgpr_count 0
		.amdhsa_exception_fp_ieee_invalid_op 0
		.amdhsa_exception_fp_denorm_src 0
		.amdhsa_exception_fp_ieee_div_zero 0
		.amdhsa_exception_fp_ieee_overflow 0
		.amdhsa_exception_fp_ieee_underflow 0
		.amdhsa_exception_fp_ieee_inexact 0
		.amdhsa_exception_int_div_zero 0
	.end_amdhsa_kernel
	.section	.text._ZN6thrust23THRUST_200600_302600_NS11hip_rocprim14__parallel_for6kernelILj256ENS1_20__uninitialized_copy7functorINS0_6detail15normal_iteratorINS0_10device_ptrIfEEEENS0_7pointerIfNS1_3tagENS0_11use_defaultESD_EEEEmLj1EEEvT0_T1_SH_,"axG",@progbits,_ZN6thrust23THRUST_200600_302600_NS11hip_rocprim14__parallel_for6kernelILj256ENS1_20__uninitialized_copy7functorINS0_6detail15normal_iteratorINS0_10device_ptrIfEEEENS0_7pointerIfNS1_3tagENS0_11use_defaultESD_EEEEmLj1EEEvT0_T1_SH_,comdat
.Lfunc_end93:
	.size	_ZN6thrust23THRUST_200600_302600_NS11hip_rocprim14__parallel_for6kernelILj256ENS1_20__uninitialized_copy7functorINS0_6detail15normal_iteratorINS0_10device_ptrIfEEEENS0_7pointerIfNS1_3tagENS0_11use_defaultESD_EEEEmLj1EEEvT0_T1_SH_, .Lfunc_end93-_ZN6thrust23THRUST_200600_302600_NS11hip_rocprim14__parallel_for6kernelILj256ENS1_20__uninitialized_copy7functorINS0_6detail15normal_iteratorINS0_10device_ptrIfEEEENS0_7pointerIfNS1_3tagENS0_11use_defaultESD_EEEEmLj1EEEvT0_T1_SH_
                                        ; -- End function
	.section	.AMDGPU.csdata,"",@progbits
; Kernel info:
; codeLenInByte = 260
; NumSgprs: 18
; NumVgprs: 5
; ScratchSize: 0
; MemoryBound: 0
; FloatMode: 240
; IeeeMode: 1
; LDSByteSize: 0 bytes/workgroup (compile time only)
; SGPRBlocks: 2
; VGPRBlocks: 0
; NumSGPRsForWavesPerEU: 18
; NumVGPRsForWavesPerEU: 5
; Occupancy: 16
; WaveLimiterHint : 0
; COMPUTE_PGM_RSRC2:SCRATCH_EN: 0
; COMPUTE_PGM_RSRC2:USER_SGPR: 15
; COMPUTE_PGM_RSRC2:TRAP_HANDLER: 0
; COMPUTE_PGM_RSRC2:TGID_X_EN: 1
; COMPUTE_PGM_RSRC2:TGID_Y_EN: 0
; COMPUTE_PGM_RSRC2:TGID_Z_EN: 0
; COMPUTE_PGM_RSRC2:TIDIG_COMP_CNT: 0
	.section	.text._ZN7rocprim17ROCPRIM_400000_NS6detail17trampoline_kernelINS0_14default_configENS1_25transform_config_selectorI10large_dataLb0EEEZNS1_14transform_implILb0ES3_S6_N6thrust23THRUST_200600_302600_NS6detail15normal_iteratorINS9_10device_ptrIS5_EEEENSB_INS9_7pointerIhNS9_11hip_rocprim5par_tENS9_11use_defaultESI_EEEEZNSG_9__copy_if7copy_ifISH_SE_SE_7is_evenIS5_EEENSt9enable_ifIXntltstNSt15iterator_traitsIT0_E10value_typeELi512EET1_E4typeERNSG_16execution_policyIT_EESR_SR_SU_T2_EUlRKSY_E_EE10hipError_tS11_T3_mT4_P12ihipStream_tbEUlSY_E_NS1_11comp_targetILNS1_3genE0ELNS1_11target_archE4294967295ELNS1_3gpuE0ELNS1_3repE0EEENS1_30default_config_static_selectorELNS0_4arch9wavefront6targetE0EEEvSU_,"axG",@progbits,_ZN7rocprim17ROCPRIM_400000_NS6detail17trampoline_kernelINS0_14default_configENS1_25transform_config_selectorI10large_dataLb0EEEZNS1_14transform_implILb0ES3_S6_N6thrust23THRUST_200600_302600_NS6detail15normal_iteratorINS9_10device_ptrIS5_EEEENSB_INS9_7pointerIhNS9_11hip_rocprim5par_tENS9_11use_defaultESI_EEEEZNSG_9__copy_if7copy_ifISH_SE_SE_7is_evenIS5_EEENSt9enable_ifIXntltstNSt15iterator_traitsIT0_E10value_typeELi512EET1_E4typeERNSG_16execution_policyIT_EESR_SR_SU_T2_EUlRKSY_E_EE10hipError_tS11_T3_mT4_P12ihipStream_tbEUlSY_E_NS1_11comp_targetILNS1_3genE0ELNS1_11target_archE4294967295ELNS1_3gpuE0ELNS1_3repE0EEENS1_30default_config_static_selectorELNS0_4arch9wavefront6targetE0EEEvSU_,comdat
	.protected	_ZN7rocprim17ROCPRIM_400000_NS6detail17trampoline_kernelINS0_14default_configENS1_25transform_config_selectorI10large_dataLb0EEEZNS1_14transform_implILb0ES3_S6_N6thrust23THRUST_200600_302600_NS6detail15normal_iteratorINS9_10device_ptrIS5_EEEENSB_INS9_7pointerIhNS9_11hip_rocprim5par_tENS9_11use_defaultESI_EEEEZNSG_9__copy_if7copy_ifISH_SE_SE_7is_evenIS5_EEENSt9enable_ifIXntltstNSt15iterator_traitsIT0_E10value_typeELi512EET1_E4typeERNSG_16execution_policyIT_EESR_SR_SU_T2_EUlRKSY_E_EE10hipError_tS11_T3_mT4_P12ihipStream_tbEUlSY_E_NS1_11comp_targetILNS1_3genE0ELNS1_11target_archE4294967295ELNS1_3gpuE0ELNS1_3repE0EEENS1_30default_config_static_selectorELNS0_4arch9wavefront6targetE0EEEvSU_ ; -- Begin function _ZN7rocprim17ROCPRIM_400000_NS6detail17trampoline_kernelINS0_14default_configENS1_25transform_config_selectorI10large_dataLb0EEEZNS1_14transform_implILb0ES3_S6_N6thrust23THRUST_200600_302600_NS6detail15normal_iteratorINS9_10device_ptrIS5_EEEENSB_INS9_7pointerIhNS9_11hip_rocprim5par_tENS9_11use_defaultESI_EEEEZNSG_9__copy_if7copy_ifISH_SE_SE_7is_evenIS5_EEENSt9enable_ifIXntltstNSt15iterator_traitsIT0_E10value_typeELi512EET1_E4typeERNSG_16execution_policyIT_EESR_SR_SU_T2_EUlRKSY_E_EE10hipError_tS11_T3_mT4_P12ihipStream_tbEUlSY_E_NS1_11comp_targetILNS1_3genE0ELNS1_11target_archE4294967295ELNS1_3gpuE0ELNS1_3repE0EEENS1_30default_config_static_selectorELNS0_4arch9wavefront6targetE0EEEvSU_
	.globl	_ZN7rocprim17ROCPRIM_400000_NS6detail17trampoline_kernelINS0_14default_configENS1_25transform_config_selectorI10large_dataLb0EEEZNS1_14transform_implILb0ES3_S6_N6thrust23THRUST_200600_302600_NS6detail15normal_iteratorINS9_10device_ptrIS5_EEEENSB_INS9_7pointerIhNS9_11hip_rocprim5par_tENS9_11use_defaultESI_EEEEZNSG_9__copy_if7copy_ifISH_SE_SE_7is_evenIS5_EEENSt9enable_ifIXntltstNSt15iterator_traitsIT0_E10value_typeELi512EET1_E4typeERNSG_16execution_policyIT_EESR_SR_SU_T2_EUlRKSY_E_EE10hipError_tS11_T3_mT4_P12ihipStream_tbEUlSY_E_NS1_11comp_targetILNS1_3genE0ELNS1_11target_archE4294967295ELNS1_3gpuE0ELNS1_3repE0EEENS1_30default_config_static_selectorELNS0_4arch9wavefront6targetE0EEEvSU_
	.p2align	8
	.type	_ZN7rocprim17ROCPRIM_400000_NS6detail17trampoline_kernelINS0_14default_configENS1_25transform_config_selectorI10large_dataLb0EEEZNS1_14transform_implILb0ES3_S6_N6thrust23THRUST_200600_302600_NS6detail15normal_iteratorINS9_10device_ptrIS5_EEEENSB_INS9_7pointerIhNS9_11hip_rocprim5par_tENS9_11use_defaultESI_EEEEZNSG_9__copy_if7copy_ifISH_SE_SE_7is_evenIS5_EEENSt9enable_ifIXntltstNSt15iterator_traitsIT0_E10value_typeELi512EET1_E4typeERNSG_16execution_policyIT_EESR_SR_SU_T2_EUlRKSY_E_EE10hipError_tS11_T3_mT4_P12ihipStream_tbEUlSY_E_NS1_11comp_targetILNS1_3genE0ELNS1_11target_archE4294967295ELNS1_3gpuE0ELNS1_3repE0EEENS1_30default_config_static_selectorELNS0_4arch9wavefront6targetE0EEEvSU_,@function
_ZN7rocprim17ROCPRIM_400000_NS6detail17trampoline_kernelINS0_14default_configENS1_25transform_config_selectorI10large_dataLb0EEEZNS1_14transform_implILb0ES3_S6_N6thrust23THRUST_200600_302600_NS6detail15normal_iteratorINS9_10device_ptrIS5_EEEENSB_INS9_7pointerIhNS9_11hip_rocprim5par_tENS9_11use_defaultESI_EEEEZNSG_9__copy_if7copy_ifISH_SE_SE_7is_evenIS5_EEENSt9enable_ifIXntltstNSt15iterator_traitsIT0_E10value_typeELi512EET1_E4typeERNSG_16execution_policyIT_EESR_SR_SU_T2_EUlRKSY_E_EE10hipError_tS11_T3_mT4_P12ihipStream_tbEUlSY_E_NS1_11comp_targetILNS1_3genE0ELNS1_11target_archE4294967295ELNS1_3gpuE0ELNS1_3repE0EEENS1_30default_config_static_selectorELNS0_4arch9wavefront6targetE0EEEvSU_: ; @_ZN7rocprim17ROCPRIM_400000_NS6detail17trampoline_kernelINS0_14default_configENS1_25transform_config_selectorI10large_dataLb0EEEZNS1_14transform_implILb0ES3_S6_N6thrust23THRUST_200600_302600_NS6detail15normal_iteratorINS9_10device_ptrIS5_EEEENSB_INS9_7pointerIhNS9_11hip_rocprim5par_tENS9_11use_defaultESI_EEEEZNSG_9__copy_if7copy_ifISH_SE_SE_7is_evenIS5_EEENSt9enable_ifIXntltstNSt15iterator_traitsIT0_E10value_typeELi512EET1_E4typeERNSG_16execution_policyIT_EESR_SR_SU_T2_EUlRKSY_E_EE10hipError_tS11_T3_mT4_P12ihipStream_tbEUlSY_E_NS1_11comp_targetILNS1_3genE0ELNS1_11target_archE4294967295ELNS1_3gpuE0ELNS1_3repE0EEENS1_30default_config_static_selectorELNS0_4arch9wavefront6targetE0EEEvSU_
; %bb.0:
	.section	.rodata,"a",@progbits
	.p2align	6, 0x0
	.amdhsa_kernel _ZN7rocprim17ROCPRIM_400000_NS6detail17trampoline_kernelINS0_14default_configENS1_25transform_config_selectorI10large_dataLb0EEEZNS1_14transform_implILb0ES3_S6_N6thrust23THRUST_200600_302600_NS6detail15normal_iteratorINS9_10device_ptrIS5_EEEENSB_INS9_7pointerIhNS9_11hip_rocprim5par_tENS9_11use_defaultESI_EEEEZNSG_9__copy_if7copy_ifISH_SE_SE_7is_evenIS5_EEENSt9enable_ifIXntltstNSt15iterator_traitsIT0_E10value_typeELi512EET1_E4typeERNSG_16execution_policyIT_EESR_SR_SU_T2_EUlRKSY_E_EE10hipError_tS11_T3_mT4_P12ihipStream_tbEUlSY_E_NS1_11comp_targetILNS1_3genE0ELNS1_11target_archE4294967295ELNS1_3gpuE0ELNS1_3repE0EEENS1_30default_config_static_selectorELNS0_4arch9wavefront6targetE0EEEvSU_
		.amdhsa_group_segment_fixed_size 0
		.amdhsa_private_segment_fixed_size 0
		.amdhsa_kernarg_size 40
		.amdhsa_user_sgpr_count 15
		.amdhsa_user_sgpr_dispatch_ptr 0
		.amdhsa_user_sgpr_queue_ptr 0
		.amdhsa_user_sgpr_kernarg_segment_ptr 1
		.amdhsa_user_sgpr_dispatch_id 0
		.amdhsa_user_sgpr_private_segment_size 0
		.amdhsa_wavefront_size32 1
		.amdhsa_uses_dynamic_stack 0
		.amdhsa_enable_private_segment 0
		.amdhsa_system_sgpr_workgroup_id_x 1
		.amdhsa_system_sgpr_workgroup_id_y 0
		.amdhsa_system_sgpr_workgroup_id_z 0
		.amdhsa_system_sgpr_workgroup_info 0
		.amdhsa_system_vgpr_workitem_id 0
		.amdhsa_next_free_vgpr 1
		.amdhsa_next_free_sgpr 1
		.amdhsa_reserve_vcc 0
		.amdhsa_float_round_mode_32 0
		.amdhsa_float_round_mode_16_64 0
		.amdhsa_float_denorm_mode_32 3
		.amdhsa_float_denorm_mode_16_64 3
		.amdhsa_dx10_clamp 1
		.amdhsa_ieee_mode 1
		.amdhsa_fp16_overflow 0
		.amdhsa_workgroup_processor_mode 1
		.amdhsa_memory_ordered 1
		.amdhsa_forward_progress 0
		.amdhsa_shared_vgpr_count 0
		.amdhsa_exception_fp_ieee_invalid_op 0
		.amdhsa_exception_fp_denorm_src 0
		.amdhsa_exception_fp_ieee_div_zero 0
		.amdhsa_exception_fp_ieee_overflow 0
		.amdhsa_exception_fp_ieee_underflow 0
		.amdhsa_exception_fp_ieee_inexact 0
		.amdhsa_exception_int_div_zero 0
	.end_amdhsa_kernel
	.section	.text._ZN7rocprim17ROCPRIM_400000_NS6detail17trampoline_kernelINS0_14default_configENS1_25transform_config_selectorI10large_dataLb0EEEZNS1_14transform_implILb0ES3_S6_N6thrust23THRUST_200600_302600_NS6detail15normal_iteratorINS9_10device_ptrIS5_EEEENSB_INS9_7pointerIhNS9_11hip_rocprim5par_tENS9_11use_defaultESI_EEEEZNSG_9__copy_if7copy_ifISH_SE_SE_7is_evenIS5_EEENSt9enable_ifIXntltstNSt15iterator_traitsIT0_E10value_typeELi512EET1_E4typeERNSG_16execution_policyIT_EESR_SR_SU_T2_EUlRKSY_E_EE10hipError_tS11_T3_mT4_P12ihipStream_tbEUlSY_E_NS1_11comp_targetILNS1_3genE0ELNS1_11target_archE4294967295ELNS1_3gpuE0ELNS1_3repE0EEENS1_30default_config_static_selectorELNS0_4arch9wavefront6targetE0EEEvSU_,"axG",@progbits,_ZN7rocprim17ROCPRIM_400000_NS6detail17trampoline_kernelINS0_14default_configENS1_25transform_config_selectorI10large_dataLb0EEEZNS1_14transform_implILb0ES3_S6_N6thrust23THRUST_200600_302600_NS6detail15normal_iteratorINS9_10device_ptrIS5_EEEENSB_INS9_7pointerIhNS9_11hip_rocprim5par_tENS9_11use_defaultESI_EEEEZNSG_9__copy_if7copy_ifISH_SE_SE_7is_evenIS5_EEENSt9enable_ifIXntltstNSt15iterator_traitsIT0_E10value_typeELi512EET1_E4typeERNSG_16execution_policyIT_EESR_SR_SU_T2_EUlRKSY_E_EE10hipError_tS11_T3_mT4_P12ihipStream_tbEUlSY_E_NS1_11comp_targetILNS1_3genE0ELNS1_11target_archE4294967295ELNS1_3gpuE0ELNS1_3repE0EEENS1_30default_config_static_selectorELNS0_4arch9wavefront6targetE0EEEvSU_,comdat
.Lfunc_end94:
	.size	_ZN7rocprim17ROCPRIM_400000_NS6detail17trampoline_kernelINS0_14default_configENS1_25transform_config_selectorI10large_dataLb0EEEZNS1_14transform_implILb0ES3_S6_N6thrust23THRUST_200600_302600_NS6detail15normal_iteratorINS9_10device_ptrIS5_EEEENSB_INS9_7pointerIhNS9_11hip_rocprim5par_tENS9_11use_defaultESI_EEEEZNSG_9__copy_if7copy_ifISH_SE_SE_7is_evenIS5_EEENSt9enable_ifIXntltstNSt15iterator_traitsIT0_E10value_typeELi512EET1_E4typeERNSG_16execution_policyIT_EESR_SR_SU_T2_EUlRKSY_E_EE10hipError_tS11_T3_mT4_P12ihipStream_tbEUlSY_E_NS1_11comp_targetILNS1_3genE0ELNS1_11target_archE4294967295ELNS1_3gpuE0ELNS1_3repE0EEENS1_30default_config_static_selectorELNS0_4arch9wavefront6targetE0EEEvSU_, .Lfunc_end94-_ZN7rocprim17ROCPRIM_400000_NS6detail17trampoline_kernelINS0_14default_configENS1_25transform_config_selectorI10large_dataLb0EEEZNS1_14transform_implILb0ES3_S6_N6thrust23THRUST_200600_302600_NS6detail15normal_iteratorINS9_10device_ptrIS5_EEEENSB_INS9_7pointerIhNS9_11hip_rocprim5par_tENS9_11use_defaultESI_EEEEZNSG_9__copy_if7copy_ifISH_SE_SE_7is_evenIS5_EEENSt9enable_ifIXntltstNSt15iterator_traitsIT0_E10value_typeELi512EET1_E4typeERNSG_16execution_policyIT_EESR_SR_SU_T2_EUlRKSY_E_EE10hipError_tS11_T3_mT4_P12ihipStream_tbEUlSY_E_NS1_11comp_targetILNS1_3genE0ELNS1_11target_archE4294967295ELNS1_3gpuE0ELNS1_3repE0EEENS1_30default_config_static_selectorELNS0_4arch9wavefront6targetE0EEEvSU_
                                        ; -- End function
	.section	.AMDGPU.csdata,"",@progbits
; Kernel info:
; codeLenInByte = 0
; NumSgprs: 0
; NumVgprs: 0
; ScratchSize: 0
; MemoryBound: 0
; FloatMode: 240
; IeeeMode: 1
; LDSByteSize: 0 bytes/workgroup (compile time only)
; SGPRBlocks: 0
; VGPRBlocks: 0
; NumSGPRsForWavesPerEU: 1
; NumVGPRsForWavesPerEU: 1
; Occupancy: 16
; WaveLimiterHint : 0
; COMPUTE_PGM_RSRC2:SCRATCH_EN: 0
; COMPUTE_PGM_RSRC2:USER_SGPR: 15
; COMPUTE_PGM_RSRC2:TRAP_HANDLER: 0
; COMPUTE_PGM_RSRC2:TGID_X_EN: 1
; COMPUTE_PGM_RSRC2:TGID_Y_EN: 0
; COMPUTE_PGM_RSRC2:TGID_Z_EN: 0
; COMPUTE_PGM_RSRC2:TIDIG_COMP_CNT: 0
	.section	.text._ZN7rocprim17ROCPRIM_400000_NS6detail17trampoline_kernelINS0_14default_configENS1_25transform_config_selectorI10large_dataLb0EEEZNS1_14transform_implILb0ES3_S6_N6thrust23THRUST_200600_302600_NS6detail15normal_iteratorINS9_10device_ptrIS5_EEEENSB_INS9_7pointerIhNS9_11hip_rocprim5par_tENS9_11use_defaultESI_EEEEZNSG_9__copy_if7copy_ifISH_SE_SE_7is_evenIS5_EEENSt9enable_ifIXntltstNSt15iterator_traitsIT0_E10value_typeELi512EET1_E4typeERNSG_16execution_policyIT_EESR_SR_SU_T2_EUlRKSY_E_EE10hipError_tS11_T3_mT4_P12ihipStream_tbEUlSY_E_NS1_11comp_targetILNS1_3genE5ELNS1_11target_archE942ELNS1_3gpuE9ELNS1_3repE0EEENS1_30default_config_static_selectorELNS0_4arch9wavefront6targetE0EEEvSU_,"axG",@progbits,_ZN7rocprim17ROCPRIM_400000_NS6detail17trampoline_kernelINS0_14default_configENS1_25transform_config_selectorI10large_dataLb0EEEZNS1_14transform_implILb0ES3_S6_N6thrust23THRUST_200600_302600_NS6detail15normal_iteratorINS9_10device_ptrIS5_EEEENSB_INS9_7pointerIhNS9_11hip_rocprim5par_tENS9_11use_defaultESI_EEEEZNSG_9__copy_if7copy_ifISH_SE_SE_7is_evenIS5_EEENSt9enable_ifIXntltstNSt15iterator_traitsIT0_E10value_typeELi512EET1_E4typeERNSG_16execution_policyIT_EESR_SR_SU_T2_EUlRKSY_E_EE10hipError_tS11_T3_mT4_P12ihipStream_tbEUlSY_E_NS1_11comp_targetILNS1_3genE5ELNS1_11target_archE942ELNS1_3gpuE9ELNS1_3repE0EEENS1_30default_config_static_selectorELNS0_4arch9wavefront6targetE0EEEvSU_,comdat
	.protected	_ZN7rocprim17ROCPRIM_400000_NS6detail17trampoline_kernelINS0_14default_configENS1_25transform_config_selectorI10large_dataLb0EEEZNS1_14transform_implILb0ES3_S6_N6thrust23THRUST_200600_302600_NS6detail15normal_iteratorINS9_10device_ptrIS5_EEEENSB_INS9_7pointerIhNS9_11hip_rocprim5par_tENS9_11use_defaultESI_EEEEZNSG_9__copy_if7copy_ifISH_SE_SE_7is_evenIS5_EEENSt9enable_ifIXntltstNSt15iterator_traitsIT0_E10value_typeELi512EET1_E4typeERNSG_16execution_policyIT_EESR_SR_SU_T2_EUlRKSY_E_EE10hipError_tS11_T3_mT4_P12ihipStream_tbEUlSY_E_NS1_11comp_targetILNS1_3genE5ELNS1_11target_archE942ELNS1_3gpuE9ELNS1_3repE0EEENS1_30default_config_static_selectorELNS0_4arch9wavefront6targetE0EEEvSU_ ; -- Begin function _ZN7rocprim17ROCPRIM_400000_NS6detail17trampoline_kernelINS0_14default_configENS1_25transform_config_selectorI10large_dataLb0EEEZNS1_14transform_implILb0ES3_S6_N6thrust23THRUST_200600_302600_NS6detail15normal_iteratorINS9_10device_ptrIS5_EEEENSB_INS9_7pointerIhNS9_11hip_rocprim5par_tENS9_11use_defaultESI_EEEEZNSG_9__copy_if7copy_ifISH_SE_SE_7is_evenIS5_EEENSt9enable_ifIXntltstNSt15iterator_traitsIT0_E10value_typeELi512EET1_E4typeERNSG_16execution_policyIT_EESR_SR_SU_T2_EUlRKSY_E_EE10hipError_tS11_T3_mT4_P12ihipStream_tbEUlSY_E_NS1_11comp_targetILNS1_3genE5ELNS1_11target_archE942ELNS1_3gpuE9ELNS1_3repE0EEENS1_30default_config_static_selectorELNS0_4arch9wavefront6targetE0EEEvSU_
	.globl	_ZN7rocprim17ROCPRIM_400000_NS6detail17trampoline_kernelINS0_14default_configENS1_25transform_config_selectorI10large_dataLb0EEEZNS1_14transform_implILb0ES3_S6_N6thrust23THRUST_200600_302600_NS6detail15normal_iteratorINS9_10device_ptrIS5_EEEENSB_INS9_7pointerIhNS9_11hip_rocprim5par_tENS9_11use_defaultESI_EEEEZNSG_9__copy_if7copy_ifISH_SE_SE_7is_evenIS5_EEENSt9enable_ifIXntltstNSt15iterator_traitsIT0_E10value_typeELi512EET1_E4typeERNSG_16execution_policyIT_EESR_SR_SU_T2_EUlRKSY_E_EE10hipError_tS11_T3_mT4_P12ihipStream_tbEUlSY_E_NS1_11comp_targetILNS1_3genE5ELNS1_11target_archE942ELNS1_3gpuE9ELNS1_3repE0EEENS1_30default_config_static_selectorELNS0_4arch9wavefront6targetE0EEEvSU_
	.p2align	8
	.type	_ZN7rocprim17ROCPRIM_400000_NS6detail17trampoline_kernelINS0_14default_configENS1_25transform_config_selectorI10large_dataLb0EEEZNS1_14transform_implILb0ES3_S6_N6thrust23THRUST_200600_302600_NS6detail15normal_iteratorINS9_10device_ptrIS5_EEEENSB_INS9_7pointerIhNS9_11hip_rocprim5par_tENS9_11use_defaultESI_EEEEZNSG_9__copy_if7copy_ifISH_SE_SE_7is_evenIS5_EEENSt9enable_ifIXntltstNSt15iterator_traitsIT0_E10value_typeELi512EET1_E4typeERNSG_16execution_policyIT_EESR_SR_SU_T2_EUlRKSY_E_EE10hipError_tS11_T3_mT4_P12ihipStream_tbEUlSY_E_NS1_11comp_targetILNS1_3genE5ELNS1_11target_archE942ELNS1_3gpuE9ELNS1_3repE0EEENS1_30default_config_static_selectorELNS0_4arch9wavefront6targetE0EEEvSU_,@function
_ZN7rocprim17ROCPRIM_400000_NS6detail17trampoline_kernelINS0_14default_configENS1_25transform_config_selectorI10large_dataLb0EEEZNS1_14transform_implILb0ES3_S6_N6thrust23THRUST_200600_302600_NS6detail15normal_iteratorINS9_10device_ptrIS5_EEEENSB_INS9_7pointerIhNS9_11hip_rocprim5par_tENS9_11use_defaultESI_EEEEZNSG_9__copy_if7copy_ifISH_SE_SE_7is_evenIS5_EEENSt9enable_ifIXntltstNSt15iterator_traitsIT0_E10value_typeELi512EET1_E4typeERNSG_16execution_policyIT_EESR_SR_SU_T2_EUlRKSY_E_EE10hipError_tS11_T3_mT4_P12ihipStream_tbEUlSY_E_NS1_11comp_targetILNS1_3genE5ELNS1_11target_archE942ELNS1_3gpuE9ELNS1_3repE0EEENS1_30default_config_static_selectorELNS0_4arch9wavefront6targetE0EEEvSU_: ; @_ZN7rocprim17ROCPRIM_400000_NS6detail17trampoline_kernelINS0_14default_configENS1_25transform_config_selectorI10large_dataLb0EEEZNS1_14transform_implILb0ES3_S6_N6thrust23THRUST_200600_302600_NS6detail15normal_iteratorINS9_10device_ptrIS5_EEEENSB_INS9_7pointerIhNS9_11hip_rocprim5par_tENS9_11use_defaultESI_EEEEZNSG_9__copy_if7copy_ifISH_SE_SE_7is_evenIS5_EEENSt9enable_ifIXntltstNSt15iterator_traitsIT0_E10value_typeELi512EET1_E4typeERNSG_16execution_policyIT_EESR_SR_SU_T2_EUlRKSY_E_EE10hipError_tS11_T3_mT4_P12ihipStream_tbEUlSY_E_NS1_11comp_targetILNS1_3genE5ELNS1_11target_archE942ELNS1_3gpuE9ELNS1_3repE0EEENS1_30default_config_static_selectorELNS0_4arch9wavefront6targetE0EEEvSU_
; %bb.0:
	.section	.rodata,"a",@progbits
	.p2align	6, 0x0
	.amdhsa_kernel _ZN7rocprim17ROCPRIM_400000_NS6detail17trampoline_kernelINS0_14default_configENS1_25transform_config_selectorI10large_dataLb0EEEZNS1_14transform_implILb0ES3_S6_N6thrust23THRUST_200600_302600_NS6detail15normal_iteratorINS9_10device_ptrIS5_EEEENSB_INS9_7pointerIhNS9_11hip_rocprim5par_tENS9_11use_defaultESI_EEEEZNSG_9__copy_if7copy_ifISH_SE_SE_7is_evenIS5_EEENSt9enable_ifIXntltstNSt15iterator_traitsIT0_E10value_typeELi512EET1_E4typeERNSG_16execution_policyIT_EESR_SR_SU_T2_EUlRKSY_E_EE10hipError_tS11_T3_mT4_P12ihipStream_tbEUlSY_E_NS1_11comp_targetILNS1_3genE5ELNS1_11target_archE942ELNS1_3gpuE9ELNS1_3repE0EEENS1_30default_config_static_selectorELNS0_4arch9wavefront6targetE0EEEvSU_
		.amdhsa_group_segment_fixed_size 0
		.amdhsa_private_segment_fixed_size 0
		.amdhsa_kernarg_size 40
		.amdhsa_user_sgpr_count 15
		.amdhsa_user_sgpr_dispatch_ptr 0
		.amdhsa_user_sgpr_queue_ptr 0
		.amdhsa_user_sgpr_kernarg_segment_ptr 1
		.amdhsa_user_sgpr_dispatch_id 0
		.amdhsa_user_sgpr_private_segment_size 0
		.amdhsa_wavefront_size32 1
		.amdhsa_uses_dynamic_stack 0
		.amdhsa_enable_private_segment 0
		.amdhsa_system_sgpr_workgroup_id_x 1
		.amdhsa_system_sgpr_workgroup_id_y 0
		.amdhsa_system_sgpr_workgroup_id_z 0
		.amdhsa_system_sgpr_workgroup_info 0
		.amdhsa_system_vgpr_workitem_id 0
		.amdhsa_next_free_vgpr 1
		.amdhsa_next_free_sgpr 1
		.amdhsa_reserve_vcc 0
		.amdhsa_float_round_mode_32 0
		.amdhsa_float_round_mode_16_64 0
		.amdhsa_float_denorm_mode_32 3
		.amdhsa_float_denorm_mode_16_64 3
		.amdhsa_dx10_clamp 1
		.amdhsa_ieee_mode 1
		.amdhsa_fp16_overflow 0
		.amdhsa_workgroup_processor_mode 1
		.amdhsa_memory_ordered 1
		.amdhsa_forward_progress 0
		.amdhsa_shared_vgpr_count 0
		.amdhsa_exception_fp_ieee_invalid_op 0
		.amdhsa_exception_fp_denorm_src 0
		.amdhsa_exception_fp_ieee_div_zero 0
		.amdhsa_exception_fp_ieee_overflow 0
		.amdhsa_exception_fp_ieee_underflow 0
		.amdhsa_exception_fp_ieee_inexact 0
		.amdhsa_exception_int_div_zero 0
	.end_amdhsa_kernel
	.section	.text._ZN7rocprim17ROCPRIM_400000_NS6detail17trampoline_kernelINS0_14default_configENS1_25transform_config_selectorI10large_dataLb0EEEZNS1_14transform_implILb0ES3_S6_N6thrust23THRUST_200600_302600_NS6detail15normal_iteratorINS9_10device_ptrIS5_EEEENSB_INS9_7pointerIhNS9_11hip_rocprim5par_tENS9_11use_defaultESI_EEEEZNSG_9__copy_if7copy_ifISH_SE_SE_7is_evenIS5_EEENSt9enable_ifIXntltstNSt15iterator_traitsIT0_E10value_typeELi512EET1_E4typeERNSG_16execution_policyIT_EESR_SR_SU_T2_EUlRKSY_E_EE10hipError_tS11_T3_mT4_P12ihipStream_tbEUlSY_E_NS1_11comp_targetILNS1_3genE5ELNS1_11target_archE942ELNS1_3gpuE9ELNS1_3repE0EEENS1_30default_config_static_selectorELNS0_4arch9wavefront6targetE0EEEvSU_,"axG",@progbits,_ZN7rocprim17ROCPRIM_400000_NS6detail17trampoline_kernelINS0_14default_configENS1_25transform_config_selectorI10large_dataLb0EEEZNS1_14transform_implILb0ES3_S6_N6thrust23THRUST_200600_302600_NS6detail15normal_iteratorINS9_10device_ptrIS5_EEEENSB_INS9_7pointerIhNS9_11hip_rocprim5par_tENS9_11use_defaultESI_EEEEZNSG_9__copy_if7copy_ifISH_SE_SE_7is_evenIS5_EEENSt9enable_ifIXntltstNSt15iterator_traitsIT0_E10value_typeELi512EET1_E4typeERNSG_16execution_policyIT_EESR_SR_SU_T2_EUlRKSY_E_EE10hipError_tS11_T3_mT4_P12ihipStream_tbEUlSY_E_NS1_11comp_targetILNS1_3genE5ELNS1_11target_archE942ELNS1_3gpuE9ELNS1_3repE0EEENS1_30default_config_static_selectorELNS0_4arch9wavefront6targetE0EEEvSU_,comdat
.Lfunc_end95:
	.size	_ZN7rocprim17ROCPRIM_400000_NS6detail17trampoline_kernelINS0_14default_configENS1_25transform_config_selectorI10large_dataLb0EEEZNS1_14transform_implILb0ES3_S6_N6thrust23THRUST_200600_302600_NS6detail15normal_iteratorINS9_10device_ptrIS5_EEEENSB_INS9_7pointerIhNS9_11hip_rocprim5par_tENS9_11use_defaultESI_EEEEZNSG_9__copy_if7copy_ifISH_SE_SE_7is_evenIS5_EEENSt9enable_ifIXntltstNSt15iterator_traitsIT0_E10value_typeELi512EET1_E4typeERNSG_16execution_policyIT_EESR_SR_SU_T2_EUlRKSY_E_EE10hipError_tS11_T3_mT4_P12ihipStream_tbEUlSY_E_NS1_11comp_targetILNS1_3genE5ELNS1_11target_archE942ELNS1_3gpuE9ELNS1_3repE0EEENS1_30default_config_static_selectorELNS0_4arch9wavefront6targetE0EEEvSU_, .Lfunc_end95-_ZN7rocprim17ROCPRIM_400000_NS6detail17trampoline_kernelINS0_14default_configENS1_25transform_config_selectorI10large_dataLb0EEEZNS1_14transform_implILb0ES3_S6_N6thrust23THRUST_200600_302600_NS6detail15normal_iteratorINS9_10device_ptrIS5_EEEENSB_INS9_7pointerIhNS9_11hip_rocprim5par_tENS9_11use_defaultESI_EEEEZNSG_9__copy_if7copy_ifISH_SE_SE_7is_evenIS5_EEENSt9enable_ifIXntltstNSt15iterator_traitsIT0_E10value_typeELi512EET1_E4typeERNSG_16execution_policyIT_EESR_SR_SU_T2_EUlRKSY_E_EE10hipError_tS11_T3_mT4_P12ihipStream_tbEUlSY_E_NS1_11comp_targetILNS1_3genE5ELNS1_11target_archE942ELNS1_3gpuE9ELNS1_3repE0EEENS1_30default_config_static_selectorELNS0_4arch9wavefront6targetE0EEEvSU_
                                        ; -- End function
	.section	.AMDGPU.csdata,"",@progbits
; Kernel info:
; codeLenInByte = 0
; NumSgprs: 0
; NumVgprs: 0
; ScratchSize: 0
; MemoryBound: 0
; FloatMode: 240
; IeeeMode: 1
; LDSByteSize: 0 bytes/workgroup (compile time only)
; SGPRBlocks: 0
; VGPRBlocks: 0
; NumSGPRsForWavesPerEU: 1
; NumVGPRsForWavesPerEU: 1
; Occupancy: 16
; WaveLimiterHint : 0
; COMPUTE_PGM_RSRC2:SCRATCH_EN: 0
; COMPUTE_PGM_RSRC2:USER_SGPR: 15
; COMPUTE_PGM_RSRC2:TRAP_HANDLER: 0
; COMPUTE_PGM_RSRC2:TGID_X_EN: 1
; COMPUTE_PGM_RSRC2:TGID_Y_EN: 0
; COMPUTE_PGM_RSRC2:TGID_Z_EN: 0
; COMPUTE_PGM_RSRC2:TIDIG_COMP_CNT: 0
	.section	.text._ZN7rocprim17ROCPRIM_400000_NS6detail17trampoline_kernelINS0_14default_configENS1_25transform_config_selectorI10large_dataLb0EEEZNS1_14transform_implILb0ES3_S6_N6thrust23THRUST_200600_302600_NS6detail15normal_iteratorINS9_10device_ptrIS5_EEEENSB_INS9_7pointerIhNS9_11hip_rocprim5par_tENS9_11use_defaultESI_EEEEZNSG_9__copy_if7copy_ifISH_SE_SE_7is_evenIS5_EEENSt9enable_ifIXntltstNSt15iterator_traitsIT0_E10value_typeELi512EET1_E4typeERNSG_16execution_policyIT_EESR_SR_SU_T2_EUlRKSY_E_EE10hipError_tS11_T3_mT4_P12ihipStream_tbEUlSY_E_NS1_11comp_targetILNS1_3genE4ELNS1_11target_archE910ELNS1_3gpuE8ELNS1_3repE0EEENS1_30default_config_static_selectorELNS0_4arch9wavefront6targetE0EEEvSU_,"axG",@progbits,_ZN7rocprim17ROCPRIM_400000_NS6detail17trampoline_kernelINS0_14default_configENS1_25transform_config_selectorI10large_dataLb0EEEZNS1_14transform_implILb0ES3_S6_N6thrust23THRUST_200600_302600_NS6detail15normal_iteratorINS9_10device_ptrIS5_EEEENSB_INS9_7pointerIhNS9_11hip_rocprim5par_tENS9_11use_defaultESI_EEEEZNSG_9__copy_if7copy_ifISH_SE_SE_7is_evenIS5_EEENSt9enable_ifIXntltstNSt15iterator_traitsIT0_E10value_typeELi512EET1_E4typeERNSG_16execution_policyIT_EESR_SR_SU_T2_EUlRKSY_E_EE10hipError_tS11_T3_mT4_P12ihipStream_tbEUlSY_E_NS1_11comp_targetILNS1_3genE4ELNS1_11target_archE910ELNS1_3gpuE8ELNS1_3repE0EEENS1_30default_config_static_selectorELNS0_4arch9wavefront6targetE0EEEvSU_,comdat
	.protected	_ZN7rocprim17ROCPRIM_400000_NS6detail17trampoline_kernelINS0_14default_configENS1_25transform_config_selectorI10large_dataLb0EEEZNS1_14transform_implILb0ES3_S6_N6thrust23THRUST_200600_302600_NS6detail15normal_iteratorINS9_10device_ptrIS5_EEEENSB_INS9_7pointerIhNS9_11hip_rocprim5par_tENS9_11use_defaultESI_EEEEZNSG_9__copy_if7copy_ifISH_SE_SE_7is_evenIS5_EEENSt9enable_ifIXntltstNSt15iterator_traitsIT0_E10value_typeELi512EET1_E4typeERNSG_16execution_policyIT_EESR_SR_SU_T2_EUlRKSY_E_EE10hipError_tS11_T3_mT4_P12ihipStream_tbEUlSY_E_NS1_11comp_targetILNS1_3genE4ELNS1_11target_archE910ELNS1_3gpuE8ELNS1_3repE0EEENS1_30default_config_static_selectorELNS0_4arch9wavefront6targetE0EEEvSU_ ; -- Begin function _ZN7rocprim17ROCPRIM_400000_NS6detail17trampoline_kernelINS0_14default_configENS1_25transform_config_selectorI10large_dataLb0EEEZNS1_14transform_implILb0ES3_S6_N6thrust23THRUST_200600_302600_NS6detail15normal_iteratorINS9_10device_ptrIS5_EEEENSB_INS9_7pointerIhNS9_11hip_rocprim5par_tENS9_11use_defaultESI_EEEEZNSG_9__copy_if7copy_ifISH_SE_SE_7is_evenIS5_EEENSt9enable_ifIXntltstNSt15iterator_traitsIT0_E10value_typeELi512EET1_E4typeERNSG_16execution_policyIT_EESR_SR_SU_T2_EUlRKSY_E_EE10hipError_tS11_T3_mT4_P12ihipStream_tbEUlSY_E_NS1_11comp_targetILNS1_3genE4ELNS1_11target_archE910ELNS1_3gpuE8ELNS1_3repE0EEENS1_30default_config_static_selectorELNS0_4arch9wavefront6targetE0EEEvSU_
	.globl	_ZN7rocprim17ROCPRIM_400000_NS6detail17trampoline_kernelINS0_14default_configENS1_25transform_config_selectorI10large_dataLb0EEEZNS1_14transform_implILb0ES3_S6_N6thrust23THRUST_200600_302600_NS6detail15normal_iteratorINS9_10device_ptrIS5_EEEENSB_INS9_7pointerIhNS9_11hip_rocprim5par_tENS9_11use_defaultESI_EEEEZNSG_9__copy_if7copy_ifISH_SE_SE_7is_evenIS5_EEENSt9enable_ifIXntltstNSt15iterator_traitsIT0_E10value_typeELi512EET1_E4typeERNSG_16execution_policyIT_EESR_SR_SU_T2_EUlRKSY_E_EE10hipError_tS11_T3_mT4_P12ihipStream_tbEUlSY_E_NS1_11comp_targetILNS1_3genE4ELNS1_11target_archE910ELNS1_3gpuE8ELNS1_3repE0EEENS1_30default_config_static_selectorELNS0_4arch9wavefront6targetE0EEEvSU_
	.p2align	8
	.type	_ZN7rocprim17ROCPRIM_400000_NS6detail17trampoline_kernelINS0_14default_configENS1_25transform_config_selectorI10large_dataLb0EEEZNS1_14transform_implILb0ES3_S6_N6thrust23THRUST_200600_302600_NS6detail15normal_iteratorINS9_10device_ptrIS5_EEEENSB_INS9_7pointerIhNS9_11hip_rocprim5par_tENS9_11use_defaultESI_EEEEZNSG_9__copy_if7copy_ifISH_SE_SE_7is_evenIS5_EEENSt9enable_ifIXntltstNSt15iterator_traitsIT0_E10value_typeELi512EET1_E4typeERNSG_16execution_policyIT_EESR_SR_SU_T2_EUlRKSY_E_EE10hipError_tS11_T3_mT4_P12ihipStream_tbEUlSY_E_NS1_11comp_targetILNS1_3genE4ELNS1_11target_archE910ELNS1_3gpuE8ELNS1_3repE0EEENS1_30default_config_static_selectorELNS0_4arch9wavefront6targetE0EEEvSU_,@function
_ZN7rocprim17ROCPRIM_400000_NS6detail17trampoline_kernelINS0_14default_configENS1_25transform_config_selectorI10large_dataLb0EEEZNS1_14transform_implILb0ES3_S6_N6thrust23THRUST_200600_302600_NS6detail15normal_iteratorINS9_10device_ptrIS5_EEEENSB_INS9_7pointerIhNS9_11hip_rocprim5par_tENS9_11use_defaultESI_EEEEZNSG_9__copy_if7copy_ifISH_SE_SE_7is_evenIS5_EEENSt9enable_ifIXntltstNSt15iterator_traitsIT0_E10value_typeELi512EET1_E4typeERNSG_16execution_policyIT_EESR_SR_SU_T2_EUlRKSY_E_EE10hipError_tS11_T3_mT4_P12ihipStream_tbEUlSY_E_NS1_11comp_targetILNS1_3genE4ELNS1_11target_archE910ELNS1_3gpuE8ELNS1_3repE0EEENS1_30default_config_static_selectorELNS0_4arch9wavefront6targetE0EEEvSU_: ; @_ZN7rocprim17ROCPRIM_400000_NS6detail17trampoline_kernelINS0_14default_configENS1_25transform_config_selectorI10large_dataLb0EEEZNS1_14transform_implILb0ES3_S6_N6thrust23THRUST_200600_302600_NS6detail15normal_iteratorINS9_10device_ptrIS5_EEEENSB_INS9_7pointerIhNS9_11hip_rocprim5par_tENS9_11use_defaultESI_EEEEZNSG_9__copy_if7copy_ifISH_SE_SE_7is_evenIS5_EEENSt9enable_ifIXntltstNSt15iterator_traitsIT0_E10value_typeELi512EET1_E4typeERNSG_16execution_policyIT_EESR_SR_SU_T2_EUlRKSY_E_EE10hipError_tS11_T3_mT4_P12ihipStream_tbEUlSY_E_NS1_11comp_targetILNS1_3genE4ELNS1_11target_archE910ELNS1_3gpuE8ELNS1_3repE0EEENS1_30default_config_static_selectorELNS0_4arch9wavefront6targetE0EEEvSU_
; %bb.0:
	.section	.rodata,"a",@progbits
	.p2align	6, 0x0
	.amdhsa_kernel _ZN7rocprim17ROCPRIM_400000_NS6detail17trampoline_kernelINS0_14default_configENS1_25transform_config_selectorI10large_dataLb0EEEZNS1_14transform_implILb0ES3_S6_N6thrust23THRUST_200600_302600_NS6detail15normal_iteratorINS9_10device_ptrIS5_EEEENSB_INS9_7pointerIhNS9_11hip_rocprim5par_tENS9_11use_defaultESI_EEEEZNSG_9__copy_if7copy_ifISH_SE_SE_7is_evenIS5_EEENSt9enable_ifIXntltstNSt15iterator_traitsIT0_E10value_typeELi512EET1_E4typeERNSG_16execution_policyIT_EESR_SR_SU_T2_EUlRKSY_E_EE10hipError_tS11_T3_mT4_P12ihipStream_tbEUlSY_E_NS1_11comp_targetILNS1_3genE4ELNS1_11target_archE910ELNS1_3gpuE8ELNS1_3repE0EEENS1_30default_config_static_selectorELNS0_4arch9wavefront6targetE0EEEvSU_
		.amdhsa_group_segment_fixed_size 0
		.amdhsa_private_segment_fixed_size 0
		.amdhsa_kernarg_size 40
		.amdhsa_user_sgpr_count 15
		.amdhsa_user_sgpr_dispatch_ptr 0
		.amdhsa_user_sgpr_queue_ptr 0
		.amdhsa_user_sgpr_kernarg_segment_ptr 1
		.amdhsa_user_sgpr_dispatch_id 0
		.amdhsa_user_sgpr_private_segment_size 0
		.amdhsa_wavefront_size32 1
		.amdhsa_uses_dynamic_stack 0
		.amdhsa_enable_private_segment 0
		.amdhsa_system_sgpr_workgroup_id_x 1
		.amdhsa_system_sgpr_workgroup_id_y 0
		.amdhsa_system_sgpr_workgroup_id_z 0
		.amdhsa_system_sgpr_workgroup_info 0
		.amdhsa_system_vgpr_workitem_id 0
		.amdhsa_next_free_vgpr 1
		.amdhsa_next_free_sgpr 1
		.amdhsa_reserve_vcc 0
		.amdhsa_float_round_mode_32 0
		.amdhsa_float_round_mode_16_64 0
		.amdhsa_float_denorm_mode_32 3
		.amdhsa_float_denorm_mode_16_64 3
		.amdhsa_dx10_clamp 1
		.amdhsa_ieee_mode 1
		.amdhsa_fp16_overflow 0
		.amdhsa_workgroup_processor_mode 1
		.amdhsa_memory_ordered 1
		.amdhsa_forward_progress 0
		.amdhsa_shared_vgpr_count 0
		.amdhsa_exception_fp_ieee_invalid_op 0
		.amdhsa_exception_fp_denorm_src 0
		.amdhsa_exception_fp_ieee_div_zero 0
		.amdhsa_exception_fp_ieee_overflow 0
		.amdhsa_exception_fp_ieee_underflow 0
		.amdhsa_exception_fp_ieee_inexact 0
		.amdhsa_exception_int_div_zero 0
	.end_amdhsa_kernel
	.section	.text._ZN7rocprim17ROCPRIM_400000_NS6detail17trampoline_kernelINS0_14default_configENS1_25transform_config_selectorI10large_dataLb0EEEZNS1_14transform_implILb0ES3_S6_N6thrust23THRUST_200600_302600_NS6detail15normal_iteratorINS9_10device_ptrIS5_EEEENSB_INS9_7pointerIhNS9_11hip_rocprim5par_tENS9_11use_defaultESI_EEEEZNSG_9__copy_if7copy_ifISH_SE_SE_7is_evenIS5_EEENSt9enable_ifIXntltstNSt15iterator_traitsIT0_E10value_typeELi512EET1_E4typeERNSG_16execution_policyIT_EESR_SR_SU_T2_EUlRKSY_E_EE10hipError_tS11_T3_mT4_P12ihipStream_tbEUlSY_E_NS1_11comp_targetILNS1_3genE4ELNS1_11target_archE910ELNS1_3gpuE8ELNS1_3repE0EEENS1_30default_config_static_selectorELNS0_4arch9wavefront6targetE0EEEvSU_,"axG",@progbits,_ZN7rocprim17ROCPRIM_400000_NS6detail17trampoline_kernelINS0_14default_configENS1_25transform_config_selectorI10large_dataLb0EEEZNS1_14transform_implILb0ES3_S6_N6thrust23THRUST_200600_302600_NS6detail15normal_iteratorINS9_10device_ptrIS5_EEEENSB_INS9_7pointerIhNS9_11hip_rocprim5par_tENS9_11use_defaultESI_EEEEZNSG_9__copy_if7copy_ifISH_SE_SE_7is_evenIS5_EEENSt9enable_ifIXntltstNSt15iterator_traitsIT0_E10value_typeELi512EET1_E4typeERNSG_16execution_policyIT_EESR_SR_SU_T2_EUlRKSY_E_EE10hipError_tS11_T3_mT4_P12ihipStream_tbEUlSY_E_NS1_11comp_targetILNS1_3genE4ELNS1_11target_archE910ELNS1_3gpuE8ELNS1_3repE0EEENS1_30default_config_static_selectorELNS0_4arch9wavefront6targetE0EEEvSU_,comdat
.Lfunc_end96:
	.size	_ZN7rocprim17ROCPRIM_400000_NS6detail17trampoline_kernelINS0_14default_configENS1_25transform_config_selectorI10large_dataLb0EEEZNS1_14transform_implILb0ES3_S6_N6thrust23THRUST_200600_302600_NS6detail15normal_iteratorINS9_10device_ptrIS5_EEEENSB_INS9_7pointerIhNS9_11hip_rocprim5par_tENS9_11use_defaultESI_EEEEZNSG_9__copy_if7copy_ifISH_SE_SE_7is_evenIS5_EEENSt9enable_ifIXntltstNSt15iterator_traitsIT0_E10value_typeELi512EET1_E4typeERNSG_16execution_policyIT_EESR_SR_SU_T2_EUlRKSY_E_EE10hipError_tS11_T3_mT4_P12ihipStream_tbEUlSY_E_NS1_11comp_targetILNS1_3genE4ELNS1_11target_archE910ELNS1_3gpuE8ELNS1_3repE0EEENS1_30default_config_static_selectorELNS0_4arch9wavefront6targetE0EEEvSU_, .Lfunc_end96-_ZN7rocprim17ROCPRIM_400000_NS6detail17trampoline_kernelINS0_14default_configENS1_25transform_config_selectorI10large_dataLb0EEEZNS1_14transform_implILb0ES3_S6_N6thrust23THRUST_200600_302600_NS6detail15normal_iteratorINS9_10device_ptrIS5_EEEENSB_INS9_7pointerIhNS9_11hip_rocprim5par_tENS9_11use_defaultESI_EEEEZNSG_9__copy_if7copy_ifISH_SE_SE_7is_evenIS5_EEENSt9enable_ifIXntltstNSt15iterator_traitsIT0_E10value_typeELi512EET1_E4typeERNSG_16execution_policyIT_EESR_SR_SU_T2_EUlRKSY_E_EE10hipError_tS11_T3_mT4_P12ihipStream_tbEUlSY_E_NS1_11comp_targetILNS1_3genE4ELNS1_11target_archE910ELNS1_3gpuE8ELNS1_3repE0EEENS1_30default_config_static_selectorELNS0_4arch9wavefront6targetE0EEEvSU_
                                        ; -- End function
	.section	.AMDGPU.csdata,"",@progbits
; Kernel info:
; codeLenInByte = 0
; NumSgprs: 0
; NumVgprs: 0
; ScratchSize: 0
; MemoryBound: 0
; FloatMode: 240
; IeeeMode: 1
; LDSByteSize: 0 bytes/workgroup (compile time only)
; SGPRBlocks: 0
; VGPRBlocks: 0
; NumSGPRsForWavesPerEU: 1
; NumVGPRsForWavesPerEU: 1
; Occupancy: 16
; WaveLimiterHint : 0
; COMPUTE_PGM_RSRC2:SCRATCH_EN: 0
; COMPUTE_PGM_RSRC2:USER_SGPR: 15
; COMPUTE_PGM_RSRC2:TRAP_HANDLER: 0
; COMPUTE_PGM_RSRC2:TGID_X_EN: 1
; COMPUTE_PGM_RSRC2:TGID_Y_EN: 0
; COMPUTE_PGM_RSRC2:TGID_Z_EN: 0
; COMPUTE_PGM_RSRC2:TIDIG_COMP_CNT: 0
	.section	.text._ZN7rocprim17ROCPRIM_400000_NS6detail17trampoline_kernelINS0_14default_configENS1_25transform_config_selectorI10large_dataLb0EEEZNS1_14transform_implILb0ES3_S6_N6thrust23THRUST_200600_302600_NS6detail15normal_iteratorINS9_10device_ptrIS5_EEEENSB_INS9_7pointerIhNS9_11hip_rocprim5par_tENS9_11use_defaultESI_EEEEZNSG_9__copy_if7copy_ifISH_SE_SE_7is_evenIS5_EEENSt9enable_ifIXntltstNSt15iterator_traitsIT0_E10value_typeELi512EET1_E4typeERNSG_16execution_policyIT_EESR_SR_SU_T2_EUlRKSY_E_EE10hipError_tS11_T3_mT4_P12ihipStream_tbEUlSY_E_NS1_11comp_targetILNS1_3genE3ELNS1_11target_archE908ELNS1_3gpuE7ELNS1_3repE0EEENS1_30default_config_static_selectorELNS0_4arch9wavefront6targetE0EEEvSU_,"axG",@progbits,_ZN7rocprim17ROCPRIM_400000_NS6detail17trampoline_kernelINS0_14default_configENS1_25transform_config_selectorI10large_dataLb0EEEZNS1_14transform_implILb0ES3_S6_N6thrust23THRUST_200600_302600_NS6detail15normal_iteratorINS9_10device_ptrIS5_EEEENSB_INS9_7pointerIhNS9_11hip_rocprim5par_tENS9_11use_defaultESI_EEEEZNSG_9__copy_if7copy_ifISH_SE_SE_7is_evenIS5_EEENSt9enable_ifIXntltstNSt15iterator_traitsIT0_E10value_typeELi512EET1_E4typeERNSG_16execution_policyIT_EESR_SR_SU_T2_EUlRKSY_E_EE10hipError_tS11_T3_mT4_P12ihipStream_tbEUlSY_E_NS1_11comp_targetILNS1_3genE3ELNS1_11target_archE908ELNS1_3gpuE7ELNS1_3repE0EEENS1_30default_config_static_selectorELNS0_4arch9wavefront6targetE0EEEvSU_,comdat
	.protected	_ZN7rocprim17ROCPRIM_400000_NS6detail17trampoline_kernelINS0_14default_configENS1_25transform_config_selectorI10large_dataLb0EEEZNS1_14transform_implILb0ES3_S6_N6thrust23THRUST_200600_302600_NS6detail15normal_iteratorINS9_10device_ptrIS5_EEEENSB_INS9_7pointerIhNS9_11hip_rocprim5par_tENS9_11use_defaultESI_EEEEZNSG_9__copy_if7copy_ifISH_SE_SE_7is_evenIS5_EEENSt9enable_ifIXntltstNSt15iterator_traitsIT0_E10value_typeELi512EET1_E4typeERNSG_16execution_policyIT_EESR_SR_SU_T2_EUlRKSY_E_EE10hipError_tS11_T3_mT4_P12ihipStream_tbEUlSY_E_NS1_11comp_targetILNS1_3genE3ELNS1_11target_archE908ELNS1_3gpuE7ELNS1_3repE0EEENS1_30default_config_static_selectorELNS0_4arch9wavefront6targetE0EEEvSU_ ; -- Begin function _ZN7rocprim17ROCPRIM_400000_NS6detail17trampoline_kernelINS0_14default_configENS1_25transform_config_selectorI10large_dataLb0EEEZNS1_14transform_implILb0ES3_S6_N6thrust23THRUST_200600_302600_NS6detail15normal_iteratorINS9_10device_ptrIS5_EEEENSB_INS9_7pointerIhNS9_11hip_rocprim5par_tENS9_11use_defaultESI_EEEEZNSG_9__copy_if7copy_ifISH_SE_SE_7is_evenIS5_EEENSt9enable_ifIXntltstNSt15iterator_traitsIT0_E10value_typeELi512EET1_E4typeERNSG_16execution_policyIT_EESR_SR_SU_T2_EUlRKSY_E_EE10hipError_tS11_T3_mT4_P12ihipStream_tbEUlSY_E_NS1_11comp_targetILNS1_3genE3ELNS1_11target_archE908ELNS1_3gpuE7ELNS1_3repE0EEENS1_30default_config_static_selectorELNS0_4arch9wavefront6targetE0EEEvSU_
	.globl	_ZN7rocprim17ROCPRIM_400000_NS6detail17trampoline_kernelINS0_14default_configENS1_25transform_config_selectorI10large_dataLb0EEEZNS1_14transform_implILb0ES3_S6_N6thrust23THRUST_200600_302600_NS6detail15normal_iteratorINS9_10device_ptrIS5_EEEENSB_INS9_7pointerIhNS9_11hip_rocprim5par_tENS9_11use_defaultESI_EEEEZNSG_9__copy_if7copy_ifISH_SE_SE_7is_evenIS5_EEENSt9enable_ifIXntltstNSt15iterator_traitsIT0_E10value_typeELi512EET1_E4typeERNSG_16execution_policyIT_EESR_SR_SU_T2_EUlRKSY_E_EE10hipError_tS11_T3_mT4_P12ihipStream_tbEUlSY_E_NS1_11comp_targetILNS1_3genE3ELNS1_11target_archE908ELNS1_3gpuE7ELNS1_3repE0EEENS1_30default_config_static_selectorELNS0_4arch9wavefront6targetE0EEEvSU_
	.p2align	8
	.type	_ZN7rocprim17ROCPRIM_400000_NS6detail17trampoline_kernelINS0_14default_configENS1_25transform_config_selectorI10large_dataLb0EEEZNS1_14transform_implILb0ES3_S6_N6thrust23THRUST_200600_302600_NS6detail15normal_iteratorINS9_10device_ptrIS5_EEEENSB_INS9_7pointerIhNS9_11hip_rocprim5par_tENS9_11use_defaultESI_EEEEZNSG_9__copy_if7copy_ifISH_SE_SE_7is_evenIS5_EEENSt9enable_ifIXntltstNSt15iterator_traitsIT0_E10value_typeELi512EET1_E4typeERNSG_16execution_policyIT_EESR_SR_SU_T2_EUlRKSY_E_EE10hipError_tS11_T3_mT4_P12ihipStream_tbEUlSY_E_NS1_11comp_targetILNS1_3genE3ELNS1_11target_archE908ELNS1_3gpuE7ELNS1_3repE0EEENS1_30default_config_static_selectorELNS0_4arch9wavefront6targetE0EEEvSU_,@function
_ZN7rocprim17ROCPRIM_400000_NS6detail17trampoline_kernelINS0_14default_configENS1_25transform_config_selectorI10large_dataLb0EEEZNS1_14transform_implILb0ES3_S6_N6thrust23THRUST_200600_302600_NS6detail15normal_iteratorINS9_10device_ptrIS5_EEEENSB_INS9_7pointerIhNS9_11hip_rocprim5par_tENS9_11use_defaultESI_EEEEZNSG_9__copy_if7copy_ifISH_SE_SE_7is_evenIS5_EEENSt9enable_ifIXntltstNSt15iterator_traitsIT0_E10value_typeELi512EET1_E4typeERNSG_16execution_policyIT_EESR_SR_SU_T2_EUlRKSY_E_EE10hipError_tS11_T3_mT4_P12ihipStream_tbEUlSY_E_NS1_11comp_targetILNS1_3genE3ELNS1_11target_archE908ELNS1_3gpuE7ELNS1_3repE0EEENS1_30default_config_static_selectorELNS0_4arch9wavefront6targetE0EEEvSU_: ; @_ZN7rocprim17ROCPRIM_400000_NS6detail17trampoline_kernelINS0_14default_configENS1_25transform_config_selectorI10large_dataLb0EEEZNS1_14transform_implILb0ES3_S6_N6thrust23THRUST_200600_302600_NS6detail15normal_iteratorINS9_10device_ptrIS5_EEEENSB_INS9_7pointerIhNS9_11hip_rocprim5par_tENS9_11use_defaultESI_EEEEZNSG_9__copy_if7copy_ifISH_SE_SE_7is_evenIS5_EEENSt9enable_ifIXntltstNSt15iterator_traitsIT0_E10value_typeELi512EET1_E4typeERNSG_16execution_policyIT_EESR_SR_SU_T2_EUlRKSY_E_EE10hipError_tS11_T3_mT4_P12ihipStream_tbEUlSY_E_NS1_11comp_targetILNS1_3genE3ELNS1_11target_archE908ELNS1_3gpuE7ELNS1_3repE0EEENS1_30default_config_static_selectorELNS0_4arch9wavefront6targetE0EEEvSU_
; %bb.0:
	.section	.rodata,"a",@progbits
	.p2align	6, 0x0
	.amdhsa_kernel _ZN7rocprim17ROCPRIM_400000_NS6detail17trampoline_kernelINS0_14default_configENS1_25transform_config_selectorI10large_dataLb0EEEZNS1_14transform_implILb0ES3_S6_N6thrust23THRUST_200600_302600_NS6detail15normal_iteratorINS9_10device_ptrIS5_EEEENSB_INS9_7pointerIhNS9_11hip_rocprim5par_tENS9_11use_defaultESI_EEEEZNSG_9__copy_if7copy_ifISH_SE_SE_7is_evenIS5_EEENSt9enable_ifIXntltstNSt15iterator_traitsIT0_E10value_typeELi512EET1_E4typeERNSG_16execution_policyIT_EESR_SR_SU_T2_EUlRKSY_E_EE10hipError_tS11_T3_mT4_P12ihipStream_tbEUlSY_E_NS1_11comp_targetILNS1_3genE3ELNS1_11target_archE908ELNS1_3gpuE7ELNS1_3repE0EEENS1_30default_config_static_selectorELNS0_4arch9wavefront6targetE0EEEvSU_
		.amdhsa_group_segment_fixed_size 0
		.amdhsa_private_segment_fixed_size 0
		.amdhsa_kernarg_size 40
		.amdhsa_user_sgpr_count 15
		.amdhsa_user_sgpr_dispatch_ptr 0
		.amdhsa_user_sgpr_queue_ptr 0
		.amdhsa_user_sgpr_kernarg_segment_ptr 1
		.amdhsa_user_sgpr_dispatch_id 0
		.amdhsa_user_sgpr_private_segment_size 0
		.amdhsa_wavefront_size32 1
		.amdhsa_uses_dynamic_stack 0
		.amdhsa_enable_private_segment 0
		.amdhsa_system_sgpr_workgroup_id_x 1
		.amdhsa_system_sgpr_workgroup_id_y 0
		.amdhsa_system_sgpr_workgroup_id_z 0
		.amdhsa_system_sgpr_workgroup_info 0
		.amdhsa_system_vgpr_workitem_id 0
		.amdhsa_next_free_vgpr 1
		.amdhsa_next_free_sgpr 1
		.amdhsa_reserve_vcc 0
		.amdhsa_float_round_mode_32 0
		.amdhsa_float_round_mode_16_64 0
		.amdhsa_float_denorm_mode_32 3
		.amdhsa_float_denorm_mode_16_64 3
		.amdhsa_dx10_clamp 1
		.amdhsa_ieee_mode 1
		.amdhsa_fp16_overflow 0
		.amdhsa_workgroup_processor_mode 1
		.amdhsa_memory_ordered 1
		.amdhsa_forward_progress 0
		.amdhsa_shared_vgpr_count 0
		.amdhsa_exception_fp_ieee_invalid_op 0
		.amdhsa_exception_fp_denorm_src 0
		.amdhsa_exception_fp_ieee_div_zero 0
		.amdhsa_exception_fp_ieee_overflow 0
		.amdhsa_exception_fp_ieee_underflow 0
		.amdhsa_exception_fp_ieee_inexact 0
		.amdhsa_exception_int_div_zero 0
	.end_amdhsa_kernel
	.section	.text._ZN7rocprim17ROCPRIM_400000_NS6detail17trampoline_kernelINS0_14default_configENS1_25transform_config_selectorI10large_dataLb0EEEZNS1_14transform_implILb0ES3_S6_N6thrust23THRUST_200600_302600_NS6detail15normal_iteratorINS9_10device_ptrIS5_EEEENSB_INS9_7pointerIhNS9_11hip_rocprim5par_tENS9_11use_defaultESI_EEEEZNSG_9__copy_if7copy_ifISH_SE_SE_7is_evenIS5_EEENSt9enable_ifIXntltstNSt15iterator_traitsIT0_E10value_typeELi512EET1_E4typeERNSG_16execution_policyIT_EESR_SR_SU_T2_EUlRKSY_E_EE10hipError_tS11_T3_mT4_P12ihipStream_tbEUlSY_E_NS1_11comp_targetILNS1_3genE3ELNS1_11target_archE908ELNS1_3gpuE7ELNS1_3repE0EEENS1_30default_config_static_selectorELNS0_4arch9wavefront6targetE0EEEvSU_,"axG",@progbits,_ZN7rocprim17ROCPRIM_400000_NS6detail17trampoline_kernelINS0_14default_configENS1_25transform_config_selectorI10large_dataLb0EEEZNS1_14transform_implILb0ES3_S6_N6thrust23THRUST_200600_302600_NS6detail15normal_iteratorINS9_10device_ptrIS5_EEEENSB_INS9_7pointerIhNS9_11hip_rocprim5par_tENS9_11use_defaultESI_EEEEZNSG_9__copy_if7copy_ifISH_SE_SE_7is_evenIS5_EEENSt9enable_ifIXntltstNSt15iterator_traitsIT0_E10value_typeELi512EET1_E4typeERNSG_16execution_policyIT_EESR_SR_SU_T2_EUlRKSY_E_EE10hipError_tS11_T3_mT4_P12ihipStream_tbEUlSY_E_NS1_11comp_targetILNS1_3genE3ELNS1_11target_archE908ELNS1_3gpuE7ELNS1_3repE0EEENS1_30default_config_static_selectorELNS0_4arch9wavefront6targetE0EEEvSU_,comdat
.Lfunc_end97:
	.size	_ZN7rocprim17ROCPRIM_400000_NS6detail17trampoline_kernelINS0_14default_configENS1_25transform_config_selectorI10large_dataLb0EEEZNS1_14transform_implILb0ES3_S6_N6thrust23THRUST_200600_302600_NS6detail15normal_iteratorINS9_10device_ptrIS5_EEEENSB_INS9_7pointerIhNS9_11hip_rocprim5par_tENS9_11use_defaultESI_EEEEZNSG_9__copy_if7copy_ifISH_SE_SE_7is_evenIS5_EEENSt9enable_ifIXntltstNSt15iterator_traitsIT0_E10value_typeELi512EET1_E4typeERNSG_16execution_policyIT_EESR_SR_SU_T2_EUlRKSY_E_EE10hipError_tS11_T3_mT4_P12ihipStream_tbEUlSY_E_NS1_11comp_targetILNS1_3genE3ELNS1_11target_archE908ELNS1_3gpuE7ELNS1_3repE0EEENS1_30default_config_static_selectorELNS0_4arch9wavefront6targetE0EEEvSU_, .Lfunc_end97-_ZN7rocprim17ROCPRIM_400000_NS6detail17trampoline_kernelINS0_14default_configENS1_25transform_config_selectorI10large_dataLb0EEEZNS1_14transform_implILb0ES3_S6_N6thrust23THRUST_200600_302600_NS6detail15normal_iteratorINS9_10device_ptrIS5_EEEENSB_INS9_7pointerIhNS9_11hip_rocprim5par_tENS9_11use_defaultESI_EEEEZNSG_9__copy_if7copy_ifISH_SE_SE_7is_evenIS5_EEENSt9enable_ifIXntltstNSt15iterator_traitsIT0_E10value_typeELi512EET1_E4typeERNSG_16execution_policyIT_EESR_SR_SU_T2_EUlRKSY_E_EE10hipError_tS11_T3_mT4_P12ihipStream_tbEUlSY_E_NS1_11comp_targetILNS1_3genE3ELNS1_11target_archE908ELNS1_3gpuE7ELNS1_3repE0EEENS1_30default_config_static_selectorELNS0_4arch9wavefront6targetE0EEEvSU_
                                        ; -- End function
	.section	.AMDGPU.csdata,"",@progbits
; Kernel info:
; codeLenInByte = 0
; NumSgprs: 0
; NumVgprs: 0
; ScratchSize: 0
; MemoryBound: 0
; FloatMode: 240
; IeeeMode: 1
; LDSByteSize: 0 bytes/workgroup (compile time only)
; SGPRBlocks: 0
; VGPRBlocks: 0
; NumSGPRsForWavesPerEU: 1
; NumVGPRsForWavesPerEU: 1
; Occupancy: 16
; WaveLimiterHint : 0
; COMPUTE_PGM_RSRC2:SCRATCH_EN: 0
; COMPUTE_PGM_RSRC2:USER_SGPR: 15
; COMPUTE_PGM_RSRC2:TRAP_HANDLER: 0
; COMPUTE_PGM_RSRC2:TGID_X_EN: 1
; COMPUTE_PGM_RSRC2:TGID_Y_EN: 0
; COMPUTE_PGM_RSRC2:TGID_Z_EN: 0
; COMPUTE_PGM_RSRC2:TIDIG_COMP_CNT: 0
	.section	.text._ZN7rocprim17ROCPRIM_400000_NS6detail17trampoline_kernelINS0_14default_configENS1_25transform_config_selectorI10large_dataLb0EEEZNS1_14transform_implILb0ES3_S6_N6thrust23THRUST_200600_302600_NS6detail15normal_iteratorINS9_10device_ptrIS5_EEEENSB_INS9_7pointerIhNS9_11hip_rocprim5par_tENS9_11use_defaultESI_EEEEZNSG_9__copy_if7copy_ifISH_SE_SE_7is_evenIS5_EEENSt9enable_ifIXntltstNSt15iterator_traitsIT0_E10value_typeELi512EET1_E4typeERNSG_16execution_policyIT_EESR_SR_SU_T2_EUlRKSY_E_EE10hipError_tS11_T3_mT4_P12ihipStream_tbEUlSY_E_NS1_11comp_targetILNS1_3genE2ELNS1_11target_archE906ELNS1_3gpuE6ELNS1_3repE0EEENS1_30default_config_static_selectorELNS0_4arch9wavefront6targetE0EEEvSU_,"axG",@progbits,_ZN7rocprim17ROCPRIM_400000_NS6detail17trampoline_kernelINS0_14default_configENS1_25transform_config_selectorI10large_dataLb0EEEZNS1_14transform_implILb0ES3_S6_N6thrust23THRUST_200600_302600_NS6detail15normal_iteratorINS9_10device_ptrIS5_EEEENSB_INS9_7pointerIhNS9_11hip_rocprim5par_tENS9_11use_defaultESI_EEEEZNSG_9__copy_if7copy_ifISH_SE_SE_7is_evenIS5_EEENSt9enable_ifIXntltstNSt15iterator_traitsIT0_E10value_typeELi512EET1_E4typeERNSG_16execution_policyIT_EESR_SR_SU_T2_EUlRKSY_E_EE10hipError_tS11_T3_mT4_P12ihipStream_tbEUlSY_E_NS1_11comp_targetILNS1_3genE2ELNS1_11target_archE906ELNS1_3gpuE6ELNS1_3repE0EEENS1_30default_config_static_selectorELNS0_4arch9wavefront6targetE0EEEvSU_,comdat
	.protected	_ZN7rocprim17ROCPRIM_400000_NS6detail17trampoline_kernelINS0_14default_configENS1_25transform_config_selectorI10large_dataLb0EEEZNS1_14transform_implILb0ES3_S6_N6thrust23THRUST_200600_302600_NS6detail15normal_iteratorINS9_10device_ptrIS5_EEEENSB_INS9_7pointerIhNS9_11hip_rocprim5par_tENS9_11use_defaultESI_EEEEZNSG_9__copy_if7copy_ifISH_SE_SE_7is_evenIS5_EEENSt9enable_ifIXntltstNSt15iterator_traitsIT0_E10value_typeELi512EET1_E4typeERNSG_16execution_policyIT_EESR_SR_SU_T2_EUlRKSY_E_EE10hipError_tS11_T3_mT4_P12ihipStream_tbEUlSY_E_NS1_11comp_targetILNS1_3genE2ELNS1_11target_archE906ELNS1_3gpuE6ELNS1_3repE0EEENS1_30default_config_static_selectorELNS0_4arch9wavefront6targetE0EEEvSU_ ; -- Begin function _ZN7rocprim17ROCPRIM_400000_NS6detail17trampoline_kernelINS0_14default_configENS1_25transform_config_selectorI10large_dataLb0EEEZNS1_14transform_implILb0ES3_S6_N6thrust23THRUST_200600_302600_NS6detail15normal_iteratorINS9_10device_ptrIS5_EEEENSB_INS9_7pointerIhNS9_11hip_rocprim5par_tENS9_11use_defaultESI_EEEEZNSG_9__copy_if7copy_ifISH_SE_SE_7is_evenIS5_EEENSt9enable_ifIXntltstNSt15iterator_traitsIT0_E10value_typeELi512EET1_E4typeERNSG_16execution_policyIT_EESR_SR_SU_T2_EUlRKSY_E_EE10hipError_tS11_T3_mT4_P12ihipStream_tbEUlSY_E_NS1_11comp_targetILNS1_3genE2ELNS1_11target_archE906ELNS1_3gpuE6ELNS1_3repE0EEENS1_30default_config_static_selectorELNS0_4arch9wavefront6targetE0EEEvSU_
	.globl	_ZN7rocprim17ROCPRIM_400000_NS6detail17trampoline_kernelINS0_14default_configENS1_25transform_config_selectorI10large_dataLb0EEEZNS1_14transform_implILb0ES3_S6_N6thrust23THRUST_200600_302600_NS6detail15normal_iteratorINS9_10device_ptrIS5_EEEENSB_INS9_7pointerIhNS9_11hip_rocprim5par_tENS9_11use_defaultESI_EEEEZNSG_9__copy_if7copy_ifISH_SE_SE_7is_evenIS5_EEENSt9enable_ifIXntltstNSt15iterator_traitsIT0_E10value_typeELi512EET1_E4typeERNSG_16execution_policyIT_EESR_SR_SU_T2_EUlRKSY_E_EE10hipError_tS11_T3_mT4_P12ihipStream_tbEUlSY_E_NS1_11comp_targetILNS1_3genE2ELNS1_11target_archE906ELNS1_3gpuE6ELNS1_3repE0EEENS1_30default_config_static_selectorELNS0_4arch9wavefront6targetE0EEEvSU_
	.p2align	8
	.type	_ZN7rocprim17ROCPRIM_400000_NS6detail17trampoline_kernelINS0_14default_configENS1_25transform_config_selectorI10large_dataLb0EEEZNS1_14transform_implILb0ES3_S6_N6thrust23THRUST_200600_302600_NS6detail15normal_iteratorINS9_10device_ptrIS5_EEEENSB_INS9_7pointerIhNS9_11hip_rocprim5par_tENS9_11use_defaultESI_EEEEZNSG_9__copy_if7copy_ifISH_SE_SE_7is_evenIS5_EEENSt9enable_ifIXntltstNSt15iterator_traitsIT0_E10value_typeELi512EET1_E4typeERNSG_16execution_policyIT_EESR_SR_SU_T2_EUlRKSY_E_EE10hipError_tS11_T3_mT4_P12ihipStream_tbEUlSY_E_NS1_11comp_targetILNS1_3genE2ELNS1_11target_archE906ELNS1_3gpuE6ELNS1_3repE0EEENS1_30default_config_static_selectorELNS0_4arch9wavefront6targetE0EEEvSU_,@function
_ZN7rocprim17ROCPRIM_400000_NS6detail17trampoline_kernelINS0_14default_configENS1_25transform_config_selectorI10large_dataLb0EEEZNS1_14transform_implILb0ES3_S6_N6thrust23THRUST_200600_302600_NS6detail15normal_iteratorINS9_10device_ptrIS5_EEEENSB_INS9_7pointerIhNS9_11hip_rocprim5par_tENS9_11use_defaultESI_EEEEZNSG_9__copy_if7copy_ifISH_SE_SE_7is_evenIS5_EEENSt9enable_ifIXntltstNSt15iterator_traitsIT0_E10value_typeELi512EET1_E4typeERNSG_16execution_policyIT_EESR_SR_SU_T2_EUlRKSY_E_EE10hipError_tS11_T3_mT4_P12ihipStream_tbEUlSY_E_NS1_11comp_targetILNS1_3genE2ELNS1_11target_archE906ELNS1_3gpuE6ELNS1_3repE0EEENS1_30default_config_static_selectorELNS0_4arch9wavefront6targetE0EEEvSU_: ; @_ZN7rocprim17ROCPRIM_400000_NS6detail17trampoline_kernelINS0_14default_configENS1_25transform_config_selectorI10large_dataLb0EEEZNS1_14transform_implILb0ES3_S6_N6thrust23THRUST_200600_302600_NS6detail15normal_iteratorINS9_10device_ptrIS5_EEEENSB_INS9_7pointerIhNS9_11hip_rocprim5par_tENS9_11use_defaultESI_EEEEZNSG_9__copy_if7copy_ifISH_SE_SE_7is_evenIS5_EEENSt9enable_ifIXntltstNSt15iterator_traitsIT0_E10value_typeELi512EET1_E4typeERNSG_16execution_policyIT_EESR_SR_SU_T2_EUlRKSY_E_EE10hipError_tS11_T3_mT4_P12ihipStream_tbEUlSY_E_NS1_11comp_targetILNS1_3genE2ELNS1_11target_archE906ELNS1_3gpuE6ELNS1_3repE0EEENS1_30default_config_static_selectorELNS0_4arch9wavefront6targetE0EEEvSU_
; %bb.0:
	.section	.rodata,"a",@progbits
	.p2align	6, 0x0
	.amdhsa_kernel _ZN7rocprim17ROCPRIM_400000_NS6detail17trampoline_kernelINS0_14default_configENS1_25transform_config_selectorI10large_dataLb0EEEZNS1_14transform_implILb0ES3_S6_N6thrust23THRUST_200600_302600_NS6detail15normal_iteratorINS9_10device_ptrIS5_EEEENSB_INS9_7pointerIhNS9_11hip_rocprim5par_tENS9_11use_defaultESI_EEEEZNSG_9__copy_if7copy_ifISH_SE_SE_7is_evenIS5_EEENSt9enable_ifIXntltstNSt15iterator_traitsIT0_E10value_typeELi512EET1_E4typeERNSG_16execution_policyIT_EESR_SR_SU_T2_EUlRKSY_E_EE10hipError_tS11_T3_mT4_P12ihipStream_tbEUlSY_E_NS1_11comp_targetILNS1_3genE2ELNS1_11target_archE906ELNS1_3gpuE6ELNS1_3repE0EEENS1_30default_config_static_selectorELNS0_4arch9wavefront6targetE0EEEvSU_
		.amdhsa_group_segment_fixed_size 0
		.amdhsa_private_segment_fixed_size 0
		.amdhsa_kernarg_size 40
		.amdhsa_user_sgpr_count 15
		.amdhsa_user_sgpr_dispatch_ptr 0
		.amdhsa_user_sgpr_queue_ptr 0
		.amdhsa_user_sgpr_kernarg_segment_ptr 1
		.amdhsa_user_sgpr_dispatch_id 0
		.amdhsa_user_sgpr_private_segment_size 0
		.amdhsa_wavefront_size32 1
		.amdhsa_uses_dynamic_stack 0
		.amdhsa_enable_private_segment 0
		.amdhsa_system_sgpr_workgroup_id_x 1
		.amdhsa_system_sgpr_workgroup_id_y 0
		.amdhsa_system_sgpr_workgroup_id_z 0
		.amdhsa_system_sgpr_workgroup_info 0
		.amdhsa_system_vgpr_workitem_id 0
		.amdhsa_next_free_vgpr 1
		.amdhsa_next_free_sgpr 1
		.amdhsa_reserve_vcc 0
		.amdhsa_float_round_mode_32 0
		.amdhsa_float_round_mode_16_64 0
		.amdhsa_float_denorm_mode_32 3
		.amdhsa_float_denorm_mode_16_64 3
		.amdhsa_dx10_clamp 1
		.amdhsa_ieee_mode 1
		.amdhsa_fp16_overflow 0
		.amdhsa_workgroup_processor_mode 1
		.amdhsa_memory_ordered 1
		.amdhsa_forward_progress 0
		.amdhsa_shared_vgpr_count 0
		.amdhsa_exception_fp_ieee_invalid_op 0
		.amdhsa_exception_fp_denorm_src 0
		.amdhsa_exception_fp_ieee_div_zero 0
		.amdhsa_exception_fp_ieee_overflow 0
		.amdhsa_exception_fp_ieee_underflow 0
		.amdhsa_exception_fp_ieee_inexact 0
		.amdhsa_exception_int_div_zero 0
	.end_amdhsa_kernel
	.section	.text._ZN7rocprim17ROCPRIM_400000_NS6detail17trampoline_kernelINS0_14default_configENS1_25transform_config_selectorI10large_dataLb0EEEZNS1_14transform_implILb0ES3_S6_N6thrust23THRUST_200600_302600_NS6detail15normal_iteratorINS9_10device_ptrIS5_EEEENSB_INS9_7pointerIhNS9_11hip_rocprim5par_tENS9_11use_defaultESI_EEEEZNSG_9__copy_if7copy_ifISH_SE_SE_7is_evenIS5_EEENSt9enable_ifIXntltstNSt15iterator_traitsIT0_E10value_typeELi512EET1_E4typeERNSG_16execution_policyIT_EESR_SR_SU_T2_EUlRKSY_E_EE10hipError_tS11_T3_mT4_P12ihipStream_tbEUlSY_E_NS1_11comp_targetILNS1_3genE2ELNS1_11target_archE906ELNS1_3gpuE6ELNS1_3repE0EEENS1_30default_config_static_selectorELNS0_4arch9wavefront6targetE0EEEvSU_,"axG",@progbits,_ZN7rocprim17ROCPRIM_400000_NS6detail17trampoline_kernelINS0_14default_configENS1_25transform_config_selectorI10large_dataLb0EEEZNS1_14transform_implILb0ES3_S6_N6thrust23THRUST_200600_302600_NS6detail15normal_iteratorINS9_10device_ptrIS5_EEEENSB_INS9_7pointerIhNS9_11hip_rocprim5par_tENS9_11use_defaultESI_EEEEZNSG_9__copy_if7copy_ifISH_SE_SE_7is_evenIS5_EEENSt9enable_ifIXntltstNSt15iterator_traitsIT0_E10value_typeELi512EET1_E4typeERNSG_16execution_policyIT_EESR_SR_SU_T2_EUlRKSY_E_EE10hipError_tS11_T3_mT4_P12ihipStream_tbEUlSY_E_NS1_11comp_targetILNS1_3genE2ELNS1_11target_archE906ELNS1_3gpuE6ELNS1_3repE0EEENS1_30default_config_static_selectorELNS0_4arch9wavefront6targetE0EEEvSU_,comdat
.Lfunc_end98:
	.size	_ZN7rocprim17ROCPRIM_400000_NS6detail17trampoline_kernelINS0_14default_configENS1_25transform_config_selectorI10large_dataLb0EEEZNS1_14transform_implILb0ES3_S6_N6thrust23THRUST_200600_302600_NS6detail15normal_iteratorINS9_10device_ptrIS5_EEEENSB_INS9_7pointerIhNS9_11hip_rocprim5par_tENS9_11use_defaultESI_EEEEZNSG_9__copy_if7copy_ifISH_SE_SE_7is_evenIS5_EEENSt9enable_ifIXntltstNSt15iterator_traitsIT0_E10value_typeELi512EET1_E4typeERNSG_16execution_policyIT_EESR_SR_SU_T2_EUlRKSY_E_EE10hipError_tS11_T3_mT4_P12ihipStream_tbEUlSY_E_NS1_11comp_targetILNS1_3genE2ELNS1_11target_archE906ELNS1_3gpuE6ELNS1_3repE0EEENS1_30default_config_static_selectorELNS0_4arch9wavefront6targetE0EEEvSU_, .Lfunc_end98-_ZN7rocprim17ROCPRIM_400000_NS6detail17trampoline_kernelINS0_14default_configENS1_25transform_config_selectorI10large_dataLb0EEEZNS1_14transform_implILb0ES3_S6_N6thrust23THRUST_200600_302600_NS6detail15normal_iteratorINS9_10device_ptrIS5_EEEENSB_INS9_7pointerIhNS9_11hip_rocprim5par_tENS9_11use_defaultESI_EEEEZNSG_9__copy_if7copy_ifISH_SE_SE_7is_evenIS5_EEENSt9enable_ifIXntltstNSt15iterator_traitsIT0_E10value_typeELi512EET1_E4typeERNSG_16execution_policyIT_EESR_SR_SU_T2_EUlRKSY_E_EE10hipError_tS11_T3_mT4_P12ihipStream_tbEUlSY_E_NS1_11comp_targetILNS1_3genE2ELNS1_11target_archE906ELNS1_3gpuE6ELNS1_3repE0EEENS1_30default_config_static_selectorELNS0_4arch9wavefront6targetE0EEEvSU_
                                        ; -- End function
	.section	.AMDGPU.csdata,"",@progbits
; Kernel info:
; codeLenInByte = 0
; NumSgprs: 0
; NumVgprs: 0
; ScratchSize: 0
; MemoryBound: 0
; FloatMode: 240
; IeeeMode: 1
; LDSByteSize: 0 bytes/workgroup (compile time only)
; SGPRBlocks: 0
; VGPRBlocks: 0
; NumSGPRsForWavesPerEU: 1
; NumVGPRsForWavesPerEU: 1
; Occupancy: 16
; WaveLimiterHint : 0
; COMPUTE_PGM_RSRC2:SCRATCH_EN: 0
; COMPUTE_PGM_RSRC2:USER_SGPR: 15
; COMPUTE_PGM_RSRC2:TRAP_HANDLER: 0
; COMPUTE_PGM_RSRC2:TGID_X_EN: 1
; COMPUTE_PGM_RSRC2:TGID_Y_EN: 0
; COMPUTE_PGM_RSRC2:TGID_Z_EN: 0
; COMPUTE_PGM_RSRC2:TIDIG_COMP_CNT: 0
	.section	.text._ZN7rocprim17ROCPRIM_400000_NS6detail17trampoline_kernelINS0_14default_configENS1_25transform_config_selectorI10large_dataLb0EEEZNS1_14transform_implILb0ES3_S6_N6thrust23THRUST_200600_302600_NS6detail15normal_iteratorINS9_10device_ptrIS5_EEEENSB_INS9_7pointerIhNS9_11hip_rocprim5par_tENS9_11use_defaultESI_EEEEZNSG_9__copy_if7copy_ifISH_SE_SE_7is_evenIS5_EEENSt9enable_ifIXntltstNSt15iterator_traitsIT0_E10value_typeELi512EET1_E4typeERNSG_16execution_policyIT_EESR_SR_SU_T2_EUlRKSY_E_EE10hipError_tS11_T3_mT4_P12ihipStream_tbEUlSY_E_NS1_11comp_targetILNS1_3genE10ELNS1_11target_archE1201ELNS1_3gpuE5ELNS1_3repE0EEENS1_30default_config_static_selectorELNS0_4arch9wavefront6targetE0EEEvSU_,"axG",@progbits,_ZN7rocprim17ROCPRIM_400000_NS6detail17trampoline_kernelINS0_14default_configENS1_25transform_config_selectorI10large_dataLb0EEEZNS1_14transform_implILb0ES3_S6_N6thrust23THRUST_200600_302600_NS6detail15normal_iteratorINS9_10device_ptrIS5_EEEENSB_INS9_7pointerIhNS9_11hip_rocprim5par_tENS9_11use_defaultESI_EEEEZNSG_9__copy_if7copy_ifISH_SE_SE_7is_evenIS5_EEENSt9enable_ifIXntltstNSt15iterator_traitsIT0_E10value_typeELi512EET1_E4typeERNSG_16execution_policyIT_EESR_SR_SU_T2_EUlRKSY_E_EE10hipError_tS11_T3_mT4_P12ihipStream_tbEUlSY_E_NS1_11comp_targetILNS1_3genE10ELNS1_11target_archE1201ELNS1_3gpuE5ELNS1_3repE0EEENS1_30default_config_static_selectorELNS0_4arch9wavefront6targetE0EEEvSU_,comdat
	.protected	_ZN7rocprim17ROCPRIM_400000_NS6detail17trampoline_kernelINS0_14default_configENS1_25transform_config_selectorI10large_dataLb0EEEZNS1_14transform_implILb0ES3_S6_N6thrust23THRUST_200600_302600_NS6detail15normal_iteratorINS9_10device_ptrIS5_EEEENSB_INS9_7pointerIhNS9_11hip_rocprim5par_tENS9_11use_defaultESI_EEEEZNSG_9__copy_if7copy_ifISH_SE_SE_7is_evenIS5_EEENSt9enable_ifIXntltstNSt15iterator_traitsIT0_E10value_typeELi512EET1_E4typeERNSG_16execution_policyIT_EESR_SR_SU_T2_EUlRKSY_E_EE10hipError_tS11_T3_mT4_P12ihipStream_tbEUlSY_E_NS1_11comp_targetILNS1_3genE10ELNS1_11target_archE1201ELNS1_3gpuE5ELNS1_3repE0EEENS1_30default_config_static_selectorELNS0_4arch9wavefront6targetE0EEEvSU_ ; -- Begin function _ZN7rocprim17ROCPRIM_400000_NS6detail17trampoline_kernelINS0_14default_configENS1_25transform_config_selectorI10large_dataLb0EEEZNS1_14transform_implILb0ES3_S6_N6thrust23THRUST_200600_302600_NS6detail15normal_iteratorINS9_10device_ptrIS5_EEEENSB_INS9_7pointerIhNS9_11hip_rocprim5par_tENS9_11use_defaultESI_EEEEZNSG_9__copy_if7copy_ifISH_SE_SE_7is_evenIS5_EEENSt9enable_ifIXntltstNSt15iterator_traitsIT0_E10value_typeELi512EET1_E4typeERNSG_16execution_policyIT_EESR_SR_SU_T2_EUlRKSY_E_EE10hipError_tS11_T3_mT4_P12ihipStream_tbEUlSY_E_NS1_11comp_targetILNS1_3genE10ELNS1_11target_archE1201ELNS1_3gpuE5ELNS1_3repE0EEENS1_30default_config_static_selectorELNS0_4arch9wavefront6targetE0EEEvSU_
	.globl	_ZN7rocprim17ROCPRIM_400000_NS6detail17trampoline_kernelINS0_14default_configENS1_25transform_config_selectorI10large_dataLb0EEEZNS1_14transform_implILb0ES3_S6_N6thrust23THRUST_200600_302600_NS6detail15normal_iteratorINS9_10device_ptrIS5_EEEENSB_INS9_7pointerIhNS9_11hip_rocprim5par_tENS9_11use_defaultESI_EEEEZNSG_9__copy_if7copy_ifISH_SE_SE_7is_evenIS5_EEENSt9enable_ifIXntltstNSt15iterator_traitsIT0_E10value_typeELi512EET1_E4typeERNSG_16execution_policyIT_EESR_SR_SU_T2_EUlRKSY_E_EE10hipError_tS11_T3_mT4_P12ihipStream_tbEUlSY_E_NS1_11comp_targetILNS1_3genE10ELNS1_11target_archE1201ELNS1_3gpuE5ELNS1_3repE0EEENS1_30default_config_static_selectorELNS0_4arch9wavefront6targetE0EEEvSU_
	.p2align	8
	.type	_ZN7rocprim17ROCPRIM_400000_NS6detail17trampoline_kernelINS0_14default_configENS1_25transform_config_selectorI10large_dataLb0EEEZNS1_14transform_implILb0ES3_S6_N6thrust23THRUST_200600_302600_NS6detail15normal_iteratorINS9_10device_ptrIS5_EEEENSB_INS9_7pointerIhNS9_11hip_rocprim5par_tENS9_11use_defaultESI_EEEEZNSG_9__copy_if7copy_ifISH_SE_SE_7is_evenIS5_EEENSt9enable_ifIXntltstNSt15iterator_traitsIT0_E10value_typeELi512EET1_E4typeERNSG_16execution_policyIT_EESR_SR_SU_T2_EUlRKSY_E_EE10hipError_tS11_T3_mT4_P12ihipStream_tbEUlSY_E_NS1_11comp_targetILNS1_3genE10ELNS1_11target_archE1201ELNS1_3gpuE5ELNS1_3repE0EEENS1_30default_config_static_selectorELNS0_4arch9wavefront6targetE0EEEvSU_,@function
_ZN7rocprim17ROCPRIM_400000_NS6detail17trampoline_kernelINS0_14default_configENS1_25transform_config_selectorI10large_dataLb0EEEZNS1_14transform_implILb0ES3_S6_N6thrust23THRUST_200600_302600_NS6detail15normal_iteratorINS9_10device_ptrIS5_EEEENSB_INS9_7pointerIhNS9_11hip_rocprim5par_tENS9_11use_defaultESI_EEEEZNSG_9__copy_if7copy_ifISH_SE_SE_7is_evenIS5_EEENSt9enable_ifIXntltstNSt15iterator_traitsIT0_E10value_typeELi512EET1_E4typeERNSG_16execution_policyIT_EESR_SR_SU_T2_EUlRKSY_E_EE10hipError_tS11_T3_mT4_P12ihipStream_tbEUlSY_E_NS1_11comp_targetILNS1_3genE10ELNS1_11target_archE1201ELNS1_3gpuE5ELNS1_3repE0EEENS1_30default_config_static_selectorELNS0_4arch9wavefront6targetE0EEEvSU_: ; @_ZN7rocprim17ROCPRIM_400000_NS6detail17trampoline_kernelINS0_14default_configENS1_25transform_config_selectorI10large_dataLb0EEEZNS1_14transform_implILb0ES3_S6_N6thrust23THRUST_200600_302600_NS6detail15normal_iteratorINS9_10device_ptrIS5_EEEENSB_INS9_7pointerIhNS9_11hip_rocprim5par_tENS9_11use_defaultESI_EEEEZNSG_9__copy_if7copy_ifISH_SE_SE_7is_evenIS5_EEENSt9enable_ifIXntltstNSt15iterator_traitsIT0_E10value_typeELi512EET1_E4typeERNSG_16execution_policyIT_EESR_SR_SU_T2_EUlRKSY_E_EE10hipError_tS11_T3_mT4_P12ihipStream_tbEUlSY_E_NS1_11comp_targetILNS1_3genE10ELNS1_11target_archE1201ELNS1_3gpuE5ELNS1_3repE0EEENS1_30default_config_static_selectorELNS0_4arch9wavefront6targetE0EEEvSU_
; %bb.0:
	.section	.rodata,"a",@progbits
	.p2align	6, 0x0
	.amdhsa_kernel _ZN7rocprim17ROCPRIM_400000_NS6detail17trampoline_kernelINS0_14default_configENS1_25transform_config_selectorI10large_dataLb0EEEZNS1_14transform_implILb0ES3_S6_N6thrust23THRUST_200600_302600_NS6detail15normal_iteratorINS9_10device_ptrIS5_EEEENSB_INS9_7pointerIhNS9_11hip_rocprim5par_tENS9_11use_defaultESI_EEEEZNSG_9__copy_if7copy_ifISH_SE_SE_7is_evenIS5_EEENSt9enable_ifIXntltstNSt15iterator_traitsIT0_E10value_typeELi512EET1_E4typeERNSG_16execution_policyIT_EESR_SR_SU_T2_EUlRKSY_E_EE10hipError_tS11_T3_mT4_P12ihipStream_tbEUlSY_E_NS1_11comp_targetILNS1_3genE10ELNS1_11target_archE1201ELNS1_3gpuE5ELNS1_3repE0EEENS1_30default_config_static_selectorELNS0_4arch9wavefront6targetE0EEEvSU_
		.amdhsa_group_segment_fixed_size 0
		.amdhsa_private_segment_fixed_size 0
		.amdhsa_kernarg_size 40
		.amdhsa_user_sgpr_count 15
		.amdhsa_user_sgpr_dispatch_ptr 0
		.amdhsa_user_sgpr_queue_ptr 0
		.amdhsa_user_sgpr_kernarg_segment_ptr 1
		.amdhsa_user_sgpr_dispatch_id 0
		.amdhsa_user_sgpr_private_segment_size 0
		.amdhsa_wavefront_size32 1
		.amdhsa_uses_dynamic_stack 0
		.amdhsa_enable_private_segment 0
		.amdhsa_system_sgpr_workgroup_id_x 1
		.amdhsa_system_sgpr_workgroup_id_y 0
		.amdhsa_system_sgpr_workgroup_id_z 0
		.amdhsa_system_sgpr_workgroup_info 0
		.amdhsa_system_vgpr_workitem_id 0
		.amdhsa_next_free_vgpr 1
		.amdhsa_next_free_sgpr 1
		.amdhsa_reserve_vcc 0
		.amdhsa_float_round_mode_32 0
		.amdhsa_float_round_mode_16_64 0
		.amdhsa_float_denorm_mode_32 3
		.amdhsa_float_denorm_mode_16_64 3
		.amdhsa_dx10_clamp 1
		.amdhsa_ieee_mode 1
		.amdhsa_fp16_overflow 0
		.amdhsa_workgroup_processor_mode 1
		.amdhsa_memory_ordered 1
		.amdhsa_forward_progress 0
		.amdhsa_shared_vgpr_count 0
		.amdhsa_exception_fp_ieee_invalid_op 0
		.amdhsa_exception_fp_denorm_src 0
		.amdhsa_exception_fp_ieee_div_zero 0
		.amdhsa_exception_fp_ieee_overflow 0
		.amdhsa_exception_fp_ieee_underflow 0
		.amdhsa_exception_fp_ieee_inexact 0
		.amdhsa_exception_int_div_zero 0
	.end_amdhsa_kernel
	.section	.text._ZN7rocprim17ROCPRIM_400000_NS6detail17trampoline_kernelINS0_14default_configENS1_25transform_config_selectorI10large_dataLb0EEEZNS1_14transform_implILb0ES3_S6_N6thrust23THRUST_200600_302600_NS6detail15normal_iteratorINS9_10device_ptrIS5_EEEENSB_INS9_7pointerIhNS9_11hip_rocprim5par_tENS9_11use_defaultESI_EEEEZNSG_9__copy_if7copy_ifISH_SE_SE_7is_evenIS5_EEENSt9enable_ifIXntltstNSt15iterator_traitsIT0_E10value_typeELi512EET1_E4typeERNSG_16execution_policyIT_EESR_SR_SU_T2_EUlRKSY_E_EE10hipError_tS11_T3_mT4_P12ihipStream_tbEUlSY_E_NS1_11comp_targetILNS1_3genE10ELNS1_11target_archE1201ELNS1_3gpuE5ELNS1_3repE0EEENS1_30default_config_static_selectorELNS0_4arch9wavefront6targetE0EEEvSU_,"axG",@progbits,_ZN7rocprim17ROCPRIM_400000_NS6detail17trampoline_kernelINS0_14default_configENS1_25transform_config_selectorI10large_dataLb0EEEZNS1_14transform_implILb0ES3_S6_N6thrust23THRUST_200600_302600_NS6detail15normal_iteratorINS9_10device_ptrIS5_EEEENSB_INS9_7pointerIhNS9_11hip_rocprim5par_tENS9_11use_defaultESI_EEEEZNSG_9__copy_if7copy_ifISH_SE_SE_7is_evenIS5_EEENSt9enable_ifIXntltstNSt15iterator_traitsIT0_E10value_typeELi512EET1_E4typeERNSG_16execution_policyIT_EESR_SR_SU_T2_EUlRKSY_E_EE10hipError_tS11_T3_mT4_P12ihipStream_tbEUlSY_E_NS1_11comp_targetILNS1_3genE10ELNS1_11target_archE1201ELNS1_3gpuE5ELNS1_3repE0EEENS1_30default_config_static_selectorELNS0_4arch9wavefront6targetE0EEEvSU_,comdat
.Lfunc_end99:
	.size	_ZN7rocprim17ROCPRIM_400000_NS6detail17trampoline_kernelINS0_14default_configENS1_25transform_config_selectorI10large_dataLb0EEEZNS1_14transform_implILb0ES3_S6_N6thrust23THRUST_200600_302600_NS6detail15normal_iteratorINS9_10device_ptrIS5_EEEENSB_INS9_7pointerIhNS9_11hip_rocprim5par_tENS9_11use_defaultESI_EEEEZNSG_9__copy_if7copy_ifISH_SE_SE_7is_evenIS5_EEENSt9enable_ifIXntltstNSt15iterator_traitsIT0_E10value_typeELi512EET1_E4typeERNSG_16execution_policyIT_EESR_SR_SU_T2_EUlRKSY_E_EE10hipError_tS11_T3_mT4_P12ihipStream_tbEUlSY_E_NS1_11comp_targetILNS1_3genE10ELNS1_11target_archE1201ELNS1_3gpuE5ELNS1_3repE0EEENS1_30default_config_static_selectorELNS0_4arch9wavefront6targetE0EEEvSU_, .Lfunc_end99-_ZN7rocprim17ROCPRIM_400000_NS6detail17trampoline_kernelINS0_14default_configENS1_25transform_config_selectorI10large_dataLb0EEEZNS1_14transform_implILb0ES3_S6_N6thrust23THRUST_200600_302600_NS6detail15normal_iteratorINS9_10device_ptrIS5_EEEENSB_INS9_7pointerIhNS9_11hip_rocprim5par_tENS9_11use_defaultESI_EEEEZNSG_9__copy_if7copy_ifISH_SE_SE_7is_evenIS5_EEENSt9enable_ifIXntltstNSt15iterator_traitsIT0_E10value_typeELi512EET1_E4typeERNSG_16execution_policyIT_EESR_SR_SU_T2_EUlRKSY_E_EE10hipError_tS11_T3_mT4_P12ihipStream_tbEUlSY_E_NS1_11comp_targetILNS1_3genE10ELNS1_11target_archE1201ELNS1_3gpuE5ELNS1_3repE0EEENS1_30default_config_static_selectorELNS0_4arch9wavefront6targetE0EEEvSU_
                                        ; -- End function
	.section	.AMDGPU.csdata,"",@progbits
; Kernel info:
; codeLenInByte = 0
; NumSgprs: 0
; NumVgprs: 0
; ScratchSize: 0
; MemoryBound: 0
; FloatMode: 240
; IeeeMode: 1
; LDSByteSize: 0 bytes/workgroup (compile time only)
; SGPRBlocks: 0
; VGPRBlocks: 0
; NumSGPRsForWavesPerEU: 1
; NumVGPRsForWavesPerEU: 1
; Occupancy: 16
; WaveLimiterHint : 0
; COMPUTE_PGM_RSRC2:SCRATCH_EN: 0
; COMPUTE_PGM_RSRC2:USER_SGPR: 15
; COMPUTE_PGM_RSRC2:TRAP_HANDLER: 0
; COMPUTE_PGM_RSRC2:TGID_X_EN: 1
; COMPUTE_PGM_RSRC2:TGID_Y_EN: 0
; COMPUTE_PGM_RSRC2:TGID_Z_EN: 0
; COMPUTE_PGM_RSRC2:TIDIG_COMP_CNT: 0
	.section	.text._ZN7rocprim17ROCPRIM_400000_NS6detail17trampoline_kernelINS0_14default_configENS1_25transform_config_selectorI10large_dataLb0EEEZNS1_14transform_implILb0ES3_S6_N6thrust23THRUST_200600_302600_NS6detail15normal_iteratorINS9_10device_ptrIS5_EEEENSB_INS9_7pointerIhNS9_11hip_rocprim5par_tENS9_11use_defaultESI_EEEEZNSG_9__copy_if7copy_ifISH_SE_SE_7is_evenIS5_EEENSt9enable_ifIXntltstNSt15iterator_traitsIT0_E10value_typeELi512EET1_E4typeERNSG_16execution_policyIT_EESR_SR_SU_T2_EUlRKSY_E_EE10hipError_tS11_T3_mT4_P12ihipStream_tbEUlSY_E_NS1_11comp_targetILNS1_3genE10ELNS1_11target_archE1200ELNS1_3gpuE4ELNS1_3repE0EEENS1_30default_config_static_selectorELNS0_4arch9wavefront6targetE0EEEvSU_,"axG",@progbits,_ZN7rocprim17ROCPRIM_400000_NS6detail17trampoline_kernelINS0_14default_configENS1_25transform_config_selectorI10large_dataLb0EEEZNS1_14transform_implILb0ES3_S6_N6thrust23THRUST_200600_302600_NS6detail15normal_iteratorINS9_10device_ptrIS5_EEEENSB_INS9_7pointerIhNS9_11hip_rocprim5par_tENS9_11use_defaultESI_EEEEZNSG_9__copy_if7copy_ifISH_SE_SE_7is_evenIS5_EEENSt9enable_ifIXntltstNSt15iterator_traitsIT0_E10value_typeELi512EET1_E4typeERNSG_16execution_policyIT_EESR_SR_SU_T2_EUlRKSY_E_EE10hipError_tS11_T3_mT4_P12ihipStream_tbEUlSY_E_NS1_11comp_targetILNS1_3genE10ELNS1_11target_archE1200ELNS1_3gpuE4ELNS1_3repE0EEENS1_30default_config_static_selectorELNS0_4arch9wavefront6targetE0EEEvSU_,comdat
	.protected	_ZN7rocprim17ROCPRIM_400000_NS6detail17trampoline_kernelINS0_14default_configENS1_25transform_config_selectorI10large_dataLb0EEEZNS1_14transform_implILb0ES3_S6_N6thrust23THRUST_200600_302600_NS6detail15normal_iteratorINS9_10device_ptrIS5_EEEENSB_INS9_7pointerIhNS9_11hip_rocprim5par_tENS9_11use_defaultESI_EEEEZNSG_9__copy_if7copy_ifISH_SE_SE_7is_evenIS5_EEENSt9enable_ifIXntltstNSt15iterator_traitsIT0_E10value_typeELi512EET1_E4typeERNSG_16execution_policyIT_EESR_SR_SU_T2_EUlRKSY_E_EE10hipError_tS11_T3_mT4_P12ihipStream_tbEUlSY_E_NS1_11comp_targetILNS1_3genE10ELNS1_11target_archE1200ELNS1_3gpuE4ELNS1_3repE0EEENS1_30default_config_static_selectorELNS0_4arch9wavefront6targetE0EEEvSU_ ; -- Begin function _ZN7rocprim17ROCPRIM_400000_NS6detail17trampoline_kernelINS0_14default_configENS1_25transform_config_selectorI10large_dataLb0EEEZNS1_14transform_implILb0ES3_S6_N6thrust23THRUST_200600_302600_NS6detail15normal_iteratorINS9_10device_ptrIS5_EEEENSB_INS9_7pointerIhNS9_11hip_rocprim5par_tENS9_11use_defaultESI_EEEEZNSG_9__copy_if7copy_ifISH_SE_SE_7is_evenIS5_EEENSt9enable_ifIXntltstNSt15iterator_traitsIT0_E10value_typeELi512EET1_E4typeERNSG_16execution_policyIT_EESR_SR_SU_T2_EUlRKSY_E_EE10hipError_tS11_T3_mT4_P12ihipStream_tbEUlSY_E_NS1_11comp_targetILNS1_3genE10ELNS1_11target_archE1200ELNS1_3gpuE4ELNS1_3repE0EEENS1_30default_config_static_selectorELNS0_4arch9wavefront6targetE0EEEvSU_
	.globl	_ZN7rocprim17ROCPRIM_400000_NS6detail17trampoline_kernelINS0_14default_configENS1_25transform_config_selectorI10large_dataLb0EEEZNS1_14transform_implILb0ES3_S6_N6thrust23THRUST_200600_302600_NS6detail15normal_iteratorINS9_10device_ptrIS5_EEEENSB_INS9_7pointerIhNS9_11hip_rocprim5par_tENS9_11use_defaultESI_EEEEZNSG_9__copy_if7copy_ifISH_SE_SE_7is_evenIS5_EEENSt9enable_ifIXntltstNSt15iterator_traitsIT0_E10value_typeELi512EET1_E4typeERNSG_16execution_policyIT_EESR_SR_SU_T2_EUlRKSY_E_EE10hipError_tS11_T3_mT4_P12ihipStream_tbEUlSY_E_NS1_11comp_targetILNS1_3genE10ELNS1_11target_archE1200ELNS1_3gpuE4ELNS1_3repE0EEENS1_30default_config_static_selectorELNS0_4arch9wavefront6targetE0EEEvSU_
	.p2align	8
	.type	_ZN7rocprim17ROCPRIM_400000_NS6detail17trampoline_kernelINS0_14default_configENS1_25transform_config_selectorI10large_dataLb0EEEZNS1_14transform_implILb0ES3_S6_N6thrust23THRUST_200600_302600_NS6detail15normal_iteratorINS9_10device_ptrIS5_EEEENSB_INS9_7pointerIhNS9_11hip_rocprim5par_tENS9_11use_defaultESI_EEEEZNSG_9__copy_if7copy_ifISH_SE_SE_7is_evenIS5_EEENSt9enable_ifIXntltstNSt15iterator_traitsIT0_E10value_typeELi512EET1_E4typeERNSG_16execution_policyIT_EESR_SR_SU_T2_EUlRKSY_E_EE10hipError_tS11_T3_mT4_P12ihipStream_tbEUlSY_E_NS1_11comp_targetILNS1_3genE10ELNS1_11target_archE1200ELNS1_3gpuE4ELNS1_3repE0EEENS1_30default_config_static_selectorELNS0_4arch9wavefront6targetE0EEEvSU_,@function
_ZN7rocprim17ROCPRIM_400000_NS6detail17trampoline_kernelINS0_14default_configENS1_25transform_config_selectorI10large_dataLb0EEEZNS1_14transform_implILb0ES3_S6_N6thrust23THRUST_200600_302600_NS6detail15normal_iteratorINS9_10device_ptrIS5_EEEENSB_INS9_7pointerIhNS9_11hip_rocprim5par_tENS9_11use_defaultESI_EEEEZNSG_9__copy_if7copy_ifISH_SE_SE_7is_evenIS5_EEENSt9enable_ifIXntltstNSt15iterator_traitsIT0_E10value_typeELi512EET1_E4typeERNSG_16execution_policyIT_EESR_SR_SU_T2_EUlRKSY_E_EE10hipError_tS11_T3_mT4_P12ihipStream_tbEUlSY_E_NS1_11comp_targetILNS1_3genE10ELNS1_11target_archE1200ELNS1_3gpuE4ELNS1_3repE0EEENS1_30default_config_static_selectorELNS0_4arch9wavefront6targetE0EEEvSU_: ; @_ZN7rocprim17ROCPRIM_400000_NS6detail17trampoline_kernelINS0_14default_configENS1_25transform_config_selectorI10large_dataLb0EEEZNS1_14transform_implILb0ES3_S6_N6thrust23THRUST_200600_302600_NS6detail15normal_iteratorINS9_10device_ptrIS5_EEEENSB_INS9_7pointerIhNS9_11hip_rocprim5par_tENS9_11use_defaultESI_EEEEZNSG_9__copy_if7copy_ifISH_SE_SE_7is_evenIS5_EEENSt9enable_ifIXntltstNSt15iterator_traitsIT0_E10value_typeELi512EET1_E4typeERNSG_16execution_policyIT_EESR_SR_SU_T2_EUlRKSY_E_EE10hipError_tS11_T3_mT4_P12ihipStream_tbEUlSY_E_NS1_11comp_targetILNS1_3genE10ELNS1_11target_archE1200ELNS1_3gpuE4ELNS1_3repE0EEENS1_30default_config_static_selectorELNS0_4arch9wavefront6targetE0EEEvSU_
; %bb.0:
	.section	.rodata,"a",@progbits
	.p2align	6, 0x0
	.amdhsa_kernel _ZN7rocprim17ROCPRIM_400000_NS6detail17trampoline_kernelINS0_14default_configENS1_25transform_config_selectorI10large_dataLb0EEEZNS1_14transform_implILb0ES3_S6_N6thrust23THRUST_200600_302600_NS6detail15normal_iteratorINS9_10device_ptrIS5_EEEENSB_INS9_7pointerIhNS9_11hip_rocprim5par_tENS9_11use_defaultESI_EEEEZNSG_9__copy_if7copy_ifISH_SE_SE_7is_evenIS5_EEENSt9enable_ifIXntltstNSt15iterator_traitsIT0_E10value_typeELi512EET1_E4typeERNSG_16execution_policyIT_EESR_SR_SU_T2_EUlRKSY_E_EE10hipError_tS11_T3_mT4_P12ihipStream_tbEUlSY_E_NS1_11comp_targetILNS1_3genE10ELNS1_11target_archE1200ELNS1_3gpuE4ELNS1_3repE0EEENS1_30default_config_static_selectorELNS0_4arch9wavefront6targetE0EEEvSU_
		.amdhsa_group_segment_fixed_size 0
		.amdhsa_private_segment_fixed_size 0
		.amdhsa_kernarg_size 40
		.amdhsa_user_sgpr_count 15
		.amdhsa_user_sgpr_dispatch_ptr 0
		.amdhsa_user_sgpr_queue_ptr 0
		.amdhsa_user_sgpr_kernarg_segment_ptr 1
		.amdhsa_user_sgpr_dispatch_id 0
		.amdhsa_user_sgpr_private_segment_size 0
		.amdhsa_wavefront_size32 1
		.amdhsa_uses_dynamic_stack 0
		.amdhsa_enable_private_segment 0
		.amdhsa_system_sgpr_workgroup_id_x 1
		.amdhsa_system_sgpr_workgroup_id_y 0
		.amdhsa_system_sgpr_workgroup_id_z 0
		.amdhsa_system_sgpr_workgroup_info 0
		.amdhsa_system_vgpr_workitem_id 0
		.amdhsa_next_free_vgpr 1
		.amdhsa_next_free_sgpr 1
		.amdhsa_reserve_vcc 0
		.amdhsa_float_round_mode_32 0
		.amdhsa_float_round_mode_16_64 0
		.amdhsa_float_denorm_mode_32 3
		.amdhsa_float_denorm_mode_16_64 3
		.amdhsa_dx10_clamp 1
		.amdhsa_ieee_mode 1
		.amdhsa_fp16_overflow 0
		.amdhsa_workgroup_processor_mode 1
		.amdhsa_memory_ordered 1
		.amdhsa_forward_progress 0
		.amdhsa_shared_vgpr_count 0
		.amdhsa_exception_fp_ieee_invalid_op 0
		.amdhsa_exception_fp_denorm_src 0
		.amdhsa_exception_fp_ieee_div_zero 0
		.amdhsa_exception_fp_ieee_overflow 0
		.amdhsa_exception_fp_ieee_underflow 0
		.amdhsa_exception_fp_ieee_inexact 0
		.amdhsa_exception_int_div_zero 0
	.end_amdhsa_kernel
	.section	.text._ZN7rocprim17ROCPRIM_400000_NS6detail17trampoline_kernelINS0_14default_configENS1_25transform_config_selectorI10large_dataLb0EEEZNS1_14transform_implILb0ES3_S6_N6thrust23THRUST_200600_302600_NS6detail15normal_iteratorINS9_10device_ptrIS5_EEEENSB_INS9_7pointerIhNS9_11hip_rocprim5par_tENS9_11use_defaultESI_EEEEZNSG_9__copy_if7copy_ifISH_SE_SE_7is_evenIS5_EEENSt9enable_ifIXntltstNSt15iterator_traitsIT0_E10value_typeELi512EET1_E4typeERNSG_16execution_policyIT_EESR_SR_SU_T2_EUlRKSY_E_EE10hipError_tS11_T3_mT4_P12ihipStream_tbEUlSY_E_NS1_11comp_targetILNS1_3genE10ELNS1_11target_archE1200ELNS1_3gpuE4ELNS1_3repE0EEENS1_30default_config_static_selectorELNS0_4arch9wavefront6targetE0EEEvSU_,"axG",@progbits,_ZN7rocprim17ROCPRIM_400000_NS6detail17trampoline_kernelINS0_14default_configENS1_25transform_config_selectorI10large_dataLb0EEEZNS1_14transform_implILb0ES3_S6_N6thrust23THRUST_200600_302600_NS6detail15normal_iteratorINS9_10device_ptrIS5_EEEENSB_INS9_7pointerIhNS9_11hip_rocprim5par_tENS9_11use_defaultESI_EEEEZNSG_9__copy_if7copy_ifISH_SE_SE_7is_evenIS5_EEENSt9enable_ifIXntltstNSt15iterator_traitsIT0_E10value_typeELi512EET1_E4typeERNSG_16execution_policyIT_EESR_SR_SU_T2_EUlRKSY_E_EE10hipError_tS11_T3_mT4_P12ihipStream_tbEUlSY_E_NS1_11comp_targetILNS1_3genE10ELNS1_11target_archE1200ELNS1_3gpuE4ELNS1_3repE0EEENS1_30default_config_static_selectorELNS0_4arch9wavefront6targetE0EEEvSU_,comdat
.Lfunc_end100:
	.size	_ZN7rocprim17ROCPRIM_400000_NS6detail17trampoline_kernelINS0_14default_configENS1_25transform_config_selectorI10large_dataLb0EEEZNS1_14transform_implILb0ES3_S6_N6thrust23THRUST_200600_302600_NS6detail15normal_iteratorINS9_10device_ptrIS5_EEEENSB_INS9_7pointerIhNS9_11hip_rocprim5par_tENS9_11use_defaultESI_EEEEZNSG_9__copy_if7copy_ifISH_SE_SE_7is_evenIS5_EEENSt9enable_ifIXntltstNSt15iterator_traitsIT0_E10value_typeELi512EET1_E4typeERNSG_16execution_policyIT_EESR_SR_SU_T2_EUlRKSY_E_EE10hipError_tS11_T3_mT4_P12ihipStream_tbEUlSY_E_NS1_11comp_targetILNS1_3genE10ELNS1_11target_archE1200ELNS1_3gpuE4ELNS1_3repE0EEENS1_30default_config_static_selectorELNS0_4arch9wavefront6targetE0EEEvSU_, .Lfunc_end100-_ZN7rocprim17ROCPRIM_400000_NS6detail17trampoline_kernelINS0_14default_configENS1_25transform_config_selectorI10large_dataLb0EEEZNS1_14transform_implILb0ES3_S6_N6thrust23THRUST_200600_302600_NS6detail15normal_iteratorINS9_10device_ptrIS5_EEEENSB_INS9_7pointerIhNS9_11hip_rocprim5par_tENS9_11use_defaultESI_EEEEZNSG_9__copy_if7copy_ifISH_SE_SE_7is_evenIS5_EEENSt9enable_ifIXntltstNSt15iterator_traitsIT0_E10value_typeELi512EET1_E4typeERNSG_16execution_policyIT_EESR_SR_SU_T2_EUlRKSY_E_EE10hipError_tS11_T3_mT4_P12ihipStream_tbEUlSY_E_NS1_11comp_targetILNS1_3genE10ELNS1_11target_archE1200ELNS1_3gpuE4ELNS1_3repE0EEENS1_30default_config_static_selectorELNS0_4arch9wavefront6targetE0EEEvSU_
                                        ; -- End function
	.section	.AMDGPU.csdata,"",@progbits
; Kernel info:
; codeLenInByte = 0
; NumSgprs: 0
; NumVgprs: 0
; ScratchSize: 0
; MemoryBound: 0
; FloatMode: 240
; IeeeMode: 1
; LDSByteSize: 0 bytes/workgroup (compile time only)
; SGPRBlocks: 0
; VGPRBlocks: 0
; NumSGPRsForWavesPerEU: 1
; NumVGPRsForWavesPerEU: 1
; Occupancy: 16
; WaveLimiterHint : 0
; COMPUTE_PGM_RSRC2:SCRATCH_EN: 0
; COMPUTE_PGM_RSRC2:USER_SGPR: 15
; COMPUTE_PGM_RSRC2:TRAP_HANDLER: 0
; COMPUTE_PGM_RSRC2:TGID_X_EN: 1
; COMPUTE_PGM_RSRC2:TGID_Y_EN: 0
; COMPUTE_PGM_RSRC2:TGID_Z_EN: 0
; COMPUTE_PGM_RSRC2:TIDIG_COMP_CNT: 0
	.section	.text._ZN7rocprim17ROCPRIM_400000_NS6detail17trampoline_kernelINS0_14default_configENS1_25transform_config_selectorI10large_dataLb0EEEZNS1_14transform_implILb0ES3_S6_N6thrust23THRUST_200600_302600_NS6detail15normal_iteratorINS9_10device_ptrIS5_EEEENSB_INS9_7pointerIhNS9_11hip_rocprim5par_tENS9_11use_defaultESI_EEEEZNSG_9__copy_if7copy_ifISH_SE_SE_7is_evenIS5_EEENSt9enable_ifIXntltstNSt15iterator_traitsIT0_E10value_typeELi512EET1_E4typeERNSG_16execution_policyIT_EESR_SR_SU_T2_EUlRKSY_E_EE10hipError_tS11_T3_mT4_P12ihipStream_tbEUlSY_E_NS1_11comp_targetILNS1_3genE9ELNS1_11target_archE1100ELNS1_3gpuE3ELNS1_3repE0EEENS1_30default_config_static_selectorELNS0_4arch9wavefront6targetE0EEEvSU_,"axG",@progbits,_ZN7rocprim17ROCPRIM_400000_NS6detail17trampoline_kernelINS0_14default_configENS1_25transform_config_selectorI10large_dataLb0EEEZNS1_14transform_implILb0ES3_S6_N6thrust23THRUST_200600_302600_NS6detail15normal_iteratorINS9_10device_ptrIS5_EEEENSB_INS9_7pointerIhNS9_11hip_rocprim5par_tENS9_11use_defaultESI_EEEEZNSG_9__copy_if7copy_ifISH_SE_SE_7is_evenIS5_EEENSt9enable_ifIXntltstNSt15iterator_traitsIT0_E10value_typeELi512EET1_E4typeERNSG_16execution_policyIT_EESR_SR_SU_T2_EUlRKSY_E_EE10hipError_tS11_T3_mT4_P12ihipStream_tbEUlSY_E_NS1_11comp_targetILNS1_3genE9ELNS1_11target_archE1100ELNS1_3gpuE3ELNS1_3repE0EEENS1_30default_config_static_selectorELNS0_4arch9wavefront6targetE0EEEvSU_,comdat
	.protected	_ZN7rocprim17ROCPRIM_400000_NS6detail17trampoline_kernelINS0_14default_configENS1_25transform_config_selectorI10large_dataLb0EEEZNS1_14transform_implILb0ES3_S6_N6thrust23THRUST_200600_302600_NS6detail15normal_iteratorINS9_10device_ptrIS5_EEEENSB_INS9_7pointerIhNS9_11hip_rocprim5par_tENS9_11use_defaultESI_EEEEZNSG_9__copy_if7copy_ifISH_SE_SE_7is_evenIS5_EEENSt9enable_ifIXntltstNSt15iterator_traitsIT0_E10value_typeELi512EET1_E4typeERNSG_16execution_policyIT_EESR_SR_SU_T2_EUlRKSY_E_EE10hipError_tS11_T3_mT4_P12ihipStream_tbEUlSY_E_NS1_11comp_targetILNS1_3genE9ELNS1_11target_archE1100ELNS1_3gpuE3ELNS1_3repE0EEENS1_30default_config_static_selectorELNS0_4arch9wavefront6targetE0EEEvSU_ ; -- Begin function _ZN7rocprim17ROCPRIM_400000_NS6detail17trampoline_kernelINS0_14default_configENS1_25transform_config_selectorI10large_dataLb0EEEZNS1_14transform_implILb0ES3_S6_N6thrust23THRUST_200600_302600_NS6detail15normal_iteratorINS9_10device_ptrIS5_EEEENSB_INS9_7pointerIhNS9_11hip_rocprim5par_tENS9_11use_defaultESI_EEEEZNSG_9__copy_if7copy_ifISH_SE_SE_7is_evenIS5_EEENSt9enable_ifIXntltstNSt15iterator_traitsIT0_E10value_typeELi512EET1_E4typeERNSG_16execution_policyIT_EESR_SR_SU_T2_EUlRKSY_E_EE10hipError_tS11_T3_mT4_P12ihipStream_tbEUlSY_E_NS1_11comp_targetILNS1_3genE9ELNS1_11target_archE1100ELNS1_3gpuE3ELNS1_3repE0EEENS1_30default_config_static_selectorELNS0_4arch9wavefront6targetE0EEEvSU_
	.globl	_ZN7rocprim17ROCPRIM_400000_NS6detail17trampoline_kernelINS0_14default_configENS1_25transform_config_selectorI10large_dataLb0EEEZNS1_14transform_implILb0ES3_S6_N6thrust23THRUST_200600_302600_NS6detail15normal_iteratorINS9_10device_ptrIS5_EEEENSB_INS9_7pointerIhNS9_11hip_rocprim5par_tENS9_11use_defaultESI_EEEEZNSG_9__copy_if7copy_ifISH_SE_SE_7is_evenIS5_EEENSt9enable_ifIXntltstNSt15iterator_traitsIT0_E10value_typeELi512EET1_E4typeERNSG_16execution_policyIT_EESR_SR_SU_T2_EUlRKSY_E_EE10hipError_tS11_T3_mT4_P12ihipStream_tbEUlSY_E_NS1_11comp_targetILNS1_3genE9ELNS1_11target_archE1100ELNS1_3gpuE3ELNS1_3repE0EEENS1_30default_config_static_selectorELNS0_4arch9wavefront6targetE0EEEvSU_
	.p2align	8
	.type	_ZN7rocprim17ROCPRIM_400000_NS6detail17trampoline_kernelINS0_14default_configENS1_25transform_config_selectorI10large_dataLb0EEEZNS1_14transform_implILb0ES3_S6_N6thrust23THRUST_200600_302600_NS6detail15normal_iteratorINS9_10device_ptrIS5_EEEENSB_INS9_7pointerIhNS9_11hip_rocprim5par_tENS9_11use_defaultESI_EEEEZNSG_9__copy_if7copy_ifISH_SE_SE_7is_evenIS5_EEENSt9enable_ifIXntltstNSt15iterator_traitsIT0_E10value_typeELi512EET1_E4typeERNSG_16execution_policyIT_EESR_SR_SU_T2_EUlRKSY_E_EE10hipError_tS11_T3_mT4_P12ihipStream_tbEUlSY_E_NS1_11comp_targetILNS1_3genE9ELNS1_11target_archE1100ELNS1_3gpuE3ELNS1_3repE0EEENS1_30default_config_static_selectorELNS0_4arch9wavefront6targetE0EEEvSU_,@function
_ZN7rocprim17ROCPRIM_400000_NS6detail17trampoline_kernelINS0_14default_configENS1_25transform_config_selectorI10large_dataLb0EEEZNS1_14transform_implILb0ES3_S6_N6thrust23THRUST_200600_302600_NS6detail15normal_iteratorINS9_10device_ptrIS5_EEEENSB_INS9_7pointerIhNS9_11hip_rocprim5par_tENS9_11use_defaultESI_EEEEZNSG_9__copy_if7copy_ifISH_SE_SE_7is_evenIS5_EEENSt9enable_ifIXntltstNSt15iterator_traitsIT0_E10value_typeELi512EET1_E4typeERNSG_16execution_policyIT_EESR_SR_SU_T2_EUlRKSY_E_EE10hipError_tS11_T3_mT4_P12ihipStream_tbEUlSY_E_NS1_11comp_targetILNS1_3genE9ELNS1_11target_archE1100ELNS1_3gpuE3ELNS1_3repE0EEENS1_30default_config_static_selectorELNS0_4arch9wavefront6targetE0EEEvSU_: ; @_ZN7rocprim17ROCPRIM_400000_NS6detail17trampoline_kernelINS0_14default_configENS1_25transform_config_selectorI10large_dataLb0EEEZNS1_14transform_implILb0ES3_S6_N6thrust23THRUST_200600_302600_NS6detail15normal_iteratorINS9_10device_ptrIS5_EEEENSB_INS9_7pointerIhNS9_11hip_rocprim5par_tENS9_11use_defaultESI_EEEEZNSG_9__copy_if7copy_ifISH_SE_SE_7is_evenIS5_EEENSt9enable_ifIXntltstNSt15iterator_traitsIT0_E10value_typeELi512EET1_E4typeERNSG_16execution_policyIT_EESR_SR_SU_T2_EUlRKSY_E_EE10hipError_tS11_T3_mT4_P12ihipStream_tbEUlSY_E_NS1_11comp_targetILNS1_3genE9ELNS1_11target_archE1100ELNS1_3gpuE3ELNS1_3repE0EEENS1_30default_config_static_selectorELNS0_4arch9wavefront6targetE0EEEvSU_
; %bb.0:
	s_clause 0x2
	s_load_b128 s[8:11], s[0:1], 0x0
	s_load_b64 s[2:3], s[0:1], 0x18
	s_load_b32 s12, s[0:1], 0x28
	s_waitcnt lgkmcnt(0)
	s_lshl_b64 s[4:5], s[10:11], 9
	s_delay_alu instid0(SALU_CYCLE_1)
	s_add_u32 s6, s8, s4
	s_addc_u32 s7, s9, s5
	s_add_u32 s4, s2, s10
	s_addc_u32 s5, s3, s11
	s_add_i32 s12, s12, -1
	s_lshl_b32 s2, s15, 8
	s_mov_b32 s3, 0
	s_cmp_lg_u32 s15, s12
	s_mov_b32 s8, -1
	s_cbranch_scc0 .LBB101_2
; %bb.1:
	v_lshlrev_b32_e32 v1, 9, v0
	s_lshl_b64 s[8:9], s[2:3], 9
	s_delay_alu instid0(SALU_CYCLE_1) | instskip(SKIP_1) | instid1(VALU_DEP_1)
	s_add_u32 s8, s6, s8
	s_addc_u32 s9, s7, s9
	v_add_co_u32 v1, s8, s8, v1
	s_delay_alu instid0(VALU_DEP_1)
	v_add_co_ci_u32_e64 v2, null, s9, 0, s8
	s_add_u32 s8, s4, s2
	s_addc_u32 s9, s5, 0
	flat_load_u8 v1, v[1:2]
	s_waitcnt vmcnt(0) lgkmcnt(0)
	v_xor_b32_e32 v1, -1, v1
	s_delay_alu instid0(VALU_DEP_1) | instskip(SKIP_1) | instid1(VALU_DEP_1)
	v_and_b32_e32 v3, 1, v1
	v_add_co_u32 v1, s8, s8, v0
	v_add_co_ci_u32_e64 v2, null, s9, 0, s8
	s_mov_b32 s8, s3
	flat_store_b8 v[1:2], v3
.LBB101_2:
	s_and_not1_b32 vcc_lo, exec_lo, s8
	s_cbranch_vccnz .LBB101_7
; %bb.3:
	s_load_b32 s0, s[0:1], 0x10
                                        ; implicit-def: $vgpr1
	s_waitcnt lgkmcnt(0)
	s_sub_i32 s0, s0, s2
	s_delay_alu instid0(SALU_CYCLE_1)
	v_cmp_gt_u32_e32 vcc_lo, s0, v0
	s_and_saveexec_b32 s0, vcc_lo
	s_cbranch_execz .LBB101_5
; %bb.4:
	v_lshlrev_b32_e32 v1, 9, v0
	s_lshl_b64 s[8:9], s[2:3], 9
	s_delay_alu instid0(SALU_CYCLE_1) | instskip(SKIP_1) | instid1(VALU_DEP_1)
	s_add_u32 s1, s6, s8
	s_addc_u32 s3, s7, s9
	v_add_co_u32 v1, s1, s1, v1
	s_delay_alu instid0(VALU_DEP_1) | instskip(SKIP_3) | instid1(VALU_DEP_1)
	v_add_co_ci_u32_e64 v2, null, s3, 0, s1
	flat_load_u8 v1, v[1:2]
	s_waitcnt vmcnt(0) lgkmcnt(0)
	v_xor_b32_e32 v1, -1, v1
	v_and_b32_e32 v1, 1, v1
.LBB101_5:
	s_or_b32 exec_lo, exec_lo, s0
	s_and_saveexec_b32 s0, vcc_lo
	s_cbranch_execz .LBB101_7
; %bb.6:
	s_add_u32 s0, s4, s2
	s_addc_u32 s1, s5, 0
	v_add_co_u32 v2, s0, s0, v0
	s_delay_alu instid0(VALU_DEP_1)
	v_add_co_ci_u32_e64 v3, null, s1, 0, s0
	flat_store_b8 v[2:3], v1
.LBB101_7:
	s_endpgm
	.section	.rodata,"a",@progbits
	.p2align	6, 0x0
	.amdhsa_kernel _ZN7rocprim17ROCPRIM_400000_NS6detail17trampoline_kernelINS0_14default_configENS1_25transform_config_selectorI10large_dataLb0EEEZNS1_14transform_implILb0ES3_S6_N6thrust23THRUST_200600_302600_NS6detail15normal_iteratorINS9_10device_ptrIS5_EEEENSB_INS9_7pointerIhNS9_11hip_rocprim5par_tENS9_11use_defaultESI_EEEEZNSG_9__copy_if7copy_ifISH_SE_SE_7is_evenIS5_EEENSt9enable_ifIXntltstNSt15iterator_traitsIT0_E10value_typeELi512EET1_E4typeERNSG_16execution_policyIT_EESR_SR_SU_T2_EUlRKSY_E_EE10hipError_tS11_T3_mT4_P12ihipStream_tbEUlSY_E_NS1_11comp_targetILNS1_3genE9ELNS1_11target_archE1100ELNS1_3gpuE3ELNS1_3repE0EEENS1_30default_config_static_selectorELNS0_4arch9wavefront6targetE0EEEvSU_
		.amdhsa_group_segment_fixed_size 0
		.amdhsa_private_segment_fixed_size 0
		.amdhsa_kernarg_size 296
		.amdhsa_user_sgpr_count 15
		.amdhsa_user_sgpr_dispatch_ptr 0
		.amdhsa_user_sgpr_queue_ptr 0
		.amdhsa_user_sgpr_kernarg_segment_ptr 1
		.amdhsa_user_sgpr_dispatch_id 0
		.amdhsa_user_sgpr_private_segment_size 0
		.amdhsa_wavefront_size32 1
		.amdhsa_uses_dynamic_stack 0
		.amdhsa_enable_private_segment 0
		.amdhsa_system_sgpr_workgroup_id_x 1
		.amdhsa_system_sgpr_workgroup_id_y 0
		.amdhsa_system_sgpr_workgroup_id_z 0
		.amdhsa_system_sgpr_workgroup_info 0
		.amdhsa_system_vgpr_workitem_id 0
		.amdhsa_next_free_vgpr 4
		.amdhsa_next_free_sgpr 16
		.amdhsa_reserve_vcc 1
		.amdhsa_float_round_mode_32 0
		.amdhsa_float_round_mode_16_64 0
		.amdhsa_float_denorm_mode_32 3
		.amdhsa_float_denorm_mode_16_64 3
		.amdhsa_dx10_clamp 1
		.amdhsa_ieee_mode 1
		.amdhsa_fp16_overflow 0
		.amdhsa_workgroup_processor_mode 1
		.amdhsa_memory_ordered 1
		.amdhsa_forward_progress 0
		.amdhsa_shared_vgpr_count 0
		.amdhsa_exception_fp_ieee_invalid_op 0
		.amdhsa_exception_fp_denorm_src 0
		.amdhsa_exception_fp_ieee_div_zero 0
		.amdhsa_exception_fp_ieee_overflow 0
		.amdhsa_exception_fp_ieee_underflow 0
		.amdhsa_exception_fp_ieee_inexact 0
		.amdhsa_exception_int_div_zero 0
	.end_amdhsa_kernel
	.section	.text._ZN7rocprim17ROCPRIM_400000_NS6detail17trampoline_kernelINS0_14default_configENS1_25transform_config_selectorI10large_dataLb0EEEZNS1_14transform_implILb0ES3_S6_N6thrust23THRUST_200600_302600_NS6detail15normal_iteratorINS9_10device_ptrIS5_EEEENSB_INS9_7pointerIhNS9_11hip_rocprim5par_tENS9_11use_defaultESI_EEEEZNSG_9__copy_if7copy_ifISH_SE_SE_7is_evenIS5_EEENSt9enable_ifIXntltstNSt15iterator_traitsIT0_E10value_typeELi512EET1_E4typeERNSG_16execution_policyIT_EESR_SR_SU_T2_EUlRKSY_E_EE10hipError_tS11_T3_mT4_P12ihipStream_tbEUlSY_E_NS1_11comp_targetILNS1_3genE9ELNS1_11target_archE1100ELNS1_3gpuE3ELNS1_3repE0EEENS1_30default_config_static_selectorELNS0_4arch9wavefront6targetE0EEEvSU_,"axG",@progbits,_ZN7rocprim17ROCPRIM_400000_NS6detail17trampoline_kernelINS0_14default_configENS1_25transform_config_selectorI10large_dataLb0EEEZNS1_14transform_implILb0ES3_S6_N6thrust23THRUST_200600_302600_NS6detail15normal_iteratorINS9_10device_ptrIS5_EEEENSB_INS9_7pointerIhNS9_11hip_rocprim5par_tENS9_11use_defaultESI_EEEEZNSG_9__copy_if7copy_ifISH_SE_SE_7is_evenIS5_EEENSt9enable_ifIXntltstNSt15iterator_traitsIT0_E10value_typeELi512EET1_E4typeERNSG_16execution_policyIT_EESR_SR_SU_T2_EUlRKSY_E_EE10hipError_tS11_T3_mT4_P12ihipStream_tbEUlSY_E_NS1_11comp_targetILNS1_3genE9ELNS1_11target_archE1100ELNS1_3gpuE3ELNS1_3repE0EEENS1_30default_config_static_selectorELNS0_4arch9wavefront6targetE0EEEvSU_,comdat
.Lfunc_end101:
	.size	_ZN7rocprim17ROCPRIM_400000_NS6detail17trampoline_kernelINS0_14default_configENS1_25transform_config_selectorI10large_dataLb0EEEZNS1_14transform_implILb0ES3_S6_N6thrust23THRUST_200600_302600_NS6detail15normal_iteratorINS9_10device_ptrIS5_EEEENSB_INS9_7pointerIhNS9_11hip_rocprim5par_tENS9_11use_defaultESI_EEEEZNSG_9__copy_if7copy_ifISH_SE_SE_7is_evenIS5_EEENSt9enable_ifIXntltstNSt15iterator_traitsIT0_E10value_typeELi512EET1_E4typeERNSG_16execution_policyIT_EESR_SR_SU_T2_EUlRKSY_E_EE10hipError_tS11_T3_mT4_P12ihipStream_tbEUlSY_E_NS1_11comp_targetILNS1_3genE9ELNS1_11target_archE1100ELNS1_3gpuE3ELNS1_3repE0EEENS1_30default_config_static_selectorELNS0_4arch9wavefront6targetE0EEEvSU_, .Lfunc_end101-_ZN7rocprim17ROCPRIM_400000_NS6detail17trampoline_kernelINS0_14default_configENS1_25transform_config_selectorI10large_dataLb0EEEZNS1_14transform_implILb0ES3_S6_N6thrust23THRUST_200600_302600_NS6detail15normal_iteratorINS9_10device_ptrIS5_EEEENSB_INS9_7pointerIhNS9_11hip_rocprim5par_tENS9_11use_defaultESI_EEEEZNSG_9__copy_if7copy_ifISH_SE_SE_7is_evenIS5_EEENSt9enable_ifIXntltstNSt15iterator_traitsIT0_E10value_typeELi512EET1_E4typeERNSG_16execution_policyIT_EESR_SR_SU_T2_EUlRKSY_E_EE10hipError_tS11_T3_mT4_P12ihipStream_tbEUlSY_E_NS1_11comp_targetILNS1_3genE9ELNS1_11target_archE1100ELNS1_3gpuE3ELNS1_3repE0EEENS1_30default_config_static_selectorELNS0_4arch9wavefront6targetE0EEEvSU_
                                        ; -- End function
	.section	.AMDGPU.csdata,"",@progbits
; Kernel info:
; codeLenInByte = 332
; NumSgprs: 18
; NumVgprs: 4
; ScratchSize: 0
; MemoryBound: 0
; FloatMode: 240
; IeeeMode: 1
; LDSByteSize: 0 bytes/workgroup (compile time only)
; SGPRBlocks: 2
; VGPRBlocks: 0
; NumSGPRsForWavesPerEU: 18
; NumVGPRsForWavesPerEU: 4
; Occupancy: 16
; WaveLimiterHint : 0
; COMPUTE_PGM_RSRC2:SCRATCH_EN: 0
; COMPUTE_PGM_RSRC2:USER_SGPR: 15
; COMPUTE_PGM_RSRC2:TRAP_HANDLER: 0
; COMPUTE_PGM_RSRC2:TGID_X_EN: 1
; COMPUTE_PGM_RSRC2:TGID_Y_EN: 0
; COMPUTE_PGM_RSRC2:TGID_Z_EN: 0
; COMPUTE_PGM_RSRC2:TIDIG_COMP_CNT: 0
	.section	.text._ZN7rocprim17ROCPRIM_400000_NS6detail17trampoline_kernelINS0_14default_configENS1_25transform_config_selectorI10large_dataLb0EEEZNS1_14transform_implILb0ES3_S6_N6thrust23THRUST_200600_302600_NS6detail15normal_iteratorINS9_10device_ptrIS5_EEEENSB_INS9_7pointerIhNS9_11hip_rocprim5par_tENS9_11use_defaultESI_EEEEZNSG_9__copy_if7copy_ifISH_SE_SE_7is_evenIS5_EEENSt9enable_ifIXntltstNSt15iterator_traitsIT0_E10value_typeELi512EET1_E4typeERNSG_16execution_policyIT_EESR_SR_SU_T2_EUlRKSY_E_EE10hipError_tS11_T3_mT4_P12ihipStream_tbEUlSY_E_NS1_11comp_targetILNS1_3genE8ELNS1_11target_archE1030ELNS1_3gpuE2ELNS1_3repE0EEENS1_30default_config_static_selectorELNS0_4arch9wavefront6targetE0EEEvSU_,"axG",@progbits,_ZN7rocprim17ROCPRIM_400000_NS6detail17trampoline_kernelINS0_14default_configENS1_25transform_config_selectorI10large_dataLb0EEEZNS1_14transform_implILb0ES3_S6_N6thrust23THRUST_200600_302600_NS6detail15normal_iteratorINS9_10device_ptrIS5_EEEENSB_INS9_7pointerIhNS9_11hip_rocprim5par_tENS9_11use_defaultESI_EEEEZNSG_9__copy_if7copy_ifISH_SE_SE_7is_evenIS5_EEENSt9enable_ifIXntltstNSt15iterator_traitsIT0_E10value_typeELi512EET1_E4typeERNSG_16execution_policyIT_EESR_SR_SU_T2_EUlRKSY_E_EE10hipError_tS11_T3_mT4_P12ihipStream_tbEUlSY_E_NS1_11comp_targetILNS1_3genE8ELNS1_11target_archE1030ELNS1_3gpuE2ELNS1_3repE0EEENS1_30default_config_static_selectorELNS0_4arch9wavefront6targetE0EEEvSU_,comdat
	.protected	_ZN7rocprim17ROCPRIM_400000_NS6detail17trampoline_kernelINS0_14default_configENS1_25transform_config_selectorI10large_dataLb0EEEZNS1_14transform_implILb0ES3_S6_N6thrust23THRUST_200600_302600_NS6detail15normal_iteratorINS9_10device_ptrIS5_EEEENSB_INS9_7pointerIhNS9_11hip_rocprim5par_tENS9_11use_defaultESI_EEEEZNSG_9__copy_if7copy_ifISH_SE_SE_7is_evenIS5_EEENSt9enable_ifIXntltstNSt15iterator_traitsIT0_E10value_typeELi512EET1_E4typeERNSG_16execution_policyIT_EESR_SR_SU_T2_EUlRKSY_E_EE10hipError_tS11_T3_mT4_P12ihipStream_tbEUlSY_E_NS1_11comp_targetILNS1_3genE8ELNS1_11target_archE1030ELNS1_3gpuE2ELNS1_3repE0EEENS1_30default_config_static_selectorELNS0_4arch9wavefront6targetE0EEEvSU_ ; -- Begin function _ZN7rocprim17ROCPRIM_400000_NS6detail17trampoline_kernelINS0_14default_configENS1_25transform_config_selectorI10large_dataLb0EEEZNS1_14transform_implILb0ES3_S6_N6thrust23THRUST_200600_302600_NS6detail15normal_iteratorINS9_10device_ptrIS5_EEEENSB_INS9_7pointerIhNS9_11hip_rocprim5par_tENS9_11use_defaultESI_EEEEZNSG_9__copy_if7copy_ifISH_SE_SE_7is_evenIS5_EEENSt9enable_ifIXntltstNSt15iterator_traitsIT0_E10value_typeELi512EET1_E4typeERNSG_16execution_policyIT_EESR_SR_SU_T2_EUlRKSY_E_EE10hipError_tS11_T3_mT4_P12ihipStream_tbEUlSY_E_NS1_11comp_targetILNS1_3genE8ELNS1_11target_archE1030ELNS1_3gpuE2ELNS1_3repE0EEENS1_30default_config_static_selectorELNS0_4arch9wavefront6targetE0EEEvSU_
	.globl	_ZN7rocprim17ROCPRIM_400000_NS6detail17trampoline_kernelINS0_14default_configENS1_25transform_config_selectorI10large_dataLb0EEEZNS1_14transform_implILb0ES3_S6_N6thrust23THRUST_200600_302600_NS6detail15normal_iteratorINS9_10device_ptrIS5_EEEENSB_INS9_7pointerIhNS9_11hip_rocprim5par_tENS9_11use_defaultESI_EEEEZNSG_9__copy_if7copy_ifISH_SE_SE_7is_evenIS5_EEENSt9enable_ifIXntltstNSt15iterator_traitsIT0_E10value_typeELi512EET1_E4typeERNSG_16execution_policyIT_EESR_SR_SU_T2_EUlRKSY_E_EE10hipError_tS11_T3_mT4_P12ihipStream_tbEUlSY_E_NS1_11comp_targetILNS1_3genE8ELNS1_11target_archE1030ELNS1_3gpuE2ELNS1_3repE0EEENS1_30default_config_static_selectorELNS0_4arch9wavefront6targetE0EEEvSU_
	.p2align	8
	.type	_ZN7rocprim17ROCPRIM_400000_NS6detail17trampoline_kernelINS0_14default_configENS1_25transform_config_selectorI10large_dataLb0EEEZNS1_14transform_implILb0ES3_S6_N6thrust23THRUST_200600_302600_NS6detail15normal_iteratorINS9_10device_ptrIS5_EEEENSB_INS9_7pointerIhNS9_11hip_rocprim5par_tENS9_11use_defaultESI_EEEEZNSG_9__copy_if7copy_ifISH_SE_SE_7is_evenIS5_EEENSt9enable_ifIXntltstNSt15iterator_traitsIT0_E10value_typeELi512EET1_E4typeERNSG_16execution_policyIT_EESR_SR_SU_T2_EUlRKSY_E_EE10hipError_tS11_T3_mT4_P12ihipStream_tbEUlSY_E_NS1_11comp_targetILNS1_3genE8ELNS1_11target_archE1030ELNS1_3gpuE2ELNS1_3repE0EEENS1_30default_config_static_selectorELNS0_4arch9wavefront6targetE0EEEvSU_,@function
_ZN7rocprim17ROCPRIM_400000_NS6detail17trampoline_kernelINS0_14default_configENS1_25transform_config_selectorI10large_dataLb0EEEZNS1_14transform_implILb0ES3_S6_N6thrust23THRUST_200600_302600_NS6detail15normal_iteratorINS9_10device_ptrIS5_EEEENSB_INS9_7pointerIhNS9_11hip_rocprim5par_tENS9_11use_defaultESI_EEEEZNSG_9__copy_if7copy_ifISH_SE_SE_7is_evenIS5_EEENSt9enable_ifIXntltstNSt15iterator_traitsIT0_E10value_typeELi512EET1_E4typeERNSG_16execution_policyIT_EESR_SR_SU_T2_EUlRKSY_E_EE10hipError_tS11_T3_mT4_P12ihipStream_tbEUlSY_E_NS1_11comp_targetILNS1_3genE8ELNS1_11target_archE1030ELNS1_3gpuE2ELNS1_3repE0EEENS1_30default_config_static_selectorELNS0_4arch9wavefront6targetE0EEEvSU_: ; @_ZN7rocprim17ROCPRIM_400000_NS6detail17trampoline_kernelINS0_14default_configENS1_25transform_config_selectorI10large_dataLb0EEEZNS1_14transform_implILb0ES3_S6_N6thrust23THRUST_200600_302600_NS6detail15normal_iteratorINS9_10device_ptrIS5_EEEENSB_INS9_7pointerIhNS9_11hip_rocprim5par_tENS9_11use_defaultESI_EEEEZNSG_9__copy_if7copy_ifISH_SE_SE_7is_evenIS5_EEENSt9enable_ifIXntltstNSt15iterator_traitsIT0_E10value_typeELi512EET1_E4typeERNSG_16execution_policyIT_EESR_SR_SU_T2_EUlRKSY_E_EE10hipError_tS11_T3_mT4_P12ihipStream_tbEUlSY_E_NS1_11comp_targetILNS1_3genE8ELNS1_11target_archE1030ELNS1_3gpuE2ELNS1_3repE0EEENS1_30default_config_static_selectorELNS0_4arch9wavefront6targetE0EEEvSU_
; %bb.0:
	.section	.rodata,"a",@progbits
	.p2align	6, 0x0
	.amdhsa_kernel _ZN7rocprim17ROCPRIM_400000_NS6detail17trampoline_kernelINS0_14default_configENS1_25transform_config_selectorI10large_dataLb0EEEZNS1_14transform_implILb0ES3_S6_N6thrust23THRUST_200600_302600_NS6detail15normal_iteratorINS9_10device_ptrIS5_EEEENSB_INS9_7pointerIhNS9_11hip_rocprim5par_tENS9_11use_defaultESI_EEEEZNSG_9__copy_if7copy_ifISH_SE_SE_7is_evenIS5_EEENSt9enable_ifIXntltstNSt15iterator_traitsIT0_E10value_typeELi512EET1_E4typeERNSG_16execution_policyIT_EESR_SR_SU_T2_EUlRKSY_E_EE10hipError_tS11_T3_mT4_P12ihipStream_tbEUlSY_E_NS1_11comp_targetILNS1_3genE8ELNS1_11target_archE1030ELNS1_3gpuE2ELNS1_3repE0EEENS1_30default_config_static_selectorELNS0_4arch9wavefront6targetE0EEEvSU_
		.amdhsa_group_segment_fixed_size 0
		.amdhsa_private_segment_fixed_size 0
		.amdhsa_kernarg_size 40
		.amdhsa_user_sgpr_count 15
		.amdhsa_user_sgpr_dispatch_ptr 0
		.amdhsa_user_sgpr_queue_ptr 0
		.amdhsa_user_sgpr_kernarg_segment_ptr 1
		.amdhsa_user_sgpr_dispatch_id 0
		.amdhsa_user_sgpr_private_segment_size 0
		.amdhsa_wavefront_size32 1
		.amdhsa_uses_dynamic_stack 0
		.amdhsa_enable_private_segment 0
		.amdhsa_system_sgpr_workgroup_id_x 1
		.amdhsa_system_sgpr_workgroup_id_y 0
		.amdhsa_system_sgpr_workgroup_id_z 0
		.amdhsa_system_sgpr_workgroup_info 0
		.amdhsa_system_vgpr_workitem_id 0
		.amdhsa_next_free_vgpr 1
		.amdhsa_next_free_sgpr 1
		.amdhsa_reserve_vcc 0
		.amdhsa_float_round_mode_32 0
		.amdhsa_float_round_mode_16_64 0
		.amdhsa_float_denorm_mode_32 3
		.amdhsa_float_denorm_mode_16_64 3
		.amdhsa_dx10_clamp 1
		.amdhsa_ieee_mode 1
		.amdhsa_fp16_overflow 0
		.amdhsa_workgroup_processor_mode 1
		.amdhsa_memory_ordered 1
		.amdhsa_forward_progress 0
		.amdhsa_shared_vgpr_count 0
		.amdhsa_exception_fp_ieee_invalid_op 0
		.amdhsa_exception_fp_denorm_src 0
		.amdhsa_exception_fp_ieee_div_zero 0
		.amdhsa_exception_fp_ieee_overflow 0
		.amdhsa_exception_fp_ieee_underflow 0
		.amdhsa_exception_fp_ieee_inexact 0
		.amdhsa_exception_int_div_zero 0
	.end_amdhsa_kernel
	.section	.text._ZN7rocprim17ROCPRIM_400000_NS6detail17trampoline_kernelINS0_14default_configENS1_25transform_config_selectorI10large_dataLb0EEEZNS1_14transform_implILb0ES3_S6_N6thrust23THRUST_200600_302600_NS6detail15normal_iteratorINS9_10device_ptrIS5_EEEENSB_INS9_7pointerIhNS9_11hip_rocprim5par_tENS9_11use_defaultESI_EEEEZNSG_9__copy_if7copy_ifISH_SE_SE_7is_evenIS5_EEENSt9enable_ifIXntltstNSt15iterator_traitsIT0_E10value_typeELi512EET1_E4typeERNSG_16execution_policyIT_EESR_SR_SU_T2_EUlRKSY_E_EE10hipError_tS11_T3_mT4_P12ihipStream_tbEUlSY_E_NS1_11comp_targetILNS1_3genE8ELNS1_11target_archE1030ELNS1_3gpuE2ELNS1_3repE0EEENS1_30default_config_static_selectorELNS0_4arch9wavefront6targetE0EEEvSU_,"axG",@progbits,_ZN7rocprim17ROCPRIM_400000_NS6detail17trampoline_kernelINS0_14default_configENS1_25transform_config_selectorI10large_dataLb0EEEZNS1_14transform_implILb0ES3_S6_N6thrust23THRUST_200600_302600_NS6detail15normal_iteratorINS9_10device_ptrIS5_EEEENSB_INS9_7pointerIhNS9_11hip_rocprim5par_tENS9_11use_defaultESI_EEEEZNSG_9__copy_if7copy_ifISH_SE_SE_7is_evenIS5_EEENSt9enable_ifIXntltstNSt15iterator_traitsIT0_E10value_typeELi512EET1_E4typeERNSG_16execution_policyIT_EESR_SR_SU_T2_EUlRKSY_E_EE10hipError_tS11_T3_mT4_P12ihipStream_tbEUlSY_E_NS1_11comp_targetILNS1_3genE8ELNS1_11target_archE1030ELNS1_3gpuE2ELNS1_3repE0EEENS1_30default_config_static_selectorELNS0_4arch9wavefront6targetE0EEEvSU_,comdat
.Lfunc_end102:
	.size	_ZN7rocprim17ROCPRIM_400000_NS6detail17trampoline_kernelINS0_14default_configENS1_25transform_config_selectorI10large_dataLb0EEEZNS1_14transform_implILb0ES3_S6_N6thrust23THRUST_200600_302600_NS6detail15normal_iteratorINS9_10device_ptrIS5_EEEENSB_INS9_7pointerIhNS9_11hip_rocprim5par_tENS9_11use_defaultESI_EEEEZNSG_9__copy_if7copy_ifISH_SE_SE_7is_evenIS5_EEENSt9enable_ifIXntltstNSt15iterator_traitsIT0_E10value_typeELi512EET1_E4typeERNSG_16execution_policyIT_EESR_SR_SU_T2_EUlRKSY_E_EE10hipError_tS11_T3_mT4_P12ihipStream_tbEUlSY_E_NS1_11comp_targetILNS1_3genE8ELNS1_11target_archE1030ELNS1_3gpuE2ELNS1_3repE0EEENS1_30default_config_static_selectorELNS0_4arch9wavefront6targetE0EEEvSU_, .Lfunc_end102-_ZN7rocprim17ROCPRIM_400000_NS6detail17trampoline_kernelINS0_14default_configENS1_25transform_config_selectorI10large_dataLb0EEEZNS1_14transform_implILb0ES3_S6_N6thrust23THRUST_200600_302600_NS6detail15normal_iteratorINS9_10device_ptrIS5_EEEENSB_INS9_7pointerIhNS9_11hip_rocprim5par_tENS9_11use_defaultESI_EEEEZNSG_9__copy_if7copy_ifISH_SE_SE_7is_evenIS5_EEENSt9enable_ifIXntltstNSt15iterator_traitsIT0_E10value_typeELi512EET1_E4typeERNSG_16execution_policyIT_EESR_SR_SU_T2_EUlRKSY_E_EE10hipError_tS11_T3_mT4_P12ihipStream_tbEUlSY_E_NS1_11comp_targetILNS1_3genE8ELNS1_11target_archE1030ELNS1_3gpuE2ELNS1_3repE0EEENS1_30default_config_static_selectorELNS0_4arch9wavefront6targetE0EEEvSU_
                                        ; -- End function
	.section	.AMDGPU.csdata,"",@progbits
; Kernel info:
; codeLenInByte = 0
; NumSgprs: 0
; NumVgprs: 0
; ScratchSize: 0
; MemoryBound: 0
; FloatMode: 240
; IeeeMode: 1
; LDSByteSize: 0 bytes/workgroup (compile time only)
; SGPRBlocks: 0
; VGPRBlocks: 0
; NumSGPRsForWavesPerEU: 1
; NumVGPRsForWavesPerEU: 1
; Occupancy: 16
; WaveLimiterHint : 0
; COMPUTE_PGM_RSRC2:SCRATCH_EN: 0
; COMPUTE_PGM_RSRC2:USER_SGPR: 15
; COMPUTE_PGM_RSRC2:TRAP_HANDLER: 0
; COMPUTE_PGM_RSRC2:TGID_X_EN: 1
; COMPUTE_PGM_RSRC2:TGID_Y_EN: 0
; COMPUTE_PGM_RSRC2:TGID_Z_EN: 0
; COMPUTE_PGM_RSRC2:TIDIG_COMP_CNT: 0
	.section	.text._ZN7rocprim17ROCPRIM_400000_NS6detail31init_lookback_scan_state_kernelINS1_19lookback_scan_stateIhLb0ELb1EEENS1_16block_id_wrapperIjLb0EEEEEvT_jT0_jPNS7_10value_typeE,"axG",@progbits,_ZN7rocprim17ROCPRIM_400000_NS6detail31init_lookback_scan_state_kernelINS1_19lookback_scan_stateIhLb0ELb1EEENS1_16block_id_wrapperIjLb0EEEEEvT_jT0_jPNS7_10value_typeE,comdat
	.protected	_ZN7rocprim17ROCPRIM_400000_NS6detail31init_lookback_scan_state_kernelINS1_19lookback_scan_stateIhLb0ELb1EEENS1_16block_id_wrapperIjLb0EEEEEvT_jT0_jPNS7_10value_typeE ; -- Begin function _ZN7rocprim17ROCPRIM_400000_NS6detail31init_lookback_scan_state_kernelINS1_19lookback_scan_stateIhLb0ELb1EEENS1_16block_id_wrapperIjLb0EEEEEvT_jT0_jPNS7_10value_typeE
	.globl	_ZN7rocprim17ROCPRIM_400000_NS6detail31init_lookback_scan_state_kernelINS1_19lookback_scan_stateIhLb0ELb1EEENS1_16block_id_wrapperIjLb0EEEEEvT_jT0_jPNS7_10value_typeE
	.p2align	8
	.type	_ZN7rocprim17ROCPRIM_400000_NS6detail31init_lookback_scan_state_kernelINS1_19lookback_scan_stateIhLb0ELb1EEENS1_16block_id_wrapperIjLb0EEEEEvT_jT0_jPNS7_10value_typeE,@function
_ZN7rocprim17ROCPRIM_400000_NS6detail31init_lookback_scan_state_kernelINS1_19lookback_scan_stateIhLb0ELb1EEENS1_16block_id_wrapperIjLb0EEEEEvT_jT0_jPNS7_10value_typeE: ; @_ZN7rocprim17ROCPRIM_400000_NS6detail31init_lookback_scan_state_kernelINS1_19lookback_scan_stateIhLb0ELb1EEENS1_16block_id_wrapperIjLb0EEEEEvT_jT0_jPNS7_10value_typeE
; %bb.0:
	s_clause 0x3
	s_load_b32 s7, s[0:1], 0x2c
	s_load_b64 s[4:5], s[0:1], 0x18
	s_load_b64 s[2:3], s[0:1], 0x0
	s_load_b32 s6, s[0:1], 0x8
	s_waitcnt lgkmcnt(0)
	s_and_b32 s7, s7, 0xffff
	s_cmp_eq_u64 s[4:5], 0
	v_mad_u64_u32 v[1:2], null, s15, s7, v[0:1]
	s_cbranch_scc1 .LBB103_6
; %bb.1:
	s_load_b32 s0, s[0:1], 0x10
	s_waitcnt lgkmcnt(0)
	s_cmp_lt_u32 s0, s6
	s_cselect_b32 s1, s0, 0
	s_delay_alu instid0(VALU_DEP_1) | instid1(SALU_CYCLE_1)
	v_cmp_eq_u32_e32 vcc_lo, s1, v1
	s_mov_b32 s1, 0
	s_and_saveexec_b32 s7, vcc_lo
	s_cbranch_execz .LBB103_5
; %bb.2:
	s_add_i32 s0, s0, 32
	v_mov_b32_e32 v2, 0
	s_lshl_b64 s[0:1], s[0:1], 1
	s_delay_alu instid0(SALU_CYCLE_1)
	s_add_u32 s0, s2, s0
	s_addc_u32 s1, s3, s1
	global_load_u16 v0, v2, s[0:1] glc
	s_waitcnt vmcnt(0)
	v_cmp_lt_u16_e32 vcc_lo, 0xff, v0
	s_cbranch_vccnz .LBB103_4
.LBB103_3:                              ; =>This Inner Loop Header: Depth=1
	global_load_u16 v0, v2, s[0:1] glc
	s_waitcnt vmcnt(0)
	v_cmp_gt_u16_e32 vcc_lo, 0x100, v0
	s_cbranch_vccnz .LBB103_3
.LBB103_4:
	v_mov_b32_e32 v2, 0
	global_store_b8 v2, v0, s[4:5]
.LBB103_5:
	s_or_b32 exec_lo, exec_lo, s7
.LBB103_6:
	s_delay_alu instid0(SALU_CYCLE_1) | instskip(NEXT) | instid1(VALU_DEP_1)
	s_mov_b32 s0, exec_lo
	v_cmpx_gt_u32_e64 s6, v1
	s_cbranch_execz .LBB103_8
; %bb.7:
	v_dual_mov_b32 v3, 0 :: v_dual_add_nc_u32 v2, 32, v1
	s_delay_alu instid0(VALU_DEP_1) | instskip(NEXT) | instid1(VALU_DEP_1)
	v_lshlrev_b64 v[4:5], 1, v[2:3]
	v_add_co_u32 v4, vcc_lo, s2, v4
	s_delay_alu instid0(VALU_DEP_2)
	v_add_co_ci_u32_e32 v5, vcc_lo, s3, v5, vcc_lo
	global_store_b16 v[4:5], v3, off
.LBB103_8:
	s_or_b32 exec_lo, exec_lo, s0
	s_delay_alu instid0(SALU_CYCLE_1)
	s_mov_b32 s0, exec_lo
	v_cmpx_gt_u32_e32 32, v1
	s_cbranch_execz .LBB103_10
; %bb.9:
	v_mov_b32_e32 v2, 0
	s_delay_alu instid0(VALU_DEP_1) | instskip(SKIP_1) | instid1(VALU_DEP_2)
	v_lshlrev_b64 v[0:1], 1, v[1:2]
	v_mov_b32_e32 v2, 0xffffff00
	v_add_co_u32 v0, vcc_lo, s2, v0
	s_delay_alu instid0(VALU_DEP_3)
	v_add_co_ci_u32_e32 v1, vcc_lo, s3, v1, vcc_lo
	global_store_b16 v[0:1], v2, off
.LBB103_10:
	s_nop 0
	s_sendmsg sendmsg(MSG_DEALLOC_VGPRS)
	s_endpgm
	.section	.rodata,"a",@progbits
	.p2align	6, 0x0
	.amdhsa_kernel _ZN7rocprim17ROCPRIM_400000_NS6detail31init_lookback_scan_state_kernelINS1_19lookback_scan_stateIhLb0ELb1EEENS1_16block_id_wrapperIjLb0EEEEEvT_jT0_jPNS7_10value_typeE
		.amdhsa_group_segment_fixed_size 0
		.amdhsa_private_segment_fixed_size 0
		.amdhsa_kernarg_size 288
		.amdhsa_user_sgpr_count 15
		.amdhsa_user_sgpr_dispatch_ptr 0
		.amdhsa_user_sgpr_queue_ptr 0
		.amdhsa_user_sgpr_kernarg_segment_ptr 1
		.amdhsa_user_sgpr_dispatch_id 0
		.amdhsa_user_sgpr_private_segment_size 0
		.amdhsa_wavefront_size32 1
		.amdhsa_uses_dynamic_stack 0
		.amdhsa_enable_private_segment 0
		.amdhsa_system_sgpr_workgroup_id_x 1
		.amdhsa_system_sgpr_workgroup_id_y 0
		.amdhsa_system_sgpr_workgroup_id_z 0
		.amdhsa_system_sgpr_workgroup_info 0
		.amdhsa_system_vgpr_workitem_id 0
		.amdhsa_next_free_vgpr 6
		.amdhsa_next_free_sgpr 16
		.amdhsa_reserve_vcc 1
		.amdhsa_float_round_mode_32 0
		.amdhsa_float_round_mode_16_64 0
		.amdhsa_float_denorm_mode_32 3
		.amdhsa_float_denorm_mode_16_64 3
		.amdhsa_dx10_clamp 1
		.amdhsa_ieee_mode 1
		.amdhsa_fp16_overflow 0
		.amdhsa_workgroup_processor_mode 1
		.amdhsa_memory_ordered 1
		.amdhsa_forward_progress 0
		.amdhsa_shared_vgpr_count 0
		.amdhsa_exception_fp_ieee_invalid_op 0
		.amdhsa_exception_fp_denorm_src 0
		.amdhsa_exception_fp_ieee_div_zero 0
		.amdhsa_exception_fp_ieee_overflow 0
		.amdhsa_exception_fp_ieee_underflow 0
		.amdhsa_exception_fp_ieee_inexact 0
		.amdhsa_exception_int_div_zero 0
	.end_amdhsa_kernel
	.section	.text._ZN7rocprim17ROCPRIM_400000_NS6detail31init_lookback_scan_state_kernelINS1_19lookback_scan_stateIhLb0ELb1EEENS1_16block_id_wrapperIjLb0EEEEEvT_jT0_jPNS7_10value_typeE,"axG",@progbits,_ZN7rocprim17ROCPRIM_400000_NS6detail31init_lookback_scan_state_kernelINS1_19lookback_scan_stateIhLb0ELb1EEENS1_16block_id_wrapperIjLb0EEEEEvT_jT0_jPNS7_10value_typeE,comdat
.Lfunc_end103:
	.size	_ZN7rocprim17ROCPRIM_400000_NS6detail31init_lookback_scan_state_kernelINS1_19lookback_scan_stateIhLb0ELb1EEENS1_16block_id_wrapperIjLb0EEEEEvT_jT0_jPNS7_10value_typeE, .Lfunc_end103-_ZN7rocprim17ROCPRIM_400000_NS6detail31init_lookback_scan_state_kernelINS1_19lookback_scan_stateIhLb0ELb1EEENS1_16block_id_wrapperIjLb0EEEEEvT_jT0_jPNS7_10value_typeE
                                        ; -- End function
	.section	.AMDGPU.csdata,"",@progbits
; Kernel info:
; codeLenInByte = 336
; NumSgprs: 18
; NumVgprs: 6
; ScratchSize: 0
; MemoryBound: 0
; FloatMode: 240
; IeeeMode: 1
; LDSByteSize: 0 bytes/workgroup (compile time only)
; SGPRBlocks: 2
; VGPRBlocks: 0
; NumSGPRsForWavesPerEU: 18
; NumVGPRsForWavesPerEU: 6
; Occupancy: 16
; WaveLimiterHint : 0
; COMPUTE_PGM_RSRC2:SCRATCH_EN: 0
; COMPUTE_PGM_RSRC2:USER_SGPR: 15
; COMPUTE_PGM_RSRC2:TRAP_HANDLER: 0
; COMPUTE_PGM_RSRC2:TGID_X_EN: 1
; COMPUTE_PGM_RSRC2:TGID_Y_EN: 0
; COMPUTE_PGM_RSRC2:TGID_Z_EN: 0
; COMPUTE_PGM_RSRC2:TIDIG_COMP_CNT: 0
	.section	.text._ZN7rocprim17ROCPRIM_400000_NS6detail17trampoline_kernelINS0_14default_configENS1_20scan_config_selectorIhEEZZNS1_9scan_implILNS1_25lookback_scan_determinismE0ELb0ELb0ES3_N6thrust23THRUST_200600_302600_NS6detail15normal_iteratorINS9_7pointerIhNS9_11hip_rocprim5par_tENS9_11use_defaultESF_EEEENSB_INSC_IjSE_SF_SF_EEEEhNS9_4plusIvEEhEEDaPvRmT3_T4_T5_mT6_P12ihipStream_tbENKUlT_T0_E_clISt17integral_constantIbLb0EESZ_EEDaSU_SV_EUlSU_E_NS1_11comp_targetILNS1_3genE0ELNS1_11target_archE4294967295ELNS1_3gpuE0ELNS1_3repE0EEENS1_30default_config_static_selectorELNS0_4arch9wavefront6targetE0EEEvT1_,"axG",@progbits,_ZN7rocprim17ROCPRIM_400000_NS6detail17trampoline_kernelINS0_14default_configENS1_20scan_config_selectorIhEEZZNS1_9scan_implILNS1_25lookback_scan_determinismE0ELb0ELb0ES3_N6thrust23THRUST_200600_302600_NS6detail15normal_iteratorINS9_7pointerIhNS9_11hip_rocprim5par_tENS9_11use_defaultESF_EEEENSB_INSC_IjSE_SF_SF_EEEEhNS9_4plusIvEEhEEDaPvRmT3_T4_T5_mT6_P12ihipStream_tbENKUlT_T0_E_clISt17integral_constantIbLb0EESZ_EEDaSU_SV_EUlSU_E_NS1_11comp_targetILNS1_3genE0ELNS1_11target_archE4294967295ELNS1_3gpuE0ELNS1_3repE0EEENS1_30default_config_static_selectorELNS0_4arch9wavefront6targetE0EEEvT1_,comdat
	.protected	_ZN7rocprim17ROCPRIM_400000_NS6detail17trampoline_kernelINS0_14default_configENS1_20scan_config_selectorIhEEZZNS1_9scan_implILNS1_25lookback_scan_determinismE0ELb0ELb0ES3_N6thrust23THRUST_200600_302600_NS6detail15normal_iteratorINS9_7pointerIhNS9_11hip_rocprim5par_tENS9_11use_defaultESF_EEEENSB_INSC_IjSE_SF_SF_EEEEhNS9_4plusIvEEhEEDaPvRmT3_T4_T5_mT6_P12ihipStream_tbENKUlT_T0_E_clISt17integral_constantIbLb0EESZ_EEDaSU_SV_EUlSU_E_NS1_11comp_targetILNS1_3genE0ELNS1_11target_archE4294967295ELNS1_3gpuE0ELNS1_3repE0EEENS1_30default_config_static_selectorELNS0_4arch9wavefront6targetE0EEEvT1_ ; -- Begin function _ZN7rocprim17ROCPRIM_400000_NS6detail17trampoline_kernelINS0_14default_configENS1_20scan_config_selectorIhEEZZNS1_9scan_implILNS1_25lookback_scan_determinismE0ELb0ELb0ES3_N6thrust23THRUST_200600_302600_NS6detail15normal_iteratorINS9_7pointerIhNS9_11hip_rocprim5par_tENS9_11use_defaultESF_EEEENSB_INSC_IjSE_SF_SF_EEEEhNS9_4plusIvEEhEEDaPvRmT3_T4_T5_mT6_P12ihipStream_tbENKUlT_T0_E_clISt17integral_constantIbLb0EESZ_EEDaSU_SV_EUlSU_E_NS1_11comp_targetILNS1_3genE0ELNS1_11target_archE4294967295ELNS1_3gpuE0ELNS1_3repE0EEENS1_30default_config_static_selectorELNS0_4arch9wavefront6targetE0EEEvT1_
	.globl	_ZN7rocprim17ROCPRIM_400000_NS6detail17trampoline_kernelINS0_14default_configENS1_20scan_config_selectorIhEEZZNS1_9scan_implILNS1_25lookback_scan_determinismE0ELb0ELb0ES3_N6thrust23THRUST_200600_302600_NS6detail15normal_iteratorINS9_7pointerIhNS9_11hip_rocprim5par_tENS9_11use_defaultESF_EEEENSB_INSC_IjSE_SF_SF_EEEEhNS9_4plusIvEEhEEDaPvRmT3_T4_T5_mT6_P12ihipStream_tbENKUlT_T0_E_clISt17integral_constantIbLb0EESZ_EEDaSU_SV_EUlSU_E_NS1_11comp_targetILNS1_3genE0ELNS1_11target_archE4294967295ELNS1_3gpuE0ELNS1_3repE0EEENS1_30default_config_static_selectorELNS0_4arch9wavefront6targetE0EEEvT1_
	.p2align	8
	.type	_ZN7rocprim17ROCPRIM_400000_NS6detail17trampoline_kernelINS0_14default_configENS1_20scan_config_selectorIhEEZZNS1_9scan_implILNS1_25lookback_scan_determinismE0ELb0ELb0ES3_N6thrust23THRUST_200600_302600_NS6detail15normal_iteratorINS9_7pointerIhNS9_11hip_rocprim5par_tENS9_11use_defaultESF_EEEENSB_INSC_IjSE_SF_SF_EEEEhNS9_4plusIvEEhEEDaPvRmT3_T4_T5_mT6_P12ihipStream_tbENKUlT_T0_E_clISt17integral_constantIbLb0EESZ_EEDaSU_SV_EUlSU_E_NS1_11comp_targetILNS1_3genE0ELNS1_11target_archE4294967295ELNS1_3gpuE0ELNS1_3repE0EEENS1_30default_config_static_selectorELNS0_4arch9wavefront6targetE0EEEvT1_,@function
_ZN7rocprim17ROCPRIM_400000_NS6detail17trampoline_kernelINS0_14default_configENS1_20scan_config_selectorIhEEZZNS1_9scan_implILNS1_25lookback_scan_determinismE0ELb0ELb0ES3_N6thrust23THRUST_200600_302600_NS6detail15normal_iteratorINS9_7pointerIhNS9_11hip_rocprim5par_tENS9_11use_defaultESF_EEEENSB_INSC_IjSE_SF_SF_EEEEhNS9_4plusIvEEhEEDaPvRmT3_T4_T5_mT6_P12ihipStream_tbENKUlT_T0_E_clISt17integral_constantIbLb0EESZ_EEDaSU_SV_EUlSU_E_NS1_11comp_targetILNS1_3genE0ELNS1_11target_archE4294967295ELNS1_3gpuE0ELNS1_3repE0EEENS1_30default_config_static_selectorELNS0_4arch9wavefront6targetE0EEEvT1_: ; @_ZN7rocprim17ROCPRIM_400000_NS6detail17trampoline_kernelINS0_14default_configENS1_20scan_config_selectorIhEEZZNS1_9scan_implILNS1_25lookback_scan_determinismE0ELb0ELb0ES3_N6thrust23THRUST_200600_302600_NS6detail15normal_iteratorINS9_7pointerIhNS9_11hip_rocprim5par_tENS9_11use_defaultESF_EEEENSB_INSC_IjSE_SF_SF_EEEEhNS9_4plusIvEEhEEDaPvRmT3_T4_T5_mT6_P12ihipStream_tbENKUlT_T0_E_clISt17integral_constantIbLb0EESZ_EEDaSU_SV_EUlSU_E_NS1_11comp_targetILNS1_3genE0ELNS1_11target_archE4294967295ELNS1_3gpuE0ELNS1_3repE0EEENS1_30default_config_static_selectorELNS0_4arch9wavefront6targetE0EEEvT1_
; %bb.0:
	.section	.rodata,"a",@progbits
	.p2align	6, 0x0
	.amdhsa_kernel _ZN7rocprim17ROCPRIM_400000_NS6detail17trampoline_kernelINS0_14default_configENS1_20scan_config_selectorIhEEZZNS1_9scan_implILNS1_25lookback_scan_determinismE0ELb0ELb0ES3_N6thrust23THRUST_200600_302600_NS6detail15normal_iteratorINS9_7pointerIhNS9_11hip_rocprim5par_tENS9_11use_defaultESF_EEEENSB_INSC_IjSE_SF_SF_EEEEhNS9_4plusIvEEhEEDaPvRmT3_T4_T5_mT6_P12ihipStream_tbENKUlT_T0_E_clISt17integral_constantIbLb0EESZ_EEDaSU_SV_EUlSU_E_NS1_11comp_targetILNS1_3genE0ELNS1_11target_archE4294967295ELNS1_3gpuE0ELNS1_3repE0EEENS1_30default_config_static_selectorELNS0_4arch9wavefront6targetE0EEEvT1_
		.amdhsa_group_segment_fixed_size 0
		.amdhsa_private_segment_fixed_size 0
		.amdhsa_kernarg_size 96
		.amdhsa_user_sgpr_count 15
		.amdhsa_user_sgpr_dispatch_ptr 0
		.amdhsa_user_sgpr_queue_ptr 0
		.amdhsa_user_sgpr_kernarg_segment_ptr 1
		.amdhsa_user_sgpr_dispatch_id 0
		.amdhsa_user_sgpr_private_segment_size 0
		.amdhsa_wavefront_size32 1
		.amdhsa_uses_dynamic_stack 0
		.amdhsa_enable_private_segment 0
		.amdhsa_system_sgpr_workgroup_id_x 1
		.amdhsa_system_sgpr_workgroup_id_y 0
		.amdhsa_system_sgpr_workgroup_id_z 0
		.amdhsa_system_sgpr_workgroup_info 0
		.amdhsa_system_vgpr_workitem_id 0
		.amdhsa_next_free_vgpr 1
		.amdhsa_next_free_sgpr 1
		.amdhsa_reserve_vcc 0
		.amdhsa_float_round_mode_32 0
		.amdhsa_float_round_mode_16_64 0
		.amdhsa_float_denorm_mode_32 3
		.amdhsa_float_denorm_mode_16_64 3
		.amdhsa_dx10_clamp 1
		.amdhsa_ieee_mode 1
		.amdhsa_fp16_overflow 0
		.amdhsa_workgroup_processor_mode 1
		.amdhsa_memory_ordered 1
		.amdhsa_forward_progress 0
		.amdhsa_shared_vgpr_count 0
		.amdhsa_exception_fp_ieee_invalid_op 0
		.amdhsa_exception_fp_denorm_src 0
		.amdhsa_exception_fp_ieee_div_zero 0
		.amdhsa_exception_fp_ieee_overflow 0
		.amdhsa_exception_fp_ieee_underflow 0
		.amdhsa_exception_fp_ieee_inexact 0
		.amdhsa_exception_int_div_zero 0
	.end_amdhsa_kernel
	.section	.text._ZN7rocprim17ROCPRIM_400000_NS6detail17trampoline_kernelINS0_14default_configENS1_20scan_config_selectorIhEEZZNS1_9scan_implILNS1_25lookback_scan_determinismE0ELb0ELb0ES3_N6thrust23THRUST_200600_302600_NS6detail15normal_iteratorINS9_7pointerIhNS9_11hip_rocprim5par_tENS9_11use_defaultESF_EEEENSB_INSC_IjSE_SF_SF_EEEEhNS9_4plusIvEEhEEDaPvRmT3_T4_T5_mT6_P12ihipStream_tbENKUlT_T0_E_clISt17integral_constantIbLb0EESZ_EEDaSU_SV_EUlSU_E_NS1_11comp_targetILNS1_3genE0ELNS1_11target_archE4294967295ELNS1_3gpuE0ELNS1_3repE0EEENS1_30default_config_static_selectorELNS0_4arch9wavefront6targetE0EEEvT1_,"axG",@progbits,_ZN7rocprim17ROCPRIM_400000_NS6detail17trampoline_kernelINS0_14default_configENS1_20scan_config_selectorIhEEZZNS1_9scan_implILNS1_25lookback_scan_determinismE0ELb0ELb0ES3_N6thrust23THRUST_200600_302600_NS6detail15normal_iteratorINS9_7pointerIhNS9_11hip_rocprim5par_tENS9_11use_defaultESF_EEEENSB_INSC_IjSE_SF_SF_EEEEhNS9_4plusIvEEhEEDaPvRmT3_T4_T5_mT6_P12ihipStream_tbENKUlT_T0_E_clISt17integral_constantIbLb0EESZ_EEDaSU_SV_EUlSU_E_NS1_11comp_targetILNS1_3genE0ELNS1_11target_archE4294967295ELNS1_3gpuE0ELNS1_3repE0EEENS1_30default_config_static_selectorELNS0_4arch9wavefront6targetE0EEEvT1_,comdat
.Lfunc_end104:
	.size	_ZN7rocprim17ROCPRIM_400000_NS6detail17trampoline_kernelINS0_14default_configENS1_20scan_config_selectorIhEEZZNS1_9scan_implILNS1_25lookback_scan_determinismE0ELb0ELb0ES3_N6thrust23THRUST_200600_302600_NS6detail15normal_iteratorINS9_7pointerIhNS9_11hip_rocprim5par_tENS9_11use_defaultESF_EEEENSB_INSC_IjSE_SF_SF_EEEEhNS9_4plusIvEEhEEDaPvRmT3_T4_T5_mT6_P12ihipStream_tbENKUlT_T0_E_clISt17integral_constantIbLb0EESZ_EEDaSU_SV_EUlSU_E_NS1_11comp_targetILNS1_3genE0ELNS1_11target_archE4294967295ELNS1_3gpuE0ELNS1_3repE0EEENS1_30default_config_static_selectorELNS0_4arch9wavefront6targetE0EEEvT1_, .Lfunc_end104-_ZN7rocprim17ROCPRIM_400000_NS6detail17trampoline_kernelINS0_14default_configENS1_20scan_config_selectorIhEEZZNS1_9scan_implILNS1_25lookback_scan_determinismE0ELb0ELb0ES3_N6thrust23THRUST_200600_302600_NS6detail15normal_iteratorINS9_7pointerIhNS9_11hip_rocprim5par_tENS9_11use_defaultESF_EEEENSB_INSC_IjSE_SF_SF_EEEEhNS9_4plusIvEEhEEDaPvRmT3_T4_T5_mT6_P12ihipStream_tbENKUlT_T0_E_clISt17integral_constantIbLb0EESZ_EEDaSU_SV_EUlSU_E_NS1_11comp_targetILNS1_3genE0ELNS1_11target_archE4294967295ELNS1_3gpuE0ELNS1_3repE0EEENS1_30default_config_static_selectorELNS0_4arch9wavefront6targetE0EEEvT1_
                                        ; -- End function
	.section	.AMDGPU.csdata,"",@progbits
; Kernel info:
; codeLenInByte = 0
; NumSgprs: 0
; NumVgprs: 0
; ScratchSize: 0
; MemoryBound: 0
; FloatMode: 240
; IeeeMode: 1
; LDSByteSize: 0 bytes/workgroup (compile time only)
; SGPRBlocks: 0
; VGPRBlocks: 0
; NumSGPRsForWavesPerEU: 1
; NumVGPRsForWavesPerEU: 1
; Occupancy: 16
; WaveLimiterHint : 0
; COMPUTE_PGM_RSRC2:SCRATCH_EN: 0
; COMPUTE_PGM_RSRC2:USER_SGPR: 15
; COMPUTE_PGM_RSRC2:TRAP_HANDLER: 0
; COMPUTE_PGM_RSRC2:TGID_X_EN: 1
; COMPUTE_PGM_RSRC2:TGID_Y_EN: 0
; COMPUTE_PGM_RSRC2:TGID_Z_EN: 0
; COMPUTE_PGM_RSRC2:TIDIG_COMP_CNT: 0
	.section	.text._ZN7rocprim17ROCPRIM_400000_NS6detail17trampoline_kernelINS0_14default_configENS1_20scan_config_selectorIhEEZZNS1_9scan_implILNS1_25lookback_scan_determinismE0ELb0ELb0ES3_N6thrust23THRUST_200600_302600_NS6detail15normal_iteratorINS9_7pointerIhNS9_11hip_rocprim5par_tENS9_11use_defaultESF_EEEENSB_INSC_IjSE_SF_SF_EEEEhNS9_4plusIvEEhEEDaPvRmT3_T4_T5_mT6_P12ihipStream_tbENKUlT_T0_E_clISt17integral_constantIbLb0EESZ_EEDaSU_SV_EUlSU_E_NS1_11comp_targetILNS1_3genE5ELNS1_11target_archE942ELNS1_3gpuE9ELNS1_3repE0EEENS1_30default_config_static_selectorELNS0_4arch9wavefront6targetE0EEEvT1_,"axG",@progbits,_ZN7rocprim17ROCPRIM_400000_NS6detail17trampoline_kernelINS0_14default_configENS1_20scan_config_selectorIhEEZZNS1_9scan_implILNS1_25lookback_scan_determinismE0ELb0ELb0ES3_N6thrust23THRUST_200600_302600_NS6detail15normal_iteratorINS9_7pointerIhNS9_11hip_rocprim5par_tENS9_11use_defaultESF_EEEENSB_INSC_IjSE_SF_SF_EEEEhNS9_4plusIvEEhEEDaPvRmT3_T4_T5_mT6_P12ihipStream_tbENKUlT_T0_E_clISt17integral_constantIbLb0EESZ_EEDaSU_SV_EUlSU_E_NS1_11comp_targetILNS1_3genE5ELNS1_11target_archE942ELNS1_3gpuE9ELNS1_3repE0EEENS1_30default_config_static_selectorELNS0_4arch9wavefront6targetE0EEEvT1_,comdat
	.protected	_ZN7rocprim17ROCPRIM_400000_NS6detail17trampoline_kernelINS0_14default_configENS1_20scan_config_selectorIhEEZZNS1_9scan_implILNS1_25lookback_scan_determinismE0ELb0ELb0ES3_N6thrust23THRUST_200600_302600_NS6detail15normal_iteratorINS9_7pointerIhNS9_11hip_rocprim5par_tENS9_11use_defaultESF_EEEENSB_INSC_IjSE_SF_SF_EEEEhNS9_4plusIvEEhEEDaPvRmT3_T4_T5_mT6_P12ihipStream_tbENKUlT_T0_E_clISt17integral_constantIbLb0EESZ_EEDaSU_SV_EUlSU_E_NS1_11comp_targetILNS1_3genE5ELNS1_11target_archE942ELNS1_3gpuE9ELNS1_3repE0EEENS1_30default_config_static_selectorELNS0_4arch9wavefront6targetE0EEEvT1_ ; -- Begin function _ZN7rocprim17ROCPRIM_400000_NS6detail17trampoline_kernelINS0_14default_configENS1_20scan_config_selectorIhEEZZNS1_9scan_implILNS1_25lookback_scan_determinismE0ELb0ELb0ES3_N6thrust23THRUST_200600_302600_NS6detail15normal_iteratorINS9_7pointerIhNS9_11hip_rocprim5par_tENS9_11use_defaultESF_EEEENSB_INSC_IjSE_SF_SF_EEEEhNS9_4plusIvEEhEEDaPvRmT3_T4_T5_mT6_P12ihipStream_tbENKUlT_T0_E_clISt17integral_constantIbLb0EESZ_EEDaSU_SV_EUlSU_E_NS1_11comp_targetILNS1_3genE5ELNS1_11target_archE942ELNS1_3gpuE9ELNS1_3repE0EEENS1_30default_config_static_selectorELNS0_4arch9wavefront6targetE0EEEvT1_
	.globl	_ZN7rocprim17ROCPRIM_400000_NS6detail17trampoline_kernelINS0_14default_configENS1_20scan_config_selectorIhEEZZNS1_9scan_implILNS1_25lookback_scan_determinismE0ELb0ELb0ES3_N6thrust23THRUST_200600_302600_NS6detail15normal_iteratorINS9_7pointerIhNS9_11hip_rocprim5par_tENS9_11use_defaultESF_EEEENSB_INSC_IjSE_SF_SF_EEEEhNS9_4plusIvEEhEEDaPvRmT3_T4_T5_mT6_P12ihipStream_tbENKUlT_T0_E_clISt17integral_constantIbLb0EESZ_EEDaSU_SV_EUlSU_E_NS1_11comp_targetILNS1_3genE5ELNS1_11target_archE942ELNS1_3gpuE9ELNS1_3repE0EEENS1_30default_config_static_selectorELNS0_4arch9wavefront6targetE0EEEvT1_
	.p2align	8
	.type	_ZN7rocprim17ROCPRIM_400000_NS6detail17trampoline_kernelINS0_14default_configENS1_20scan_config_selectorIhEEZZNS1_9scan_implILNS1_25lookback_scan_determinismE0ELb0ELb0ES3_N6thrust23THRUST_200600_302600_NS6detail15normal_iteratorINS9_7pointerIhNS9_11hip_rocprim5par_tENS9_11use_defaultESF_EEEENSB_INSC_IjSE_SF_SF_EEEEhNS9_4plusIvEEhEEDaPvRmT3_T4_T5_mT6_P12ihipStream_tbENKUlT_T0_E_clISt17integral_constantIbLb0EESZ_EEDaSU_SV_EUlSU_E_NS1_11comp_targetILNS1_3genE5ELNS1_11target_archE942ELNS1_3gpuE9ELNS1_3repE0EEENS1_30default_config_static_selectorELNS0_4arch9wavefront6targetE0EEEvT1_,@function
_ZN7rocprim17ROCPRIM_400000_NS6detail17trampoline_kernelINS0_14default_configENS1_20scan_config_selectorIhEEZZNS1_9scan_implILNS1_25lookback_scan_determinismE0ELb0ELb0ES3_N6thrust23THRUST_200600_302600_NS6detail15normal_iteratorINS9_7pointerIhNS9_11hip_rocprim5par_tENS9_11use_defaultESF_EEEENSB_INSC_IjSE_SF_SF_EEEEhNS9_4plusIvEEhEEDaPvRmT3_T4_T5_mT6_P12ihipStream_tbENKUlT_T0_E_clISt17integral_constantIbLb0EESZ_EEDaSU_SV_EUlSU_E_NS1_11comp_targetILNS1_3genE5ELNS1_11target_archE942ELNS1_3gpuE9ELNS1_3repE0EEENS1_30default_config_static_selectorELNS0_4arch9wavefront6targetE0EEEvT1_: ; @_ZN7rocprim17ROCPRIM_400000_NS6detail17trampoline_kernelINS0_14default_configENS1_20scan_config_selectorIhEEZZNS1_9scan_implILNS1_25lookback_scan_determinismE0ELb0ELb0ES3_N6thrust23THRUST_200600_302600_NS6detail15normal_iteratorINS9_7pointerIhNS9_11hip_rocprim5par_tENS9_11use_defaultESF_EEEENSB_INSC_IjSE_SF_SF_EEEEhNS9_4plusIvEEhEEDaPvRmT3_T4_T5_mT6_P12ihipStream_tbENKUlT_T0_E_clISt17integral_constantIbLb0EESZ_EEDaSU_SV_EUlSU_E_NS1_11comp_targetILNS1_3genE5ELNS1_11target_archE942ELNS1_3gpuE9ELNS1_3repE0EEENS1_30default_config_static_selectorELNS0_4arch9wavefront6targetE0EEEvT1_
; %bb.0:
	.section	.rodata,"a",@progbits
	.p2align	6, 0x0
	.amdhsa_kernel _ZN7rocprim17ROCPRIM_400000_NS6detail17trampoline_kernelINS0_14default_configENS1_20scan_config_selectorIhEEZZNS1_9scan_implILNS1_25lookback_scan_determinismE0ELb0ELb0ES3_N6thrust23THRUST_200600_302600_NS6detail15normal_iteratorINS9_7pointerIhNS9_11hip_rocprim5par_tENS9_11use_defaultESF_EEEENSB_INSC_IjSE_SF_SF_EEEEhNS9_4plusIvEEhEEDaPvRmT3_T4_T5_mT6_P12ihipStream_tbENKUlT_T0_E_clISt17integral_constantIbLb0EESZ_EEDaSU_SV_EUlSU_E_NS1_11comp_targetILNS1_3genE5ELNS1_11target_archE942ELNS1_3gpuE9ELNS1_3repE0EEENS1_30default_config_static_selectorELNS0_4arch9wavefront6targetE0EEEvT1_
		.amdhsa_group_segment_fixed_size 0
		.amdhsa_private_segment_fixed_size 0
		.amdhsa_kernarg_size 96
		.amdhsa_user_sgpr_count 15
		.amdhsa_user_sgpr_dispatch_ptr 0
		.amdhsa_user_sgpr_queue_ptr 0
		.amdhsa_user_sgpr_kernarg_segment_ptr 1
		.amdhsa_user_sgpr_dispatch_id 0
		.amdhsa_user_sgpr_private_segment_size 0
		.amdhsa_wavefront_size32 1
		.amdhsa_uses_dynamic_stack 0
		.amdhsa_enable_private_segment 0
		.amdhsa_system_sgpr_workgroup_id_x 1
		.amdhsa_system_sgpr_workgroup_id_y 0
		.amdhsa_system_sgpr_workgroup_id_z 0
		.amdhsa_system_sgpr_workgroup_info 0
		.amdhsa_system_vgpr_workitem_id 0
		.amdhsa_next_free_vgpr 1
		.amdhsa_next_free_sgpr 1
		.amdhsa_reserve_vcc 0
		.amdhsa_float_round_mode_32 0
		.amdhsa_float_round_mode_16_64 0
		.amdhsa_float_denorm_mode_32 3
		.amdhsa_float_denorm_mode_16_64 3
		.amdhsa_dx10_clamp 1
		.amdhsa_ieee_mode 1
		.amdhsa_fp16_overflow 0
		.amdhsa_workgroup_processor_mode 1
		.amdhsa_memory_ordered 1
		.amdhsa_forward_progress 0
		.amdhsa_shared_vgpr_count 0
		.amdhsa_exception_fp_ieee_invalid_op 0
		.amdhsa_exception_fp_denorm_src 0
		.amdhsa_exception_fp_ieee_div_zero 0
		.amdhsa_exception_fp_ieee_overflow 0
		.amdhsa_exception_fp_ieee_underflow 0
		.amdhsa_exception_fp_ieee_inexact 0
		.amdhsa_exception_int_div_zero 0
	.end_amdhsa_kernel
	.section	.text._ZN7rocprim17ROCPRIM_400000_NS6detail17trampoline_kernelINS0_14default_configENS1_20scan_config_selectorIhEEZZNS1_9scan_implILNS1_25lookback_scan_determinismE0ELb0ELb0ES3_N6thrust23THRUST_200600_302600_NS6detail15normal_iteratorINS9_7pointerIhNS9_11hip_rocprim5par_tENS9_11use_defaultESF_EEEENSB_INSC_IjSE_SF_SF_EEEEhNS9_4plusIvEEhEEDaPvRmT3_T4_T5_mT6_P12ihipStream_tbENKUlT_T0_E_clISt17integral_constantIbLb0EESZ_EEDaSU_SV_EUlSU_E_NS1_11comp_targetILNS1_3genE5ELNS1_11target_archE942ELNS1_3gpuE9ELNS1_3repE0EEENS1_30default_config_static_selectorELNS0_4arch9wavefront6targetE0EEEvT1_,"axG",@progbits,_ZN7rocprim17ROCPRIM_400000_NS6detail17trampoline_kernelINS0_14default_configENS1_20scan_config_selectorIhEEZZNS1_9scan_implILNS1_25lookback_scan_determinismE0ELb0ELb0ES3_N6thrust23THRUST_200600_302600_NS6detail15normal_iteratorINS9_7pointerIhNS9_11hip_rocprim5par_tENS9_11use_defaultESF_EEEENSB_INSC_IjSE_SF_SF_EEEEhNS9_4plusIvEEhEEDaPvRmT3_T4_T5_mT6_P12ihipStream_tbENKUlT_T0_E_clISt17integral_constantIbLb0EESZ_EEDaSU_SV_EUlSU_E_NS1_11comp_targetILNS1_3genE5ELNS1_11target_archE942ELNS1_3gpuE9ELNS1_3repE0EEENS1_30default_config_static_selectorELNS0_4arch9wavefront6targetE0EEEvT1_,comdat
.Lfunc_end105:
	.size	_ZN7rocprim17ROCPRIM_400000_NS6detail17trampoline_kernelINS0_14default_configENS1_20scan_config_selectorIhEEZZNS1_9scan_implILNS1_25lookback_scan_determinismE0ELb0ELb0ES3_N6thrust23THRUST_200600_302600_NS6detail15normal_iteratorINS9_7pointerIhNS9_11hip_rocprim5par_tENS9_11use_defaultESF_EEEENSB_INSC_IjSE_SF_SF_EEEEhNS9_4plusIvEEhEEDaPvRmT3_T4_T5_mT6_P12ihipStream_tbENKUlT_T0_E_clISt17integral_constantIbLb0EESZ_EEDaSU_SV_EUlSU_E_NS1_11comp_targetILNS1_3genE5ELNS1_11target_archE942ELNS1_3gpuE9ELNS1_3repE0EEENS1_30default_config_static_selectorELNS0_4arch9wavefront6targetE0EEEvT1_, .Lfunc_end105-_ZN7rocprim17ROCPRIM_400000_NS6detail17trampoline_kernelINS0_14default_configENS1_20scan_config_selectorIhEEZZNS1_9scan_implILNS1_25lookback_scan_determinismE0ELb0ELb0ES3_N6thrust23THRUST_200600_302600_NS6detail15normal_iteratorINS9_7pointerIhNS9_11hip_rocprim5par_tENS9_11use_defaultESF_EEEENSB_INSC_IjSE_SF_SF_EEEEhNS9_4plusIvEEhEEDaPvRmT3_T4_T5_mT6_P12ihipStream_tbENKUlT_T0_E_clISt17integral_constantIbLb0EESZ_EEDaSU_SV_EUlSU_E_NS1_11comp_targetILNS1_3genE5ELNS1_11target_archE942ELNS1_3gpuE9ELNS1_3repE0EEENS1_30default_config_static_selectorELNS0_4arch9wavefront6targetE0EEEvT1_
                                        ; -- End function
	.section	.AMDGPU.csdata,"",@progbits
; Kernel info:
; codeLenInByte = 0
; NumSgprs: 0
; NumVgprs: 0
; ScratchSize: 0
; MemoryBound: 0
; FloatMode: 240
; IeeeMode: 1
; LDSByteSize: 0 bytes/workgroup (compile time only)
; SGPRBlocks: 0
; VGPRBlocks: 0
; NumSGPRsForWavesPerEU: 1
; NumVGPRsForWavesPerEU: 1
; Occupancy: 16
; WaveLimiterHint : 0
; COMPUTE_PGM_RSRC2:SCRATCH_EN: 0
; COMPUTE_PGM_RSRC2:USER_SGPR: 15
; COMPUTE_PGM_RSRC2:TRAP_HANDLER: 0
; COMPUTE_PGM_RSRC2:TGID_X_EN: 1
; COMPUTE_PGM_RSRC2:TGID_Y_EN: 0
; COMPUTE_PGM_RSRC2:TGID_Z_EN: 0
; COMPUTE_PGM_RSRC2:TIDIG_COMP_CNT: 0
	.section	.text._ZN7rocprim17ROCPRIM_400000_NS6detail17trampoline_kernelINS0_14default_configENS1_20scan_config_selectorIhEEZZNS1_9scan_implILNS1_25lookback_scan_determinismE0ELb0ELb0ES3_N6thrust23THRUST_200600_302600_NS6detail15normal_iteratorINS9_7pointerIhNS9_11hip_rocprim5par_tENS9_11use_defaultESF_EEEENSB_INSC_IjSE_SF_SF_EEEEhNS9_4plusIvEEhEEDaPvRmT3_T4_T5_mT6_P12ihipStream_tbENKUlT_T0_E_clISt17integral_constantIbLb0EESZ_EEDaSU_SV_EUlSU_E_NS1_11comp_targetILNS1_3genE4ELNS1_11target_archE910ELNS1_3gpuE8ELNS1_3repE0EEENS1_30default_config_static_selectorELNS0_4arch9wavefront6targetE0EEEvT1_,"axG",@progbits,_ZN7rocprim17ROCPRIM_400000_NS6detail17trampoline_kernelINS0_14default_configENS1_20scan_config_selectorIhEEZZNS1_9scan_implILNS1_25lookback_scan_determinismE0ELb0ELb0ES3_N6thrust23THRUST_200600_302600_NS6detail15normal_iteratorINS9_7pointerIhNS9_11hip_rocprim5par_tENS9_11use_defaultESF_EEEENSB_INSC_IjSE_SF_SF_EEEEhNS9_4plusIvEEhEEDaPvRmT3_T4_T5_mT6_P12ihipStream_tbENKUlT_T0_E_clISt17integral_constantIbLb0EESZ_EEDaSU_SV_EUlSU_E_NS1_11comp_targetILNS1_3genE4ELNS1_11target_archE910ELNS1_3gpuE8ELNS1_3repE0EEENS1_30default_config_static_selectorELNS0_4arch9wavefront6targetE0EEEvT1_,comdat
	.protected	_ZN7rocprim17ROCPRIM_400000_NS6detail17trampoline_kernelINS0_14default_configENS1_20scan_config_selectorIhEEZZNS1_9scan_implILNS1_25lookback_scan_determinismE0ELb0ELb0ES3_N6thrust23THRUST_200600_302600_NS6detail15normal_iteratorINS9_7pointerIhNS9_11hip_rocprim5par_tENS9_11use_defaultESF_EEEENSB_INSC_IjSE_SF_SF_EEEEhNS9_4plusIvEEhEEDaPvRmT3_T4_T5_mT6_P12ihipStream_tbENKUlT_T0_E_clISt17integral_constantIbLb0EESZ_EEDaSU_SV_EUlSU_E_NS1_11comp_targetILNS1_3genE4ELNS1_11target_archE910ELNS1_3gpuE8ELNS1_3repE0EEENS1_30default_config_static_selectorELNS0_4arch9wavefront6targetE0EEEvT1_ ; -- Begin function _ZN7rocprim17ROCPRIM_400000_NS6detail17trampoline_kernelINS0_14default_configENS1_20scan_config_selectorIhEEZZNS1_9scan_implILNS1_25lookback_scan_determinismE0ELb0ELb0ES3_N6thrust23THRUST_200600_302600_NS6detail15normal_iteratorINS9_7pointerIhNS9_11hip_rocprim5par_tENS9_11use_defaultESF_EEEENSB_INSC_IjSE_SF_SF_EEEEhNS9_4plusIvEEhEEDaPvRmT3_T4_T5_mT6_P12ihipStream_tbENKUlT_T0_E_clISt17integral_constantIbLb0EESZ_EEDaSU_SV_EUlSU_E_NS1_11comp_targetILNS1_3genE4ELNS1_11target_archE910ELNS1_3gpuE8ELNS1_3repE0EEENS1_30default_config_static_selectorELNS0_4arch9wavefront6targetE0EEEvT1_
	.globl	_ZN7rocprim17ROCPRIM_400000_NS6detail17trampoline_kernelINS0_14default_configENS1_20scan_config_selectorIhEEZZNS1_9scan_implILNS1_25lookback_scan_determinismE0ELb0ELb0ES3_N6thrust23THRUST_200600_302600_NS6detail15normal_iteratorINS9_7pointerIhNS9_11hip_rocprim5par_tENS9_11use_defaultESF_EEEENSB_INSC_IjSE_SF_SF_EEEEhNS9_4plusIvEEhEEDaPvRmT3_T4_T5_mT6_P12ihipStream_tbENKUlT_T0_E_clISt17integral_constantIbLb0EESZ_EEDaSU_SV_EUlSU_E_NS1_11comp_targetILNS1_3genE4ELNS1_11target_archE910ELNS1_3gpuE8ELNS1_3repE0EEENS1_30default_config_static_selectorELNS0_4arch9wavefront6targetE0EEEvT1_
	.p2align	8
	.type	_ZN7rocprim17ROCPRIM_400000_NS6detail17trampoline_kernelINS0_14default_configENS1_20scan_config_selectorIhEEZZNS1_9scan_implILNS1_25lookback_scan_determinismE0ELb0ELb0ES3_N6thrust23THRUST_200600_302600_NS6detail15normal_iteratorINS9_7pointerIhNS9_11hip_rocprim5par_tENS9_11use_defaultESF_EEEENSB_INSC_IjSE_SF_SF_EEEEhNS9_4plusIvEEhEEDaPvRmT3_T4_T5_mT6_P12ihipStream_tbENKUlT_T0_E_clISt17integral_constantIbLb0EESZ_EEDaSU_SV_EUlSU_E_NS1_11comp_targetILNS1_3genE4ELNS1_11target_archE910ELNS1_3gpuE8ELNS1_3repE0EEENS1_30default_config_static_selectorELNS0_4arch9wavefront6targetE0EEEvT1_,@function
_ZN7rocprim17ROCPRIM_400000_NS6detail17trampoline_kernelINS0_14default_configENS1_20scan_config_selectorIhEEZZNS1_9scan_implILNS1_25lookback_scan_determinismE0ELb0ELb0ES3_N6thrust23THRUST_200600_302600_NS6detail15normal_iteratorINS9_7pointerIhNS9_11hip_rocprim5par_tENS9_11use_defaultESF_EEEENSB_INSC_IjSE_SF_SF_EEEEhNS9_4plusIvEEhEEDaPvRmT3_T4_T5_mT6_P12ihipStream_tbENKUlT_T0_E_clISt17integral_constantIbLb0EESZ_EEDaSU_SV_EUlSU_E_NS1_11comp_targetILNS1_3genE4ELNS1_11target_archE910ELNS1_3gpuE8ELNS1_3repE0EEENS1_30default_config_static_selectorELNS0_4arch9wavefront6targetE0EEEvT1_: ; @_ZN7rocprim17ROCPRIM_400000_NS6detail17trampoline_kernelINS0_14default_configENS1_20scan_config_selectorIhEEZZNS1_9scan_implILNS1_25lookback_scan_determinismE0ELb0ELb0ES3_N6thrust23THRUST_200600_302600_NS6detail15normal_iteratorINS9_7pointerIhNS9_11hip_rocprim5par_tENS9_11use_defaultESF_EEEENSB_INSC_IjSE_SF_SF_EEEEhNS9_4plusIvEEhEEDaPvRmT3_T4_T5_mT6_P12ihipStream_tbENKUlT_T0_E_clISt17integral_constantIbLb0EESZ_EEDaSU_SV_EUlSU_E_NS1_11comp_targetILNS1_3genE4ELNS1_11target_archE910ELNS1_3gpuE8ELNS1_3repE0EEENS1_30default_config_static_selectorELNS0_4arch9wavefront6targetE0EEEvT1_
; %bb.0:
	.section	.rodata,"a",@progbits
	.p2align	6, 0x0
	.amdhsa_kernel _ZN7rocprim17ROCPRIM_400000_NS6detail17trampoline_kernelINS0_14default_configENS1_20scan_config_selectorIhEEZZNS1_9scan_implILNS1_25lookback_scan_determinismE0ELb0ELb0ES3_N6thrust23THRUST_200600_302600_NS6detail15normal_iteratorINS9_7pointerIhNS9_11hip_rocprim5par_tENS9_11use_defaultESF_EEEENSB_INSC_IjSE_SF_SF_EEEEhNS9_4plusIvEEhEEDaPvRmT3_T4_T5_mT6_P12ihipStream_tbENKUlT_T0_E_clISt17integral_constantIbLb0EESZ_EEDaSU_SV_EUlSU_E_NS1_11comp_targetILNS1_3genE4ELNS1_11target_archE910ELNS1_3gpuE8ELNS1_3repE0EEENS1_30default_config_static_selectorELNS0_4arch9wavefront6targetE0EEEvT1_
		.amdhsa_group_segment_fixed_size 0
		.amdhsa_private_segment_fixed_size 0
		.amdhsa_kernarg_size 96
		.amdhsa_user_sgpr_count 15
		.amdhsa_user_sgpr_dispatch_ptr 0
		.amdhsa_user_sgpr_queue_ptr 0
		.amdhsa_user_sgpr_kernarg_segment_ptr 1
		.amdhsa_user_sgpr_dispatch_id 0
		.amdhsa_user_sgpr_private_segment_size 0
		.amdhsa_wavefront_size32 1
		.amdhsa_uses_dynamic_stack 0
		.amdhsa_enable_private_segment 0
		.amdhsa_system_sgpr_workgroup_id_x 1
		.amdhsa_system_sgpr_workgroup_id_y 0
		.amdhsa_system_sgpr_workgroup_id_z 0
		.amdhsa_system_sgpr_workgroup_info 0
		.amdhsa_system_vgpr_workitem_id 0
		.amdhsa_next_free_vgpr 1
		.amdhsa_next_free_sgpr 1
		.amdhsa_reserve_vcc 0
		.amdhsa_float_round_mode_32 0
		.amdhsa_float_round_mode_16_64 0
		.amdhsa_float_denorm_mode_32 3
		.amdhsa_float_denorm_mode_16_64 3
		.amdhsa_dx10_clamp 1
		.amdhsa_ieee_mode 1
		.amdhsa_fp16_overflow 0
		.amdhsa_workgroup_processor_mode 1
		.amdhsa_memory_ordered 1
		.amdhsa_forward_progress 0
		.amdhsa_shared_vgpr_count 0
		.amdhsa_exception_fp_ieee_invalid_op 0
		.amdhsa_exception_fp_denorm_src 0
		.amdhsa_exception_fp_ieee_div_zero 0
		.amdhsa_exception_fp_ieee_overflow 0
		.amdhsa_exception_fp_ieee_underflow 0
		.amdhsa_exception_fp_ieee_inexact 0
		.amdhsa_exception_int_div_zero 0
	.end_amdhsa_kernel
	.section	.text._ZN7rocprim17ROCPRIM_400000_NS6detail17trampoline_kernelINS0_14default_configENS1_20scan_config_selectorIhEEZZNS1_9scan_implILNS1_25lookback_scan_determinismE0ELb0ELb0ES3_N6thrust23THRUST_200600_302600_NS6detail15normal_iteratorINS9_7pointerIhNS9_11hip_rocprim5par_tENS9_11use_defaultESF_EEEENSB_INSC_IjSE_SF_SF_EEEEhNS9_4plusIvEEhEEDaPvRmT3_T4_T5_mT6_P12ihipStream_tbENKUlT_T0_E_clISt17integral_constantIbLb0EESZ_EEDaSU_SV_EUlSU_E_NS1_11comp_targetILNS1_3genE4ELNS1_11target_archE910ELNS1_3gpuE8ELNS1_3repE0EEENS1_30default_config_static_selectorELNS0_4arch9wavefront6targetE0EEEvT1_,"axG",@progbits,_ZN7rocprim17ROCPRIM_400000_NS6detail17trampoline_kernelINS0_14default_configENS1_20scan_config_selectorIhEEZZNS1_9scan_implILNS1_25lookback_scan_determinismE0ELb0ELb0ES3_N6thrust23THRUST_200600_302600_NS6detail15normal_iteratorINS9_7pointerIhNS9_11hip_rocprim5par_tENS9_11use_defaultESF_EEEENSB_INSC_IjSE_SF_SF_EEEEhNS9_4plusIvEEhEEDaPvRmT3_T4_T5_mT6_P12ihipStream_tbENKUlT_T0_E_clISt17integral_constantIbLb0EESZ_EEDaSU_SV_EUlSU_E_NS1_11comp_targetILNS1_3genE4ELNS1_11target_archE910ELNS1_3gpuE8ELNS1_3repE0EEENS1_30default_config_static_selectorELNS0_4arch9wavefront6targetE0EEEvT1_,comdat
.Lfunc_end106:
	.size	_ZN7rocprim17ROCPRIM_400000_NS6detail17trampoline_kernelINS0_14default_configENS1_20scan_config_selectorIhEEZZNS1_9scan_implILNS1_25lookback_scan_determinismE0ELb0ELb0ES3_N6thrust23THRUST_200600_302600_NS6detail15normal_iteratorINS9_7pointerIhNS9_11hip_rocprim5par_tENS9_11use_defaultESF_EEEENSB_INSC_IjSE_SF_SF_EEEEhNS9_4plusIvEEhEEDaPvRmT3_T4_T5_mT6_P12ihipStream_tbENKUlT_T0_E_clISt17integral_constantIbLb0EESZ_EEDaSU_SV_EUlSU_E_NS1_11comp_targetILNS1_3genE4ELNS1_11target_archE910ELNS1_3gpuE8ELNS1_3repE0EEENS1_30default_config_static_selectorELNS0_4arch9wavefront6targetE0EEEvT1_, .Lfunc_end106-_ZN7rocprim17ROCPRIM_400000_NS6detail17trampoline_kernelINS0_14default_configENS1_20scan_config_selectorIhEEZZNS1_9scan_implILNS1_25lookback_scan_determinismE0ELb0ELb0ES3_N6thrust23THRUST_200600_302600_NS6detail15normal_iteratorINS9_7pointerIhNS9_11hip_rocprim5par_tENS9_11use_defaultESF_EEEENSB_INSC_IjSE_SF_SF_EEEEhNS9_4plusIvEEhEEDaPvRmT3_T4_T5_mT6_P12ihipStream_tbENKUlT_T0_E_clISt17integral_constantIbLb0EESZ_EEDaSU_SV_EUlSU_E_NS1_11comp_targetILNS1_3genE4ELNS1_11target_archE910ELNS1_3gpuE8ELNS1_3repE0EEENS1_30default_config_static_selectorELNS0_4arch9wavefront6targetE0EEEvT1_
                                        ; -- End function
	.section	.AMDGPU.csdata,"",@progbits
; Kernel info:
; codeLenInByte = 0
; NumSgprs: 0
; NumVgprs: 0
; ScratchSize: 0
; MemoryBound: 0
; FloatMode: 240
; IeeeMode: 1
; LDSByteSize: 0 bytes/workgroup (compile time only)
; SGPRBlocks: 0
; VGPRBlocks: 0
; NumSGPRsForWavesPerEU: 1
; NumVGPRsForWavesPerEU: 1
; Occupancy: 16
; WaveLimiterHint : 0
; COMPUTE_PGM_RSRC2:SCRATCH_EN: 0
; COMPUTE_PGM_RSRC2:USER_SGPR: 15
; COMPUTE_PGM_RSRC2:TRAP_HANDLER: 0
; COMPUTE_PGM_RSRC2:TGID_X_EN: 1
; COMPUTE_PGM_RSRC2:TGID_Y_EN: 0
; COMPUTE_PGM_RSRC2:TGID_Z_EN: 0
; COMPUTE_PGM_RSRC2:TIDIG_COMP_CNT: 0
	.section	.text._ZN7rocprim17ROCPRIM_400000_NS6detail17trampoline_kernelINS0_14default_configENS1_20scan_config_selectorIhEEZZNS1_9scan_implILNS1_25lookback_scan_determinismE0ELb0ELb0ES3_N6thrust23THRUST_200600_302600_NS6detail15normal_iteratorINS9_7pointerIhNS9_11hip_rocprim5par_tENS9_11use_defaultESF_EEEENSB_INSC_IjSE_SF_SF_EEEEhNS9_4plusIvEEhEEDaPvRmT3_T4_T5_mT6_P12ihipStream_tbENKUlT_T0_E_clISt17integral_constantIbLb0EESZ_EEDaSU_SV_EUlSU_E_NS1_11comp_targetILNS1_3genE3ELNS1_11target_archE908ELNS1_3gpuE7ELNS1_3repE0EEENS1_30default_config_static_selectorELNS0_4arch9wavefront6targetE0EEEvT1_,"axG",@progbits,_ZN7rocprim17ROCPRIM_400000_NS6detail17trampoline_kernelINS0_14default_configENS1_20scan_config_selectorIhEEZZNS1_9scan_implILNS1_25lookback_scan_determinismE0ELb0ELb0ES3_N6thrust23THRUST_200600_302600_NS6detail15normal_iteratorINS9_7pointerIhNS9_11hip_rocprim5par_tENS9_11use_defaultESF_EEEENSB_INSC_IjSE_SF_SF_EEEEhNS9_4plusIvEEhEEDaPvRmT3_T4_T5_mT6_P12ihipStream_tbENKUlT_T0_E_clISt17integral_constantIbLb0EESZ_EEDaSU_SV_EUlSU_E_NS1_11comp_targetILNS1_3genE3ELNS1_11target_archE908ELNS1_3gpuE7ELNS1_3repE0EEENS1_30default_config_static_selectorELNS0_4arch9wavefront6targetE0EEEvT1_,comdat
	.protected	_ZN7rocprim17ROCPRIM_400000_NS6detail17trampoline_kernelINS0_14default_configENS1_20scan_config_selectorIhEEZZNS1_9scan_implILNS1_25lookback_scan_determinismE0ELb0ELb0ES3_N6thrust23THRUST_200600_302600_NS6detail15normal_iteratorINS9_7pointerIhNS9_11hip_rocprim5par_tENS9_11use_defaultESF_EEEENSB_INSC_IjSE_SF_SF_EEEEhNS9_4plusIvEEhEEDaPvRmT3_T4_T5_mT6_P12ihipStream_tbENKUlT_T0_E_clISt17integral_constantIbLb0EESZ_EEDaSU_SV_EUlSU_E_NS1_11comp_targetILNS1_3genE3ELNS1_11target_archE908ELNS1_3gpuE7ELNS1_3repE0EEENS1_30default_config_static_selectorELNS0_4arch9wavefront6targetE0EEEvT1_ ; -- Begin function _ZN7rocprim17ROCPRIM_400000_NS6detail17trampoline_kernelINS0_14default_configENS1_20scan_config_selectorIhEEZZNS1_9scan_implILNS1_25lookback_scan_determinismE0ELb0ELb0ES3_N6thrust23THRUST_200600_302600_NS6detail15normal_iteratorINS9_7pointerIhNS9_11hip_rocprim5par_tENS9_11use_defaultESF_EEEENSB_INSC_IjSE_SF_SF_EEEEhNS9_4plusIvEEhEEDaPvRmT3_T4_T5_mT6_P12ihipStream_tbENKUlT_T0_E_clISt17integral_constantIbLb0EESZ_EEDaSU_SV_EUlSU_E_NS1_11comp_targetILNS1_3genE3ELNS1_11target_archE908ELNS1_3gpuE7ELNS1_3repE0EEENS1_30default_config_static_selectorELNS0_4arch9wavefront6targetE0EEEvT1_
	.globl	_ZN7rocprim17ROCPRIM_400000_NS6detail17trampoline_kernelINS0_14default_configENS1_20scan_config_selectorIhEEZZNS1_9scan_implILNS1_25lookback_scan_determinismE0ELb0ELb0ES3_N6thrust23THRUST_200600_302600_NS6detail15normal_iteratorINS9_7pointerIhNS9_11hip_rocprim5par_tENS9_11use_defaultESF_EEEENSB_INSC_IjSE_SF_SF_EEEEhNS9_4plusIvEEhEEDaPvRmT3_T4_T5_mT6_P12ihipStream_tbENKUlT_T0_E_clISt17integral_constantIbLb0EESZ_EEDaSU_SV_EUlSU_E_NS1_11comp_targetILNS1_3genE3ELNS1_11target_archE908ELNS1_3gpuE7ELNS1_3repE0EEENS1_30default_config_static_selectorELNS0_4arch9wavefront6targetE0EEEvT1_
	.p2align	8
	.type	_ZN7rocprim17ROCPRIM_400000_NS6detail17trampoline_kernelINS0_14default_configENS1_20scan_config_selectorIhEEZZNS1_9scan_implILNS1_25lookback_scan_determinismE0ELb0ELb0ES3_N6thrust23THRUST_200600_302600_NS6detail15normal_iteratorINS9_7pointerIhNS9_11hip_rocprim5par_tENS9_11use_defaultESF_EEEENSB_INSC_IjSE_SF_SF_EEEEhNS9_4plusIvEEhEEDaPvRmT3_T4_T5_mT6_P12ihipStream_tbENKUlT_T0_E_clISt17integral_constantIbLb0EESZ_EEDaSU_SV_EUlSU_E_NS1_11comp_targetILNS1_3genE3ELNS1_11target_archE908ELNS1_3gpuE7ELNS1_3repE0EEENS1_30default_config_static_selectorELNS0_4arch9wavefront6targetE0EEEvT1_,@function
_ZN7rocprim17ROCPRIM_400000_NS6detail17trampoline_kernelINS0_14default_configENS1_20scan_config_selectorIhEEZZNS1_9scan_implILNS1_25lookback_scan_determinismE0ELb0ELb0ES3_N6thrust23THRUST_200600_302600_NS6detail15normal_iteratorINS9_7pointerIhNS9_11hip_rocprim5par_tENS9_11use_defaultESF_EEEENSB_INSC_IjSE_SF_SF_EEEEhNS9_4plusIvEEhEEDaPvRmT3_T4_T5_mT6_P12ihipStream_tbENKUlT_T0_E_clISt17integral_constantIbLb0EESZ_EEDaSU_SV_EUlSU_E_NS1_11comp_targetILNS1_3genE3ELNS1_11target_archE908ELNS1_3gpuE7ELNS1_3repE0EEENS1_30default_config_static_selectorELNS0_4arch9wavefront6targetE0EEEvT1_: ; @_ZN7rocprim17ROCPRIM_400000_NS6detail17trampoline_kernelINS0_14default_configENS1_20scan_config_selectorIhEEZZNS1_9scan_implILNS1_25lookback_scan_determinismE0ELb0ELb0ES3_N6thrust23THRUST_200600_302600_NS6detail15normal_iteratorINS9_7pointerIhNS9_11hip_rocprim5par_tENS9_11use_defaultESF_EEEENSB_INSC_IjSE_SF_SF_EEEEhNS9_4plusIvEEhEEDaPvRmT3_T4_T5_mT6_P12ihipStream_tbENKUlT_T0_E_clISt17integral_constantIbLb0EESZ_EEDaSU_SV_EUlSU_E_NS1_11comp_targetILNS1_3genE3ELNS1_11target_archE908ELNS1_3gpuE7ELNS1_3repE0EEENS1_30default_config_static_selectorELNS0_4arch9wavefront6targetE0EEEvT1_
; %bb.0:
	.section	.rodata,"a",@progbits
	.p2align	6, 0x0
	.amdhsa_kernel _ZN7rocprim17ROCPRIM_400000_NS6detail17trampoline_kernelINS0_14default_configENS1_20scan_config_selectorIhEEZZNS1_9scan_implILNS1_25lookback_scan_determinismE0ELb0ELb0ES3_N6thrust23THRUST_200600_302600_NS6detail15normal_iteratorINS9_7pointerIhNS9_11hip_rocprim5par_tENS9_11use_defaultESF_EEEENSB_INSC_IjSE_SF_SF_EEEEhNS9_4plusIvEEhEEDaPvRmT3_T4_T5_mT6_P12ihipStream_tbENKUlT_T0_E_clISt17integral_constantIbLb0EESZ_EEDaSU_SV_EUlSU_E_NS1_11comp_targetILNS1_3genE3ELNS1_11target_archE908ELNS1_3gpuE7ELNS1_3repE0EEENS1_30default_config_static_selectorELNS0_4arch9wavefront6targetE0EEEvT1_
		.amdhsa_group_segment_fixed_size 0
		.amdhsa_private_segment_fixed_size 0
		.amdhsa_kernarg_size 96
		.amdhsa_user_sgpr_count 15
		.amdhsa_user_sgpr_dispatch_ptr 0
		.amdhsa_user_sgpr_queue_ptr 0
		.amdhsa_user_sgpr_kernarg_segment_ptr 1
		.amdhsa_user_sgpr_dispatch_id 0
		.amdhsa_user_sgpr_private_segment_size 0
		.amdhsa_wavefront_size32 1
		.amdhsa_uses_dynamic_stack 0
		.amdhsa_enable_private_segment 0
		.amdhsa_system_sgpr_workgroup_id_x 1
		.amdhsa_system_sgpr_workgroup_id_y 0
		.amdhsa_system_sgpr_workgroup_id_z 0
		.amdhsa_system_sgpr_workgroup_info 0
		.amdhsa_system_vgpr_workitem_id 0
		.amdhsa_next_free_vgpr 1
		.amdhsa_next_free_sgpr 1
		.amdhsa_reserve_vcc 0
		.amdhsa_float_round_mode_32 0
		.amdhsa_float_round_mode_16_64 0
		.amdhsa_float_denorm_mode_32 3
		.amdhsa_float_denorm_mode_16_64 3
		.amdhsa_dx10_clamp 1
		.amdhsa_ieee_mode 1
		.amdhsa_fp16_overflow 0
		.amdhsa_workgroup_processor_mode 1
		.amdhsa_memory_ordered 1
		.amdhsa_forward_progress 0
		.amdhsa_shared_vgpr_count 0
		.amdhsa_exception_fp_ieee_invalid_op 0
		.amdhsa_exception_fp_denorm_src 0
		.amdhsa_exception_fp_ieee_div_zero 0
		.amdhsa_exception_fp_ieee_overflow 0
		.amdhsa_exception_fp_ieee_underflow 0
		.amdhsa_exception_fp_ieee_inexact 0
		.amdhsa_exception_int_div_zero 0
	.end_amdhsa_kernel
	.section	.text._ZN7rocprim17ROCPRIM_400000_NS6detail17trampoline_kernelINS0_14default_configENS1_20scan_config_selectorIhEEZZNS1_9scan_implILNS1_25lookback_scan_determinismE0ELb0ELb0ES3_N6thrust23THRUST_200600_302600_NS6detail15normal_iteratorINS9_7pointerIhNS9_11hip_rocprim5par_tENS9_11use_defaultESF_EEEENSB_INSC_IjSE_SF_SF_EEEEhNS9_4plusIvEEhEEDaPvRmT3_T4_T5_mT6_P12ihipStream_tbENKUlT_T0_E_clISt17integral_constantIbLb0EESZ_EEDaSU_SV_EUlSU_E_NS1_11comp_targetILNS1_3genE3ELNS1_11target_archE908ELNS1_3gpuE7ELNS1_3repE0EEENS1_30default_config_static_selectorELNS0_4arch9wavefront6targetE0EEEvT1_,"axG",@progbits,_ZN7rocprim17ROCPRIM_400000_NS6detail17trampoline_kernelINS0_14default_configENS1_20scan_config_selectorIhEEZZNS1_9scan_implILNS1_25lookback_scan_determinismE0ELb0ELb0ES3_N6thrust23THRUST_200600_302600_NS6detail15normal_iteratorINS9_7pointerIhNS9_11hip_rocprim5par_tENS9_11use_defaultESF_EEEENSB_INSC_IjSE_SF_SF_EEEEhNS9_4plusIvEEhEEDaPvRmT3_T4_T5_mT6_P12ihipStream_tbENKUlT_T0_E_clISt17integral_constantIbLb0EESZ_EEDaSU_SV_EUlSU_E_NS1_11comp_targetILNS1_3genE3ELNS1_11target_archE908ELNS1_3gpuE7ELNS1_3repE0EEENS1_30default_config_static_selectorELNS0_4arch9wavefront6targetE0EEEvT1_,comdat
.Lfunc_end107:
	.size	_ZN7rocprim17ROCPRIM_400000_NS6detail17trampoline_kernelINS0_14default_configENS1_20scan_config_selectorIhEEZZNS1_9scan_implILNS1_25lookback_scan_determinismE0ELb0ELb0ES3_N6thrust23THRUST_200600_302600_NS6detail15normal_iteratorINS9_7pointerIhNS9_11hip_rocprim5par_tENS9_11use_defaultESF_EEEENSB_INSC_IjSE_SF_SF_EEEEhNS9_4plusIvEEhEEDaPvRmT3_T4_T5_mT6_P12ihipStream_tbENKUlT_T0_E_clISt17integral_constantIbLb0EESZ_EEDaSU_SV_EUlSU_E_NS1_11comp_targetILNS1_3genE3ELNS1_11target_archE908ELNS1_3gpuE7ELNS1_3repE0EEENS1_30default_config_static_selectorELNS0_4arch9wavefront6targetE0EEEvT1_, .Lfunc_end107-_ZN7rocprim17ROCPRIM_400000_NS6detail17trampoline_kernelINS0_14default_configENS1_20scan_config_selectorIhEEZZNS1_9scan_implILNS1_25lookback_scan_determinismE0ELb0ELb0ES3_N6thrust23THRUST_200600_302600_NS6detail15normal_iteratorINS9_7pointerIhNS9_11hip_rocprim5par_tENS9_11use_defaultESF_EEEENSB_INSC_IjSE_SF_SF_EEEEhNS9_4plusIvEEhEEDaPvRmT3_T4_T5_mT6_P12ihipStream_tbENKUlT_T0_E_clISt17integral_constantIbLb0EESZ_EEDaSU_SV_EUlSU_E_NS1_11comp_targetILNS1_3genE3ELNS1_11target_archE908ELNS1_3gpuE7ELNS1_3repE0EEENS1_30default_config_static_selectorELNS0_4arch9wavefront6targetE0EEEvT1_
                                        ; -- End function
	.section	.AMDGPU.csdata,"",@progbits
; Kernel info:
; codeLenInByte = 0
; NumSgprs: 0
; NumVgprs: 0
; ScratchSize: 0
; MemoryBound: 0
; FloatMode: 240
; IeeeMode: 1
; LDSByteSize: 0 bytes/workgroup (compile time only)
; SGPRBlocks: 0
; VGPRBlocks: 0
; NumSGPRsForWavesPerEU: 1
; NumVGPRsForWavesPerEU: 1
; Occupancy: 16
; WaveLimiterHint : 0
; COMPUTE_PGM_RSRC2:SCRATCH_EN: 0
; COMPUTE_PGM_RSRC2:USER_SGPR: 15
; COMPUTE_PGM_RSRC2:TRAP_HANDLER: 0
; COMPUTE_PGM_RSRC2:TGID_X_EN: 1
; COMPUTE_PGM_RSRC2:TGID_Y_EN: 0
; COMPUTE_PGM_RSRC2:TGID_Z_EN: 0
; COMPUTE_PGM_RSRC2:TIDIG_COMP_CNT: 0
	.section	.text._ZN7rocprim17ROCPRIM_400000_NS6detail17trampoline_kernelINS0_14default_configENS1_20scan_config_selectorIhEEZZNS1_9scan_implILNS1_25lookback_scan_determinismE0ELb0ELb0ES3_N6thrust23THRUST_200600_302600_NS6detail15normal_iteratorINS9_7pointerIhNS9_11hip_rocprim5par_tENS9_11use_defaultESF_EEEENSB_INSC_IjSE_SF_SF_EEEEhNS9_4plusIvEEhEEDaPvRmT3_T4_T5_mT6_P12ihipStream_tbENKUlT_T0_E_clISt17integral_constantIbLb0EESZ_EEDaSU_SV_EUlSU_E_NS1_11comp_targetILNS1_3genE2ELNS1_11target_archE906ELNS1_3gpuE6ELNS1_3repE0EEENS1_30default_config_static_selectorELNS0_4arch9wavefront6targetE0EEEvT1_,"axG",@progbits,_ZN7rocprim17ROCPRIM_400000_NS6detail17trampoline_kernelINS0_14default_configENS1_20scan_config_selectorIhEEZZNS1_9scan_implILNS1_25lookback_scan_determinismE0ELb0ELb0ES3_N6thrust23THRUST_200600_302600_NS6detail15normal_iteratorINS9_7pointerIhNS9_11hip_rocprim5par_tENS9_11use_defaultESF_EEEENSB_INSC_IjSE_SF_SF_EEEEhNS9_4plusIvEEhEEDaPvRmT3_T4_T5_mT6_P12ihipStream_tbENKUlT_T0_E_clISt17integral_constantIbLb0EESZ_EEDaSU_SV_EUlSU_E_NS1_11comp_targetILNS1_3genE2ELNS1_11target_archE906ELNS1_3gpuE6ELNS1_3repE0EEENS1_30default_config_static_selectorELNS0_4arch9wavefront6targetE0EEEvT1_,comdat
	.protected	_ZN7rocprim17ROCPRIM_400000_NS6detail17trampoline_kernelINS0_14default_configENS1_20scan_config_selectorIhEEZZNS1_9scan_implILNS1_25lookback_scan_determinismE0ELb0ELb0ES3_N6thrust23THRUST_200600_302600_NS6detail15normal_iteratorINS9_7pointerIhNS9_11hip_rocprim5par_tENS9_11use_defaultESF_EEEENSB_INSC_IjSE_SF_SF_EEEEhNS9_4plusIvEEhEEDaPvRmT3_T4_T5_mT6_P12ihipStream_tbENKUlT_T0_E_clISt17integral_constantIbLb0EESZ_EEDaSU_SV_EUlSU_E_NS1_11comp_targetILNS1_3genE2ELNS1_11target_archE906ELNS1_3gpuE6ELNS1_3repE0EEENS1_30default_config_static_selectorELNS0_4arch9wavefront6targetE0EEEvT1_ ; -- Begin function _ZN7rocprim17ROCPRIM_400000_NS6detail17trampoline_kernelINS0_14default_configENS1_20scan_config_selectorIhEEZZNS1_9scan_implILNS1_25lookback_scan_determinismE0ELb0ELb0ES3_N6thrust23THRUST_200600_302600_NS6detail15normal_iteratorINS9_7pointerIhNS9_11hip_rocprim5par_tENS9_11use_defaultESF_EEEENSB_INSC_IjSE_SF_SF_EEEEhNS9_4plusIvEEhEEDaPvRmT3_T4_T5_mT6_P12ihipStream_tbENKUlT_T0_E_clISt17integral_constantIbLb0EESZ_EEDaSU_SV_EUlSU_E_NS1_11comp_targetILNS1_3genE2ELNS1_11target_archE906ELNS1_3gpuE6ELNS1_3repE0EEENS1_30default_config_static_selectorELNS0_4arch9wavefront6targetE0EEEvT1_
	.globl	_ZN7rocprim17ROCPRIM_400000_NS6detail17trampoline_kernelINS0_14default_configENS1_20scan_config_selectorIhEEZZNS1_9scan_implILNS1_25lookback_scan_determinismE0ELb0ELb0ES3_N6thrust23THRUST_200600_302600_NS6detail15normal_iteratorINS9_7pointerIhNS9_11hip_rocprim5par_tENS9_11use_defaultESF_EEEENSB_INSC_IjSE_SF_SF_EEEEhNS9_4plusIvEEhEEDaPvRmT3_T4_T5_mT6_P12ihipStream_tbENKUlT_T0_E_clISt17integral_constantIbLb0EESZ_EEDaSU_SV_EUlSU_E_NS1_11comp_targetILNS1_3genE2ELNS1_11target_archE906ELNS1_3gpuE6ELNS1_3repE0EEENS1_30default_config_static_selectorELNS0_4arch9wavefront6targetE0EEEvT1_
	.p2align	8
	.type	_ZN7rocprim17ROCPRIM_400000_NS6detail17trampoline_kernelINS0_14default_configENS1_20scan_config_selectorIhEEZZNS1_9scan_implILNS1_25lookback_scan_determinismE0ELb0ELb0ES3_N6thrust23THRUST_200600_302600_NS6detail15normal_iteratorINS9_7pointerIhNS9_11hip_rocprim5par_tENS9_11use_defaultESF_EEEENSB_INSC_IjSE_SF_SF_EEEEhNS9_4plusIvEEhEEDaPvRmT3_T4_T5_mT6_P12ihipStream_tbENKUlT_T0_E_clISt17integral_constantIbLb0EESZ_EEDaSU_SV_EUlSU_E_NS1_11comp_targetILNS1_3genE2ELNS1_11target_archE906ELNS1_3gpuE6ELNS1_3repE0EEENS1_30default_config_static_selectorELNS0_4arch9wavefront6targetE0EEEvT1_,@function
_ZN7rocprim17ROCPRIM_400000_NS6detail17trampoline_kernelINS0_14default_configENS1_20scan_config_selectorIhEEZZNS1_9scan_implILNS1_25lookback_scan_determinismE0ELb0ELb0ES3_N6thrust23THRUST_200600_302600_NS6detail15normal_iteratorINS9_7pointerIhNS9_11hip_rocprim5par_tENS9_11use_defaultESF_EEEENSB_INSC_IjSE_SF_SF_EEEEhNS9_4plusIvEEhEEDaPvRmT3_T4_T5_mT6_P12ihipStream_tbENKUlT_T0_E_clISt17integral_constantIbLb0EESZ_EEDaSU_SV_EUlSU_E_NS1_11comp_targetILNS1_3genE2ELNS1_11target_archE906ELNS1_3gpuE6ELNS1_3repE0EEENS1_30default_config_static_selectorELNS0_4arch9wavefront6targetE0EEEvT1_: ; @_ZN7rocprim17ROCPRIM_400000_NS6detail17trampoline_kernelINS0_14default_configENS1_20scan_config_selectorIhEEZZNS1_9scan_implILNS1_25lookback_scan_determinismE0ELb0ELb0ES3_N6thrust23THRUST_200600_302600_NS6detail15normal_iteratorINS9_7pointerIhNS9_11hip_rocprim5par_tENS9_11use_defaultESF_EEEENSB_INSC_IjSE_SF_SF_EEEEhNS9_4plusIvEEhEEDaPvRmT3_T4_T5_mT6_P12ihipStream_tbENKUlT_T0_E_clISt17integral_constantIbLb0EESZ_EEDaSU_SV_EUlSU_E_NS1_11comp_targetILNS1_3genE2ELNS1_11target_archE906ELNS1_3gpuE6ELNS1_3repE0EEENS1_30default_config_static_selectorELNS0_4arch9wavefront6targetE0EEEvT1_
; %bb.0:
	.section	.rodata,"a",@progbits
	.p2align	6, 0x0
	.amdhsa_kernel _ZN7rocprim17ROCPRIM_400000_NS6detail17trampoline_kernelINS0_14default_configENS1_20scan_config_selectorIhEEZZNS1_9scan_implILNS1_25lookback_scan_determinismE0ELb0ELb0ES3_N6thrust23THRUST_200600_302600_NS6detail15normal_iteratorINS9_7pointerIhNS9_11hip_rocprim5par_tENS9_11use_defaultESF_EEEENSB_INSC_IjSE_SF_SF_EEEEhNS9_4plusIvEEhEEDaPvRmT3_T4_T5_mT6_P12ihipStream_tbENKUlT_T0_E_clISt17integral_constantIbLb0EESZ_EEDaSU_SV_EUlSU_E_NS1_11comp_targetILNS1_3genE2ELNS1_11target_archE906ELNS1_3gpuE6ELNS1_3repE0EEENS1_30default_config_static_selectorELNS0_4arch9wavefront6targetE0EEEvT1_
		.amdhsa_group_segment_fixed_size 0
		.amdhsa_private_segment_fixed_size 0
		.amdhsa_kernarg_size 96
		.amdhsa_user_sgpr_count 15
		.amdhsa_user_sgpr_dispatch_ptr 0
		.amdhsa_user_sgpr_queue_ptr 0
		.amdhsa_user_sgpr_kernarg_segment_ptr 1
		.amdhsa_user_sgpr_dispatch_id 0
		.amdhsa_user_sgpr_private_segment_size 0
		.amdhsa_wavefront_size32 1
		.amdhsa_uses_dynamic_stack 0
		.amdhsa_enable_private_segment 0
		.amdhsa_system_sgpr_workgroup_id_x 1
		.amdhsa_system_sgpr_workgroup_id_y 0
		.amdhsa_system_sgpr_workgroup_id_z 0
		.amdhsa_system_sgpr_workgroup_info 0
		.amdhsa_system_vgpr_workitem_id 0
		.amdhsa_next_free_vgpr 1
		.amdhsa_next_free_sgpr 1
		.amdhsa_reserve_vcc 0
		.amdhsa_float_round_mode_32 0
		.amdhsa_float_round_mode_16_64 0
		.amdhsa_float_denorm_mode_32 3
		.amdhsa_float_denorm_mode_16_64 3
		.amdhsa_dx10_clamp 1
		.amdhsa_ieee_mode 1
		.amdhsa_fp16_overflow 0
		.amdhsa_workgroup_processor_mode 1
		.amdhsa_memory_ordered 1
		.amdhsa_forward_progress 0
		.amdhsa_shared_vgpr_count 0
		.amdhsa_exception_fp_ieee_invalid_op 0
		.amdhsa_exception_fp_denorm_src 0
		.amdhsa_exception_fp_ieee_div_zero 0
		.amdhsa_exception_fp_ieee_overflow 0
		.amdhsa_exception_fp_ieee_underflow 0
		.amdhsa_exception_fp_ieee_inexact 0
		.amdhsa_exception_int_div_zero 0
	.end_amdhsa_kernel
	.section	.text._ZN7rocprim17ROCPRIM_400000_NS6detail17trampoline_kernelINS0_14default_configENS1_20scan_config_selectorIhEEZZNS1_9scan_implILNS1_25lookback_scan_determinismE0ELb0ELb0ES3_N6thrust23THRUST_200600_302600_NS6detail15normal_iteratorINS9_7pointerIhNS9_11hip_rocprim5par_tENS9_11use_defaultESF_EEEENSB_INSC_IjSE_SF_SF_EEEEhNS9_4plusIvEEhEEDaPvRmT3_T4_T5_mT6_P12ihipStream_tbENKUlT_T0_E_clISt17integral_constantIbLb0EESZ_EEDaSU_SV_EUlSU_E_NS1_11comp_targetILNS1_3genE2ELNS1_11target_archE906ELNS1_3gpuE6ELNS1_3repE0EEENS1_30default_config_static_selectorELNS0_4arch9wavefront6targetE0EEEvT1_,"axG",@progbits,_ZN7rocprim17ROCPRIM_400000_NS6detail17trampoline_kernelINS0_14default_configENS1_20scan_config_selectorIhEEZZNS1_9scan_implILNS1_25lookback_scan_determinismE0ELb0ELb0ES3_N6thrust23THRUST_200600_302600_NS6detail15normal_iteratorINS9_7pointerIhNS9_11hip_rocprim5par_tENS9_11use_defaultESF_EEEENSB_INSC_IjSE_SF_SF_EEEEhNS9_4plusIvEEhEEDaPvRmT3_T4_T5_mT6_P12ihipStream_tbENKUlT_T0_E_clISt17integral_constantIbLb0EESZ_EEDaSU_SV_EUlSU_E_NS1_11comp_targetILNS1_3genE2ELNS1_11target_archE906ELNS1_3gpuE6ELNS1_3repE0EEENS1_30default_config_static_selectorELNS0_4arch9wavefront6targetE0EEEvT1_,comdat
.Lfunc_end108:
	.size	_ZN7rocprim17ROCPRIM_400000_NS6detail17trampoline_kernelINS0_14default_configENS1_20scan_config_selectorIhEEZZNS1_9scan_implILNS1_25lookback_scan_determinismE0ELb0ELb0ES3_N6thrust23THRUST_200600_302600_NS6detail15normal_iteratorINS9_7pointerIhNS9_11hip_rocprim5par_tENS9_11use_defaultESF_EEEENSB_INSC_IjSE_SF_SF_EEEEhNS9_4plusIvEEhEEDaPvRmT3_T4_T5_mT6_P12ihipStream_tbENKUlT_T0_E_clISt17integral_constantIbLb0EESZ_EEDaSU_SV_EUlSU_E_NS1_11comp_targetILNS1_3genE2ELNS1_11target_archE906ELNS1_3gpuE6ELNS1_3repE0EEENS1_30default_config_static_selectorELNS0_4arch9wavefront6targetE0EEEvT1_, .Lfunc_end108-_ZN7rocprim17ROCPRIM_400000_NS6detail17trampoline_kernelINS0_14default_configENS1_20scan_config_selectorIhEEZZNS1_9scan_implILNS1_25lookback_scan_determinismE0ELb0ELb0ES3_N6thrust23THRUST_200600_302600_NS6detail15normal_iteratorINS9_7pointerIhNS9_11hip_rocprim5par_tENS9_11use_defaultESF_EEEENSB_INSC_IjSE_SF_SF_EEEEhNS9_4plusIvEEhEEDaPvRmT3_T4_T5_mT6_P12ihipStream_tbENKUlT_T0_E_clISt17integral_constantIbLb0EESZ_EEDaSU_SV_EUlSU_E_NS1_11comp_targetILNS1_3genE2ELNS1_11target_archE906ELNS1_3gpuE6ELNS1_3repE0EEENS1_30default_config_static_selectorELNS0_4arch9wavefront6targetE0EEEvT1_
                                        ; -- End function
	.section	.AMDGPU.csdata,"",@progbits
; Kernel info:
; codeLenInByte = 0
; NumSgprs: 0
; NumVgprs: 0
; ScratchSize: 0
; MemoryBound: 0
; FloatMode: 240
; IeeeMode: 1
; LDSByteSize: 0 bytes/workgroup (compile time only)
; SGPRBlocks: 0
; VGPRBlocks: 0
; NumSGPRsForWavesPerEU: 1
; NumVGPRsForWavesPerEU: 1
; Occupancy: 16
; WaveLimiterHint : 0
; COMPUTE_PGM_RSRC2:SCRATCH_EN: 0
; COMPUTE_PGM_RSRC2:USER_SGPR: 15
; COMPUTE_PGM_RSRC2:TRAP_HANDLER: 0
; COMPUTE_PGM_RSRC2:TGID_X_EN: 1
; COMPUTE_PGM_RSRC2:TGID_Y_EN: 0
; COMPUTE_PGM_RSRC2:TGID_Z_EN: 0
; COMPUTE_PGM_RSRC2:TIDIG_COMP_CNT: 0
	.section	.text._ZN7rocprim17ROCPRIM_400000_NS6detail17trampoline_kernelINS0_14default_configENS1_20scan_config_selectorIhEEZZNS1_9scan_implILNS1_25lookback_scan_determinismE0ELb0ELb0ES3_N6thrust23THRUST_200600_302600_NS6detail15normal_iteratorINS9_7pointerIhNS9_11hip_rocprim5par_tENS9_11use_defaultESF_EEEENSB_INSC_IjSE_SF_SF_EEEEhNS9_4plusIvEEhEEDaPvRmT3_T4_T5_mT6_P12ihipStream_tbENKUlT_T0_E_clISt17integral_constantIbLb0EESZ_EEDaSU_SV_EUlSU_E_NS1_11comp_targetILNS1_3genE10ELNS1_11target_archE1201ELNS1_3gpuE5ELNS1_3repE0EEENS1_30default_config_static_selectorELNS0_4arch9wavefront6targetE0EEEvT1_,"axG",@progbits,_ZN7rocprim17ROCPRIM_400000_NS6detail17trampoline_kernelINS0_14default_configENS1_20scan_config_selectorIhEEZZNS1_9scan_implILNS1_25lookback_scan_determinismE0ELb0ELb0ES3_N6thrust23THRUST_200600_302600_NS6detail15normal_iteratorINS9_7pointerIhNS9_11hip_rocprim5par_tENS9_11use_defaultESF_EEEENSB_INSC_IjSE_SF_SF_EEEEhNS9_4plusIvEEhEEDaPvRmT3_T4_T5_mT6_P12ihipStream_tbENKUlT_T0_E_clISt17integral_constantIbLb0EESZ_EEDaSU_SV_EUlSU_E_NS1_11comp_targetILNS1_3genE10ELNS1_11target_archE1201ELNS1_3gpuE5ELNS1_3repE0EEENS1_30default_config_static_selectorELNS0_4arch9wavefront6targetE0EEEvT1_,comdat
	.protected	_ZN7rocprim17ROCPRIM_400000_NS6detail17trampoline_kernelINS0_14default_configENS1_20scan_config_selectorIhEEZZNS1_9scan_implILNS1_25lookback_scan_determinismE0ELb0ELb0ES3_N6thrust23THRUST_200600_302600_NS6detail15normal_iteratorINS9_7pointerIhNS9_11hip_rocprim5par_tENS9_11use_defaultESF_EEEENSB_INSC_IjSE_SF_SF_EEEEhNS9_4plusIvEEhEEDaPvRmT3_T4_T5_mT6_P12ihipStream_tbENKUlT_T0_E_clISt17integral_constantIbLb0EESZ_EEDaSU_SV_EUlSU_E_NS1_11comp_targetILNS1_3genE10ELNS1_11target_archE1201ELNS1_3gpuE5ELNS1_3repE0EEENS1_30default_config_static_selectorELNS0_4arch9wavefront6targetE0EEEvT1_ ; -- Begin function _ZN7rocprim17ROCPRIM_400000_NS6detail17trampoline_kernelINS0_14default_configENS1_20scan_config_selectorIhEEZZNS1_9scan_implILNS1_25lookback_scan_determinismE0ELb0ELb0ES3_N6thrust23THRUST_200600_302600_NS6detail15normal_iteratorINS9_7pointerIhNS9_11hip_rocprim5par_tENS9_11use_defaultESF_EEEENSB_INSC_IjSE_SF_SF_EEEEhNS9_4plusIvEEhEEDaPvRmT3_T4_T5_mT6_P12ihipStream_tbENKUlT_T0_E_clISt17integral_constantIbLb0EESZ_EEDaSU_SV_EUlSU_E_NS1_11comp_targetILNS1_3genE10ELNS1_11target_archE1201ELNS1_3gpuE5ELNS1_3repE0EEENS1_30default_config_static_selectorELNS0_4arch9wavefront6targetE0EEEvT1_
	.globl	_ZN7rocprim17ROCPRIM_400000_NS6detail17trampoline_kernelINS0_14default_configENS1_20scan_config_selectorIhEEZZNS1_9scan_implILNS1_25lookback_scan_determinismE0ELb0ELb0ES3_N6thrust23THRUST_200600_302600_NS6detail15normal_iteratorINS9_7pointerIhNS9_11hip_rocprim5par_tENS9_11use_defaultESF_EEEENSB_INSC_IjSE_SF_SF_EEEEhNS9_4plusIvEEhEEDaPvRmT3_T4_T5_mT6_P12ihipStream_tbENKUlT_T0_E_clISt17integral_constantIbLb0EESZ_EEDaSU_SV_EUlSU_E_NS1_11comp_targetILNS1_3genE10ELNS1_11target_archE1201ELNS1_3gpuE5ELNS1_3repE0EEENS1_30default_config_static_selectorELNS0_4arch9wavefront6targetE0EEEvT1_
	.p2align	8
	.type	_ZN7rocprim17ROCPRIM_400000_NS6detail17trampoline_kernelINS0_14default_configENS1_20scan_config_selectorIhEEZZNS1_9scan_implILNS1_25lookback_scan_determinismE0ELb0ELb0ES3_N6thrust23THRUST_200600_302600_NS6detail15normal_iteratorINS9_7pointerIhNS9_11hip_rocprim5par_tENS9_11use_defaultESF_EEEENSB_INSC_IjSE_SF_SF_EEEEhNS9_4plusIvEEhEEDaPvRmT3_T4_T5_mT6_P12ihipStream_tbENKUlT_T0_E_clISt17integral_constantIbLb0EESZ_EEDaSU_SV_EUlSU_E_NS1_11comp_targetILNS1_3genE10ELNS1_11target_archE1201ELNS1_3gpuE5ELNS1_3repE0EEENS1_30default_config_static_selectorELNS0_4arch9wavefront6targetE0EEEvT1_,@function
_ZN7rocprim17ROCPRIM_400000_NS6detail17trampoline_kernelINS0_14default_configENS1_20scan_config_selectorIhEEZZNS1_9scan_implILNS1_25lookback_scan_determinismE0ELb0ELb0ES3_N6thrust23THRUST_200600_302600_NS6detail15normal_iteratorINS9_7pointerIhNS9_11hip_rocprim5par_tENS9_11use_defaultESF_EEEENSB_INSC_IjSE_SF_SF_EEEEhNS9_4plusIvEEhEEDaPvRmT3_T4_T5_mT6_P12ihipStream_tbENKUlT_T0_E_clISt17integral_constantIbLb0EESZ_EEDaSU_SV_EUlSU_E_NS1_11comp_targetILNS1_3genE10ELNS1_11target_archE1201ELNS1_3gpuE5ELNS1_3repE0EEENS1_30default_config_static_selectorELNS0_4arch9wavefront6targetE0EEEvT1_: ; @_ZN7rocprim17ROCPRIM_400000_NS6detail17trampoline_kernelINS0_14default_configENS1_20scan_config_selectorIhEEZZNS1_9scan_implILNS1_25lookback_scan_determinismE0ELb0ELb0ES3_N6thrust23THRUST_200600_302600_NS6detail15normal_iteratorINS9_7pointerIhNS9_11hip_rocprim5par_tENS9_11use_defaultESF_EEEENSB_INSC_IjSE_SF_SF_EEEEhNS9_4plusIvEEhEEDaPvRmT3_T4_T5_mT6_P12ihipStream_tbENKUlT_T0_E_clISt17integral_constantIbLb0EESZ_EEDaSU_SV_EUlSU_E_NS1_11comp_targetILNS1_3genE10ELNS1_11target_archE1201ELNS1_3gpuE5ELNS1_3repE0EEENS1_30default_config_static_selectorELNS0_4arch9wavefront6targetE0EEEvT1_
; %bb.0:
	.section	.rodata,"a",@progbits
	.p2align	6, 0x0
	.amdhsa_kernel _ZN7rocprim17ROCPRIM_400000_NS6detail17trampoline_kernelINS0_14default_configENS1_20scan_config_selectorIhEEZZNS1_9scan_implILNS1_25lookback_scan_determinismE0ELb0ELb0ES3_N6thrust23THRUST_200600_302600_NS6detail15normal_iteratorINS9_7pointerIhNS9_11hip_rocprim5par_tENS9_11use_defaultESF_EEEENSB_INSC_IjSE_SF_SF_EEEEhNS9_4plusIvEEhEEDaPvRmT3_T4_T5_mT6_P12ihipStream_tbENKUlT_T0_E_clISt17integral_constantIbLb0EESZ_EEDaSU_SV_EUlSU_E_NS1_11comp_targetILNS1_3genE10ELNS1_11target_archE1201ELNS1_3gpuE5ELNS1_3repE0EEENS1_30default_config_static_selectorELNS0_4arch9wavefront6targetE0EEEvT1_
		.amdhsa_group_segment_fixed_size 0
		.amdhsa_private_segment_fixed_size 0
		.amdhsa_kernarg_size 96
		.amdhsa_user_sgpr_count 15
		.amdhsa_user_sgpr_dispatch_ptr 0
		.amdhsa_user_sgpr_queue_ptr 0
		.amdhsa_user_sgpr_kernarg_segment_ptr 1
		.amdhsa_user_sgpr_dispatch_id 0
		.amdhsa_user_sgpr_private_segment_size 0
		.amdhsa_wavefront_size32 1
		.amdhsa_uses_dynamic_stack 0
		.amdhsa_enable_private_segment 0
		.amdhsa_system_sgpr_workgroup_id_x 1
		.amdhsa_system_sgpr_workgroup_id_y 0
		.amdhsa_system_sgpr_workgroup_id_z 0
		.amdhsa_system_sgpr_workgroup_info 0
		.amdhsa_system_vgpr_workitem_id 0
		.amdhsa_next_free_vgpr 1
		.amdhsa_next_free_sgpr 1
		.amdhsa_reserve_vcc 0
		.amdhsa_float_round_mode_32 0
		.amdhsa_float_round_mode_16_64 0
		.amdhsa_float_denorm_mode_32 3
		.amdhsa_float_denorm_mode_16_64 3
		.amdhsa_dx10_clamp 1
		.amdhsa_ieee_mode 1
		.amdhsa_fp16_overflow 0
		.amdhsa_workgroup_processor_mode 1
		.amdhsa_memory_ordered 1
		.amdhsa_forward_progress 0
		.amdhsa_shared_vgpr_count 0
		.amdhsa_exception_fp_ieee_invalid_op 0
		.amdhsa_exception_fp_denorm_src 0
		.amdhsa_exception_fp_ieee_div_zero 0
		.amdhsa_exception_fp_ieee_overflow 0
		.amdhsa_exception_fp_ieee_underflow 0
		.amdhsa_exception_fp_ieee_inexact 0
		.amdhsa_exception_int_div_zero 0
	.end_amdhsa_kernel
	.section	.text._ZN7rocprim17ROCPRIM_400000_NS6detail17trampoline_kernelINS0_14default_configENS1_20scan_config_selectorIhEEZZNS1_9scan_implILNS1_25lookback_scan_determinismE0ELb0ELb0ES3_N6thrust23THRUST_200600_302600_NS6detail15normal_iteratorINS9_7pointerIhNS9_11hip_rocprim5par_tENS9_11use_defaultESF_EEEENSB_INSC_IjSE_SF_SF_EEEEhNS9_4plusIvEEhEEDaPvRmT3_T4_T5_mT6_P12ihipStream_tbENKUlT_T0_E_clISt17integral_constantIbLb0EESZ_EEDaSU_SV_EUlSU_E_NS1_11comp_targetILNS1_3genE10ELNS1_11target_archE1201ELNS1_3gpuE5ELNS1_3repE0EEENS1_30default_config_static_selectorELNS0_4arch9wavefront6targetE0EEEvT1_,"axG",@progbits,_ZN7rocprim17ROCPRIM_400000_NS6detail17trampoline_kernelINS0_14default_configENS1_20scan_config_selectorIhEEZZNS1_9scan_implILNS1_25lookback_scan_determinismE0ELb0ELb0ES3_N6thrust23THRUST_200600_302600_NS6detail15normal_iteratorINS9_7pointerIhNS9_11hip_rocprim5par_tENS9_11use_defaultESF_EEEENSB_INSC_IjSE_SF_SF_EEEEhNS9_4plusIvEEhEEDaPvRmT3_T4_T5_mT6_P12ihipStream_tbENKUlT_T0_E_clISt17integral_constantIbLb0EESZ_EEDaSU_SV_EUlSU_E_NS1_11comp_targetILNS1_3genE10ELNS1_11target_archE1201ELNS1_3gpuE5ELNS1_3repE0EEENS1_30default_config_static_selectorELNS0_4arch9wavefront6targetE0EEEvT1_,comdat
.Lfunc_end109:
	.size	_ZN7rocprim17ROCPRIM_400000_NS6detail17trampoline_kernelINS0_14default_configENS1_20scan_config_selectorIhEEZZNS1_9scan_implILNS1_25lookback_scan_determinismE0ELb0ELb0ES3_N6thrust23THRUST_200600_302600_NS6detail15normal_iteratorINS9_7pointerIhNS9_11hip_rocprim5par_tENS9_11use_defaultESF_EEEENSB_INSC_IjSE_SF_SF_EEEEhNS9_4plusIvEEhEEDaPvRmT3_T4_T5_mT6_P12ihipStream_tbENKUlT_T0_E_clISt17integral_constantIbLb0EESZ_EEDaSU_SV_EUlSU_E_NS1_11comp_targetILNS1_3genE10ELNS1_11target_archE1201ELNS1_3gpuE5ELNS1_3repE0EEENS1_30default_config_static_selectorELNS0_4arch9wavefront6targetE0EEEvT1_, .Lfunc_end109-_ZN7rocprim17ROCPRIM_400000_NS6detail17trampoline_kernelINS0_14default_configENS1_20scan_config_selectorIhEEZZNS1_9scan_implILNS1_25lookback_scan_determinismE0ELb0ELb0ES3_N6thrust23THRUST_200600_302600_NS6detail15normal_iteratorINS9_7pointerIhNS9_11hip_rocprim5par_tENS9_11use_defaultESF_EEEENSB_INSC_IjSE_SF_SF_EEEEhNS9_4plusIvEEhEEDaPvRmT3_T4_T5_mT6_P12ihipStream_tbENKUlT_T0_E_clISt17integral_constantIbLb0EESZ_EEDaSU_SV_EUlSU_E_NS1_11comp_targetILNS1_3genE10ELNS1_11target_archE1201ELNS1_3gpuE5ELNS1_3repE0EEENS1_30default_config_static_selectorELNS0_4arch9wavefront6targetE0EEEvT1_
                                        ; -- End function
	.section	.AMDGPU.csdata,"",@progbits
; Kernel info:
; codeLenInByte = 0
; NumSgprs: 0
; NumVgprs: 0
; ScratchSize: 0
; MemoryBound: 0
; FloatMode: 240
; IeeeMode: 1
; LDSByteSize: 0 bytes/workgroup (compile time only)
; SGPRBlocks: 0
; VGPRBlocks: 0
; NumSGPRsForWavesPerEU: 1
; NumVGPRsForWavesPerEU: 1
; Occupancy: 16
; WaveLimiterHint : 0
; COMPUTE_PGM_RSRC2:SCRATCH_EN: 0
; COMPUTE_PGM_RSRC2:USER_SGPR: 15
; COMPUTE_PGM_RSRC2:TRAP_HANDLER: 0
; COMPUTE_PGM_RSRC2:TGID_X_EN: 1
; COMPUTE_PGM_RSRC2:TGID_Y_EN: 0
; COMPUTE_PGM_RSRC2:TGID_Z_EN: 0
; COMPUTE_PGM_RSRC2:TIDIG_COMP_CNT: 0
	.section	.text._ZN7rocprim17ROCPRIM_400000_NS6detail17trampoline_kernelINS0_14default_configENS1_20scan_config_selectorIhEEZZNS1_9scan_implILNS1_25lookback_scan_determinismE0ELb0ELb0ES3_N6thrust23THRUST_200600_302600_NS6detail15normal_iteratorINS9_7pointerIhNS9_11hip_rocprim5par_tENS9_11use_defaultESF_EEEENSB_INSC_IjSE_SF_SF_EEEEhNS9_4plusIvEEhEEDaPvRmT3_T4_T5_mT6_P12ihipStream_tbENKUlT_T0_E_clISt17integral_constantIbLb0EESZ_EEDaSU_SV_EUlSU_E_NS1_11comp_targetILNS1_3genE10ELNS1_11target_archE1200ELNS1_3gpuE4ELNS1_3repE0EEENS1_30default_config_static_selectorELNS0_4arch9wavefront6targetE0EEEvT1_,"axG",@progbits,_ZN7rocprim17ROCPRIM_400000_NS6detail17trampoline_kernelINS0_14default_configENS1_20scan_config_selectorIhEEZZNS1_9scan_implILNS1_25lookback_scan_determinismE0ELb0ELb0ES3_N6thrust23THRUST_200600_302600_NS6detail15normal_iteratorINS9_7pointerIhNS9_11hip_rocprim5par_tENS9_11use_defaultESF_EEEENSB_INSC_IjSE_SF_SF_EEEEhNS9_4plusIvEEhEEDaPvRmT3_T4_T5_mT6_P12ihipStream_tbENKUlT_T0_E_clISt17integral_constantIbLb0EESZ_EEDaSU_SV_EUlSU_E_NS1_11comp_targetILNS1_3genE10ELNS1_11target_archE1200ELNS1_3gpuE4ELNS1_3repE0EEENS1_30default_config_static_selectorELNS0_4arch9wavefront6targetE0EEEvT1_,comdat
	.protected	_ZN7rocprim17ROCPRIM_400000_NS6detail17trampoline_kernelINS0_14default_configENS1_20scan_config_selectorIhEEZZNS1_9scan_implILNS1_25lookback_scan_determinismE0ELb0ELb0ES3_N6thrust23THRUST_200600_302600_NS6detail15normal_iteratorINS9_7pointerIhNS9_11hip_rocprim5par_tENS9_11use_defaultESF_EEEENSB_INSC_IjSE_SF_SF_EEEEhNS9_4plusIvEEhEEDaPvRmT3_T4_T5_mT6_P12ihipStream_tbENKUlT_T0_E_clISt17integral_constantIbLb0EESZ_EEDaSU_SV_EUlSU_E_NS1_11comp_targetILNS1_3genE10ELNS1_11target_archE1200ELNS1_3gpuE4ELNS1_3repE0EEENS1_30default_config_static_selectorELNS0_4arch9wavefront6targetE0EEEvT1_ ; -- Begin function _ZN7rocprim17ROCPRIM_400000_NS6detail17trampoline_kernelINS0_14default_configENS1_20scan_config_selectorIhEEZZNS1_9scan_implILNS1_25lookback_scan_determinismE0ELb0ELb0ES3_N6thrust23THRUST_200600_302600_NS6detail15normal_iteratorINS9_7pointerIhNS9_11hip_rocprim5par_tENS9_11use_defaultESF_EEEENSB_INSC_IjSE_SF_SF_EEEEhNS9_4plusIvEEhEEDaPvRmT3_T4_T5_mT6_P12ihipStream_tbENKUlT_T0_E_clISt17integral_constantIbLb0EESZ_EEDaSU_SV_EUlSU_E_NS1_11comp_targetILNS1_3genE10ELNS1_11target_archE1200ELNS1_3gpuE4ELNS1_3repE0EEENS1_30default_config_static_selectorELNS0_4arch9wavefront6targetE0EEEvT1_
	.globl	_ZN7rocprim17ROCPRIM_400000_NS6detail17trampoline_kernelINS0_14default_configENS1_20scan_config_selectorIhEEZZNS1_9scan_implILNS1_25lookback_scan_determinismE0ELb0ELb0ES3_N6thrust23THRUST_200600_302600_NS6detail15normal_iteratorINS9_7pointerIhNS9_11hip_rocprim5par_tENS9_11use_defaultESF_EEEENSB_INSC_IjSE_SF_SF_EEEEhNS9_4plusIvEEhEEDaPvRmT3_T4_T5_mT6_P12ihipStream_tbENKUlT_T0_E_clISt17integral_constantIbLb0EESZ_EEDaSU_SV_EUlSU_E_NS1_11comp_targetILNS1_3genE10ELNS1_11target_archE1200ELNS1_3gpuE4ELNS1_3repE0EEENS1_30default_config_static_selectorELNS0_4arch9wavefront6targetE0EEEvT1_
	.p2align	8
	.type	_ZN7rocprim17ROCPRIM_400000_NS6detail17trampoline_kernelINS0_14default_configENS1_20scan_config_selectorIhEEZZNS1_9scan_implILNS1_25lookback_scan_determinismE0ELb0ELb0ES3_N6thrust23THRUST_200600_302600_NS6detail15normal_iteratorINS9_7pointerIhNS9_11hip_rocprim5par_tENS9_11use_defaultESF_EEEENSB_INSC_IjSE_SF_SF_EEEEhNS9_4plusIvEEhEEDaPvRmT3_T4_T5_mT6_P12ihipStream_tbENKUlT_T0_E_clISt17integral_constantIbLb0EESZ_EEDaSU_SV_EUlSU_E_NS1_11comp_targetILNS1_3genE10ELNS1_11target_archE1200ELNS1_3gpuE4ELNS1_3repE0EEENS1_30default_config_static_selectorELNS0_4arch9wavefront6targetE0EEEvT1_,@function
_ZN7rocprim17ROCPRIM_400000_NS6detail17trampoline_kernelINS0_14default_configENS1_20scan_config_selectorIhEEZZNS1_9scan_implILNS1_25lookback_scan_determinismE0ELb0ELb0ES3_N6thrust23THRUST_200600_302600_NS6detail15normal_iteratorINS9_7pointerIhNS9_11hip_rocprim5par_tENS9_11use_defaultESF_EEEENSB_INSC_IjSE_SF_SF_EEEEhNS9_4plusIvEEhEEDaPvRmT3_T4_T5_mT6_P12ihipStream_tbENKUlT_T0_E_clISt17integral_constantIbLb0EESZ_EEDaSU_SV_EUlSU_E_NS1_11comp_targetILNS1_3genE10ELNS1_11target_archE1200ELNS1_3gpuE4ELNS1_3repE0EEENS1_30default_config_static_selectorELNS0_4arch9wavefront6targetE0EEEvT1_: ; @_ZN7rocprim17ROCPRIM_400000_NS6detail17trampoline_kernelINS0_14default_configENS1_20scan_config_selectorIhEEZZNS1_9scan_implILNS1_25lookback_scan_determinismE0ELb0ELb0ES3_N6thrust23THRUST_200600_302600_NS6detail15normal_iteratorINS9_7pointerIhNS9_11hip_rocprim5par_tENS9_11use_defaultESF_EEEENSB_INSC_IjSE_SF_SF_EEEEhNS9_4plusIvEEhEEDaPvRmT3_T4_T5_mT6_P12ihipStream_tbENKUlT_T0_E_clISt17integral_constantIbLb0EESZ_EEDaSU_SV_EUlSU_E_NS1_11comp_targetILNS1_3genE10ELNS1_11target_archE1200ELNS1_3gpuE4ELNS1_3repE0EEENS1_30default_config_static_selectorELNS0_4arch9wavefront6targetE0EEEvT1_
; %bb.0:
	.section	.rodata,"a",@progbits
	.p2align	6, 0x0
	.amdhsa_kernel _ZN7rocprim17ROCPRIM_400000_NS6detail17trampoline_kernelINS0_14default_configENS1_20scan_config_selectorIhEEZZNS1_9scan_implILNS1_25lookback_scan_determinismE0ELb0ELb0ES3_N6thrust23THRUST_200600_302600_NS6detail15normal_iteratorINS9_7pointerIhNS9_11hip_rocprim5par_tENS9_11use_defaultESF_EEEENSB_INSC_IjSE_SF_SF_EEEEhNS9_4plusIvEEhEEDaPvRmT3_T4_T5_mT6_P12ihipStream_tbENKUlT_T0_E_clISt17integral_constantIbLb0EESZ_EEDaSU_SV_EUlSU_E_NS1_11comp_targetILNS1_3genE10ELNS1_11target_archE1200ELNS1_3gpuE4ELNS1_3repE0EEENS1_30default_config_static_selectorELNS0_4arch9wavefront6targetE0EEEvT1_
		.amdhsa_group_segment_fixed_size 0
		.amdhsa_private_segment_fixed_size 0
		.amdhsa_kernarg_size 96
		.amdhsa_user_sgpr_count 15
		.amdhsa_user_sgpr_dispatch_ptr 0
		.amdhsa_user_sgpr_queue_ptr 0
		.amdhsa_user_sgpr_kernarg_segment_ptr 1
		.amdhsa_user_sgpr_dispatch_id 0
		.amdhsa_user_sgpr_private_segment_size 0
		.amdhsa_wavefront_size32 1
		.amdhsa_uses_dynamic_stack 0
		.amdhsa_enable_private_segment 0
		.amdhsa_system_sgpr_workgroup_id_x 1
		.amdhsa_system_sgpr_workgroup_id_y 0
		.amdhsa_system_sgpr_workgroup_id_z 0
		.amdhsa_system_sgpr_workgroup_info 0
		.amdhsa_system_vgpr_workitem_id 0
		.amdhsa_next_free_vgpr 1
		.amdhsa_next_free_sgpr 1
		.amdhsa_reserve_vcc 0
		.amdhsa_float_round_mode_32 0
		.amdhsa_float_round_mode_16_64 0
		.amdhsa_float_denorm_mode_32 3
		.amdhsa_float_denorm_mode_16_64 3
		.amdhsa_dx10_clamp 1
		.amdhsa_ieee_mode 1
		.amdhsa_fp16_overflow 0
		.amdhsa_workgroup_processor_mode 1
		.amdhsa_memory_ordered 1
		.amdhsa_forward_progress 0
		.amdhsa_shared_vgpr_count 0
		.amdhsa_exception_fp_ieee_invalid_op 0
		.amdhsa_exception_fp_denorm_src 0
		.amdhsa_exception_fp_ieee_div_zero 0
		.amdhsa_exception_fp_ieee_overflow 0
		.amdhsa_exception_fp_ieee_underflow 0
		.amdhsa_exception_fp_ieee_inexact 0
		.amdhsa_exception_int_div_zero 0
	.end_amdhsa_kernel
	.section	.text._ZN7rocprim17ROCPRIM_400000_NS6detail17trampoline_kernelINS0_14default_configENS1_20scan_config_selectorIhEEZZNS1_9scan_implILNS1_25lookback_scan_determinismE0ELb0ELb0ES3_N6thrust23THRUST_200600_302600_NS6detail15normal_iteratorINS9_7pointerIhNS9_11hip_rocprim5par_tENS9_11use_defaultESF_EEEENSB_INSC_IjSE_SF_SF_EEEEhNS9_4plusIvEEhEEDaPvRmT3_T4_T5_mT6_P12ihipStream_tbENKUlT_T0_E_clISt17integral_constantIbLb0EESZ_EEDaSU_SV_EUlSU_E_NS1_11comp_targetILNS1_3genE10ELNS1_11target_archE1200ELNS1_3gpuE4ELNS1_3repE0EEENS1_30default_config_static_selectorELNS0_4arch9wavefront6targetE0EEEvT1_,"axG",@progbits,_ZN7rocprim17ROCPRIM_400000_NS6detail17trampoline_kernelINS0_14default_configENS1_20scan_config_selectorIhEEZZNS1_9scan_implILNS1_25lookback_scan_determinismE0ELb0ELb0ES3_N6thrust23THRUST_200600_302600_NS6detail15normal_iteratorINS9_7pointerIhNS9_11hip_rocprim5par_tENS9_11use_defaultESF_EEEENSB_INSC_IjSE_SF_SF_EEEEhNS9_4plusIvEEhEEDaPvRmT3_T4_T5_mT6_P12ihipStream_tbENKUlT_T0_E_clISt17integral_constantIbLb0EESZ_EEDaSU_SV_EUlSU_E_NS1_11comp_targetILNS1_3genE10ELNS1_11target_archE1200ELNS1_3gpuE4ELNS1_3repE0EEENS1_30default_config_static_selectorELNS0_4arch9wavefront6targetE0EEEvT1_,comdat
.Lfunc_end110:
	.size	_ZN7rocprim17ROCPRIM_400000_NS6detail17trampoline_kernelINS0_14default_configENS1_20scan_config_selectorIhEEZZNS1_9scan_implILNS1_25lookback_scan_determinismE0ELb0ELb0ES3_N6thrust23THRUST_200600_302600_NS6detail15normal_iteratorINS9_7pointerIhNS9_11hip_rocprim5par_tENS9_11use_defaultESF_EEEENSB_INSC_IjSE_SF_SF_EEEEhNS9_4plusIvEEhEEDaPvRmT3_T4_T5_mT6_P12ihipStream_tbENKUlT_T0_E_clISt17integral_constantIbLb0EESZ_EEDaSU_SV_EUlSU_E_NS1_11comp_targetILNS1_3genE10ELNS1_11target_archE1200ELNS1_3gpuE4ELNS1_3repE0EEENS1_30default_config_static_selectorELNS0_4arch9wavefront6targetE0EEEvT1_, .Lfunc_end110-_ZN7rocprim17ROCPRIM_400000_NS6detail17trampoline_kernelINS0_14default_configENS1_20scan_config_selectorIhEEZZNS1_9scan_implILNS1_25lookback_scan_determinismE0ELb0ELb0ES3_N6thrust23THRUST_200600_302600_NS6detail15normal_iteratorINS9_7pointerIhNS9_11hip_rocprim5par_tENS9_11use_defaultESF_EEEENSB_INSC_IjSE_SF_SF_EEEEhNS9_4plusIvEEhEEDaPvRmT3_T4_T5_mT6_P12ihipStream_tbENKUlT_T0_E_clISt17integral_constantIbLb0EESZ_EEDaSU_SV_EUlSU_E_NS1_11comp_targetILNS1_3genE10ELNS1_11target_archE1200ELNS1_3gpuE4ELNS1_3repE0EEENS1_30default_config_static_selectorELNS0_4arch9wavefront6targetE0EEEvT1_
                                        ; -- End function
	.section	.AMDGPU.csdata,"",@progbits
; Kernel info:
; codeLenInByte = 0
; NumSgprs: 0
; NumVgprs: 0
; ScratchSize: 0
; MemoryBound: 0
; FloatMode: 240
; IeeeMode: 1
; LDSByteSize: 0 bytes/workgroup (compile time only)
; SGPRBlocks: 0
; VGPRBlocks: 0
; NumSGPRsForWavesPerEU: 1
; NumVGPRsForWavesPerEU: 1
; Occupancy: 16
; WaveLimiterHint : 0
; COMPUTE_PGM_RSRC2:SCRATCH_EN: 0
; COMPUTE_PGM_RSRC2:USER_SGPR: 15
; COMPUTE_PGM_RSRC2:TRAP_HANDLER: 0
; COMPUTE_PGM_RSRC2:TGID_X_EN: 1
; COMPUTE_PGM_RSRC2:TGID_Y_EN: 0
; COMPUTE_PGM_RSRC2:TGID_Z_EN: 0
; COMPUTE_PGM_RSRC2:TIDIG_COMP_CNT: 0
	.section	.text._ZN7rocprim17ROCPRIM_400000_NS6detail17trampoline_kernelINS0_14default_configENS1_20scan_config_selectorIhEEZZNS1_9scan_implILNS1_25lookback_scan_determinismE0ELb0ELb0ES3_N6thrust23THRUST_200600_302600_NS6detail15normal_iteratorINS9_7pointerIhNS9_11hip_rocprim5par_tENS9_11use_defaultESF_EEEENSB_INSC_IjSE_SF_SF_EEEEhNS9_4plusIvEEhEEDaPvRmT3_T4_T5_mT6_P12ihipStream_tbENKUlT_T0_E_clISt17integral_constantIbLb0EESZ_EEDaSU_SV_EUlSU_E_NS1_11comp_targetILNS1_3genE9ELNS1_11target_archE1100ELNS1_3gpuE3ELNS1_3repE0EEENS1_30default_config_static_selectorELNS0_4arch9wavefront6targetE0EEEvT1_,"axG",@progbits,_ZN7rocprim17ROCPRIM_400000_NS6detail17trampoline_kernelINS0_14default_configENS1_20scan_config_selectorIhEEZZNS1_9scan_implILNS1_25lookback_scan_determinismE0ELb0ELb0ES3_N6thrust23THRUST_200600_302600_NS6detail15normal_iteratorINS9_7pointerIhNS9_11hip_rocprim5par_tENS9_11use_defaultESF_EEEENSB_INSC_IjSE_SF_SF_EEEEhNS9_4plusIvEEhEEDaPvRmT3_T4_T5_mT6_P12ihipStream_tbENKUlT_T0_E_clISt17integral_constantIbLb0EESZ_EEDaSU_SV_EUlSU_E_NS1_11comp_targetILNS1_3genE9ELNS1_11target_archE1100ELNS1_3gpuE3ELNS1_3repE0EEENS1_30default_config_static_selectorELNS0_4arch9wavefront6targetE0EEEvT1_,comdat
	.protected	_ZN7rocprim17ROCPRIM_400000_NS6detail17trampoline_kernelINS0_14default_configENS1_20scan_config_selectorIhEEZZNS1_9scan_implILNS1_25lookback_scan_determinismE0ELb0ELb0ES3_N6thrust23THRUST_200600_302600_NS6detail15normal_iteratorINS9_7pointerIhNS9_11hip_rocprim5par_tENS9_11use_defaultESF_EEEENSB_INSC_IjSE_SF_SF_EEEEhNS9_4plusIvEEhEEDaPvRmT3_T4_T5_mT6_P12ihipStream_tbENKUlT_T0_E_clISt17integral_constantIbLb0EESZ_EEDaSU_SV_EUlSU_E_NS1_11comp_targetILNS1_3genE9ELNS1_11target_archE1100ELNS1_3gpuE3ELNS1_3repE0EEENS1_30default_config_static_selectorELNS0_4arch9wavefront6targetE0EEEvT1_ ; -- Begin function _ZN7rocprim17ROCPRIM_400000_NS6detail17trampoline_kernelINS0_14default_configENS1_20scan_config_selectorIhEEZZNS1_9scan_implILNS1_25lookback_scan_determinismE0ELb0ELb0ES3_N6thrust23THRUST_200600_302600_NS6detail15normal_iteratorINS9_7pointerIhNS9_11hip_rocprim5par_tENS9_11use_defaultESF_EEEENSB_INSC_IjSE_SF_SF_EEEEhNS9_4plusIvEEhEEDaPvRmT3_T4_T5_mT6_P12ihipStream_tbENKUlT_T0_E_clISt17integral_constantIbLb0EESZ_EEDaSU_SV_EUlSU_E_NS1_11comp_targetILNS1_3genE9ELNS1_11target_archE1100ELNS1_3gpuE3ELNS1_3repE0EEENS1_30default_config_static_selectorELNS0_4arch9wavefront6targetE0EEEvT1_
	.globl	_ZN7rocprim17ROCPRIM_400000_NS6detail17trampoline_kernelINS0_14default_configENS1_20scan_config_selectorIhEEZZNS1_9scan_implILNS1_25lookback_scan_determinismE0ELb0ELb0ES3_N6thrust23THRUST_200600_302600_NS6detail15normal_iteratorINS9_7pointerIhNS9_11hip_rocprim5par_tENS9_11use_defaultESF_EEEENSB_INSC_IjSE_SF_SF_EEEEhNS9_4plusIvEEhEEDaPvRmT3_T4_T5_mT6_P12ihipStream_tbENKUlT_T0_E_clISt17integral_constantIbLb0EESZ_EEDaSU_SV_EUlSU_E_NS1_11comp_targetILNS1_3genE9ELNS1_11target_archE1100ELNS1_3gpuE3ELNS1_3repE0EEENS1_30default_config_static_selectorELNS0_4arch9wavefront6targetE0EEEvT1_
	.p2align	8
	.type	_ZN7rocprim17ROCPRIM_400000_NS6detail17trampoline_kernelINS0_14default_configENS1_20scan_config_selectorIhEEZZNS1_9scan_implILNS1_25lookback_scan_determinismE0ELb0ELb0ES3_N6thrust23THRUST_200600_302600_NS6detail15normal_iteratorINS9_7pointerIhNS9_11hip_rocprim5par_tENS9_11use_defaultESF_EEEENSB_INSC_IjSE_SF_SF_EEEEhNS9_4plusIvEEhEEDaPvRmT3_T4_T5_mT6_P12ihipStream_tbENKUlT_T0_E_clISt17integral_constantIbLb0EESZ_EEDaSU_SV_EUlSU_E_NS1_11comp_targetILNS1_3genE9ELNS1_11target_archE1100ELNS1_3gpuE3ELNS1_3repE0EEENS1_30default_config_static_selectorELNS0_4arch9wavefront6targetE0EEEvT1_,@function
_ZN7rocprim17ROCPRIM_400000_NS6detail17trampoline_kernelINS0_14default_configENS1_20scan_config_selectorIhEEZZNS1_9scan_implILNS1_25lookback_scan_determinismE0ELb0ELb0ES3_N6thrust23THRUST_200600_302600_NS6detail15normal_iteratorINS9_7pointerIhNS9_11hip_rocprim5par_tENS9_11use_defaultESF_EEEENSB_INSC_IjSE_SF_SF_EEEEhNS9_4plusIvEEhEEDaPvRmT3_T4_T5_mT6_P12ihipStream_tbENKUlT_T0_E_clISt17integral_constantIbLb0EESZ_EEDaSU_SV_EUlSU_E_NS1_11comp_targetILNS1_3genE9ELNS1_11target_archE1100ELNS1_3gpuE3ELNS1_3repE0EEENS1_30default_config_static_selectorELNS0_4arch9wavefront6targetE0EEEvT1_: ; @_ZN7rocprim17ROCPRIM_400000_NS6detail17trampoline_kernelINS0_14default_configENS1_20scan_config_selectorIhEEZZNS1_9scan_implILNS1_25lookback_scan_determinismE0ELb0ELb0ES3_N6thrust23THRUST_200600_302600_NS6detail15normal_iteratorINS9_7pointerIhNS9_11hip_rocprim5par_tENS9_11use_defaultESF_EEEENSB_INSC_IjSE_SF_SF_EEEEhNS9_4plusIvEEhEEDaPvRmT3_T4_T5_mT6_P12ihipStream_tbENKUlT_T0_E_clISt17integral_constantIbLb0EESZ_EEDaSU_SV_EUlSU_E_NS1_11comp_targetILNS1_3genE9ELNS1_11target_archE1100ELNS1_3gpuE3ELNS1_3repE0EEENS1_30default_config_static_selectorELNS0_4arch9wavefront6targetE0EEEvT1_
; %bb.0:
	s_clause 0x1
	s_load_b256 s[16:23], s[0:1], 0x0
	s_load_b32 s2, s[0:1], 0x30
	s_mul_i32 s12, s15, 0x1800
	s_mov_b32 s3, -1
	s_mov_b32 s13, 0
	s_waitcnt lgkmcnt(0)
	s_add_u32 s4, s16, s18
	s_addc_u32 s5, s17, s19
	s_add_i32 s2, s2, -1
	s_delay_alu instid0(SALU_CYCLE_1) | instskip(NEXT) | instid1(SALU_CYCLE_1)
	s_mul_i32 s6, s2, 0x1800
	s_sub_u32 s14, s22, s6
	s_subb_u32 s22, s23, 0
	s_cmp_lg_u32 s15, s2
	s_cselect_b32 s23, -1, 0
	s_add_u32 s4, s4, s12
	s_addc_u32 s5, s5, 0
	s_and_b32 vcc_lo, exec_lo, s23
	s_cbranch_vccz .LBB111_2
; %bb.1:
	v_add_co_u32 v1, s2, s4, v0
	s_delay_alu instid0(VALU_DEP_1) | instskip(SKIP_1) | instid1(VALU_DEP_2)
	v_add_co_ci_u32_e64 v2, null, s5, 0, s2
	s_mov_b32 s3, s13
	v_add_co_u32 v3, vcc_lo, 0x1000, v1
	s_clause 0x7
	flat_load_u8 v5, v[1:2]
	flat_load_u8 v6, v[1:2] offset:256
	flat_load_u8 v7, v[1:2] offset:512
	;; [unrolled: 1-line block ×7, first 2 shown]
	v_add_co_ci_u32_e32 v4, vcc_lo, 0, v2, vcc_lo
	s_clause 0xf
	flat_load_u8 v13, v[1:2] offset:2048
	flat_load_u8 v14, v[1:2] offset:2304
	;; [unrolled: 1-line block ×8, first 2 shown]
	flat_load_u8 v2, v[3:4]
	flat_load_u8 v20, v[3:4] offset:256
	flat_load_u8 v21, v[3:4] offset:512
	flat_load_u8 v22, v[3:4] offset:768
	flat_load_u8 v23, v[3:4] offset:1024
	flat_load_u8 v24, v[3:4] offset:1280
	flat_load_u8 v25, v[3:4] offset:1536
	flat_load_u8 v3, v[3:4] offset:1792
	s_waitcnt vmcnt(23) lgkmcnt(23)
	ds_store_b8 v0, v5
	s_waitcnt vmcnt(22) lgkmcnt(23)
	ds_store_b8 v0, v6 offset:256
	s_waitcnt vmcnt(21) lgkmcnt(23)
	ds_store_b8 v0, v7 offset:512
	;; [unrolled: 2-line block ×23, first 2 shown]
	s_waitcnt lgkmcnt(0)
	s_barrier
.LBB111_2:
	s_load_b64 s[16:17], s[0:1], 0x28
	v_cmp_gt_u32_e64 s2, s14, v0
	s_and_not1_b32 vcc_lo, exec_lo, s3
	s_cbranch_vccnz .LBB111_52
; %bb.3:
	v_dual_mov_b32 v1, s4 :: v_dual_mov_b32 v2, s5
	flat_load_u8 v1, v[1:2]
	s_waitcnt vmcnt(0) lgkmcnt(0)
	v_mov_b32_e32 v2, v1
	s_and_saveexec_b32 s3, s2
	s_cbranch_execz .LBB111_5
; %bb.4:
	v_add_co_u32 v2, s2, s4, v0
	s_delay_alu instid0(VALU_DEP_1)
	v_add_co_ci_u32_e64 v3, null, s5, 0, s2
	flat_load_u8 v2, v[2:3]
.LBB111_5:
	s_or_b32 exec_lo, exec_lo, s3
	v_or_b32_e32 v3, 0x100, v0
	s_delay_alu instid0(VALU_DEP_1)
	v_cmp_gt_u32_e32 vcc_lo, s14, v3
	v_mov_b32_e32 v3, v1
	s_and_saveexec_b32 s2, vcc_lo
	s_cbranch_execz .LBB111_7
; %bb.6:
	v_add_co_u32 v3, s3, s4, v0
	s_delay_alu instid0(VALU_DEP_1)
	v_add_co_ci_u32_e64 v4, null, s5, 0, s3
	flat_load_u8 v3, v[3:4] offset:256
.LBB111_7:
	s_or_b32 exec_lo, exec_lo, s2
	v_or_b32_e32 v4, 0x200, v0
	s_delay_alu instid0(VALU_DEP_1)
	v_cmp_gt_u32_e32 vcc_lo, s14, v4
	v_mov_b32_e32 v4, v1
	s_and_saveexec_b32 s2, vcc_lo
	s_cbranch_execz .LBB111_9
; %bb.8:
	v_add_co_u32 v4, s3, s4, v0
	s_delay_alu instid0(VALU_DEP_1)
	v_add_co_ci_u32_e64 v5, null, s5, 0, s3
	flat_load_u8 v4, v[4:5] offset:512
.LBB111_9:
	;; [unrolled: 13-line block ×15, first 2 shown]
	s_or_b32 exec_lo, exec_lo, s2
	v_or_b32_e32 v19, 0x1000, v0
	v_mov_b32_e32 v18, v1
	s_mov_b32 s2, exec_lo
	s_delay_alu instid0(VALU_DEP_2)
	v_cmpx_gt_u32_e64 s14, v19
	s_cbranch_execz .LBB111_37
; %bb.36:
	v_add_co_u32 v18, s3, s4, v19
	s_delay_alu instid0(VALU_DEP_1)
	v_add_co_ci_u32_e64 v19, null, s5, 0, s3
	flat_load_u8 v18, v[18:19]
.LBB111_37:
	s_or_b32 exec_lo, exec_lo, s2
	v_or_b32_e32 v20, 0x1100, v0
	v_mov_b32_e32 v19, v1
	s_mov_b32 s2, exec_lo
	s_delay_alu instid0(VALU_DEP_2)
	v_cmpx_gt_u32_e64 s14, v20
	s_cbranch_execz .LBB111_39
; %bb.38:
	v_add_co_u32 v19, s3, s4, v20
	s_delay_alu instid0(VALU_DEP_1)
	v_add_co_ci_u32_e64 v20, null, s5, 0, s3
	flat_load_u8 v19, v[19:20]
.LBB111_39:
	;; [unrolled: 13-line block ×7, first 2 shown]
	s_or_b32 exec_lo, exec_lo, s2
	v_or_b32_e32 v25, 0x1700, v0
	s_mov_b32 s2, exec_lo
	s_delay_alu instid0(VALU_DEP_1)
	v_cmpx_gt_u32_e64 s14, v25
	s_cbranch_execz .LBB111_51
; %bb.50:
	v_add_co_u32 v25, s3, s4, v25
	s_delay_alu instid0(VALU_DEP_1)
	v_add_co_ci_u32_e64 v26, null, s5, 0, s3
	flat_load_u8 v1, v[25:26]
.LBB111_51:
	s_or_b32 exec_lo, exec_lo, s2
	s_waitcnt vmcnt(0) lgkmcnt(0)
	ds_store_b8 v0, v2
	ds_store_b8 v0, v3 offset:256
	ds_store_b8 v0, v4 offset:512
	;; [unrolled: 1-line block ×23, first 2 shown]
	s_waitcnt lgkmcnt(0)
	s_barrier
.LBB111_52:
	v_mul_u32_u24_e32 v11, 24, v0
	s_waitcnt lgkmcnt(0)
	buffer_gl0_inv
	v_mbcnt_lo_u32_b32 v30, -1, 0
	v_lshrrev_b32_e32 v31, 5, v0
	v_or_b32_e32 v32, 31, v0
	ds_load_2addr_b64 v[1:4], v11 offset1:1
	ds_load_b64 v[5:6], v11 offset:16
	s_cmp_lg_u32 s15, 0
	s_waitcnt lgkmcnt(0)
	s_barrier
	buffer_gl0_inv
	v_lshrrev_b32_e32 v27, 8, v1
	v_lshrrev_b32_e32 v28, 16, v1
	;; [unrolled: 1-line block ×18, first 2 shown]
	s_cbranch_scc0 .LBB111_78
; %bb.53:
	v_add_nc_u16 v7, v27, v1
	s_mov_b32 s2, exec_lo
	s_delay_alu instid0(VALU_DEP_1) | instskip(NEXT) | instid1(VALU_DEP_1)
	v_add_nc_u16 v7, v7, v28
	v_add_nc_u16 v7, v7, v29
	s_delay_alu instid0(VALU_DEP_1) | instskip(NEXT) | instid1(VALU_DEP_1)
	v_add_nc_u16 v7, v7, v2
	v_add_nc_u16 v7, v7, v24
	;; [unrolled: 3-line block ×11, first 2 shown]
	s_delay_alu instid0(VALU_DEP_1) | instskip(NEXT) | instid1(VALU_DEP_1)
	v_and_b32_e32 v8, 0xff, v7
	v_mov_b32_dpp v8, v8 row_shr:1 row_mask:0xf bank_mask:0xf
	v_and_b32_e32 v9, 15, v30
	s_delay_alu instid0(VALU_DEP_1) | instskip(NEXT) | instid1(VALU_DEP_3)
	v_cmp_ne_u32_e32 vcc_lo, 0, v9
	v_cndmask_b32_e32 v8, 0, v8, vcc_lo
	v_cmp_lt_u32_e32 vcc_lo, 1, v9
	s_delay_alu instid0(VALU_DEP_2) | instskip(NEXT) | instid1(VALU_DEP_1)
	v_add_nc_u16 v7, v8, v7
	v_and_b32_e32 v8, 0xff, v7
	s_delay_alu instid0(VALU_DEP_1) | instskip(NEXT) | instid1(VALU_DEP_1)
	v_mov_b32_dpp v8, v8 row_shr:2 row_mask:0xf bank_mask:0xf
	v_cndmask_b32_e32 v8, 0, v8, vcc_lo
	v_cmp_lt_u32_e32 vcc_lo, 3, v9
	s_delay_alu instid0(VALU_DEP_2) | instskip(NEXT) | instid1(VALU_DEP_1)
	v_add_nc_u16 v7, v7, v8
	v_and_b32_e32 v8, 0xff, v7
	s_delay_alu instid0(VALU_DEP_1) | instskip(NEXT) | instid1(VALU_DEP_1)
	v_mov_b32_dpp v8, v8 row_shr:4 row_mask:0xf bank_mask:0xf
	v_cndmask_b32_e32 v8, 0, v8, vcc_lo
	v_cmp_lt_u32_e32 vcc_lo, 7, v9
	v_and_b32_e32 v9, 16, v30
	s_delay_alu instid0(VALU_DEP_3) | instskip(NEXT) | instid1(VALU_DEP_1)
	v_add_nc_u16 v7, v7, v8
	v_and_b32_e32 v8, 0xff, v7
	s_delay_alu instid0(VALU_DEP_1) | instskip(NEXT) | instid1(VALU_DEP_1)
	v_mov_b32_dpp v8, v8 row_shr:8 row_mask:0xf bank_mask:0xf
	v_cndmask_b32_e32 v8, 0, v8, vcc_lo
	v_cmp_ne_u32_e32 vcc_lo, 0, v9
	s_delay_alu instid0(VALU_DEP_2) | instskip(NEXT) | instid1(VALU_DEP_1)
	v_add_nc_u16 v7, v7, v8
	v_and_b32_e32 v8, 0xff, v7
	ds_swizzle_b32 v8, v8 offset:swizzle(BROADCAST,32,15)
	s_waitcnt lgkmcnt(0)
	v_cndmask_b32_e32 v8, 0, v8, vcc_lo
	s_delay_alu instid0(VALU_DEP_1)
	v_add_nc_u16 v7, v7, v8
	v_cmpx_eq_u32_e64 v32, v0
	s_cbranch_execz .LBB111_55
; %bb.54:
	ds_store_b8 v31, v7
.LBB111_55:
	s_or_b32 exec_lo, exec_lo, s2
	s_delay_alu instid0(SALU_CYCLE_1)
	s_mov_b32 s2, exec_lo
	s_waitcnt lgkmcnt(0)
	s_barrier
	buffer_gl0_inv
	v_cmpx_gt_u32_e32 8, v0
	s_cbranch_execz .LBB111_57
; %bb.56:
	ds_load_u8 v8, v0
	s_waitcnt lgkmcnt(0)
	v_and_b32_e32 v9, 0xff, v8
	s_delay_alu instid0(VALU_DEP_1) | instskip(SKIP_1) | instid1(VALU_DEP_1)
	v_mov_b32_dpp v9, v9 row_shr:1 row_mask:0xf bank_mask:0xf
	v_and_b32_e32 v10, 7, v30
	v_cmp_ne_u32_e32 vcc_lo, 0, v10
	s_delay_alu instid0(VALU_DEP_3) | instskip(SKIP_1) | instid1(VALU_DEP_2)
	v_cndmask_b32_e32 v9, 0, v9, vcc_lo
	v_cmp_lt_u32_e32 vcc_lo, 1, v10
	v_add_nc_u16 v8, v9, v8
	s_delay_alu instid0(VALU_DEP_1) | instskip(NEXT) | instid1(VALU_DEP_1)
	v_and_b32_e32 v9, 0xff, v8
	v_mov_b32_dpp v9, v9 row_shr:2 row_mask:0xf bank_mask:0xf
	s_delay_alu instid0(VALU_DEP_1) | instskip(SKIP_1) | instid1(VALU_DEP_2)
	v_cndmask_b32_e32 v9, 0, v9, vcc_lo
	v_cmp_lt_u32_e32 vcc_lo, 3, v10
	v_add_nc_u16 v8, v8, v9
	s_delay_alu instid0(VALU_DEP_1) | instskip(NEXT) | instid1(VALU_DEP_1)
	v_and_b32_e32 v9, 0xff, v8
	v_mov_b32_dpp v9, v9 row_shr:4 row_mask:0xf bank_mask:0xf
	s_delay_alu instid0(VALU_DEP_1) | instskip(NEXT) | instid1(VALU_DEP_1)
	v_cndmask_b32_e32 v9, 0, v9, vcc_lo
	v_add_nc_u16 v8, v8, v9
	ds_store_b8 v0, v8
.LBB111_57:
	s_or_b32 exec_lo, exec_lo, s2
	v_cmp_gt_u32_e32 vcc_lo, 32, v0
	s_mov_b32 s3, exec_lo
	s_waitcnt lgkmcnt(0)
	s_barrier
	buffer_gl0_inv
                                        ; implicit-def: $vgpr33
	v_cmpx_lt_u32_e32 31, v0
	s_cbranch_execz .LBB111_59
; %bb.58:
	v_add_nc_u32_e32 v8, -1, v31
	ds_load_u8 v33, v8
	s_waitcnt lgkmcnt(0)
	v_add_nc_u16 v7, v33, v7
.LBB111_59:
	s_or_b32 exec_lo, exec_lo, s3
	v_add_nc_u32_e32 v8, -1, v30
	s_delay_alu instid0(VALU_DEP_2) | instskip(NEXT) | instid1(VALU_DEP_2)
	v_and_b32_e32 v7, 0xff, v7
	v_cmp_gt_i32_e64 s2, 0, v8
	s_delay_alu instid0(VALU_DEP_1) | instskip(SKIP_1) | instid1(VALU_DEP_2)
	v_cndmask_b32_e64 v8, v8, v30, s2
	v_cmp_eq_u32_e64 s2, 0, v30
	v_lshlrev_b32_e32 v8, 2, v8
	ds_bpermute_b32 v34, v8, v7
	s_and_saveexec_b32 s4, vcc_lo
	s_cbranch_execz .LBB111_77
; %bb.60:
	v_mov_b32_e32 v9, 0
	ds_load_u8 v35, v9 offset:7
	s_and_saveexec_b32 s3, s2
	s_cbranch_execz .LBB111_62
; %bb.61:
	s_waitcnt lgkmcnt(0)
	v_and_b32_e32 v7, 0xff, v35
	s_add_i32 s6, s15, 32
	s_mov_b32 s7, 0
	s_delay_alu instid0(SALU_CYCLE_1) | instskip(NEXT) | instid1(VALU_DEP_1)
	s_lshl_b64 s[6:7], s[6:7], 1
	v_or_b32_e32 v7, 0x100, v7
	s_add_u32 s6, s16, s6
	s_addc_u32 s7, s17, s7
	global_store_b16 v9, v7, s[6:7]
.LBB111_62:
	s_or_b32 exec_lo, exec_lo, s3
	v_xad_u32 v7, v30, -1, s15
	s_mov_b32 s5, 0
	s_mov_b32 s3, exec_lo
	s_delay_alu instid0(VALU_DEP_1) | instskip(NEXT) | instid1(VALU_DEP_1)
	v_add_nc_u32_e32 v8, 32, v7
	v_lshlrev_b64 v[8:9], 1, v[8:9]
	s_delay_alu instid0(VALU_DEP_1) | instskip(NEXT) | instid1(VALU_DEP_2)
	v_add_co_u32 v8, vcc_lo, s16, v8
	v_add_co_ci_u32_e32 v9, vcc_lo, s17, v9, vcc_lo
	global_load_u16 v10, v[8:9], off glc
	s_waitcnt vmcnt(0)
	v_lshrrev_b16 v36, 8, v10
	s_delay_alu instid0(VALU_DEP_1)
	v_cmpx_eq_u16_e32 0, v36
	s_cbranch_execz .LBB111_65
.LBB111_63:                             ; =>This Inner Loop Header: Depth=1
	global_load_u16 v10, v[8:9], off glc
	s_waitcnt vmcnt(0)
	v_lshrrev_b16 v36, 8, v10
	s_delay_alu instid0(VALU_DEP_1) | instskip(SKIP_1) | instid1(SALU_CYCLE_1)
	v_cmp_ne_u16_e32 vcc_lo, 0, v36
	s_or_b32 s5, vcc_lo, s5
	s_and_not1_b32 exec_lo, exec_lo, s5
	s_cbranch_execnz .LBB111_63
; %bb.64:
	s_or_b32 exec_lo, exec_lo, s5
.LBB111_65:
	s_delay_alu instid0(SALU_CYCLE_1)
	s_or_b32 exec_lo, exec_lo, s3
	v_cmp_ne_u32_e32 vcc_lo, 31, v30
	v_lshlrev_b32_e64 v38, v30, -1
	v_cmp_gt_u32_e64 s3, 30, v30
	v_add_co_ci_u32_e32 v8, vcc_lo, 0, v30, vcc_lo
	v_cmp_eq_u16_e32 vcc_lo, 2, v36
	s_delay_alu instid0(VALU_DEP_3) | instskip(SKIP_1) | instid1(VALU_DEP_4)
	v_cndmask_b32_e64 v39, 0, 1, s3
	v_cmp_gt_u32_e64 s3, 28, v30
	v_lshlrev_b32_e32 v37, 2, v8
	v_and_or_b32 v40, vcc_lo, v38, 0x80000000
	s_delay_alu instid0(VALU_DEP_4) | instskip(NEXT) | instid1(VALU_DEP_4)
	v_lshlrev_b32_e32 v39, 1, v39
	v_cndmask_b32_e64 v41, 0, 1, s3
	s_delay_alu instid0(VALU_DEP_3) | instskip(NEXT) | instid1(VALU_DEP_3)
	v_ctz_i32_b32_e32 v44, v40
	v_add_lshl_u32 v39, v39, v30, 2
	s_delay_alu instid0(VALU_DEP_3) | instskip(NEXT) | instid1(VALU_DEP_3)
	v_lshlrev_b32_e32 v41, 2, v41
	v_cmp_lt_u32_e32 vcc_lo, v30, v44
	v_and_b32_e32 v9, 0xff, v10
	s_delay_alu instid0(VALU_DEP_3) | instskip(SKIP_3) | instid1(VALU_DEP_1)
	v_add_lshl_u32 v41, v41, v30, 2
	ds_bpermute_b32 v8, v37, v9
	s_waitcnt lgkmcnt(0)
	v_add_nc_u16 v8, v10, v8
	v_and_b32_e32 v40, 0xff, v8
	v_cndmask_b32_e32 v8, v10, v8, vcc_lo
	s_delay_alu instid0(VALU_DEP_2) | instskip(SKIP_4) | instid1(VALU_DEP_2)
	v_cndmask_b32_e32 v9, v9, v40, vcc_lo
	ds_bpermute_b32 v40, v39, v9
	s_waitcnt lgkmcnt(0)
	v_add_nc_u16 v42, v8, v40
	v_add_nc_u32_e32 v40, 2, v30
	v_and_b32_e32 v43, 0xff, v42
	s_delay_alu instid0(VALU_DEP_2) | instskip(NEXT) | instid1(VALU_DEP_1)
	v_cmp_gt_u32_e64 s3, v40, v44
	v_cndmask_b32_e64 v9, v43, v9, s3
	v_cndmask_b32_e64 v8, v42, v8, s3
	v_cmp_gt_u32_e64 s3, 24, v30
	ds_bpermute_b32 v43, v41, v9
	v_cndmask_b32_e64 v42, 0, 1, s3
	s_waitcnt lgkmcnt(0)
	v_add_nc_u16 v45, v8, v43
	s_delay_alu instid0(VALU_DEP_2) | instskip(SKIP_1) | instid1(VALU_DEP_3)
	v_lshlrev_b32_e32 v43, 3, v42
	v_add_nc_u32_e32 v42, 4, v30
	v_and_b32_e32 v46, 0xff, v45
	s_delay_alu instid0(VALU_DEP_3) | instskip(NEXT) | instid1(VALU_DEP_3)
	v_add_lshl_u32 v43, v43, v30, 2
	v_cmp_gt_u32_e64 s3, v42, v44
	s_delay_alu instid0(VALU_DEP_1)
	v_cndmask_b32_e64 v9, v46, v9, s3
	v_cndmask_b32_e64 v8, v45, v8, s3
	v_cmp_gt_u32_e64 s3, 16, v30
	ds_bpermute_b32 v46, v43, v9
	v_cndmask_b32_e64 v45, 0, 1, s3
	s_waitcnt lgkmcnt(0)
	v_add_nc_u16 v48, v8, v46
	s_delay_alu instid0(VALU_DEP_2) | instskip(SKIP_1) | instid1(VALU_DEP_3)
	v_lshlrev_b32_e32 v46, 4, v45
	v_add_nc_u32_e32 v45, 8, v30
	v_and_b32_e32 v47, 0xff, v48
	s_delay_alu instid0(VALU_DEP_3) | instskip(NEXT) | instid1(VALU_DEP_3)
	v_add_lshl_u32 v46, v46, v30, 2
	v_cmp_gt_u32_e64 s3, v45, v44
	s_delay_alu instid0(VALU_DEP_1)
	v_cndmask_b32_e64 v9, v47, v9, s3
	v_add_nc_u32_e32 v47, 16, v30
	v_cndmask_b32_e64 v8, v48, v8, s3
	ds_bpermute_b32 v9, v46, v9
	v_cmp_le_u32_e64 s3, v47, v44
	s_waitcnt lgkmcnt(0)
	s_delay_alu instid0(VALU_DEP_1) | instskip(NEXT) | instid1(VALU_DEP_1)
	v_cndmask_b32_e64 v9, 0, v9, s3
	v_add_nc_u16 v8, v8, v9
	s_delay_alu instid0(VALU_DEP_1)
	v_dual_cndmask_b32 v9, v10, v8 :: v_dual_mov_b32 v8, 0
	s_branch .LBB111_67
.LBB111_66:                             ;   in Loop: Header=BB111_67 Depth=1
	s_or_b32 exec_lo, exec_lo, s3
	v_cmp_eq_u16_e32 vcc_lo, 2, v36
	v_subrev_nc_u32_e32 v7, 32, v7
	v_and_or_b32 v49, vcc_lo, v38, 0x80000000
	s_delay_alu instid0(VALU_DEP_1) | instskip(NEXT) | instid1(VALU_DEP_1)
	v_ctz_i32_b32_e32 v49, v49
	v_cmp_lt_u32_e32 vcc_lo, v30, v49
	v_and_b32_e32 v9, 0xff, v48
	v_cmp_gt_u32_e64 s3, v40, v49
	ds_bpermute_b32 v10, v37, v9
	s_waitcnt lgkmcnt(0)
	v_add_nc_u16 v10, v48, v10
	s_delay_alu instid0(VALU_DEP_1) | instskip(SKIP_1) | instid1(VALU_DEP_2)
	v_and_b32_e32 v50, 0xff, v10
	v_cndmask_b32_e32 v10, v48, v10, vcc_lo
	v_cndmask_b32_e32 v9, v9, v50, vcc_lo
	ds_bpermute_b32 v50, v39, v9
	s_waitcnt lgkmcnt(0)
	v_add_nc_u16 v50, v10, v50
	s_delay_alu instid0(VALU_DEP_1) | instskip(SKIP_1) | instid1(VALU_DEP_2)
	v_and_b32_e32 v51, 0xff, v50
	v_cndmask_b32_e64 v10, v50, v10, s3
	v_cndmask_b32_e64 v9, v51, v9, s3
	v_cmp_gt_u32_e64 s3, v42, v49
	ds_bpermute_b32 v51, v41, v9
	s_waitcnt lgkmcnt(0)
	v_add_nc_u16 v50, v10, v51
	s_delay_alu instid0(VALU_DEP_1) | instskip(SKIP_1) | instid1(VALU_DEP_2)
	v_and_b32_e32 v51, 0xff, v50
	v_cndmask_b32_e64 v10, v50, v10, s3
	v_cndmask_b32_e64 v9, v51, v9, s3
	v_cmp_gt_u32_e64 s3, v45, v49
	ds_bpermute_b32 v51, v43, v9
	s_waitcnt lgkmcnt(0)
	v_add_nc_u16 v50, v10, v51
	s_delay_alu instid0(VALU_DEP_1) | instskip(SKIP_1) | instid1(VALU_DEP_2)
	v_and_b32_e32 v51, 0xff, v50
	v_cndmask_b32_e64 v10, v50, v10, s3
	v_cndmask_b32_e64 v9, v51, v9, s3
	v_cmp_le_u32_e64 s3, v47, v49
	ds_bpermute_b32 v9, v46, v9
	s_waitcnt lgkmcnt(0)
	v_cndmask_b32_e64 v9, 0, v9, s3
	s_delay_alu instid0(VALU_DEP_1) | instskip(NEXT) | instid1(VALU_DEP_1)
	v_add_nc_u16 v9, v10, v9
	v_cndmask_b32_e32 v9, v48, v9, vcc_lo
	s_delay_alu instid0(VALU_DEP_1)
	v_add_nc_u16 v9, v9, v44
.LBB111_67:                             ; =>This Loop Header: Depth=1
                                        ;     Child Loop BB111_70 Depth 2
	v_and_b32_e32 v10, 0xff, v36
	s_delay_alu instid0(VALU_DEP_2) | instskip(NEXT) | instid1(VALU_DEP_2)
	v_mov_b32_e32 v44, v9
	v_cmp_ne_u16_e32 vcc_lo, 2, v10
	v_cndmask_b32_e64 v10, 0, 1, vcc_lo
	;;#ASMSTART
	;;#ASMEND
	s_delay_alu instid0(VALU_DEP_1)
	v_cmp_ne_u32_e32 vcc_lo, 0, v10
	s_cmp_lg_u32 vcc_lo, exec_lo
	s_cbranch_scc1 .LBB111_72
; %bb.68:                               ;   in Loop: Header=BB111_67 Depth=1
	v_lshlrev_b64 v[9:10], 1, v[7:8]
	s_mov_b32 s3, exec_lo
	s_delay_alu instid0(VALU_DEP_1) | instskip(NEXT) | instid1(VALU_DEP_2)
	v_add_co_u32 v9, vcc_lo, s16, v9
	v_add_co_ci_u32_e32 v10, vcc_lo, s17, v10, vcc_lo
	global_load_u16 v48, v[9:10], off glc
	s_waitcnt vmcnt(0)
	v_lshrrev_b16 v36, 8, v48
	s_delay_alu instid0(VALU_DEP_1)
	v_cmpx_eq_u16_e32 0, v36
	s_cbranch_execz .LBB111_66
; %bb.69:                               ;   in Loop: Header=BB111_67 Depth=1
	s_mov_b32 s5, 0
.LBB111_70:                             ;   Parent Loop BB111_67 Depth=1
                                        ; =>  This Inner Loop Header: Depth=2
	global_load_u16 v48, v[9:10], off glc
	s_waitcnt vmcnt(0)
	v_lshrrev_b16 v36, 8, v48
	s_delay_alu instid0(VALU_DEP_1) | instskip(SKIP_1) | instid1(SALU_CYCLE_1)
	v_cmp_ne_u16_e32 vcc_lo, 0, v36
	s_or_b32 s5, vcc_lo, s5
	s_and_not1_b32 exec_lo, exec_lo, s5
	s_cbranch_execnz .LBB111_70
; %bb.71:                               ;   in Loop: Header=BB111_67 Depth=1
	s_or_b32 exec_lo, exec_lo, s5
	s_branch .LBB111_66
.LBB111_72:                             ;   in Loop: Header=BB111_67 Depth=1
                                        ; implicit-def: $vgpr9
                                        ; implicit-def: $vgpr36
	s_cbranch_execz .LBB111_67
; %bb.73:
	s_and_saveexec_b32 s3, s2
	s_cbranch_execz .LBB111_75
; %bb.74:
	v_add_nc_u16 v7, v44, v35
	s_add_i32 s6, s15, 32
	s_mov_b32 s7, 0
	v_mov_b32_e32 v8, 0
	s_lshl_b64 s[6:7], s[6:7], 1
	v_and_b32_e32 v7, 0xff, v7
	s_add_u32 s6, s16, s6
	s_addc_u32 s7, s17, s7
	s_delay_alu instid0(VALU_DEP_1)
	v_or_b32_e32 v7, 0x200, v7
	global_store_b16 v8, v7, s[6:7]
.LBB111_75:
	s_or_b32 exec_lo, exec_lo, s3
	v_cmp_eq_u32_e32 vcc_lo, 0, v0
	s_and_b32 exec_lo, exec_lo, vcc_lo
	s_cbranch_execz .LBB111_77
; %bb.76:
	v_mov_b32_e32 v7, 0
	ds_store_b8 v7, v44 offset:7
.LBB111_77:
	s_or_b32 exec_lo, exec_lo, s4
	s_waitcnt lgkmcnt(0)
	v_cndmask_b32_e64 v8, v34, v33, s2
	v_cmp_ne_u32_e32 vcc_lo, 0, v0
	v_mov_b32_e32 v7, 0
	s_waitcnt_vscnt null, 0x0
	s_barrier
	buffer_gl0_inv
	v_cndmask_b32_e32 v8, 0, v8, vcc_lo
	ds_load_u8 v7, v7 offset:7
	v_add_nc_u16 v8, v8, v1
	s_waitcnt lgkmcnt(0)
	s_delay_alu instid0(VALU_DEP_1) | instskip(NEXT) | instid1(VALU_DEP_1)
	v_add_nc_u16 v7, v8, v7
	v_add_nc_u16 v8, v7, v27
	s_delay_alu instid0(VALU_DEP_1) | instskip(NEXT) | instid1(VALU_DEP_1)
	v_add_nc_u16 v9, v8, v28
	v_add_nc_u16 v10, v9, v29
	;; [unrolled: 3-line block ×12, first 2 shown]
	s_load_b256 s[4:11], s[0:1], 0x38
	s_branch .LBB111_92
.LBB111_78:
                                        ; implicit-def: $vgpr7
                                        ; implicit-def: $vgpr8
                                        ; implicit-def: $vgpr9
                                        ; implicit-def: $vgpr10
                                        ; implicit-def: $vgpr33
                                        ; implicit-def: $vgpr34
                                        ; implicit-def: $vgpr35
                                        ; implicit-def: $vgpr36
                                        ; implicit-def: $vgpr37
                                        ; implicit-def: $vgpr38
                                        ; implicit-def: $vgpr39
                                        ; implicit-def: $vgpr40
                                        ; implicit-def: $vgpr42
                                        ; implicit-def: $vgpr45
                                        ; implicit-def: $vgpr46
                                        ; implicit-def: $vgpr48
                                        ; implicit-def: $vgpr41
                                        ; implicit-def: $vgpr43
                                        ; implicit-def: $vgpr44
                                        ; implicit-def: $vgpr47
                                        ; implicit-def: $vgpr49
                                        ; implicit-def: $vgpr50
                                        ; implicit-def: $vgpr51
                                        ; implicit-def: $vgpr52
	s_load_b256 s[4:11], s[0:1], 0x38
	s_cbranch_execz .LBB111_92
; %bb.79:
	v_cmp_eq_u32_e64 s0, 0, v0
	s_waitcnt lgkmcnt(0)
	s_cmp_lg_u64 s[8:9], 0
	v_cmp_ne_u32_e32 vcc_lo, 0, v0
	v_mov_b32_e32 v7, v1
	s_cselect_b32 s1, -1, 0
	s_delay_alu instid0(SALU_CYCLE_1) | instskip(NEXT) | instid1(SALU_CYCLE_1)
	s_and_b32 s1, s0, s1
	s_and_saveexec_b32 s0, s1
	s_cbranch_execz .LBB111_81
; %bb.80:
	v_mov_b32_e32 v7, 0
	global_load_u8 v7, v7, s[4:5]
	s_waitcnt vmcnt(0)
	v_add_nc_u16 v7, v7, v1
.LBB111_81:
	s_or_b32 exec_lo, exec_lo, s0
	s_delay_alu instid0(VALU_DEP_1) | instskip(SKIP_2) | instid1(VALU_DEP_2)
	v_add_nc_u16 v8, v7, v27
	v_and_b32_e32 v53, 15, v30
	s_mov_b32 s1, exec_lo
	v_add_nc_u16 v9, v8, v28
	s_delay_alu instid0(VALU_DEP_2) | instskip(NEXT) | instid1(VALU_DEP_2)
	v_cmp_ne_u32_e64 s0, 0, v53
	v_add_nc_u16 v10, v9, v29
	s_delay_alu instid0(VALU_DEP_1) | instskip(NEXT) | instid1(VALU_DEP_1)
	v_add_nc_u16 v33, v10, v2
	v_add_nc_u16 v34, v33, v24
	s_delay_alu instid0(VALU_DEP_1) | instskip(NEXT) | instid1(VALU_DEP_1)
	v_add_nc_u16 v35, v34, v25
	;; [unrolled: 3-line block ×10, first 2 shown]
	v_add_nc_u16 v52, v51, v14
	s_delay_alu instid0(VALU_DEP_1) | instskip(NEXT) | instid1(VALU_DEP_1)
	v_and_b32_e32 v1, 0xff, v52
	v_mov_b32_dpp v1, v1 row_shr:1 row_mask:0xf bank_mask:0xf
	s_delay_alu instid0(VALU_DEP_1) | instskip(SKIP_1) | instid1(VALU_DEP_2)
	v_cndmask_b32_e64 v1, 0, v1, s0
	v_cmp_lt_u32_e64 s0, 1, v53
	v_add_nc_u16 v1, v52, v1
	s_delay_alu instid0(VALU_DEP_1) | instskip(NEXT) | instid1(VALU_DEP_1)
	v_and_b32_e32 v54, 0xff, v1
	v_mov_b32_dpp v54, v54 row_shr:2 row_mask:0xf bank_mask:0xf
	s_delay_alu instid0(VALU_DEP_1) | instskip(SKIP_1) | instid1(VALU_DEP_2)
	v_cndmask_b32_e64 v54, 0, v54, s0
	v_cmp_lt_u32_e64 s0, 3, v53
	;; [unrolled: 7-line block ×3, first 2 shown]
	v_add_nc_u16 v1, v1, v54
	s_delay_alu instid0(VALU_DEP_1) | instskip(NEXT) | instid1(VALU_DEP_1)
	v_and_b32_e32 v54, 0xff, v1
	v_mov_b32_dpp v54, v54 row_shr:8 row_mask:0xf bank_mask:0xf
	s_delay_alu instid0(VALU_DEP_1) | instskip(SKIP_1) | instid1(VALU_DEP_2)
	v_cndmask_b32_e64 v53, 0, v54, s0
	v_and_b32_e32 v54, 16, v30
	v_add_nc_u16 v1, v1, v53
	s_delay_alu instid0(VALU_DEP_2) | instskip(NEXT) | instid1(VALU_DEP_2)
	v_cmp_ne_u32_e64 s0, 0, v54
	v_and_b32_e32 v53, 0xff, v1
	ds_swizzle_b32 v53, v53 offset:swizzle(BROADCAST,32,15)
	s_waitcnt lgkmcnt(0)
	v_cndmask_b32_e64 v53, 0, v53, s0
	s_delay_alu instid0(VALU_DEP_1)
	v_add_nc_u16 v1, v1, v53
	v_cmpx_eq_u32_e64 v32, v0
	s_cbranch_execz .LBB111_83
; %bb.82:
	ds_store_b8 v31, v1
.LBB111_83:
	s_or_b32 exec_lo, exec_lo, s1
	s_delay_alu instid0(SALU_CYCLE_1)
	s_mov_b32 s1, exec_lo
	s_waitcnt lgkmcnt(0)
	s_barrier
	buffer_gl0_inv
	v_cmpx_gt_u32_e32 8, v0
	s_cbranch_execz .LBB111_85
; %bb.84:
	ds_load_u8 v32, v0
	v_and_b32_e32 v54, 7, v30
	s_delay_alu instid0(VALU_DEP_1) | instskip(SKIP_2) | instid1(VALU_DEP_1)
	v_cmp_ne_u32_e64 s0, 0, v54
	s_waitcnt lgkmcnt(0)
	v_and_b32_e32 v53, 0xff, v32
	v_mov_b32_dpp v53, v53 row_shr:1 row_mask:0xf bank_mask:0xf
	s_delay_alu instid0(VALU_DEP_1) | instskip(SKIP_1) | instid1(VALU_DEP_2)
	v_cndmask_b32_e64 v53, 0, v53, s0
	v_cmp_lt_u32_e64 s0, 1, v54
	v_add_nc_u16 v32, v53, v32
	s_delay_alu instid0(VALU_DEP_1) | instskip(NEXT) | instid1(VALU_DEP_1)
	v_and_b32_e32 v53, 0xff, v32
	v_mov_b32_dpp v53, v53 row_shr:2 row_mask:0xf bank_mask:0xf
	s_delay_alu instid0(VALU_DEP_1) | instskip(SKIP_1) | instid1(VALU_DEP_2)
	v_cndmask_b32_e64 v53, 0, v53, s0
	v_cmp_lt_u32_e64 s0, 3, v54
	v_add_nc_u16 v32, v32, v53
	s_delay_alu instid0(VALU_DEP_1) | instskip(NEXT) | instid1(VALU_DEP_1)
	v_and_b32_e32 v53, 0xff, v32
	v_mov_b32_dpp v53, v53 row_shr:4 row_mask:0xf bank_mask:0xf
	s_delay_alu instid0(VALU_DEP_1) | instskip(NEXT) | instid1(VALU_DEP_1)
	v_cndmask_b32_e64 v53, 0, v53, s0
	v_add_nc_u16 v32, v32, v53
	ds_store_b8 v0, v32
.LBB111_85:
	s_or_b32 exec_lo, exec_lo, s1
	s_delay_alu instid0(SALU_CYCLE_1)
	s_mov_b32 s1, exec_lo
	s_waitcnt lgkmcnt(0)
	s_barrier
	buffer_gl0_inv
                                        ; implicit-def: $vgpr32
	v_cmpx_lt_u32_e32 31, v0
	s_cbranch_execz .LBB111_87
; %bb.86:
	v_add_nc_u32_e32 v31, -1, v31
	ds_load_u8 v32, v31
	s_waitcnt lgkmcnt(0)
	v_add_nc_u16 v1, v32, v1
.LBB111_87:
	s_or_b32 exec_lo, exec_lo, s1
	v_add_nc_u32_e32 v31, -1, v30
	s_delay_alu instid0(VALU_DEP_2) | instskip(NEXT) | instid1(VALU_DEP_2)
	v_and_b32_e32 v1, 0xff, v1
	v_cmp_gt_i32_e64 s0, 0, v31
	s_delay_alu instid0(VALU_DEP_1) | instskip(NEXT) | instid1(VALU_DEP_1)
	v_cndmask_b32_e64 v31, v31, v30, s0
	v_lshlrev_b32_e32 v31, 2, v31
	ds_bpermute_b32 v1, v31, v1
	s_and_saveexec_b32 s0, vcc_lo
	s_cbranch_execz .LBB111_89
; %bb.88:
	v_cmp_eq_u32_e32 vcc_lo, 0, v30
	;;#ASMSTART
	;;#ASMEND
	s_waitcnt lgkmcnt(0)
	v_cndmask_b32_e32 v1, v1, v32, vcc_lo
	s_delay_alu instid0(VALU_DEP_1) | instskip(NEXT) | instid1(VALU_DEP_1)
	v_add_nc_u16 v7, v1, v7
	v_add_nc_u16 v8, v7, v27
	s_delay_alu instid0(VALU_DEP_1) | instskip(NEXT) | instid1(VALU_DEP_1)
	v_add_nc_u16 v9, v8, v28
	v_add_nc_u16 v10, v9, v29
	;; [unrolled: 3-line block ×12, first 2 shown]
.LBB111_89:
	s_or_b32 exec_lo, exec_lo, s0
	s_delay_alu instid0(SALU_CYCLE_1)
	s_mov_b32 s0, exec_lo
	v_cmpx_eq_u32_e32 0xff, v0
	s_cbranch_execz .LBB111_91
; %bb.90:
	s_waitcnt lgkmcnt(0)
	v_dual_mov_b32 v2, 0 :: v_dual_and_b32 v1, 0xff, v52
	s_delay_alu instid0(VALU_DEP_1)
	v_or_b32_e32 v1, 0x200, v1
	global_store_b16 v2, v1, s[16:17] offset:64
.LBB111_91:
	s_or_b32 exec_lo, exec_lo, s0
.LBB111_92:
	s_lshl_b64 s[0:1], s[18:19], 2
	v_lshlrev_b16 v21, 8, v45
	s_add_u32 s2, s20, s0
	s_addc_u32 s3, s21, s1
	s_lshl_b64 s[0:1], s[12:13], 2
	v_and_b32_e32 v25, 0xff, v42
	v_lshlrev_b16 v22, 8, v48
	v_and_b32_e32 v26, 0xff, v46
	v_lshlrev_b16 v19, 8, v38
	;; [unrolled: 2-line block ×9, first 2 shown]
	v_and_b32_e32 v9, 0xff, v51
	s_waitcnt lgkmcnt(0)
	v_lshlrev_b16 v1, 8, v43
	v_and_b32_e32 v6, 0xff, v41
	v_lshlrev_b16 v3, 8, v47
	v_and_b32_e32 v7, 0xff, v44
	v_lshlrev_b32_e32 v2, 2, v0
	s_add_u32 s0, s2, s0
	s_addc_u32 s1, s3, s1
	s_and_b32 vcc_lo, exec_lo, s23
	s_mov_b32 s2, -1
	s_waitcnt_vscnt null, 0x0
	s_barrier
	buffer_gl0_inv
	s_cbranch_vccz .LBB111_94
; %bb.93:
	v_or_b32_e32 v27, v25, v21
	v_or_b32_e32 v28, v26, v22
	;; [unrolled: 1-line block ×5, first 2 shown]
	v_and_b32_e32 v27, 0xffff, v27
	v_lshlrev_b32_e32 v28, 16, v28
	v_or_b32_e32 v33, v16, v13
	v_or_b32_e32 v29, v23, v19
	;; [unrolled: 1-line block ×5, first 2 shown]
	v_lshlrev_b32_e32 v27, 16, v30
	v_and_b32_e32 v30, 0xffff, v31
	v_lshlrev_b32_e32 v31, 16, v32
	v_and_b32_e32 v32, 0xffff, v33
	v_or_b32_e32 v33, v12, v10
	v_or_b32_e32 v36, v6, v1
	;; [unrolled: 1-line block ×3, first 2 shown]
	v_and_b32_e32 v29, 0xffff, v29
	v_and_b32_e32 v34, 0xffff, v34
	v_lshlrev_b32_e32 v33, 16, v33
	v_lshlrev_b32_e32 v35, 16, v35
	v_and_b32_e32 v36, 0xffff, v36
	v_lshlrev_b32_e32 v37, 16, v37
	v_or_b32_e32 v27, v29, v27
	v_or_b32_e32 v30, v30, v31
	;; [unrolled: 1-line block ×5, first 2 shown]
	ds_store_2addr_b64 v11, v[29:30], v[27:28] offset1:1
	ds_store_b64 v11, v[31:32] offset:16
	v_add_co_u32 v27, s2, s0, v2
	s_waitcnt lgkmcnt(0)
	s_barrier
	buffer_gl0_inv
	ds_load_u8 v31, v0
	ds_load_u8 v32, v0 offset:256
	ds_load_u8 v33, v0 offset:512
	;; [unrolled: 1-line block ×23, first 2 shown]
	v_add_co_ci_u32_e64 v28, null, s1, 0, s2
	v_add_co_u32 v29, vcc_lo, 0x1000, v27
	s_mov_b32 s2, 0
	s_delay_alu instid0(VALU_DEP_2)
	v_add_co_ci_u32_e32 v30, vcc_lo, 0, v28, vcc_lo
	s_waitcnt lgkmcnt(23)
	flat_store_b32 v[27:28], v31
	s_waitcnt lgkmcnt(23)
	flat_store_b32 v[27:28], v32 offset:1024
	s_waitcnt lgkmcnt(23)
	flat_store_b32 v[27:28], v33 offset:2048
	s_waitcnt lgkmcnt(23)
	flat_store_b32 v[27:28], v34 offset:3072
	s_waitcnt lgkmcnt(23)
	flat_store_b32 v[29:30], v35
	s_waitcnt lgkmcnt(23)
	flat_store_b32 v[29:30], v36 offset:1024
	s_waitcnt lgkmcnt(23)
	flat_store_b32 v[29:30], v37 offset:2048
	;; [unrolled: 2-line block ×3, first 2 shown]
	v_add_co_u32 v29, vcc_lo, 0x2000, v27
	v_add_co_ci_u32_e32 v30, vcc_lo, 0, v28, vcc_lo
	v_add_co_u32 v31, vcc_lo, 0x3000, v27
	v_add_co_ci_u32_e32 v32, vcc_lo, 0, v28, vcc_lo
	s_waitcnt lgkmcnt(23)
	flat_store_b32 v[29:30], v39
	s_waitcnt lgkmcnt(23)
	flat_store_b32 v[29:30], v40 offset:1024
	s_waitcnt lgkmcnt(23)
	flat_store_b32 v[29:30], v41 offset:2048
	;; [unrolled: 2-line block ×3, first 2 shown]
	s_waitcnt lgkmcnt(23)
	flat_store_b32 v[31:32], v43
	s_waitcnt lgkmcnt(23)
	flat_store_b32 v[31:32], v44 offset:1024
	s_waitcnt lgkmcnt(23)
	flat_store_b32 v[31:32], v45 offset:2048
	;; [unrolled: 2-line block ×3, first 2 shown]
	v_add_co_u32 v29, vcc_lo, 0x4000, v27
	v_add_co_ci_u32_e32 v30, vcc_lo, 0, v28, vcc_lo
	v_add_co_u32 v27, vcc_lo, 0x5000, v27
	v_add_co_ci_u32_e32 v28, vcc_lo, 0, v28, vcc_lo
	s_waitcnt lgkmcnt(23)
	flat_store_b32 v[29:30], v47
	s_waitcnt lgkmcnt(23)
	flat_store_b32 v[29:30], v48 offset:1024
	s_waitcnt lgkmcnt(23)
	flat_store_b32 v[29:30], v49 offset:2048
	;; [unrolled: 2-line block ×3, first 2 shown]
	s_waitcnt lgkmcnt(23)
	flat_store_b32 v[27:28], v51
	s_waitcnt lgkmcnt(23)
	flat_store_b32 v[27:28], v52 offset:1024
	s_waitcnt lgkmcnt(23)
	flat_store_b32 v[27:28], v53 offset:2048
	;; [unrolled: 2-line block ×3, first 2 shown]
.LBB111_94:
	s_and_not1_b32 vcc_lo, exec_lo, s2
	s_cbranch_vccnz .LBB111_151
; %bb.95:
	v_or_b32_e32 v21, v25, v21
	v_or_b32_e32 v22, v26, v22
	;; [unrolled: 1-line block ×12, first 2 shown]
	v_and_b32_e32 v21, 0xffff, v21
	v_lshlrev_b32_e32 v22, 16, v22
	v_and_b32_e32 v17, 0xffff, v19
	v_lshlrev_b32_e32 v18, 16, v20
	;; [unrolled: 2-line block ×6, first 2 shown]
	v_or_b32_e32 v12, v17, v18
	v_or_b32_e32 v4, v14, v15
	;; [unrolled: 1-line block ×5, first 2 shown]
	v_mov_b32_e32 v1, 0
	v_or_b32_e32 v13, v21, v22
	ds_store_2addr_b64 v11, v[3:4], v[12:13] offset1:1
	ds_store_b64 v11, v[5:6] offset:16
	s_waitcnt lgkmcnt(0)
	s_waitcnt_vscnt null, 0x0
	s_barrier
	buffer_gl0_inv
	ds_load_u8 v5, v0
	ds_load_u8 v4, v0 offset:256
	ds_load_u8 v7, v0 offset:512
	;; [unrolled: 1-line block ×23, first 2 shown]
	v_add_co_u32 v2, s0, s0, v2
	s_delay_alu instid0(VALU_DEP_1)
	v_add_co_ci_u32_e64 v3, null, s1, 0, s0
	s_mov_b32 s0, exec_lo
	v_cmpx_gt_u32_e64 s14, v0
	s_cbranch_execz .LBB111_97
; %bb.96:
	s_waitcnt lgkmcnt(23)
	v_and_b32_e32 v29, 0xff, v5
	flat_store_b32 v[2:3], v29
.LBB111_97:
	s_or_b32 exec_lo, exec_lo, s0
	v_or_b32_e32 v29, 0x100, v0
	s_mov_b32 s0, exec_lo
	s_delay_alu instid0(VALU_DEP_1)
	v_cmpx_gt_u32_e64 s14, v29
	s_cbranch_execz .LBB111_99
; %bb.98:
	s_waitcnt lgkmcnt(22)
	v_and_b32_e32 v29, 0xff, v4
	flat_store_b32 v[2:3], v29 offset:1024
.LBB111_99:
	s_or_b32 exec_lo, exec_lo, s0
	v_or_b32_e32 v29, 0x200, v0
	s_mov_b32 s0, exec_lo
	s_delay_alu instid0(VALU_DEP_1)
	v_cmpx_gt_u32_e64 s14, v29
	s_cbranch_execz .LBB111_101
; %bb.100:
	s_waitcnt lgkmcnt(21)
	v_and_b32_e32 v29, 0xff, v7
	flat_store_b32 v[2:3], v29 offset:2048
.LBB111_101:
	;; [unrolled: 11-line block ×3, first 2 shown]
	s_or_b32 exec_lo, exec_lo, s0
	v_or_b32_e32 v29, 0x400, v0
	s_mov_b32 s0, exec_lo
	s_delay_alu instid0(VALU_DEP_1)
	v_cmpx_gt_u32_e64 s14, v29
	s_cbranch_execz .LBB111_105
; %bb.104:
	v_add_co_u32 v29, vcc_lo, 0x1000, v2
	s_waitcnt lgkmcnt(19)
	v_and_b32_e32 v31, 0xff, v6
	v_add_co_ci_u32_e32 v30, vcc_lo, 0, v3, vcc_lo
	flat_store_b32 v[29:30], v31
.LBB111_105:
	s_or_b32 exec_lo, exec_lo, s0
	v_or_b32_e32 v29, 0x500, v0
	s_mov_b32 s0, exec_lo
	s_delay_alu instid0(VALU_DEP_1)
	v_cmpx_gt_u32_e64 s14, v29
	s_cbranch_execz .LBB111_107
; %bb.106:
	v_add_co_u32 v29, vcc_lo, 0x1000, v2
	s_waitcnt lgkmcnt(18)
	v_and_b32_e32 v31, 0xff, v9
	v_add_co_ci_u32_e32 v30, vcc_lo, 0, v3, vcc_lo
	flat_store_b32 v[29:30], v31 offset:1024
.LBB111_107:
	s_or_b32 exec_lo, exec_lo, s0
	v_or_b32_e32 v29, 0x600, v0
	s_mov_b32 s0, exec_lo
	s_delay_alu instid0(VALU_DEP_1)
	v_cmpx_gt_u32_e64 s14, v29
	s_cbranch_execz .LBB111_109
; %bb.108:
	v_add_co_u32 v29, vcc_lo, 0x1000, v2
	s_waitcnt lgkmcnt(17)
	v_and_b32_e32 v31, 0xff, v18
	v_add_co_ci_u32_e32 v30, vcc_lo, 0, v3, vcc_lo
	flat_store_b32 v[29:30], v31 offset:2048
.LBB111_109:
	s_or_b32 exec_lo, exec_lo, s0
	v_or_b32_e32 v29, 0x700, v0
	s_mov_b32 s0, exec_lo
	s_delay_alu instid0(VALU_DEP_1)
	v_cmpx_gt_u32_e64 s14, v29
	s_cbranch_execz .LBB111_111
; %bb.110:
	v_add_co_u32 v29, vcc_lo, 0x1000, v2
	s_waitcnt lgkmcnt(16)
	v_and_b32_e32 v31, 0xff, v15
	v_add_co_ci_u32_e32 v30, vcc_lo, 0, v3, vcc_lo
	flat_store_b32 v[29:30], v31 offset:3072
.LBB111_111:
	s_or_b32 exec_lo, exec_lo, s0
	v_or_b32_e32 v29, 0x800, v0
	s_mov_b32 s0, exec_lo
	s_delay_alu instid0(VALU_DEP_1)
	v_cmpx_gt_u32_e64 s14, v29
	s_cbranch_execz .LBB111_113
; %bb.112:
	v_add_co_u32 v29, vcc_lo, 0x2000, v2
	s_waitcnt lgkmcnt(15)
	v_and_b32_e32 v31, 0xff, v17
	v_add_co_ci_u32_e32 v30, vcc_lo, 0, v3, vcc_lo
	flat_store_b32 v[29:30], v31
.LBB111_113:
	s_or_b32 exec_lo, exec_lo, s0
	v_or_b32_e32 v29, 0x900, v0
	s_mov_b32 s0, exec_lo
	s_delay_alu instid0(VALU_DEP_1)
	v_cmpx_gt_u32_e64 s14, v29
	s_cbranch_execz .LBB111_115
; %bb.114:
	v_add_co_u32 v29, vcc_lo, 0x2000, v2
	s_waitcnt lgkmcnt(14)
	v_and_b32_e32 v31, 0xff, v24
	v_add_co_ci_u32_e32 v30, vcc_lo, 0, v3, vcc_lo
	flat_store_b32 v[29:30], v31 offset:1024
.LBB111_115:
	s_or_b32 exec_lo, exec_lo, s0
	v_or_b32_e32 v29, 0xa00, v0
	s_mov_b32 s0, exec_lo
	s_delay_alu instid0(VALU_DEP_1)
	v_cmpx_gt_u32_e64 s14, v29
	s_cbranch_execz .LBB111_117
; %bb.116:
	v_add_co_u32 v29, vcc_lo, 0x2000, v2
	s_waitcnt lgkmcnt(13)
	v_and_b32_e32 v31, 0xff, v21
	v_add_co_ci_u32_e32 v30, vcc_lo, 0, v3, vcc_lo
	flat_store_b32 v[29:30], v31 offset:2048
.LBB111_117:
	s_or_b32 exec_lo, exec_lo, s0
	v_or_b32_e32 v29, 0xb00, v0
	s_mov_b32 s0, exec_lo
	s_delay_alu instid0(VALU_DEP_1)
	v_cmpx_gt_u32_e64 s14, v29
	s_cbranch_execz .LBB111_119
; %bb.118:
	v_add_co_u32 v29, vcc_lo, 0x2000, v2
	s_waitcnt lgkmcnt(12)
	v_and_b32_e32 v31, 0xff, v20
	v_add_co_ci_u32_e32 v30, vcc_lo, 0, v3, vcc_lo
	flat_store_b32 v[29:30], v31 offset:3072
.LBB111_119:
	;; [unrolled: 52-line block ×5, first 2 shown]
	s_or_b32 exec_lo, exec_lo, s0
	v_cmp_lt_u64_e64 s0, s[10:11], 2
	s_delay_alu instid0(VALU_DEP_1)
	s_and_b32 vcc_lo, exec_lo, s0
	s_cbranch_vccnz .LBB111_151
; %bb.144:
	s_add_u32 s0, s14, -1
	s_addc_u32 s1, s22, -1
	s_add_u32 s2, 0, 0xaaaa0000
	s_addc_u32 s3, 0, 42
	s_mul_hi_u32 s5, s2, 0xffffffe8
	s_add_i32 s3, s3, 0xaaaaa80
	s_sub_i32 s5, s5, s2
	s_mul_i32 s8, s3, 0xffffffe8
	s_mul_i32 s4, s2, 0xffffffe8
	s_add_i32 s5, s5, s8
	s_mul_hi_u32 s9, s3, s4
	s_mul_i32 s8, s3, s4
	s_mul_i32 s10, s2, s5
	s_mul_hi_u32 s4, s2, s4
	s_mul_hi_u32 s11, s2, s5
	s_add_u32 s4, s4, s10
	s_addc_u32 s10, 0, s11
	s_mul_hi_u32 s11, s3, s5
	s_add_u32 s4, s4, s8
	s_addc_u32 s4, s10, s9
	s_mul_i32 s5, s3, s5
	s_addc_u32 s8, s11, 0
	s_add_u32 s4, s4, s5
	s_delay_alu instid0(SALU_CYCLE_1) | instskip(SKIP_2) | instid1(VALU_DEP_1)
	v_add_co_u32 v2, s2, s2, s4
	s_addc_u32 s4, 0, s8
	s_cmp_lg_u32 s2, 0
	v_readfirstlane_b32 s2, v2
	s_addc_u32 s3, s3, s4
	s_delay_alu instid0(SALU_CYCLE_1) | instskip(SKIP_1) | instid1(VALU_DEP_1)
	s_mul_i32 s4, s0, s3
	s_mul_hi_u32 s8, s0, s3
	s_mul_hi_u32 s5, s0, s2
	s_mul_i32 s9, s1, s2
	s_add_u32 s4, s5, s4
	s_addc_u32 s5, 0, s8
	s_mul_hi_u32 s2, s1, s2
	s_mul_hi_u32 s8, s1, s3
	s_add_u32 s4, s4, s9
	s_addc_u32 s2, s5, s2
	s_mul_i32 s3, s1, s3
	s_addc_u32 s4, s8, 0
	s_add_u32 s2, s2, s3
	s_addc_u32 s3, 0, s4
	s_mul_i32 s5, s2, 24
	s_add_u32 s4, s2, 1
	v_sub_co_u32 v2, s5, s0, s5
	s_addc_u32 s8, s3, 0
	s_mul_i32 s10, s3, 24
	s_mul_hi_u32 s12, s2, 24
	s_delay_alu instid0(VALU_DEP_1)
	v_sub_co_u32 v3, s11, v2, 24
	s_add_u32 s9, s2, 2
	s_addc_u32 s13, s3, 0
	s_add_i32 s12, s12, s10
	s_cmp_lg_u32 s5, 0
	v_readfirstlane_b32 s5, v3
	s_subb_u32 s10, s1, s12
	s_cmp_lg_u32 s11, 0
	s_subb_u32 s11, s10, 0
	s_delay_alu instid0(VALU_DEP_1) | instskip(SKIP_4) | instid1(SALU_CYCLE_1)
	s_cmp_gt_u32 s5, 23
	s_cselect_b32 s5, -1, 0
	s_cmp_eq_u32 s11, 0
	v_readfirstlane_b32 s11, v2
	s_cselect_b32 s5, s5, -1
	s_cmp_lg_u32 s5, 0
	s_cselect_b32 s4, s9, s4
	s_cselect_b32 s5, s13, s8
	s_cmp_gt_u32 s11, 23
	s_cselect_b32 s8, -1, 0
	s_cmp_eq_u32 s10, 0
	s_cselect_b32 s8, s8, -1
	s_delay_alu instid0(SALU_CYCLE_1) | instskip(SKIP_2) | instid1(SALU_CYCLE_1)
	s_cmp_lg_u32 s8, 0
	s_cselect_b32 s3, s5, s3
	s_cselect_b32 s2, s4, s2
	v_cmp_eq_u64_e32 vcc_lo, s[2:3], v[0:1]
	s_and_saveexec_b32 s2, vcc_lo
	s_cbranch_execz .LBB111_151
; %bb.145:
	v_mul_hi_u32_u24_e32 v1, 24, v0
	v_sub_co_u32 v0, vcc_lo, s0, v11
	s_mov_b32 s0, 0
	s_mov_b32 s4, 0
	s_delay_alu instid0(VALU_DEP_2) | instskip(SKIP_3) | instid1(VALU_DEP_1)
	v_sub_co_ci_u32_e32 v1, vcc_lo, s1, v1, vcc_lo
	s_mov_b32 s3, 0
	s_mov_b32 s2, 0
	s_mov_b32 s1, exec_lo
	v_cmpx_lt_i64_e32 11, v[0:1]
	s_xor_b32 s1, exec_lo, s1
	s_cbranch_execnz .LBB111_152
; %bb.146:
	s_and_not1_saveexec_b32 s1, s1
	s_cbranch_execnz .LBB111_197
.LBB111_147:
	s_or_b32 exec_lo, exec_lo, s1
	s_and_saveexec_b32 s1, s4
	s_cbranch_execnz .LBB111_214
.LBB111_148:
	s_or_b32 exec_lo, exec_lo, s1
	s_and_saveexec_b32 s1, s3
	s_cbranch_execnz .LBB111_215
.LBB111_149:
	s_or_b32 exec_lo, exec_lo, s1
	s_and_saveexec_b32 s1, s2
	s_delay_alu instid0(SALU_CYCLE_1)
	s_xor_b32 s1, exec_lo, s1
	s_cbranch_execnz .LBB111_216
.LBB111_150:
	s_or_b32 exec_lo, exec_lo, s1
	s_delay_alu instid0(SALU_CYCLE_1)
	s_and_b32 exec_lo, exec_lo, s0
	s_cbranch_execnz .LBB111_217
.LBB111_151:
	s_endpgm
.LBB111_152:
	s_mov_b32 s5, exec_lo
	v_cmpx_lt_i64_e32 17, v[0:1]
	s_xor_b32 s5, exec_lo, s5
	s_cbranch_execz .LBB111_174
; %bb.153:
	s_mov_b32 s8, exec_lo
                                        ; implicit-def: $vgpr10
	v_cmpx_lt_i64_e32 20, v[0:1]
	s_xor_b32 s8, exec_lo, s8
	s_cbranch_execz .LBB111_163
; %bb.154:
	s_mov_b32 s9, 0
	s_mov_b32 s2, exec_lo
                                        ; implicit-def: $vgpr10
	v_cmpx_lt_i64_e32 21, v[0:1]
	s_xor_b32 s2, exec_lo, s2
	s_cbranch_execz .LBB111_160
; %bb.155:
	s_mov_b32 s9, exec_lo
	v_cmpx_lt_i64_e32 22, v[0:1]
	s_xor_b32 s9, exec_lo, s9
	s_cbranch_execz .LBB111_157
; %bb.156:
	v_mov_b32_e32 v2, 0
                                        ; implicit-def: $vgpr27
	s_waitcnt lgkmcnt(0)
	global_store_b8 v2, v28, s[6:7]
.LBB111_157:
	s_or_saveexec_b32 s9, s9
	s_mov_b32 s10, 0
	s_xor_b32 exec_lo, exec_lo, s9
; %bb.158:
	s_delay_alu instid0(SALU_CYCLE_1)
	s_mov_b32 s10, exec_lo
; %bb.159:
	s_or_b32 exec_lo, exec_lo, s9
	s_waitcnt lgkmcnt(1)
	v_mov_b32_e32 v10, v27
	s_and_b32 s9, s10, exec_lo
                                        ; implicit-def: $vgpr12
.LBB111_160:
	s_and_not1_saveexec_b32 s2, s2
; %bb.161:
	s_mov_b32 s3, exec_lo
                                        ; implicit-def: $vgpr10
; %bb.162:
	s_or_b32 exec_lo, exec_lo, s2
	s_delay_alu instid0(SALU_CYCLE_1)
	s_and_b32 s2, s9, exec_lo
	s_and_b32 s3, s3, exec_lo
                                        ; implicit-def: $vgpr25
                                        ; implicit-def: $vgpr13
                                        ; implicit-def: $vgpr22
.LBB111_163:
	s_and_not1_saveexec_b32 s8, s8
	s_cbranch_execz .LBB111_173
; %bb.164:
	s_mov_b32 s9, 0
	s_mov_b32 s4, exec_lo
	v_cmpx_lt_i64_e32 18, v[0:1]
	s_xor_b32 s4, exec_lo, s4
	s_cbranch_execz .LBB111_170
; %bb.165:
	s_mov_b32 s10, exec_lo
	v_cmpx_lt_i64_e32 19, v[0:1]
	s_xor_b32 s10, exec_lo, s10
; %bb.166:
	s_mov_b32 s9, exec_lo
                                        ; implicit-def: $vgpr22
; %bb.167:
	s_and_not1_saveexec_b32 s10, s10
	s_cbranch_execz .LBB111_169
; %bb.168:
	v_mov_b32_e32 v2, 0
                                        ; implicit-def: $vgpr13
	s_waitcnt lgkmcnt(4)
	global_store_b8 v2, v22, s[6:7]
.LBB111_169:
	s_or_b32 exec_lo, exec_lo, s10
	s_delay_alu instid0(SALU_CYCLE_1)
	s_and_b32 s9, s9, exec_lo
                                        ; implicit-def: $vgpr25
.LBB111_170:
	s_and_not1_saveexec_b32 s4, s4
	s_cbranch_execz .LBB111_172
; %bb.171:
	v_mov_b32_e32 v2, 0
                                        ; implicit-def: $vgpr13
	s_waitcnt lgkmcnt(5)
	global_store_b8 v2, v25, s[6:7]
.LBB111_172:
	s_or_b32 exec_lo, exec_lo, s4
	s_delay_alu instid0(SALU_CYCLE_1)
	s_and_b32 s4, s9, exec_lo
                                        ; implicit-def: $vgpr10
                                        ; implicit-def: $vgpr12
.LBB111_173:
	s_or_b32 exec_lo, exec_lo, s8
	s_delay_alu instid0(SALU_CYCLE_1)
	s_and_b32 s2, s2, exec_lo
	s_and_b32 s3, s3, exec_lo
	;; [unrolled: 1-line block ×3, first 2 shown]
                                        ; implicit-def: $vgpr19
                                        ; implicit-def: $vgpr14
                                        ; implicit-def: $vgpr16
                                        ; implicit-def: $vgpr23
                                        ; implicit-def: $vgpr26
.LBB111_174:
	s_and_not1_saveexec_b32 s5, s5
	s_cbranch_execz .LBB111_196
; %bb.175:
	s_mov_b32 s8, s2
	s_mov_b32 s9, exec_lo
	v_cmpx_lt_i64_e32 14, v[0:1]
	s_xor_b32 s9, exec_lo, s9
	s_cbranch_execz .LBB111_185
; %bb.176:
	s_mov_b32 s8, exec_lo
	v_cmpx_lt_i64_e32 15, v[0:1]
	s_xor_b32 s8, exec_lo, s8
	s_cbranch_execz .LBB111_182
; %bb.177:
	;; [unrolled: 5-line block ×3, first 2 shown]
	v_mov_b32_e32 v2, 0
                                        ; implicit-def: $vgpr23
	s_waitcnt lgkmcnt(6)
	global_store_b8 v2, v26, s[6:7]
.LBB111_179:
	s_and_not1_saveexec_b32 s10, s10
	s_cbranch_execz .LBB111_181
; %bb.180:
	v_mov_b32_e32 v2, 0
	s_waitcnt lgkmcnt(7)
	global_store_b8 v2, v23, s[6:7]
.LBB111_181:
	s_or_b32 exec_lo, exec_lo, s10
                                        ; implicit-def: $vgpr10
.LBB111_182:
	s_or_saveexec_b32 s8, s8
	s_mov_b32 s10, s2
	s_xor_b32 exec_lo, exec_lo, s8
; %bb.183:
	s_delay_alu instid0(SALU_CYCLE_1)
	s_or_b32 s10, s2, exec_lo
; %bb.184:
	s_or_b32 exec_lo, exec_lo, s8
	s_delay_alu instid0(SALU_CYCLE_1) | instskip(SKIP_1) | instid1(SALU_CYCLE_1)
	s_and_not1_b32 s8, s2, exec_lo
	s_and_b32 s10, s10, exec_lo
                                        ; implicit-def: $vgpr19
                                        ; implicit-def: $vgpr14
                                        ; implicit-def: $vgpr16
	s_or_b32 s8, s8, s10
.LBB111_185:
	s_or_saveexec_b32 s9, s9
	s_mov_b32 s10, s3
                                        ; implicit-def: $vgpr12
	s_xor_b32 exec_lo, exec_lo, s9
	s_cbranch_execz .LBB111_195
; %bb.186:
	s_mov_b32 s11, s3
	s_mov_b32 s12, s8
	s_mov_b32 s10, exec_lo
                                        ; implicit-def: $vgpr10
                                        ; implicit-def: $vgpr12
	v_cmpx_lt_i64_e32 12, v[0:1]
	s_xor_b32 s10, exec_lo, s10
	s_cbranch_execz .LBB111_192
; %bb.187:
	s_mov_b32 s11, s8
	s_mov_b32 s12, exec_lo
	v_cmpx_lt_i64_e32 13, v[0:1]
	s_xor_b32 s12, exec_lo, s12
; %bb.188:
	s_or_b32 s11, s8, exec_lo
                                        ; implicit-def: $vgpr14
; %bb.189:
	s_or_saveexec_b32 s13, s12
	s_mov_b32 s12, s3
	s_xor_b32 exec_lo, exec_lo, s13
; %bb.190:
	s_delay_alu instid0(SALU_CYCLE_1)
	s_or_b32 s12, s3, exec_lo
                                        ; implicit-def: $vgpr16
; %bb.191:
	s_or_b32 exec_lo, exec_lo, s13
	s_waitcnt lgkmcnt(8)
	v_mov_b32_e32 v10, v16
	s_waitcnt lgkmcnt(2)
	v_mov_b32_e32 v12, v14
	s_and_not1_b32 s13, s8, exec_lo
	s_and_b32 s11, s11, exec_lo
	s_and_not1_b32 s14, s3, exec_lo
	s_and_b32 s15, s12, exec_lo
	s_or_b32 s12, s13, s11
	s_or_b32 s11, s14, s15
                                        ; implicit-def: $vgpr19
.LBB111_192:
	s_and_not1_saveexec_b32 s10, s10
	s_cbranch_execz .LBB111_194
; %bb.193:
	s_waitcnt lgkmcnt(2)
	v_mov_b32_e32 v12, v19
	s_or_b32 s11, s11, exec_lo
                                        ; implicit-def: $vgpr10
.LBB111_194:
	s_or_b32 exec_lo, exec_lo, s10
	s_delay_alu instid0(SALU_CYCLE_1)
	s_and_not1_b32 s8, s8, exec_lo
	s_and_b32 s10, s12, exec_lo
	s_and_not1_b32 s12, s3, exec_lo
	s_and_b32 s11, s11, exec_lo
	s_or_b32 s8, s8, s10
	s_or_b32 s10, s12, s11
.LBB111_195:
	s_or_b32 exec_lo, exec_lo, s9
	s_delay_alu instid0(SALU_CYCLE_1)
	s_and_not1_b32 s2, s2, exec_lo
	s_and_b32 s8, s8, exec_lo
	s_and_not1_b32 s3, s3, exec_lo
	s_and_b32 s9, s10, exec_lo
	s_or_b32 s2, s2, s8
	s_or_b32 s3, s3, s9
                                        ; implicit-def: $vgpr13
.LBB111_196:
	s_or_b32 exec_lo, exec_lo, s5
	s_delay_alu instid0(SALU_CYCLE_1)
	s_and_b32 s2, s2, exec_lo
	s_and_b32 s3, s3, exec_lo
	;; [unrolled: 1-line block ×3, first 2 shown]
                                        ; implicit-def: $vgpr18
                                        ; implicit-def: $vgpr15
                                        ; implicit-def: $vgpr17
                                        ; implicit-def: $vgpr24
                                        ; implicit-def: $vgpr21
                                        ; implicit-def: $vgpr20
	s_and_not1_saveexec_b32 s1, s1
	s_cbranch_execz .LBB111_147
.LBB111_197:
	s_mov_b32 s8, -1
	s_mov_b32 s5, s4
	s_mov_b32 s10, s3
	;; [unrolled: 1-line block ×3, first 2 shown]
	s_mov_b32 s0, exec_lo
                                        ; implicit-def: $vgpr10
                                        ; implicit-def: $vgpr12
                                        ; implicit-def: $vgpr13
	v_cmpx_lt_i64_e32 5, v[0:1]
	s_cbranch_execz .LBB111_213
; %bb.198:
	s_mov_b32 s5, s4
	s_mov_b32 s8, exec_lo
                                        ; implicit-def: $vgpr13
	v_cmpx_lt_i64_e32 8, v[0:1]
	s_xor_b32 s8, exec_lo, s8
	s_cbranch_execz .LBB111_208
; %bb.199:
	s_mov_b32 s5, exec_lo
	v_cmpx_lt_i64_e32 9, v[0:1]
	s_xor_b32 s5, exec_lo, s5
	s_cbranch_execz .LBB111_205
; %bb.200:
	s_mov_b32 s9, exec_lo
	v_cmpx_lt_i64_e32 10, v[0:1]
	s_xor_b32 s9, exec_lo, s9
; %bb.201:
                                        ; implicit-def: $vgpr21
; %bb.202:
	s_delay_alu instid0(SALU_CYCLE_1)
	s_and_not1_saveexec_b32 s9, s9
	s_cbranch_execz .LBB111_204
; %bb.203:
	s_waitcnt lgkmcnt(12)
	v_mov_b32_e32 v20, v21
.LBB111_204:
	s_or_b32 exec_lo, exec_lo, s9
                                        ; implicit-def: $vgpr24
.LBB111_205:
	s_and_not1_saveexec_b32 s5, s5
	s_cbranch_execz .LBB111_207
; %bb.206:
	s_waitcnt lgkmcnt(12)
	v_mov_b32_e32 v20, v24
.LBB111_207:
	s_or_b32 exec_lo, exec_lo, s5
	s_waitcnt lgkmcnt(3)
	s_delay_alu instid0(VALU_DEP_1)
	v_mov_b32_e32 v13, v20
	s_or_b32 s5, s4, exec_lo
                                        ; implicit-def: $vgpr18
                                        ; implicit-def: $vgpr15
                                        ; implicit-def: $vgpr17
.LBB111_208:
	s_or_saveexec_b32 s8, s8
	s_mov_b32 s11, s3
	s_mov_b32 s10, s2
                                        ; implicit-def: $vgpr10
                                        ; implicit-def: $vgpr12
	s_xor_b32 exec_lo, exec_lo, s8
	s_cbranch_execz .LBB111_212
; %bb.209:
	s_mov_b32 s10, -1
	s_mov_b32 s9, s5
	s_mov_b32 s11, s3
	s_mov_b32 s12, exec_lo
	v_cmpx_lt_i64_e32 6, v[0:1]
; %bb.210:
	v_cmp_lt_i64_e32 vcc_lo, 7, v[0:1]
	s_and_not1_b32 s9, s5, exec_lo
	s_xor_b32 s10, exec_lo, -1
	s_or_b32 s11, s3, exec_lo
                                        ; implicit-def: $vgpr18
	s_and_b32 s13, vcc_lo, exec_lo
	s_delay_alu instid0(SALU_CYCLE_1)
	s_or_b32 s9, s9, s13
; %bb.211:
	s_or_b32 exec_lo, exec_lo, s12
	s_delay_alu instid0(SALU_CYCLE_1)
	s_and_not1_b32 s12, s2, exec_lo
	s_and_b32 s10, s10, exec_lo
	s_waitcnt lgkmcnt(3)
	v_dual_mov_b32 v10, v18 :: v_dual_mov_b32 v13, v17
	s_waitcnt lgkmcnt(2)
	v_mov_b32_e32 v12, v15
	s_or_b32 s10, s12, s10
	s_and_not1_b32 s12, s3, exec_lo
	s_and_b32 s11, s11, exec_lo
	s_and_not1_b32 s5, s5, exec_lo
	s_and_b32 s9, s9, exec_lo
	s_or_b32 s11, s12, s11
	s_or_b32 s5, s5, s9
.LBB111_212:
	s_or_b32 exec_lo, exec_lo, s8
	s_delay_alu instid0(SALU_CYCLE_1)
	s_and_not1_b32 s9, s2, exec_lo
	s_and_b32 s10, s10, exec_lo
	s_and_b32 s11, s11, exec_lo
	s_or_b32 s9, s9, s10
	s_and_not1_b32 s10, s3, exec_lo
	s_and_not1_b32 s12, s4, exec_lo
	s_and_b32 s5, s5, exec_lo
	s_xor_b32 s8, exec_lo, -1
	s_or_b32 s10, s10, s11
	s_or_b32 s5, s12, s5
.LBB111_213:
	s_or_b32 exec_lo, exec_lo, s0
	s_delay_alu instid0(SALU_CYCLE_1)
	s_and_not1_b32 s2, s2, exec_lo
	s_and_b32 s9, s9, exec_lo
	s_and_b32 s0, s8, exec_lo
	s_and_not1_b32 s3, s3, exec_lo
	s_and_b32 s8, s10, exec_lo
	s_and_not1_b32 s4, s4, exec_lo
	s_and_b32 s5, s5, exec_lo
	s_or_b32 s2, s2, s9
	s_or_b32 s3, s3, s8
	;; [unrolled: 1-line block ×3, first 2 shown]
	s_or_b32 exec_lo, exec_lo, s1
	s_and_saveexec_b32 s1, s4
	s_cbranch_execz .LBB111_148
.LBB111_214:
	v_mov_b32_e32 v2, 0
	s_and_not1_b32 s3, s3, exec_lo
                                        ; implicit-def: $vgpr10
                                        ; implicit-def: $vgpr12
	s_waitcnt lgkmcnt(3)
	global_store_b8 v2, v13, s[6:7]
	s_or_b32 exec_lo, exec_lo, s1
	s_and_saveexec_b32 s1, s3
	s_cbranch_execz .LBB111_149
.LBB111_215:
	v_mov_b32_e32 v2, 0
                                        ; implicit-def: $vgpr10
	s_waitcnt lgkmcnt(2)
	global_store_b8 v2, v12, s[6:7]
	s_or_b32 exec_lo, exec_lo, s1
	s_and_saveexec_b32 s1, s2
	s_delay_alu instid0(SALU_CYCLE_1)
	s_xor_b32 s1, exec_lo, s1
	s_cbranch_execz .LBB111_150
.LBB111_216:
	v_mov_b32_e32 v2, 0
	s_waitcnt lgkmcnt(8)
	global_store_b8 v2, v10, s[6:7]
	s_or_b32 exec_lo, exec_lo, s1
	s_delay_alu instid0(SALU_CYCLE_1)
	s_and_b32 exec_lo, exec_lo, s0
	s_cbranch_execz .LBB111_151
.LBB111_217:
	s_mov_b32 s0, exec_lo
	v_cmpx_lt_i64_e32 2, v[0:1]
	s_xor_b32 s0, exec_lo, s0
	s_cbranch_execz .LBB111_227
; %bb.218:
	s_mov_b32 s1, exec_lo
	v_cmpx_lt_i64_e32 3, v[0:1]
	s_xor_b32 s1, exec_lo, s1
	s_cbranch_execz .LBB111_224
; %bb.219:
	;; [unrolled: 5-line block ×3, first 2 shown]
	v_mov_b32_e32 v0, 0
                                        ; implicit-def: $vgpr6
	s_waitcnt lgkmcnt(18)
	global_store_b8 v0, v9, s[6:7]
.LBB111_221:
	s_and_not1_saveexec_b32 s2, s2
	s_cbranch_execz .LBB111_223
; %bb.222:
	v_mov_b32_e32 v0, 0
	s_waitcnt lgkmcnt(19)
	global_store_b8 v0, v6, s[6:7]
.LBB111_223:
	s_or_b32 exec_lo, exec_lo, s2
                                        ; implicit-def: $vgpr8
.LBB111_224:
	s_and_not1_saveexec_b32 s1, s1
	s_cbranch_execz .LBB111_226
; %bb.225:
	v_mov_b32_e32 v0, 0
	s_waitcnt lgkmcnt(20)
	global_store_b8 v0, v8, s[6:7]
.LBB111_226:
	s_or_b32 exec_lo, exec_lo, s1
                                        ; implicit-def: $vgpr0_vgpr1
                                        ; implicit-def: $vgpr7
                                        ; implicit-def: $vgpr4
                                        ; implicit-def: $vgpr5
.LBB111_227:
	s_and_not1_saveexec_b32 s0, s0
	s_cbranch_execz .LBB111_151
; %bb.228:
	s_mov_b32 s0, exec_lo
	v_cmpx_lt_i64_e32 1, v[0:1]
	s_xor_b32 s0, exec_lo, s0
	s_cbranch_execz .LBB111_230
; %bb.229:
	v_mov_b32_e32 v0, 0
                                        ; implicit-def: $vgpr4
                                        ; implicit-def: $vgpr5
	s_waitcnt lgkmcnt(21)
	global_store_b8 v0, v7, s[6:7]
                                        ; implicit-def: $vgpr0_vgpr1
.LBB111_230:
	s_and_not1_saveexec_b32 s0, s0
	s_cbranch_execz .LBB111_151
; %bb.231:
	s_mov_b32 s0, exec_lo
	v_cmpx_ne_u64_e32 1, v[0:1]
	s_xor_b32 s0, exec_lo, s0
	s_cbranch_execz .LBB111_233
; %bb.232:
	v_mov_b32_e32 v0, 0
                                        ; implicit-def: $vgpr4
	s_waitcnt lgkmcnt(23)
	global_store_b8 v0, v5, s[6:7]
.LBB111_233:
	s_and_not1_saveexec_b32 s0, s0
	s_cbranch_execz .LBB111_151
; %bb.234:
	v_mov_b32_e32 v0, 0
	s_waitcnt lgkmcnt(22)
	global_store_b8 v0, v4, s[6:7]
	s_endpgm
	.section	.rodata,"a",@progbits
	.p2align	6, 0x0
	.amdhsa_kernel _ZN7rocprim17ROCPRIM_400000_NS6detail17trampoline_kernelINS0_14default_configENS1_20scan_config_selectorIhEEZZNS1_9scan_implILNS1_25lookback_scan_determinismE0ELb0ELb0ES3_N6thrust23THRUST_200600_302600_NS6detail15normal_iteratorINS9_7pointerIhNS9_11hip_rocprim5par_tENS9_11use_defaultESF_EEEENSB_INSC_IjSE_SF_SF_EEEEhNS9_4plusIvEEhEEDaPvRmT3_T4_T5_mT6_P12ihipStream_tbENKUlT_T0_E_clISt17integral_constantIbLb0EESZ_EEDaSU_SV_EUlSU_E_NS1_11comp_targetILNS1_3genE9ELNS1_11target_archE1100ELNS1_3gpuE3ELNS1_3repE0EEENS1_30default_config_static_selectorELNS0_4arch9wavefront6targetE0EEEvT1_
		.amdhsa_group_segment_fixed_size 6144
		.amdhsa_private_segment_fixed_size 0
		.amdhsa_kernarg_size 96
		.amdhsa_user_sgpr_count 15
		.amdhsa_user_sgpr_dispatch_ptr 0
		.amdhsa_user_sgpr_queue_ptr 0
		.amdhsa_user_sgpr_kernarg_segment_ptr 1
		.amdhsa_user_sgpr_dispatch_id 0
		.amdhsa_user_sgpr_private_segment_size 0
		.amdhsa_wavefront_size32 1
		.amdhsa_uses_dynamic_stack 0
		.amdhsa_enable_private_segment 0
		.amdhsa_system_sgpr_workgroup_id_x 1
		.amdhsa_system_sgpr_workgroup_id_y 0
		.amdhsa_system_sgpr_workgroup_id_z 0
		.amdhsa_system_sgpr_workgroup_info 0
		.amdhsa_system_vgpr_workitem_id 0
		.amdhsa_next_free_vgpr 55
		.amdhsa_next_free_sgpr 24
		.amdhsa_reserve_vcc 1
		.amdhsa_float_round_mode_32 0
		.amdhsa_float_round_mode_16_64 0
		.amdhsa_float_denorm_mode_32 3
		.amdhsa_float_denorm_mode_16_64 3
		.amdhsa_dx10_clamp 1
		.amdhsa_ieee_mode 1
		.amdhsa_fp16_overflow 0
		.amdhsa_workgroup_processor_mode 1
		.amdhsa_memory_ordered 1
		.amdhsa_forward_progress 0
		.amdhsa_shared_vgpr_count 0
		.amdhsa_exception_fp_ieee_invalid_op 0
		.amdhsa_exception_fp_denorm_src 0
		.amdhsa_exception_fp_ieee_div_zero 0
		.amdhsa_exception_fp_ieee_overflow 0
		.amdhsa_exception_fp_ieee_underflow 0
		.amdhsa_exception_fp_ieee_inexact 0
		.amdhsa_exception_int_div_zero 0
	.end_amdhsa_kernel
	.section	.text._ZN7rocprim17ROCPRIM_400000_NS6detail17trampoline_kernelINS0_14default_configENS1_20scan_config_selectorIhEEZZNS1_9scan_implILNS1_25lookback_scan_determinismE0ELb0ELb0ES3_N6thrust23THRUST_200600_302600_NS6detail15normal_iteratorINS9_7pointerIhNS9_11hip_rocprim5par_tENS9_11use_defaultESF_EEEENSB_INSC_IjSE_SF_SF_EEEEhNS9_4plusIvEEhEEDaPvRmT3_T4_T5_mT6_P12ihipStream_tbENKUlT_T0_E_clISt17integral_constantIbLb0EESZ_EEDaSU_SV_EUlSU_E_NS1_11comp_targetILNS1_3genE9ELNS1_11target_archE1100ELNS1_3gpuE3ELNS1_3repE0EEENS1_30default_config_static_selectorELNS0_4arch9wavefront6targetE0EEEvT1_,"axG",@progbits,_ZN7rocprim17ROCPRIM_400000_NS6detail17trampoline_kernelINS0_14default_configENS1_20scan_config_selectorIhEEZZNS1_9scan_implILNS1_25lookback_scan_determinismE0ELb0ELb0ES3_N6thrust23THRUST_200600_302600_NS6detail15normal_iteratorINS9_7pointerIhNS9_11hip_rocprim5par_tENS9_11use_defaultESF_EEEENSB_INSC_IjSE_SF_SF_EEEEhNS9_4plusIvEEhEEDaPvRmT3_T4_T5_mT6_P12ihipStream_tbENKUlT_T0_E_clISt17integral_constantIbLb0EESZ_EEDaSU_SV_EUlSU_E_NS1_11comp_targetILNS1_3genE9ELNS1_11target_archE1100ELNS1_3gpuE3ELNS1_3repE0EEENS1_30default_config_static_selectorELNS0_4arch9wavefront6targetE0EEEvT1_,comdat
.Lfunc_end111:
	.size	_ZN7rocprim17ROCPRIM_400000_NS6detail17trampoline_kernelINS0_14default_configENS1_20scan_config_selectorIhEEZZNS1_9scan_implILNS1_25lookback_scan_determinismE0ELb0ELb0ES3_N6thrust23THRUST_200600_302600_NS6detail15normal_iteratorINS9_7pointerIhNS9_11hip_rocprim5par_tENS9_11use_defaultESF_EEEENSB_INSC_IjSE_SF_SF_EEEEhNS9_4plusIvEEhEEDaPvRmT3_T4_T5_mT6_P12ihipStream_tbENKUlT_T0_E_clISt17integral_constantIbLb0EESZ_EEDaSU_SV_EUlSU_E_NS1_11comp_targetILNS1_3genE9ELNS1_11target_archE1100ELNS1_3gpuE3ELNS1_3repE0EEENS1_30default_config_static_selectorELNS0_4arch9wavefront6targetE0EEEvT1_, .Lfunc_end111-_ZN7rocprim17ROCPRIM_400000_NS6detail17trampoline_kernelINS0_14default_configENS1_20scan_config_selectorIhEEZZNS1_9scan_implILNS1_25lookback_scan_determinismE0ELb0ELb0ES3_N6thrust23THRUST_200600_302600_NS6detail15normal_iteratorINS9_7pointerIhNS9_11hip_rocprim5par_tENS9_11use_defaultESF_EEEENSB_INSC_IjSE_SF_SF_EEEEhNS9_4plusIvEEhEEDaPvRmT3_T4_T5_mT6_P12ihipStream_tbENKUlT_T0_E_clISt17integral_constantIbLb0EESZ_EEDaSU_SV_EUlSU_E_NS1_11comp_targetILNS1_3genE9ELNS1_11target_archE1100ELNS1_3gpuE3ELNS1_3repE0EEENS1_30default_config_static_selectorELNS0_4arch9wavefront6targetE0EEEvT1_
                                        ; -- End function
	.section	.AMDGPU.csdata,"",@progbits
; Kernel info:
; codeLenInByte = 10880
; NumSgprs: 26
; NumVgprs: 55
; ScratchSize: 0
; MemoryBound: 0
; FloatMode: 240
; IeeeMode: 1
; LDSByteSize: 6144 bytes/workgroup (compile time only)
; SGPRBlocks: 3
; VGPRBlocks: 6
; NumSGPRsForWavesPerEU: 26
; NumVGPRsForWavesPerEU: 55
; Occupancy: 16
; WaveLimiterHint : 1
; COMPUTE_PGM_RSRC2:SCRATCH_EN: 0
; COMPUTE_PGM_RSRC2:USER_SGPR: 15
; COMPUTE_PGM_RSRC2:TRAP_HANDLER: 0
; COMPUTE_PGM_RSRC2:TGID_X_EN: 1
; COMPUTE_PGM_RSRC2:TGID_Y_EN: 0
; COMPUTE_PGM_RSRC2:TGID_Z_EN: 0
; COMPUTE_PGM_RSRC2:TIDIG_COMP_CNT: 0
	.section	.text._ZN7rocprim17ROCPRIM_400000_NS6detail17trampoline_kernelINS0_14default_configENS1_20scan_config_selectorIhEEZZNS1_9scan_implILNS1_25lookback_scan_determinismE0ELb0ELb0ES3_N6thrust23THRUST_200600_302600_NS6detail15normal_iteratorINS9_7pointerIhNS9_11hip_rocprim5par_tENS9_11use_defaultESF_EEEENSB_INSC_IjSE_SF_SF_EEEEhNS9_4plusIvEEhEEDaPvRmT3_T4_T5_mT6_P12ihipStream_tbENKUlT_T0_E_clISt17integral_constantIbLb0EESZ_EEDaSU_SV_EUlSU_E_NS1_11comp_targetILNS1_3genE8ELNS1_11target_archE1030ELNS1_3gpuE2ELNS1_3repE0EEENS1_30default_config_static_selectorELNS0_4arch9wavefront6targetE0EEEvT1_,"axG",@progbits,_ZN7rocprim17ROCPRIM_400000_NS6detail17trampoline_kernelINS0_14default_configENS1_20scan_config_selectorIhEEZZNS1_9scan_implILNS1_25lookback_scan_determinismE0ELb0ELb0ES3_N6thrust23THRUST_200600_302600_NS6detail15normal_iteratorINS9_7pointerIhNS9_11hip_rocprim5par_tENS9_11use_defaultESF_EEEENSB_INSC_IjSE_SF_SF_EEEEhNS9_4plusIvEEhEEDaPvRmT3_T4_T5_mT6_P12ihipStream_tbENKUlT_T0_E_clISt17integral_constantIbLb0EESZ_EEDaSU_SV_EUlSU_E_NS1_11comp_targetILNS1_3genE8ELNS1_11target_archE1030ELNS1_3gpuE2ELNS1_3repE0EEENS1_30default_config_static_selectorELNS0_4arch9wavefront6targetE0EEEvT1_,comdat
	.protected	_ZN7rocprim17ROCPRIM_400000_NS6detail17trampoline_kernelINS0_14default_configENS1_20scan_config_selectorIhEEZZNS1_9scan_implILNS1_25lookback_scan_determinismE0ELb0ELb0ES3_N6thrust23THRUST_200600_302600_NS6detail15normal_iteratorINS9_7pointerIhNS9_11hip_rocprim5par_tENS9_11use_defaultESF_EEEENSB_INSC_IjSE_SF_SF_EEEEhNS9_4plusIvEEhEEDaPvRmT3_T4_T5_mT6_P12ihipStream_tbENKUlT_T0_E_clISt17integral_constantIbLb0EESZ_EEDaSU_SV_EUlSU_E_NS1_11comp_targetILNS1_3genE8ELNS1_11target_archE1030ELNS1_3gpuE2ELNS1_3repE0EEENS1_30default_config_static_selectorELNS0_4arch9wavefront6targetE0EEEvT1_ ; -- Begin function _ZN7rocprim17ROCPRIM_400000_NS6detail17trampoline_kernelINS0_14default_configENS1_20scan_config_selectorIhEEZZNS1_9scan_implILNS1_25lookback_scan_determinismE0ELb0ELb0ES3_N6thrust23THRUST_200600_302600_NS6detail15normal_iteratorINS9_7pointerIhNS9_11hip_rocprim5par_tENS9_11use_defaultESF_EEEENSB_INSC_IjSE_SF_SF_EEEEhNS9_4plusIvEEhEEDaPvRmT3_T4_T5_mT6_P12ihipStream_tbENKUlT_T0_E_clISt17integral_constantIbLb0EESZ_EEDaSU_SV_EUlSU_E_NS1_11comp_targetILNS1_3genE8ELNS1_11target_archE1030ELNS1_3gpuE2ELNS1_3repE0EEENS1_30default_config_static_selectorELNS0_4arch9wavefront6targetE0EEEvT1_
	.globl	_ZN7rocprim17ROCPRIM_400000_NS6detail17trampoline_kernelINS0_14default_configENS1_20scan_config_selectorIhEEZZNS1_9scan_implILNS1_25lookback_scan_determinismE0ELb0ELb0ES3_N6thrust23THRUST_200600_302600_NS6detail15normal_iteratorINS9_7pointerIhNS9_11hip_rocprim5par_tENS9_11use_defaultESF_EEEENSB_INSC_IjSE_SF_SF_EEEEhNS9_4plusIvEEhEEDaPvRmT3_T4_T5_mT6_P12ihipStream_tbENKUlT_T0_E_clISt17integral_constantIbLb0EESZ_EEDaSU_SV_EUlSU_E_NS1_11comp_targetILNS1_3genE8ELNS1_11target_archE1030ELNS1_3gpuE2ELNS1_3repE0EEENS1_30default_config_static_selectorELNS0_4arch9wavefront6targetE0EEEvT1_
	.p2align	8
	.type	_ZN7rocprim17ROCPRIM_400000_NS6detail17trampoline_kernelINS0_14default_configENS1_20scan_config_selectorIhEEZZNS1_9scan_implILNS1_25lookback_scan_determinismE0ELb0ELb0ES3_N6thrust23THRUST_200600_302600_NS6detail15normal_iteratorINS9_7pointerIhNS9_11hip_rocprim5par_tENS9_11use_defaultESF_EEEENSB_INSC_IjSE_SF_SF_EEEEhNS9_4plusIvEEhEEDaPvRmT3_T4_T5_mT6_P12ihipStream_tbENKUlT_T0_E_clISt17integral_constantIbLb0EESZ_EEDaSU_SV_EUlSU_E_NS1_11comp_targetILNS1_3genE8ELNS1_11target_archE1030ELNS1_3gpuE2ELNS1_3repE0EEENS1_30default_config_static_selectorELNS0_4arch9wavefront6targetE0EEEvT1_,@function
_ZN7rocprim17ROCPRIM_400000_NS6detail17trampoline_kernelINS0_14default_configENS1_20scan_config_selectorIhEEZZNS1_9scan_implILNS1_25lookback_scan_determinismE0ELb0ELb0ES3_N6thrust23THRUST_200600_302600_NS6detail15normal_iteratorINS9_7pointerIhNS9_11hip_rocprim5par_tENS9_11use_defaultESF_EEEENSB_INSC_IjSE_SF_SF_EEEEhNS9_4plusIvEEhEEDaPvRmT3_T4_T5_mT6_P12ihipStream_tbENKUlT_T0_E_clISt17integral_constantIbLb0EESZ_EEDaSU_SV_EUlSU_E_NS1_11comp_targetILNS1_3genE8ELNS1_11target_archE1030ELNS1_3gpuE2ELNS1_3repE0EEENS1_30default_config_static_selectorELNS0_4arch9wavefront6targetE0EEEvT1_: ; @_ZN7rocprim17ROCPRIM_400000_NS6detail17trampoline_kernelINS0_14default_configENS1_20scan_config_selectorIhEEZZNS1_9scan_implILNS1_25lookback_scan_determinismE0ELb0ELb0ES3_N6thrust23THRUST_200600_302600_NS6detail15normal_iteratorINS9_7pointerIhNS9_11hip_rocprim5par_tENS9_11use_defaultESF_EEEENSB_INSC_IjSE_SF_SF_EEEEhNS9_4plusIvEEhEEDaPvRmT3_T4_T5_mT6_P12ihipStream_tbENKUlT_T0_E_clISt17integral_constantIbLb0EESZ_EEDaSU_SV_EUlSU_E_NS1_11comp_targetILNS1_3genE8ELNS1_11target_archE1030ELNS1_3gpuE2ELNS1_3repE0EEENS1_30default_config_static_selectorELNS0_4arch9wavefront6targetE0EEEvT1_
; %bb.0:
	.section	.rodata,"a",@progbits
	.p2align	6, 0x0
	.amdhsa_kernel _ZN7rocprim17ROCPRIM_400000_NS6detail17trampoline_kernelINS0_14default_configENS1_20scan_config_selectorIhEEZZNS1_9scan_implILNS1_25lookback_scan_determinismE0ELb0ELb0ES3_N6thrust23THRUST_200600_302600_NS6detail15normal_iteratorINS9_7pointerIhNS9_11hip_rocprim5par_tENS9_11use_defaultESF_EEEENSB_INSC_IjSE_SF_SF_EEEEhNS9_4plusIvEEhEEDaPvRmT3_T4_T5_mT6_P12ihipStream_tbENKUlT_T0_E_clISt17integral_constantIbLb0EESZ_EEDaSU_SV_EUlSU_E_NS1_11comp_targetILNS1_3genE8ELNS1_11target_archE1030ELNS1_3gpuE2ELNS1_3repE0EEENS1_30default_config_static_selectorELNS0_4arch9wavefront6targetE0EEEvT1_
		.amdhsa_group_segment_fixed_size 0
		.amdhsa_private_segment_fixed_size 0
		.amdhsa_kernarg_size 96
		.amdhsa_user_sgpr_count 15
		.amdhsa_user_sgpr_dispatch_ptr 0
		.amdhsa_user_sgpr_queue_ptr 0
		.amdhsa_user_sgpr_kernarg_segment_ptr 1
		.amdhsa_user_sgpr_dispatch_id 0
		.amdhsa_user_sgpr_private_segment_size 0
		.amdhsa_wavefront_size32 1
		.amdhsa_uses_dynamic_stack 0
		.amdhsa_enable_private_segment 0
		.amdhsa_system_sgpr_workgroup_id_x 1
		.amdhsa_system_sgpr_workgroup_id_y 0
		.amdhsa_system_sgpr_workgroup_id_z 0
		.amdhsa_system_sgpr_workgroup_info 0
		.amdhsa_system_vgpr_workitem_id 0
		.amdhsa_next_free_vgpr 1
		.amdhsa_next_free_sgpr 1
		.amdhsa_reserve_vcc 0
		.amdhsa_float_round_mode_32 0
		.amdhsa_float_round_mode_16_64 0
		.amdhsa_float_denorm_mode_32 3
		.amdhsa_float_denorm_mode_16_64 3
		.amdhsa_dx10_clamp 1
		.amdhsa_ieee_mode 1
		.amdhsa_fp16_overflow 0
		.amdhsa_workgroup_processor_mode 1
		.amdhsa_memory_ordered 1
		.amdhsa_forward_progress 0
		.amdhsa_shared_vgpr_count 0
		.amdhsa_exception_fp_ieee_invalid_op 0
		.amdhsa_exception_fp_denorm_src 0
		.amdhsa_exception_fp_ieee_div_zero 0
		.amdhsa_exception_fp_ieee_overflow 0
		.amdhsa_exception_fp_ieee_underflow 0
		.amdhsa_exception_fp_ieee_inexact 0
		.amdhsa_exception_int_div_zero 0
	.end_amdhsa_kernel
	.section	.text._ZN7rocprim17ROCPRIM_400000_NS6detail17trampoline_kernelINS0_14default_configENS1_20scan_config_selectorIhEEZZNS1_9scan_implILNS1_25lookback_scan_determinismE0ELb0ELb0ES3_N6thrust23THRUST_200600_302600_NS6detail15normal_iteratorINS9_7pointerIhNS9_11hip_rocprim5par_tENS9_11use_defaultESF_EEEENSB_INSC_IjSE_SF_SF_EEEEhNS9_4plusIvEEhEEDaPvRmT3_T4_T5_mT6_P12ihipStream_tbENKUlT_T0_E_clISt17integral_constantIbLb0EESZ_EEDaSU_SV_EUlSU_E_NS1_11comp_targetILNS1_3genE8ELNS1_11target_archE1030ELNS1_3gpuE2ELNS1_3repE0EEENS1_30default_config_static_selectorELNS0_4arch9wavefront6targetE0EEEvT1_,"axG",@progbits,_ZN7rocprim17ROCPRIM_400000_NS6detail17trampoline_kernelINS0_14default_configENS1_20scan_config_selectorIhEEZZNS1_9scan_implILNS1_25lookback_scan_determinismE0ELb0ELb0ES3_N6thrust23THRUST_200600_302600_NS6detail15normal_iteratorINS9_7pointerIhNS9_11hip_rocprim5par_tENS9_11use_defaultESF_EEEENSB_INSC_IjSE_SF_SF_EEEEhNS9_4plusIvEEhEEDaPvRmT3_T4_T5_mT6_P12ihipStream_tbENKUlT_T0_E_clISt17integral_constantIbLb0EESZ_EEDaSU_SV_EUlSU_E_NS1_11comp_targetILNS1_3genE8ELNS1_11target_archE1030ELNS1_3gpuE2ELNS1_3repE0EEENS1_30default_config_static_selectorELNS0_4arch9wavefront6targetE0EEEvT1_,comdat
.Lfunc_end112:
	.size	_ZN7rocprim17ROCPRIM_400000_NS6detail17trampoline_kernelINS0_14default_configENS1_20scan_config_selectorIhEEZZNS1_9scan_implILNS1_25lookback_scan_determinismE0ELb0ELb0ES3_N6thrust23THRUST_200600_302600_NS6detail15normal_iteratorINS9_7pointerIhNS9_11hip_rocprim5par_tENS9_11use_defaultESF_EEEENSB_INSC_IjSE_SF_SF_EEEEhNS9_4plusIvEEhEEDaPvRmT3_T4_T5_mT6_P12ihipStream_tbENKUlT_T0_E_clISt17integral_constantIbLb0EESZ_EEDaSU_SV_EUlSU_E_NS1_11comp_targetILNS1_3genE8ELNS1_11target_archE1030ELNS1_3gpuE2ELNS1_3repE0EEENS1_30default_config_static_selectorELNS0_4arch9wavefront6targetE0EEEvT1_, .Lfunc_end112-_ZN7rocprim17ROCPRIM_400000_NS6detail17trampoline_kernelINS0_14default_configENS1_20scan_config_selectorIhEEZZNS1_9scan_implILNS1_25lookback_scan_determinismE0ELb0ELb0ES3_N6thrust23THRUST_200600_302600_NS6detail15normal_iteratorINS9_7pointerIhNS9_11hip_rocprim5par_tENS9_11use_defaultESF_EEEENSB_INSC_IjSE_SF_SF_EEEEhNS9_4plusIvEEhEEDaPvRmT3_T4_T5_mT6_P12ihipStream_tbENKUlT_T0_E_clISt17integral_constantIbLb0EESZ_EEDaSU_SV_EUlSU_E_NS1_11comp_targetILNS1_3genE8ELNS1_11target_archE1030ELNS1_3gpuE2ELNS1_3repE0EEENS1_30default_config_static_selectorELNS0_4arch9wavefront6targetE0EEEvT1_
                                        ; -- End function
	.section	.AMDGPU.csdata,"",@progbits
; Kernel info:
; codeLenInByte = 0
; NumSgprs: 0
; NumVgprs: 0
; ScratchSize: 0
; MemoryBound: 0
; FloatMode: 240
; IeeeMode: 1
; LDSByteSize: 0 bytes/workgroup (compile time only)
; SGPRBlocks: 0
; VGPRBlocks: 0
; NumSGPRsForWavesPerEU: 1
; NumVGPRsForWavesPerEU: 1
; Occupancy: 16
; WaveLimiterHint : 0
; COMPUTE_PGM_RSRC2:SCRATCH_EN: 0
; COMPUTE_PGM_RSRC2:USER_SGPR: 15
; COMPUTE_PGM_RSRC2:TRAP_HANDLER: 0
; COMPUTE_PGM_RSRC2:TGID_X_EN: 1
; COMPUTE_PGM_RSRC2:TGID_Y_EN: 0
; COMPUTE_PGM_RSRC2:TGID_Z_EN: 0
; COMPUTE_PGM_RSRC2:TIDIG_COMP_CNT: 0
	.section	.text._ZN7rocprim17ROCPRIM_400000_NS6detail17trampoline_kernelINS0_14default_configENS1_25transform_config_selectorIhLb1EEEZNS1_14transform_implILb1ES3_S5_PhS7_NS0_8identityIhEEEE10hipError_tT2_T3_mT4_P12ihipStream_tbEUlT_E_NS1_11comp_targetILNS1_3genE0ELNS1_11target_archE4294967295ELNS1_3gpuE0ELNS1_3repE0EEENS1_30default_config_static_selectorELNS0_4arch9wavefront6targetE0EEEvT1_,"axG",@progbits,_ZN7rocprim17ROCPRIM_400000_NS6detail17trampoline_kernelINS0_14default_configENS1_25transform_config_selectorIhLb1EEEZNS1_14transform_implILb1ES3_S5_PhS7_NS0_8identityIhEEEE10hipError_tT2_T3_mT4_P12ihipStream_tbEUlT_E_NS1_11comp_targetILNS1_3genE0ELNS1_11target_archE4294967295ELNS1_3gpuE0ELNS1_3repE0EEENS1_30default_config_static_selectorELNS0_4arch9wavefront6targetE0EEEvT1_,comdat
	.protected	_ZN7rocprim17ROCPRIM_400000_NS6detail17trampoline_kernelINS0_14default_configENS1_25transform_config_selectorIhLb1EEEZNS1_14transform_implILb1ES3_S5_PhS7_NS0_8identityIhEEEE10hipError_tT2_T3_mT4_P12ihipStream_tbEUlT_E_NS1_11comp_targetILNS1_3genE0ELNS1_11target_archE4294967295ELNS1_3gpuE0ELNS1_3repE0EEENS1_30default_config_static_selectorELNS0_4arch9wavefront6targetE0EEEvT1_ ; -- Begin function _ZN7rocprim17ROCPRIM_400000_NS6detail17trampoline_kernelINS0_14default_configENS1_25transform_config_selectorIhLb1EEEZNS1_14transform_implILb1ES3_S5_PhS7_NS0_8identityIhEEEE10hipError_tT2_T3_mT4_P12ihipStream_tbEUlT_E_NS1_11comp_targetILNS1_3genE0ELNS1_11target_archE4294967295ELNS1_3gpuE0ELNS1_3repE0EEENS1_30default_config_static_selectorELNS0_4arch9wavefront6targetE0EEEvT1_
	.globl	_ZN7rocprim17ROCPRIM_400000_NS6detail17trampoline_kernelINS0_14default_configENS1_25transform_config_selectorIhLb1EEEZNS1_14transform_implILb1ES3_S5_PhS7_NS0_8identityIhEEEE10hipError_tT2_T3_mT4_P12ihipStream_tbEUlT_E_NS1_11comp_targetILNS1_3genE0ELNS1_11target_archE4294967295ELNS1_3gpuE0ELNS1_3repE0EEENS1_30default_config_static_selectorELNS0_4arch9wavefront6targetE0EEEvT1_
	.p2align	8
	.type	_ZN7rocprim17ROCPRIM_400000_NS6detail17trampoline_kernelINS0_14default_configENS1_25transform_config_selectorIhLb1EEEZNS1_14transform_implILb1ES3_S5_PhS7_NS0_8identityIhEEEE10hipError_tT2_T3_mT4_P12ihipStream_tbEUlT_E_NS1_11comp_targetILNS1_3genE0ELNS1_11target_archE4294967295ELNS1_3gpuE0ELNS1_3repE0EEENS1_30default_config_static_selectorELNS0_4arch9wavefront6targetE0EEEvT1_,@function
_ZN7rocprim17ROCPRIM_400000_NS6detail17trampoline_kernelINS0_14default_configENS1_25transform_config_selectorIhLb1EEEZNS1_14transform_implILb1ES3_S5_PhS7_NS0_8identityIhEEEE10hipError_tT2_T3_mT4_P12ihipStream_tbEUlT_E_NS1_11comp_targetILNS1_3genE0ELNS1_11target_archE4294967295ELNS1_3gpuE0ELNS1_3repE0EEENS1_30default_config_static_selectorELNS0_4arch9wavefront6targetE0EEEvT1_: ; @_ZN7rocprim17ROCPRIM_400000_NS6detail17trampoline_kernelINS0_14default_configENS1_25transform_config_selectorIhLb1EEEZNS1_14transform_implILb1ES3_S5_PhS7_NS0_8identityIhEEEE10hipError_tT2_T3_mT4_P12ihipStream_tbEUlT_E_NS1_11comp_targetILNS1_3genE0ELNS1_11target_archE4294967295ELNS1_3gpuE0ELNS1_3repE0EEENS1_30default_config_static_selectorELNS0_4arch9wavefront6targetE0EEEvT1_
; %bb.0:
	.section	.rodata,"a",@progbits
	.p2align	6, 0x0
	.amdhsa_kernel _ZN7rocprim17ROCPRIM_400000_NS6detail17trampoline_kernelINS0_14default_configENS1_25transform_config_selectorIhLb1EEEZNS1_14transform_implILb1ES3_S5_PhS7_NS0_8identityIhEEEE10hipError_tT2_T3_mT4_P12ihipStream_tbEUlT_E_NS1_11comp_targetILNS1_3genE0ELNS1_11target_archE4294967295ELNS1_3gpuE0ELNS1_3repE0EEENS1_30default_config_static_selectorELNS0_4arch9wavefront6targetE0EEEvT1_
		.amdhsa_group_segment_fixed_size 0
		.amdhsa_private_segment_fixed_size 0
		.amdhsa_kernarg_size 40
		.amdhsa_user_sgpr_count 15
		.amdhsa_user_sgpr_dispatch_ptr 0
		.amdhsa_user_sgpr_queue_ptr 0
		.amdhsa_user_sgpr_kernarg_segment_ptr 1
		.amdhsa_user_sgpr_dispatch_id 0
		.amdhsa_user_sgpr_private_segment_size 0
		.amdhsa_wavefront_size32 1
		.amdhsa_uses_dynamic_stack 0
		.amdhsa_enable_private_segment 0
		.amdhsa_system_sgpr_workgroup_id_x 1
		.amdhsa_system_sgpr_workgroup_id_y 0
		.amdhsa_system_sgpr_workgroup_id_z 0
		.amdhsa_system_sgpr_workgroup_info 0
		.amdhsa_system_vgpr_workitem_id 0
		.amdhsa_next_free_vgpr 1
		.amdhsa_next_free_sgpr 1
		.amdhsa_reserve_vcc 0
		.amdhsa_float_round_mode_32 0
		.amdhsa_float_round_mode_16_64 0
		.amdhsa_float_denorm_mode_32 3
		.amdhsa_float_denorm_mode_16_64 3
		.amdhsa_dx10_clamp 1
		.amdhsa_ieee_mode 1
		.amdhsa_fp16_overflow 0
		.amdhsa_workgroup_processor_mode 1
		.amdhsa_memory_ordered 1
		.amdhsa_forward_progress 0
		.amdhsa_shared_vgpr_count 0
		.amdhsa_exception_fp_ieee_invalid_op 0
		.amdhsa_exception_fp_denorm_src 0
		.amdhsa_exception_fp_ieee_div_zero 0
		.amdhsa_exception_fp_ieee_overflow 0
		.amdhsa_exception_fp_ieee_underflow 0
		.amdhsa_exception_fp_ieee_inexact 0
		.amdhsa_exception_int_div_zero 0
	.end_amdhsa_kernel
	.section	.text._ZN7rocprim17ROCPRIM_400000_NS6detail17trampoline_kernelINS0_14default_configENS1_25transform_config_selectorIhLb1EEEZNS1_14transform_implILb1ES3_S5_PhS7_NS0_8identityIhEEEE10hipError_tT2_T3_mT4_P12ihipStream_tbEUlT_E_NS1_11comp_targetILNS1_3genE0ELNS1_11target_archE4294967295ELNS1_3gpuE0ELNS1_3repE0EEENS1_30default_config_static_selectorELNS0_4arch9wavefront6targetE0EEEvT1_,"axG",@progbits,_ZN7rocprim17ROCPRIM_400000_NS6detail17trampoline_kernelINS0_14default_configENS1_25transform_config_selectorIhLb1EEEZNS1_14transform_implILb1ES3_S5_PhS7_NS0_8identityIhEEEE10hipError_tT2_T3_mT4_P12ihipStream_tbEUlT_E_NS1_11comp_targetILNS1_3genE0ELNS1_11target_archE4294967295ELNS1_3gpuE0ELNS1_3repE0EEENS1_30default_config_static_selectorELNS0_4arch9wavefront6targetE0EEEvT1_,comdat
.Lfunc_end113:
	.size	_ZN7rocprim17ROCPRIM_400000_NS6detail17trampoline_kernelINS0_14default_configENS1_25transform_config_selectorIhLb1EEEZNS1_14transform_implILb1ES3_S5_PhS7_NS0_8identityIhEEEE10hipError_tT2_T3_mT4_P12ihipStream_tbEUlT_E_NS1_11comp_targetILNS1_3genE0ELNS1_11target_archE4294967295ELNS1_3gpuE0ELNS1_3repE0EEENS1_30default_config_static_selectorELNS0_4arch9wavefront6targetE0EEEvT1_, .Lfunc_end113-_ZN7rocprim17ROCPRIM_400000_NS6detail17trampoline_kernelINS0_14default_configENS1_25transform_config_selectorIhLb1EEEZNS1_14transform_implILb1ES3_S5_PhS7_NS0_8identityIhEEEE10hipError_tT2_T3_mT4_P12ihipStream_tbEUlT_E_NS1_11comp_targetILNS1_3genE0ELNS1_11target_archE4294967295ELNS1_3gpuE0ELNS1_3repE0EEENS1_30default_config_static_selectorELNS0_4arch9wavefront6targetE0EEEvT1_
                                        ; -- End function
	.section	.AMDGPU.csdata,"",@progbits
; Kernel info:
; codeLenInByte = 0
; NumSgprs: 0
; NumVgprs: 0
; ScratchSize: 0
; MemoryBound: 0
; FloatMode: 240
; IeeeMode: 1
; LDSByteSize: 0 bytes/workgroup (compile time only)
; SGPRBlocks: 0
; VGPRBlocks: 0
; NumSGPRsForWavesPerEU: 1
; NumVGPRsForWavesPerEU: 1
; Occupancy: 16
; WaveLimiterHint : 0
; COMPUTE_PGM_RSRC2:SCRATCH_EN: 0
; COMPUTE_PGM_RSRC2:USER_SGPR: 15
; COMPUTE_PGM_RSRC2:TRAP_HANDLER: 0
; COMPUTE_PGM_RSRC2:TGID_X_EN: 1
; COMPUTE_PGM_RSRC2:TGID_Y_EN: 0
; COMPUTE_PGM_RSRC2:TGID_Z_EN: 0
; COMPUTE_PGM_RSRC2:TIDIG_COMP_CNT: 0
	.section	.text._ZN7rocprim17ROCPRIM_400000_NS6detail17trampoline_kernelINS0_14default_configENS1_25transform_config_selectorIhLb1EEEZNS1_14transform_implILb1ES3_S5_PhS7_NS0_8identityIhEEEE10hipError_tT2_T3_mT4_P12ihipStream_tbEUlT_E_NS1_11comp_targetILNS1_3genE10ELNS1_11target_archE1201ELNS1_3gpuE5ELNS1_3repE0EEENS1_30default_config_static_selectorELNS0_4arch9wavefront6targetE0EEEvT1_,"axG",@progbits,_ZN7rocprim17ROCPRIM_400000_NS6detail17trampoline_kernelINS0_14default_configENS1_25transform_config_selectorIhLb1EEEZNS1_14transform_implILb1ES3_S5_PhS7_NS0_8identityIhEEEE10hipError_tT2_T3_mT4_P12ihipStream_tbEUlT_E_NS1_11comp_targetILNS1_3genE10ELNS1_11target_archE1201ELNS1_3gpuE5ELNS1_3repE0EEENS1_30default_config_static_selectorELNS0_4arch9wavefront6targetE0EEEvT1_,comdat
	.protected	_ZN7rocprim17ROCPRIM_400000_NS6detail17trampoline_kernelINS0_14default_configENS1_25transform_config_selectorIhLb1EEEZNS1_14transform_implILb1ES3_S5_PhS7_NS0_8identityIhEEEE10hipError_tT2_T3_mT4_P12ihipStream_tbEUlT_E_NS1_11comp_targetILNS1_3genE10ELNS1_11target_archE1201ELNS1_3gpuE5ELNS1_3repE0EEENS1_30default_config_static_selectorELNS0_4arch9wavefront6targetE0EEEvT1_ ; -- Begin function _ZN7rocprim17ROCPRIM_400000_NS6detail17trampoline_kernelINS0_14default_configENS1_25transform_config_selectorIhLb1EEEZNS1_14transform_implILb1ES3_S5_PhS7_NS0_8identityIhEEEE10hipError_tT2_T3_mT4_P12ihipStream_tbEUlT_E_NS1_11comp_targetILNS1_3genE10ELNS1_11target_archE1201ELNS1_3gpuE5ELNS1_3repE0EEENS1_30default_config_static_selectorELNS0_4arch9wavefront6targetE0EEEvT1_
	.globl	_ZN7rocprim17ROCPRIM_400000_NS6detail17trampoline_kernelINS0_14default_configENS1_25transform_config_selectorIhLb1EEEZNS1_14transform_implILb1ES3_S5_PhS7_NS0_8identityIhEEEE10hipError_tT2_T3_mT4_P12ihipStream_tbEUlT_E_NS1_11comp_targetILNS1_3genE10ELNS1_11target_archE1201ELNS1_3gpuE5ELNS1_3repE0EEENS1_30default_config_static_selectorELNS0_4arch9wavefront6targetE0EEEvT1_
	.p2align	8
	.type	_ZN7rocprim17ROCPRIM_400000_NS6detail17trampoline_kernelINS0_14default_configENS1_25transform_config_selectorIhLb1EEEZNS1_14transform_implILb1ES3_S5_PhS7_NS0_8identityIhEEEE10hipError_tT2_T3_mT4_P12ihipStream_tbEUlT_E_NS1_11comp_targetILNS1_3genE10ELNS1_11target_archE1201ELNS1_3gpuE5ELNS1_3repE0EEENS1_30default_config_static_selectorELNS0_4arch9wavefront6targetE0EEEvT1_,@function
_ZN7rocprim17ROCPRIM_400000_NS6detail17trampoline_kernelINS0_14default_configENS1_25transform_config_selectorIhLb1EEEZNS1_14transform_implILb1ES3_S5_PhS7_NS0_8identityIhEEEE10hipError_tT2_T3_mT4_P12ihipStream_tbEUlT_E_NS1_11comp_targetILNS1_3genE10ELNS1_11target_archE1201ELNS1_3gpuE5ELNS1_3repE0EEENS1_30default_config_static_selectorELNS0_4arch9wavefront6targetE0EEEvT1_: ; @_ZN7rocprim17ROCPRIM_400000_NS6detail17trampoline_kernelINS0_14default_configENS1_25transform_config_selectorIhLb1EEEZNS1_14transform_implILb1ES3_S5_PhS7_NS0_8identityIhEEEE10hipError_tT2_T3_mT4_P12ihipStream_tbEUlT_E_NS1_11comp_targetILNS1_3genE10ELNS1_11target_archE1201ELNS1_3gpuE5ELNS1_3repE0EEENS1_30default_config_static_selectorELNS0_4arch9wavefront6targetE0EEEvT1_
; %bb.0:
	.section	.rodata,"a",@progbits
	.p2align	6, 0x0
	.amdhsa_kernel _ZN7rocprim17ROCPRIM_400000_NS6detail17trampoline_kernelINS0_14default_configENS1_25transform_config_selectorIhLb1EEEZNS1_14transform_implILb1ES3_S5_PhS7_NS0_8identityIhEEEE10hipError_tT2_T3_mT4_P12ihipStream_tbEUlT_E_NS1_11comp_targetILNS1_3genE10ELNS1_11target_archE1201ELNS1_3gpuE5ELNS1_3repE0EEENS1_30default_config_static_selectorELNS0_4arch9wavefront6targetE0EEEvT1_
		.amdhsa_group_segment_fixed_size 0
		.amdhsa_private_segment_fixed_size 0
		.amdhsa_kernarg_size 40
		.amdhsa_user_sgpr_count 15
		.amdhsa_user_sgpr_dispatch_ptr 0
		.amdhsa_user_sgpr_queue_ptr 0
		.amdhsa_user_sgpr_kernarg_segment_ptr 1
		.amdhsa_user_sgpr_dispatch_id 0
		.amdhsa_user_sgpr_private_segment_size 0
		.amdhsa_wavefront_size32 1
		.amdhsa_uses_dynamic_stack 0
		.amdhsa_enable_private_segment 0
		.amdhsa_system_sgpr_workgroup_id_x 1
		.amdhsa_system_sgpr_workgroup_id_y 0
		.amdhsa_system_sgpr_workgroup_id_z 0
		.amdhsa_system_sgpr_workgroup_info 0
		.amdhsa_system_vgpr_workitem_id 0
		.amdhsa_next_free_vgpr 1
		.amdhsa_next_free_sgpr 1
		.amdhsa_reserve_vcc 0
		.amdhsa_float_round_mode_32 0
		.amdhsa_float_round_mode_16_64 0
		.amdhsa_float_denorm_mode_32 3
		.amdhsa_float_denorm_mode_16_64 3
		.amdhsa_dx10_clamp 1
		.amdhsa_ieee_mode 1
		.amdhsa_fp16_overflow 0
		.amdhsa_workgroup_processor_mode 1
		.amdhsa_memory_ordered 1
		.amdhsa_forward_progress 0
		.amdhsa_shared_vgpr_count 0
		.amdhsa_exception_fp_ieee_invalid_op 0
		.amdhsa_exception_fp_denorm_src 0
		.amdhsa_exception_fp_ieee_div_zero 0
		.amdhsa_exception_fp_ieee_overflow 0
		.amdhsa_exception_fp_ieee_underflow 0
		.amdhsa_exception_fp_ieee_inexact 0
		.amdhsa_exception_int_div_zero 0
	.end_amdhsa_kernel
	.section	.text._ZN7rocprim17ROCPRIM_400000_NS6detail17trampoline_kernelINS0_14default_configENS1_25transform_config_selectorIhLb1EEEZNS1_14transform_implILb1ES3_S5_PhS7_NS0_8identityIhEEEE10hipError_tT2_T3_mT4_P12ihipStream_tbEUlT_E_NS1_11comp_targetILNS1_3genE10ELNS1_11target_archE1201ELNS1_3gpuE5ELNS1_3repE0EEENS1_30default_config_static_selectorELNS0_4arch9wavefront6targetE0EEEvT1_,"axG",@progbits,_ZN7rocprim17ROCPRIM_400000_NS6detail17trampoline_kernelINS0_14default_configENS1_25transform_config_selectorIhLb1EEEZNS1_14transform_implILb1ES3_S5_PhS7_NS0_8identityIhEEEE10hipError_tT2_T3_mT4_P12ihipStream_tbEUlT_E_NS1_11comp_targetILNS1_3genE10ELNS1_11target_archE1201ELNS1_3gpuE5ELNS1_3repE0EEENS1_30default_config_static_selectorELNS0_4arch9wavefront6targetE0EEEvT1_,comdat
.Lfunc_end114:
	.size	_ZN7rocprim17ROCPRIM_400000_NS6detail17trampoline_kernelINS0_14default_configENS1_25transform_config_selectorIhLb1EEEZNS1_14transform_implILb1ES3_S5_PhS7_NS0_8identityIhEEEE10hipError_tT2_T3_mT4_P12ihipStream_tbEUlT_E_NS1_11comp_targetILNS1_3genE10ELNS1_11target_archE1201ELNS1_3gpuE5ELNS1_3repE0EEENS1_30default_config_static_selectorELNS0_4arch9wavefront6targetE0EEEvT1_, .Lfunc_end114-_ZN7rocprim17ROCPRIM_400000_NS6detail17trampoline_kernelINS0_14default_configENS1_25transform_config_selectorIhLb1EEEZNS1_14transform_implILb1ES3_S5_PhS7_NS0_8identityIhEEEE10hipError_tT2_T3_mT4_P12ihipStream_tbEUlT_E_NS1_11comp_targetILNS1_3genE10ELNS1_11target_archE1201ELNS1_3gpuE5ELNS1_3repE0EEENS1_30default_config_static_selectorELNS0_4arch9wavefront6targetE0EEEvT1_
                                        ; -- End function
	.section	.AMDGPU.csdata,"",@progbits
; Kernel info:
; codeLenInByte = 0
; NumSgprs: 0
; NumVgprs: 0
; ScratchSize: 0
; MemoryBound: 0
; FloatMode: 240
; IeeeMode: 1
; LDSByteSize: 0 bytes/workgroup (compile time only)
; SGPRBlocks: 0
; VGPRBlocks: 0
; NumSGPRsForWavesPerEU: 1
; NumVGPRsForWavesPerEU: 1
; Occupancy: 16
; WaveLimiterHint : 0
; COMPUTE_PGM_RSRC2:SCRATCH_EN: 0
; COMPUTE_PGM_RSRC2:USER_SGPR: 15
; COMPUTE_PGM_RSRC2:TRAP_HANDLER: 0
; COMPUTE_PGM_RSRC2:TGID_X_EN: 1
; COMPUTE_PGM_RSRC2:TGID_Y_EN: 0
; COMPUTE_PGM_RSRC2:TGID_Z_EN: 0
; COMPUTE_PGM_RSRC2:TIDIG_COMP_CNT: 0
	.section	.text._ZN7rocprim17ROCPRIM_400000_NS6detail17trampoline_kernelINS0_14default_configENS1_25transform_config_selectorIhLb1EEEZNS1_14transform_implILb1ES3_S5_PhS7_NS0_8identityIhEEEE10hipError_tT2_T3_mT4_P12ihipStream_tbEUlT_E_NS1_11comp_targetILNS1_3genE5ELNS1_11target_archE942ELNS1_3gpuE9ELNS1_3repE0EEENS1_30default_config_static_selectorELNS0_4arch9wavefront6targetE0EEEvT1_,"axG",@progbits,_ZN7rocprim17ROCPRIM_400000_NS6detail17trampoline_kernelINS0_14default_configENS1_25transform_config_selectorIhLb1EEEZNS1_14transform_implILb1ES3_S5_PhS7_NS0_8identityIhEEEE10hipError_tT2_T3_mT4_P12ihipStream_tbEUlT_E_NS1_11comp_targetILNS1_3genE5ELNS1_11target_archE942ELNS1_3gpuE9ELNS1_3repE0EEENS1_30default_config_static_selectorELNS0_4arch9wavefront6targetE0EEEvT1_,comdat
	.protected	_ZN7rocprim17ROCPRIM_400000_NS6detail17trampoline_kernelINS0_14default_configENS1_25transform_config_selectorIhLb1EEEZNS1_14transform_implILb1ES3_S5_PhS7_NS0_8identityIhEEEE10hipError_tT2_T3_mT4_P12ihipStream_tbEUlT_E_NS1_11comp_targetILNS1_3genE5ELNS1_11target_archE942ELNS1_3gpuE9ELNS1_3repE0EEENS1_30default_config_static_selectorELNS0_4arch9wavefront6targetE0EEEvT1_ ; -- Begin function _ZN7rocprim17ROCPRIM_400000_NS6detail17trampoline_kernelINS0_14default_configENS1_25transform_config_selectorIhLb1EEEZNS1_14transform_implILb1ES3_S5_PhS7_NS0_8identityIhEEEE10hipError_tT2_T3_mT4_P12ihipStream_tbEUlT_E_NS1_11comp_targetILNS1_3genE5ELNS1_11target_archE942ELNS1_3gpuE9ELNS1_3repE0EEENS1_30default_config_static_selectorELNS0_4arch9wavefront6targetE0EEEvT1_
	.globl	_ZN7rocprim17ROCPRIM_400000_NS6detail17trampoline_kernelINS0_14default_configENS1_25transform_config_selectorIhLb1EEEZNS1_14transform_implILb1ES3_S5_PhS7_NS0_8identityIhEEEE10hipError_tT2_T3_mT4_P12ihipStream_tbEUlT_E_NS1_11comp_targetILNS1_3genE5ELNS1_11target_archE942ELNS1_3gpuE9ELNS1_3repE0EEENS1_30default_config_static_selectorELNS0_4arch9wavefront6targetE0EEEvT1_
	.p2align	8
	.type	_ZN7rocprim17ROCPRIM_400000_NS6detail17trampoline_kernelINS0_14default_configENS1_25transform_config_selectorIhLb1EEEZNS1_14transform_implILb1ES3_S5_PhS7_NS0_8identityIhEEEE10hipError_tT2_T3_mT4_P12ihipStream_tbEUlT_E_NS1_11comp_targetILNS1_3genE5ELNS1_11target_archE942ELNS1_3gpuE9ELNS1_3repE0EEENS1_30default_config_static_selectorELNS0_4arch9wavefront6targetE0EEEvT1_,@function
_ZN7rocprim17ROCPRIM_400000_NS6detail17trampoline_kernelINS0_14default_configENS1_25transform_config_selectorIhLb1EEEZNS1_14transform_implILb1ES3_S5_PhS7_NS0_8identityIhEEEE10hipError_tT2_T3_mT4_P12ihipStream_tbEUlT_E_NS1_11comp_targetILNS1_3genE5ELNS1_11target_archE942ELNS1_3gpuE9ELNS1_3repE0EEENS1_30default_config_static_selectorELNS0_4arch9wavefront6targetE0EEEvT1_: ; @_ZN7rocprim17ROCPRIM_400000_NS6detail17trampoline_kernelINS0_14default_configENS1_25transform_config_selectorIhLb1EEEZNS1_14transform_implILb1ES3_S5_PhS7_NS0_8identityIhEEEE10hipError_tT2_T3_mT4_P12ihipStream_tbEUlT_E_NS1_11comp_targetILNS1_3genE5ELNS1_11target_archE942ELNS1_3gpuE9ELNS1_3repE0EEENS1_30default_config_static_selectorELNS0_4arch9wavefront6targetE0EEEvT1_
; %bb.0:
	.section	.rodata,"a",@progbits
	.p2align	6, 0x0
	.amdhsa_kernel _ZN7rocprim17ROCPRIM_400000_NS6detail17trampoline_kernelINS0_14default_configENS1_25transform_config_selectorIhLb1EEEZNS1_14transform_implILb1ES3_S5_PhS7_NS0_8identityIhEEEE10hipError_tT2_T3_mT4_P12ihipStream_tbEUlT_E_NS1_11comp_targetILNS1_3genE5ELNS1_11target_archE942ELNS1_3gpuE9ELNS1_3repE0EEENS1_30default_config_static_selectorELNS0_4arch9wavefront6targetE0EEEvT1_
		.amdhsa_group_segment_fixed_size 0
		.amdhsa_private_segment_fixed_size 0
		.amdhsa_kernarg_size 40
		.amdhsa_user_sgpr_count 15
		.amdhsa_user_sgpr_dispatch_ptr 0
		.amdhsa_user_sgpr_queue_ptr 0
		.amdhsa_user_sgpr_kernarg_segment_ptr 1
		.amdhsa_user_sgpr_dispatch_id 0
		.amdhsa_user_sgpr_private_segment_size 0
		.amdhsa_wavefront_size32 1
		.amdhsa_uses_dynamic_stack 0
		.amdhsa_enable_private_segment 0
		.amdhsa_system_sgpr_workgroup_id_x 1
		.amdhsa_system_sgpr_workgroup_id_y 0
		.amdhsa_system_sgpr_workgroup_id_z 0
		.amdhsa_system_sgpr_workgroup_info 0
		.amdhsa_system_vgpr_workitem_id 0
		.amdhsa_next_free_vgpr 1
		.amdhsa_next_free_sgpr 1
		.amdhsa_reserve_vcc 0
		.amdhsa_float_round_mode_32 0
		.amdhsa_float_round_mode_16_64 0
		.amdhsa_float_denorm_mode_32 3
		.amdhsa_float_denorm_mode_16_64 3
		.amdhsa_dx10_clamp 1
		.amdhsa_ieee_mode 1
		.amdhsa_fp16_overflow 0
		.amdhsa_workgroup_processor_mode 1
		.amdhsa_memory_ordered 1
		.amdhsa_forward_progress 0
		.amdhsa_shared_vgpr_count 0
		.amdhsa_exception_fp_ieee_invalid_op 0
		.amdhsa_exception_fp_denorm_src 0
		.amdhsa_exception_fp_ieee_div_zero 0
		.amdhsa_exception_fp_ieee_overflow 0
		.amdhsa_exception_fp_ieee_underflow 0
		.amdhsa_exception_fp_ieee_inexact 0
		.amdhsa_exception_int_div_zero 0
	.end_amdhsa_kernel
	.section	.text._ZN7rocprim17ROCPRIM_400000_NS6detail17trampoline_kernelINS0_14default_configENS1_25transform_config_selectorIhLb1EEEZNS1_14transform_implILb1ES3_S5_PhS7_NS0_8identityIhEEEE10hipError_tT2_T3_mT4_P12ihipStream_tbEUlT_E_NS1_11comp_targetILNS1_3genE5ELNS1_11target_archE942ELNS1_3gpuE9ELNS1_3repE0EEENS1_30default_config_static_selectorELNS0_4arch9wavefront6targetE0EEEvT1_,"axG",@progbits,_ZN7rocprim17ROCPRIM_400000_NS6detail17trampoline_kernelINS0_14default_configENS1_25transform_config_selectorIhLb1EEEZNS1_14transform_implILb1ES3_S5_PhS7_NS0_8identityIhEEEE10hipError_tT2_T3_mT4_P12ihipStream_tbEUlT_E_NS1_11comp_targetILNS1_3genE5ELNS1_11target_archE942ELNS1_3gpuE9ELNS1_3repE0EEENS1_30default_config_static_selectorELNS0_4arch9wavefront6targetE0EEEvT1_,comdat
.Lfunc_end115:
	.size	_ZN7rocprim17ROCPRIM_400000_NS6detail17trampoline_kernelINS0_14default_configENS1_25transform_config_selectorIhLb1EEEZNS1_14transform_implILb1ES3_S5_PhS7_NS0_8identityIhEEEE10hipError_tT2_T3_mT4_P12ihipStream_tbEUlT_E_NS1_11comp_targetILNS1_3genE5ELNS1_11target_archE942ELNS1_3gpuE9ELNS1_3repE0EEENS1_30default_config_static_selectorELNS0_4arch9wavefront6targetE0EEEvT1_, .Lfunc_end115-_ZN7rocprim17ROCPRIM_400000_NS6detail17trampoline_kernelINS0_14default_configENS1_25transform_config_selectorIhLb1EEEZNS1_14transform_implILb1ES3_S5_PhS7_NS0_8identityIhEEEE10hipError_tT2_T3_mT4_P12ihipStream_tbEUlT_E_NS1_11comp_targetILNS1_3genE5ELNS1_11target_archE942ELNS1_3gpuE9ELNS1_3repE0EEENS1_30default_config_static_selectorELNS0_4arch9wavefront6targetE0EEEvT1_
                                        ; -- End function
	.section	.AMDGPU.csdata,"",@progbits
; Kernel info:
; codeLenInByte = 0
; NumSgprs: 0
; NumVgprs: 0
; ScratchSize: 0
; MemoryBound: 0
; FloatMode: 240
; IeeeMode: 1
; LDSByteSize: 0 bytes/workgroup (compile time only)
; SGPRBlocks: 0
; VGPRBlocks: 0
; NumSGPRsForWavesPerEU: 1
; NumVGPRsForWavesPerEU: 1
; Occupancy: 16
; WaveLimiterHint : 0
; COMPUTE_PGM_RSRC2:SCRATCH_EN: 0
; COMPUTE_PGM_RSRC2:USER_SGPR: 15
; COMPUTE_PGM_RSRC2:TRAP_HANDLER: 0
; COMPUTE_PGM_RSRC2:TGID_X_EN: 1
; COMPUTE_PGM_RSRC2:TGID_Y_EN: 0
; COMPUTE_PGM_RSRC2:TGID_Z_EN: 0
; COMPUTE_PGM_RSRC2:TIDIG_COMP_CNT: 0
	.section	.text._ZN7rocprim17ROCPRIM_400000_NS6detail17trampoline_kernelINS0_14default_configENS1_25transform_config_selectorIhLb1EEEZNS1_14transform_implILb1ES3_S5_PhS7_NS0_8identityIhEEEE10hipError_tT2_T3_mT4_P12ihipStream_tbEUlT_E_NS1_11comp_targetILNS1_3genE4ELNS1_11target_archE910ELNS1_3gpuE8ELNS1_3repE0EEENS1_30default_config_static_selectorELNS0_4arch9wavefront6targetE0EEEvT1_,"axG",@progbits,_ZN7rocprim17ROCPRIM_400000_NS6detail17trampoline_kernelINS0_14default_configENS1_25transform_config_selectorIhLb1EEEZNS1_14transform_implILb1ES3_S5_PhS7_NS0_8identityIhEEEE10hipError_tT2_T3_mT4_P12ihipStream_tbEUlT_E_NS1_11comp_targetILNS1_3genE4ELNS1_11target_archE910ELNS1_3gpuE8ELNS1_3repE0EEENS1_30default_config_static_selectorELNS0_4arch9wavefront6targetE0EEEvT1_,comdat
	.protected	_ZN7rocprim17ROCPRIM_400000_NS6detail17trampoline_kernelINS0_14default_configENS1_25transform_config_selectorIhLb1EEEZNS1_14transform_implILb1ES3_S5_PhS7_NS0_8identityIhEEEE10hipError_tT2_T3_mT4_P12ihipStream_tbEUlT_E_NS1_11comp_targetILNS1_3genE4ELNS1_11target_archE910ELNS1_3gpuE8ELNS1_3repE0EEENS1_30default_config_static_selectorELNS0_4arch9wavefront6targetE0EEEvT1_ ; -- Begin function _ZN7rocprim17ROCPRIM_400000_NS6detail17trampoline_kernelINS0_14default_configENS1_25transform_config_selectorIhLb1EEEZNS1_14transform_implILb1ES3_S5_PhS7_NS0_8identityIhEEEE10hipError_tT2_T3_mT4_P12ihipStream_tbEUlT_E_NS1_11comp_targetILNS1_3genE4ELNS1_11target_archE910ELNS1_3gpuE8ELNS1_3repE0EEENS1_30default_config_static_selectorELNS0_4arch9wavefront6targetE0EEEvT1_
	.globl	_ZN7rocprim17ROCPRIM_400000_NS6detail17trampoline_kernelINS0_14default_configENS1_25transform_config_selectorIhLb1EEEZNS1_14transform_implILb1ES3_S5_PhS7_NS0_8identityIhEEEE10hipError_tT2_T3_mT4_P12ihipStream_tbEUlT_E_NS1_11comp_targetILNS1_3genE4ELNS1_11target_archE910ELNS1_3gpuE8ELNS1_3repE0EEENS1_30default_config_static_selectorELNS0_4arch9wavefront6targetE0EEEvT1_
	.p2align	8
	.type	_ZN7rocprim17ROCPRIM_400000_NS6detail17trampoline_kernelINS0_14default_configENS1_25transform_config_selectorIhLb1EEEZNS1_14transform_implILb1ES3_S5_PhS7_NS0_8identityIhEEEE10hipError_tT2_T3_mT4_P12ihipStream_tbEUlT_E_NS1_11comp_targetILNS1_3genE4ELNS1_11target_archE910ELNS1_3gpuE8ELNS1_3repE0EEENS1_30default_config_static_selectorELNS0_4arch9wavefront6targetE0EEEvT1_,@function
_ZN7rocprim17ROCPRIM_400000_NS6detail17trampoline_kernelINS0_14default_configENS1_25transform_config_selectorIhLb1EEEZNS1_14transform_implILb1ES3_S5_PhS7_NS0_8identityIhEEEE10hipError_tT2_T3_mT4_P12ihipStream_tbEUlT_E_NS1_11comp_targetILNS1_3genE4ELNS1_11target_archE910ELNS1_3gpuE8ELNS1_3repE0EEENS1_30default_config_static_selectorELNS0_4arch9wavefront6targetE0EEEvT1_: ; @_ZN7rocprim17ROCPRIM_400000_NS6detail17trampoline_kernelINS0_14default_configENS1_25transform_config_selectorIhLb1EEEZNS1_14transform_implILb1ES3_S5_PhS7_NS0_8identityIhEEEE10hipError_tT2_T3_mT4_P12ihipStream_tbEUlT_E_NS1_11comp_targetILNS1_3genE4ELNS1_11target_archE910ELNS1_3gpuE8ELNS1_3repE0EEENS1_30default_config_static_selectorELNS0_4arch9wavefront6targetE0EEEvT1_
; %bb.0:
	.section	.rodata,"a",@progbits
	.p2align	6, 0x0
	.amdhsa_kernel _ZN7rocprim17ROCPRIM_400000_NS6detail17trampoline_kernelINS0_14default_configENS1_25transform_config_selectorIhLb1EEEZNS1_14transform_implILb1ES3_S5_PhS7_NS0_8identityIhEEEE10hipError_tT2_T3_mT4_P12ihipStream_tbEUlT_E_NS1_11comp_targetILNS1_3genE4ELNS1_11target_archE910ELNS1_3gpuE8ELNS1_3repE0EEENS1_30default_config_static_selectorELNS0_4arch9wavefront6targetE0EEEvT1_
		.amdhsa_group_segment_fixed_size 0
		.amdhsa_private_segment_fixed_size 0
		.amdhsa_kernarg_size 40
		.amdhsa_user_sgpr_count 15
		.amdhsa_user_sgpr_dispatch_ptr 0
		.amdhsa_user_sgpr_queue_ptr 0
		.amdhsa_user_sgpr_kernarg_segment_ptr 1
		.amdhsa_user_sgpr_dispatch_id 0
		.amdhsa_user_sgpr_private_segment_size 0
		.amdhsa_wavefront_size32 1
		.amdhsa_uses_dynamic_stack 0
		.amdhsa_enable_private_segment 0
		.amdhsa_system_sgpr_workgroup_id_x 1
		.amdhsa_system_sgpr_workgroup_id_y 0
		.amdhsa_system_sgpr_workgroup_id_z 0
		.amdhsa_system_sgpr_workgroup_info 0
		.amdhsa_system_vgpr_workitem_id 0
		.amdhsa_next_free_vgpr 1
		.amdhsa_next_free_sgpr 1
		.amdhsa_reserve_vcc 0
		.amdhsa_float_round_mode_32 0
		.amdhsa_float_round_mode_16_64 0
		.amdhsa_float_denorm_mode_32 3
		.amdhsa_float_denorm_mode_16_64 3
		.amdhsa_dx10_clamp 1
		.amdhsa_ieee_mode 1
		.amdhsa_fp16_overflow 0
		.amdhsa_workgroup_processor_mode 1
		.amdhsa_memory_ordered 1
		.amdhsa_forward_progress 0
		.amdhsa_shared_vgpr_count 0
		.amdhsa_exception_fp_ieee_invalid_op 0
		.amdhsa_exception_fp_denorm_src 0
		.amdhsa_exception_fp_ieee_div_zero 0
		.amdhsa_exception_fp_ieee_overflow 0
		.amdhsa_exception_fp_ieee_underflow 0
		.amdhsa_exception_fp_ieee_inexact 0
		.amdhsa_exception_int_div_zero 0
	.end_amdhsa_kernel
	.section	.text._ZN7rocprim17ROCPRIM_400000_NS6detail17trampoline_kernelINS0_14default_configENS1_25transform_config_selectorIhLb1EEEZNS1_14transform_implILb1ES3_S5_PhS7_NS0_8identityIhEEEE10hipError_tT2_T3_mT4_P12ihipStream_tbEUlT_E_NS1_11comp_targetILNS1_3genE4ELNS1_11target_archE910ELNS1_3gpuE8ELNS1_3repE0EEENS1_30default_config_static_selectorELNS0_4arch9wavefront6targetE0EEEvT1_,"axG",@progbits,_ZN7rocprim17ROCPRIM_400000_NS6detail17trampoline_kernelINS0_14default_configENS1_25transform_config_selectorIhLb1EEEZNS1_14transform_implILb1ES3_S5_PhS7_NS0_8identityIhEEEE10hipError_tT2_T3_mT4_P12ihipStream_tbEUlT_E_NS1_11comp_targetILNS1_3genE4ELNS1_11target_archE910ELNS1_3gpuE8ELNS1_3repE0EEENS1_30default_config_static_selectorELNS0_4arch9wavefront6targetE0EEEvT1_,comdat
.Lfunc_end116:
	.size	_ZN7rocprim17ROCPRIM_400000_NS6detail17trampoline_kernelINS0_14default_configENS1_25transform_config_selectorIhLb1EEEZNS1_14transform_implILb1ES3_S5_PhS7_NS0_8identityIhEEEE10hipError_tT2_T3_mT4_P12ihipStream_tbEUlT_E_NS1_11comp_targetILNS1_3genE4ELNS1_11target_archE910ELNS1_3gpuE8ELNS1_3repE0EEENS1_30default_config_static_selectorELNS0_4arch9wavefront6targetE0EEEvT1_, .Lfunc_end116-_ZN7rocprim17ROCPRIM_400000_NS6detail17trampoline_kernelINS0_14default_configENS1_25transform_config_selectorIhLb1EEEZNS1_14transform_implILb1ES3_S5_PhS7_NS0_8identityIhEEEE10hipError_tT2_T3_mT4_P12ihipStream_tbEUlT_E_NS1_11comp_targetILNS1_3genE4ELNS1_11target_archE910ELNS1_3gpuE8ELNS1_3repE0EEENS1_30default_config_static_selectorELNS0_4arch9wavefront6targetE0EEEvT1_
                                        ; -- End function
	.section	.AMDGPU.csdata,"",@progbits
; Kernel info:
; codeLenInByte = 0
; NumSgprs: 0
; NumVgprs: 0
; ScratchSize: 0
; MemoryBound: 0
; FloatMode: 240
; IeeeMode: 1
; LDSByteSize: 0 bytes/workgroup (compile time only)
; SGPRBlocks: 0
; VGPRBlocks: 0
; NumSGPRsForWavesPerEU: 1
; NumVGPRsForWavesPerEU: 1
; Occupancy: 16
; WaveLimiterHint : 0
; COMPUTE_PGM_RSRC2:SCRATCH_EN: 0
; COMPUTE_PGM_RSRC2:USER_SGPR: 15
; COMPUTE_PGM_RSRC2:TRAP_HANDLER: 0
; COMPUTE_PGM_RSRC2:TGID_X_EN: 1
; COMPUTE_PGM_RSRC2:TGID_Y_EN: 0
; COMPUTE_PGM_RSRC2:TGID_Z_EN: 0
; COMPUTE_PGM_RSRC2:TIDIG_COMP_CNT: 0
	.section	.text._ZN7rocprim17ROCPRIM_400000_NS6detail17trampoline_kernelINS0_14default_configENS1_25transform_config_selectorIhLb1EEEZNS1_14transform_implILb1ES3_S5_PhS7_NS0_8identityIhEEEE10hipError_tT2_T3_mT4_P12ihipStream_tbEUlT_E_NS1_11comp_targetILNS1_3genE3ELNS1_11target_archE908ELNS1_3gpuE7ELNS1_3repE0EEENS1_30default_config_static_selectorELNS0_4arch9wavefront6targetE0EEEvT1_,"axG",@progbits,_ZN7rocprim17ROCPRIM_400000_NS6detail17trampoline_kernelINS0_14default_configENS1_25transform_config_selectorIhLb1EEEZNS1_14transform_implILb1ES3_S5_PhS7_NS0_8identityIhEEEE10hipError_tT2_T3_mT4_P12ihipStream_tbEUlT_E_NS1_11comp_targetILNS1_3genE3ELNS1_11target_archE908ELNS1_3gpuE7ELNS1_3repE0EEENS1_30default_config_static_selectorELNS0_4arch9wavefront6targetE0EEEvT1_,comdat
	.protected	_ZN7rocprim17ROCPRIM_400000_NS6detail17trampoline_kernelINS0_14default_configENS1_25transform_config_selectorIhLb1EEEZNS1_14transform_implILb1ES3_S5_PhS7_NS0_8identityIhEEEE10hipError_tT2_T3_mT4_P12ihipStream_tbEUlT_E_NS1_11comp_targetILNS1_3genE3ELNS1_11target_archE908ELNS1_3gpuE7ELNS1_3repE0EEENS1_30default_config_static_selectorELNS0_4arch9wavefront6targetE0EEEvT1_ ; -- Begin function _ZN7rocprim17ROCPRIM_400000_NS6detail17trampoline_kernelINS0_14default_configENS1_25transform_config_selectorIhLb1EEEZNS1_14transform_implILb1ES3_S5_PhS7_NS0_8identityIhEEEE10hipError_tT2_T3_mT4_P12ihipStream_tbEUlT_E_NS1_11comp_targetILNS1_3genE3ELNS1_11target_archE908ELNS1_3gpuE7ELNS1_3repE0EEENS1_30default_config_static_selectorELNS0_4arch9wavefront6targetE0EEEvT1_
	.globl	_ZN7rocprim17ROCPRIM_400000_NS6detail17trampoline_kernelINS0_14default_configENS1_25transform_config_selectorIhLb1EEEZNS1_14transform_implILb1ES3_S5_PhS7_NS0_8identityIhEEEE10hipError_tT2_T3_mT4_P12ihipStream_tbEUlT_E_NS1_11comp_targetILNS1_3genE3ELNS1_11target_archE908ELNS1_3gpuE7ELNS1_3repE0EEENS1_30default_config_static_selectorELNS0_4arch9wavefront6targetE0EEEvT1_
	.p2align	8
	.type	_ZN7rocprim17ROCPRIM_400000_NS6detail17trampoline_kernelINS0_14default_configENS1_25transform_config_selectorIhLb1EEEZNS1_14transform_implILb1ES3_S5_PhS7_NS0_8identityIhEEEE10hipError_tT2_T3_mT4_P12ihipStream_tbEUlT_E_NS1_11comp_targetILNS1_3genE3ELNS1_11target_archE908ELNS1_3gpuE7ELNS1_3repE0EEENS1_30default_config_static_selectorELNS0_4arch9wavefront6targetE0EEEvT1_,@function
_ZN7rocprim17ROCPRIM_400000_NS6detail17trampoline_kernelINS0_14default_configENS1_25transform_config_selectorIhLb1EEEZNS1_14transform_implILb1ES3_S5_PhS7_NS0_8identityIhEEEE10hipError_tT2_T3_mT4_P12ihipStream_tbEUlT_E_NS1_11comp_targetILNS1_3genE3ELNS1_11target_archE908ELNS1_3gpuE7ELNS1_3repE0EEENS1_30default_config_static_selectorELNS0_4arch9wavefront6targetE0EEEvT1_: ; @_ZN7rocprim17ROCPRIM_400000_NS6detail17trampoline_kernelINS0_14default_configENS1_25transform_config_selectorIhLb1EEEZNS1_14transform_implILb1ES3_S5_PhS7_NS0_8identityIhEEEE10hipError_tT2_T3_mT4_P12ihipStream_tbEUlT_E_NS1_11comp_targetILNS1_3genE3ELNS1_11target_archE908ELNS1_3gpuE7ELNS1_3repE0EEENS1_30default_config_static_selectorELNS0_4arch9wavefront6targetE0EEEvT1_
; %bb.0:
	.section	.rodata,"a",@progbits
	.p2align	6, 0x0
	.amdhsa_kernel _ZN7rocprim17ROCPRIM_400000_NS6detail17trampoline_kernelINS0_14default_configENS1_25transform_config_selectorIhLb1EEEZNS1_14transform_implILb1ES3_S5_PhS7_NS0_8identityIhEEEE10hipError_tT2_T3_mT4_P12ihipStream_tbEUlT_E_NS1_11comp_targetILNS1_3genE3ELNS1_11target_archE908ELNS1_3gpuE7ELNS1_3repE0EEENS1_30default_config_static_selectorELNS0_4arch9wavefront6targetE0EEEvT1_
		.amdhsa_group_segment_fixed_size 0
		.amdhsa_private_segment_fixed_size 0
		.amdhsa_kernarg_size 40
		.amdhsa_user_sgpr_count 15
		.amdhsa_user_sgpr_dispatch_ptr 0
		.amdhsa_user_sgpr_queue_ptr 0
		.amdhsa_user_sgpr_kernarg_segment_ptr 1
		.amdhsa_user_sgpr_dispatch_id 0
		.amdhsa_user_sgpr_private_segment_size 0
		.amdhsa_wavefront_size32 1
		.amdhsa_uses_dynamic_stack 0
		.amdhsa_enable_private_segment 0
		.amdhsa_system_sgpr_workgroup_id_x 1
		.amdhsa_system_sgpr_workgroup_id_y 0
		.amdhsa_system_sgpr_workgroup_id_z 0
		.amdhsa_system_sgpr_workgroup_info 0
		.amdhsa_system_vgpr_workitem_id 0
		.amdhsa_next_free_vgpr 1
		.amdhsa_next_free_sgpr 1
		.amdhsa_reserve_vcc 0
		.amdhsa_float_round_mode_32 0
		.amdhsa_float_round_mode_16_64 0
		.amdhsa_float_denorm_mode_32 3
		.amdhsa_float_denorm_mode_16_64 3
		.amdhsa_dx10_clamp 1
		.amdhsa_ieee_mode 1
		.amdhsa_fp16_overflow 0
		.amdhsa_workgroup_processor_mode 1
		.amdhsa_memory_ordered 1
		.amdhsa_forward_progress 0
		.amdhsa_shared_vgpr_count 0
		.amdhsa_exception_fp_ieee_invalid_op 0
		.amdhsa_exception_fp_denorm_src 0
		.amdhsa_exception_fp_ieee_div_zero 0
		.amdhsa_exception_fp_ieee_overflow 0
		.amdhsa_exception_fp_ieee_underflow 0
		.amdhsa_exception_fp_ieee_inexact 0
		.amdhsa_exception_int_div_zero 0
	.end_amdhsa_kernel
	.section	.text._ZN7rocprim17ROCPRIM_400000_NS6detail17trampoline_kernelINS0_14default_configENS1_25transform_config_selectorIhLb1EEEZNS1_14transform_implILb1ES3_S5_PhS7_NS0_8identityIhEEEE10hipError_tT2_T3_mT4_P12ihipStream_tbEUlT_E_NS1_11comp_targetILNS1_3genE3ELNS1_11target_archE908ELNS1_3gpuE7ELNS1_3repE0EEENS1_30default_config_static_selectorELNS0_4arch9wavefront6targetE0EEEvT1_,"axG",@progbits,_ZN7rocprim17ROCPRIM_400000_NS6detail17trampoline_kernelINS0_14default_configENS1_25transform_config_selectorIhLb1EEEZNS1_14transform_implILb1ES3_S5_PhS7_NS0_8identityIhEEEE10hipError_tT2_T3_mT4_P12ihipStream_tbEUlT_E_NS1_11comp_targetILNS1_3genE3ELNS1_11target_archE908ELNS1_3gpuE7ELNS1_3repE0EEENS1_30default_config_static_selectorELNS0_4arch9wavefront6targetE0EEEvT1_,comdat
.Lfunc_end117:
	.size	_ZN7rocprim17ROCPRIM_400000_NS6detail17trampoline_kernelINS0_14default_configENS1_25transform_config_selectorIhLb1EEEZNS1_14transform_implILb1ES3_S5_PhS7_NS0_8identityIhEEEE10hipError_tT2_T3_mT4_P12ihipStream_tbEUlT_E_NS1_11comp_targetILNS1_3genE3ELNS1_11target_archE908ELNS1_3gpuE7ELNS1_3repE0EEENS1_30default_config_static_selectorELNS0_4arch9wavefront6targetE0EEEvT1_, .Lfunc_end117-_ZN7rocprim17ROCPRIM_400000_NS6detail17trampoline_kernelINS0_14default_configENS1_25transform_config_selectorIhLb1EEEZNS1_14transform_implILb1ES3_S5_PhS7_NS0_8identityIhEEEE10hipError_tT2_T3_mT4_P12ihipStream_tbEUlT_E_NS1_11comp_targetILNS1_3genE3ELNS1_11target_archE908ELNS1_3gpuE7ELNS1_3repE0EEENS1_30default_config_static_selectorELNS0_4arch9wavefront6targetE0EEEvT1_
                                        ; -- End function
	.section	.AMDGPU.csdata,"",@progbits
; Kernel info:
; codeLenInByte = 0
; NumSgprs: 0
; NumVgprs: 0
; ScratchSize: 0
; MemoryBound: 0
; FloatMode: 240
; IeeeMode: 1
; LDSByteSize: 0 bytes/workgroup (compile time only)
; SGPRBlocks: 0
; VGPRBlocks: 0
; NumSGPRsForWavesPerEU: 1
; NumVGPRsForWavesPerEU: 1
; Occupancy: 16
; WaveLimiterHint : 0
; COMPUTE_PGM_RSRC2:SCRATCH_EN: 0
; COMPUTE_PGM_RSRC2:USER_SGPR: 15
; COMPUTE_PGM_RSRC2:TRAP_HANDLER: 0
; COMPUTE_PGM_RSRC2:TGID_X_EN: 1
; COMPUTE_PGM_RSRC2:TGID_Y_EN: 0
; COMPUTE_PGM_RSRC2:TGID_Z_EN: 0
; COMPUTE_PGM_RSRC2:TIDIG_COMP_CNT: 0
	.section	.text._ZN7rocprim17ROCPRIM_400000_NS6detail17trampoline_kernelINS0_14default_configENS1_25transform_config_selectorIhLb1EEEZNS1_14transform_implILb1ES3_S5_PhS7_NS0_8identityIhEEEE10hipError_tT2_T3_mT4_P12ihipStream_tbEUlT_E_NS1_11comp_targetILNS1_3genE2ELNS1_11target_archE906ELNS1_3gpuE6ELNS1_3repE0EEENS1_30default_config_static_selectorELNS0_4arch9wavefront6targetE0EEEvT1_,"axG",@progbits,_ZN7rocprim17ROCPRIM_400000_NS6detail17trampoline_kernelINS0_14default_configENS1_25transform_config_selectorIhLb1EEEZNS1_14transform_implILb1ES3_S5_PhS7_NS0_8identityIhEEEE10hipError_tT2_T3_mT4_P12ihipStream_tbEUlT_E_NS1_11comp_targetILNS1_3genE2ELNS1_11target_archE906ELNS1_3gpuE6ELNS1_3repE0EEENS1_30default_config_static_selectorELNS0_4arch9wavefront6targetE0EEEvT1_,comdat
	.protected	_ZN7rocprim17ROCPRIM_400000_NS6detail17trampoline_kernelINS0_14default_configENS1_25transform_config_selectorIhLb1EEEZNS1_14transform_implILb1ES3_S5_PhS7_NS0_8identityIhEEEE10hipError_tT2_T3_mT4_P12ihipStream_tbEUlT_E_NS1_11comp_targetILNS1_3genE2ELNS1_11target_archE906ELNS1_3gpuE6ELNS1_3repE0EEENS1_30default_config_static_selectorELNS0_4arch9wavefront6targetE0EEEvT1_ ; -- Begin function _ZN7rocprim17ROCPRIM_400000_NS6detail17trampoline_kernelINS0_14default_configENS1_25transform_config_selectorIhLb1EEEZNS1_14transform_implILb1ES3_S5_PhS7_NS0_8identityIhEEEE10hipError_tT2_T3_mT4_P12ihipStream_tbEUlT_E_NS1_11comp_targetILNS1_3genE2ELNS1_11target_archE906ELNS1_3gpuE6ELNS1_3repE0EEENS1_30default_config_static_selectorELNS0_4arch9wavefront6targetE0EEEvT1_
	.globl	_ZN7rocprim17ROCPRIM_400000_NS6detail17trampoline_kernelINS0_14default_configENS1_25transform_config_selectorIhLb1EEEZNS1_14transform_implILb1ES3_S5_PhS7_NS0_8identityIhEEEE10hipError_tT2_T3_mT4_P12ihipStream_tbEUlT_E_NS1_11comp_targetILNS1_3genE2ELNS1_11target_archE906ELNS1_3gpuE6ELNS1_3repE0EEENS1_30default_config_static_selectorELNS0_4arch9wavefront6targetE0EEEvT1_
	.p2align	8
	.type	_ZN7rocprim17ROCPRIM_400000_NS6detail17trampoline_kernelINS0_14default_configENS1_25transform_config_selectorIhLb1EEEZNS1_14transform_implILb1ES3_S5_PhS7_NS0_8identityIhEEEE10hipError_tT2_T3_mT4_P12ihipStream_tbEUlT_E_NS1_11comp_targetILNS1_3genE2ELNS1_11target_archE906ELNS1_3gpuE6ELNS1_3repE0EEENS1_30default_config_static_selectorELNS0_4arch9wavefront6targetE0EEEvT1_,@function
_ZN7rocprim17ROCPRIM_400000_NS6detail17trampoline_kernelINS0_14default_configENS1_25transform_config_selectorIhLb1EEEZNS1_14transform_implILb1ES3_S5_PhS7_NS0_8identityIhEEEE10hipError_tT2_T3_mT4_P12ihipStream_tbEUlT_E_NS1_11comp_targetILNS1_3genE2ELNS1_11target_archE906ELNS1_3gpuE6ELNS1_3repE0EEENS1_30default_config_static_selectorELNS0_4arch9wavefront6targetE0EEEvT1_: ; @_ZN7rocprim17ROCPRIM_400000_NS6detail17trampoline_kernelINS0_14default_configENS1_25transform_config_selectorIhLb1EEEZNS1_14transform_implILb1ES3_S5_PhS7_NS0_8identityIhEEEE10hipError_tT2_T3_mT4_P12ihipStream_tbEUlT_E_NS1_11comp_targetILNS1_3genE2ELNS1_11target_archE906ELNS1_3gpuE6ELNS1_3repE0EEENS1_30default_config_static_selectorELNS0_4arch9wavefront6targetE0EEEvT1_
; %bb.0:
	.section	.rodata,"a",@progbits
	.p2align	6, 0x0
	.amdhsa_kernel _ZN7rocprim17ROCPRIM_400000_NS6detail17trampoline_kernelINS0_14default_configENS1_25transform_config_selectorIhLb1EEEZNS1_14transform_implILb1ES3_S5_PhS7_NS0_8identityIhEEEE10hipError_tT2_T3_mT4_P12ihipStream_tbEUlT_E_NS1_11comp_targetILNS1_3genE2ELNS1_11target_archE906ELNS1_3gpuE6ELNS1_3repE0EEENS1_30default_config_static_selectorELNS0_4arch9wavefront6targetE0EEEvT1_
		.amdhsa_group_segment_fixed_size 0
		.amdhsa_private_segment_fixed_size 0
		.amdhsa_kernarg_size 40
		.amdhsa_user_sgpr_count 15
		.amdhsa_user_sgpr_dispatch_ptr 0
		.amdhsa_user_sgpr_queue_ptr 0
		.amdhsa_user_sgpr_kernarg_segment_ptr 1
		.amdhsa_user_sgpr_dispatch_id 0
		.amdhsa_user_sgpr_private_segment_size 0
		.amdhsa_wavefront_size32 1
		.amdhsa_uses_dynamic_stack 0
		.amdhsa_enable_private_segment 0
		.amdhsa_system_sgpr_workgroup_id_x 1
		.amdhsa_system_sgpr_workgroup_id_y 0
		.amdhsa_system_sgpr_workgroup_id_z 0
		.amdhsa_system_sgpr_workgroup_info 0
		.amdhsa_system_vgpr_workitem_id 0
		.amdhsa_next_free_vgpr 1
		.amdhsa_next_free_sgpr 1
		.amdhsa_reserve_vcc 0
		.amdhsa_float_round_mode_32 0
		.amdhsa_float_round_mode_16_64 0
		.amdhsa_float_denorm_mode_32 3
		.amdhsa_float_denorm_mode_16_64 3
		.amdhsa_dx10_clamp 1
		.amdhsa_ieee_mode 1
		.amdhsa_fp16_overflow 0
		.amdhsa_workgroup_processor_mode 1
		.amdhsa_memory_ordered 1
		.amdhsa_forward_progress 0
		.amdhsa_shared_vgpr_count 0
		.amdhsa_exception_fp_ieee_invalid_op 0
		.amdhsa_exception_fp_denorm_src 0
		.amdhsa_exception_fp_ieee_div_zero 0
		.amdhsa_exception_fp_ieee_overflow 0
		.amdhsa_exception_fp_ieee_underflow 0
		.amdhsa_exception_fp_ieee_inexact 0
		.amdhsa_exception_int_div_zero 0
	.end_amdhsa_kernel
	.section	.text._ZN7rocprim17ROCPRIM_400000_NS6detail17trampoline_kernelINS0_14default_configENS1_25transform_config_selectorIhLb1EEEZNS1_14transform_implILb1ES3_S5_PhS7_NS0_8identityIhEEEE10hipError_tT2_T3_mT4_P12ihipStream_tbEUlT_E_NS1_11comp_targetILNS1_3genE2ELNS1_11target_archE906ELNS1_3gpuE6ELNS1_3repE0EEENS1_30default_config_static_selectorELNS0_4arch9wavefront6targetE0EEEvT1_,"axG",@progbits,_ZN7rocprim17ROCPRIM_400000_NS6detail17trampoline_kernelINS0_14default_configENS1_25transform_config_selectorIhLb1EEEZNS1_14transform_implILb1ES3_S5_PhS7_NS0_8identityIhEEEE10hipError_tT2_T3_mT4_P12ihipStream_tbEUlT_E_NS1_11comp_targetILNS1_3genE2ELNS1_11target_archE906ELNS1_3gpuE6ELNS1_3repE0EEENS1_30default_config_static_selectorELNS0_4arch9wavefront6targetE0EEEvT1_,comdat
.Lfunc_end118:
	.size	_ZN7rocprim17ROCPRIM_400000_NS6detail17trampoline_kernelINS0_14default_configENS1_25transform_config_selectorIhLb1EEEZNS1_14transform_implILb1ES3_S5_PhS7_NS0_8identityIhEEEE10hipError_tT2_T3_mT4_P12ihipStream_tbEUlT_E_NS1_11comp_targetILNS1_3genE2ELNS1_11target_archE906ELNS1_3gpuE6ELNS1_3repE0EEENS1_30default_config_static_selectorELNS0_4arch9wavefront6targetE0EEEvT1_, .Lfunc_end118-_ZN7rocprim17ROCPRIM_400000_NS6detail17trampoline_kernelINS0_14default_configENS1_25transform_config_selectorIhLb1EEEZNS1_14transform_implILb1ES3_S5_PhS7_NS0_8identityIhEEEE10hipError_tT2_T3_mT4_P12ihipStream_tbEUlT_E_NS1_11comp_targetILNS1_3genE2ELNS1_11target_archE906ELNS1_3gpuE6ELNS1_3repE0EEENS1_30default_config_static_selectorELNS0_4arch9wavefront6targetE0EEEvT1_
                                        ; -- End function
	.section	.AMDGPU.csdata,"",@progbits
; Kernel info:
; codeLenInByte = 0
; NumSgprs: 0
; NumVgprs: 0
; ScratchSize: 0
; MemoryBound: 0
; FloatMode: 240
; IeeeMode: 1
; LDSByteSize: 0 bytes/workgroup (compile time only)
; SGPRBlocks: 0
; VGPRBlocks: 0
; NumSGPRsForWavesPerEU: 1
; NumVGPRsForWavesPerEU: 1
; Occupancy: 16
; WaveLimiterHint : 0
; COMPUTE_PGM_RSRC2:SCRATCH_EN: 0
; COMPUTE_PGM_RSRC2:USER_SGPR: 15
; COMPUTE_PGM_RSRC2:TRAP_HANDLER: 0
; COMPUTE_PGM_RSRC2:TGID_X_EN: 1
; COMPUTE_PGM_RSRC2:TGID_Y_EN: 0
; COMPUTE_PGM_RSRC2:TGID_Z_EN: 0
; COMPUTE_PGM_RSRC2:TIDIG_COMP_CNT: 0
	.section	.text._ZN7rocprim17ROCPRIM_400000_NS6detail17trampoline_kernelINS0_14default_configENS1_25transform_config_selectorIhLb1EEEZNS1_14transform_implILb1ES3_S5_PhS7_NS0_8identityIhEEEE10hipError_tT2_T3_mT4_P12ihipStream_tbEUlT_E_NS1_11comp_targetILNS1_3genE9ELNS1_11target_archE1100ELNS1_3gpuE3ELNS1_3repE0EEENS1_30default_config_static_selectorELNS0_4arch9wavefront6targetE0EEEvT1_,"axG",@progbits,_ZN7rocprim17ROCPRIM_400000_NS6detail17trampoline_kernelINS0_14default_configENS1_25transform_config_selectorIhLb1EEEZNS1_14transform_implILb1ES3_S5_PhS7_NS0_8identityIhEEEE10hipError_tT2_T3_mT4_P12ihipStream_tbEUlT_E_NS1_11comp_targetILNS1_3genE9ELNS1_11target_archE1100ELNS1_3gpuE3ELNS1_3repE0EEENS1_30default_config_static_selectorELNS0_4arch9wavefront6targetE0EEEvT1_,comdat
	.protected	_ZN7rocprim17ROCPRIM_400000_NS6detail17trampoline_kernelINS0_14default_configENS1_25transform_config_selectorIhLb1EEEZNS1_14transform_implILb1ES3_S5_PhS7_NS0_8identityIhEEEE10hipError_tT2_T3_mT4_P12ihipStream_tbEUlT_E_NS1_11comp_targetILNS1_3genE9ELNS1_11target_archE1100ELNS1_3gpuE3ELNS1_3repE0EEENS1_30default_config_static_selectorELNS0_4arch9wavefront6targetE0EEEvT1_ ; -- Begin function _ZN7rocprim17ROCPRIM_400000_NS6detail17trampoline_kernelINS0_14default_configENS1_25transform_config_selectorIhLb1EEEZNS1_14transform_implILb1ES3_S5_PhS7_NS0_8identityIhEEEE10hipError_tT2_T3_mT4_P12ihipStream_tbEUlT_E_NS1_11comp_targetILNS1_3genE9ELNS1_11target_archE1100ELNS1_3gpuE3ELNS1_3repE0EEENS1_30default_config_static_selectorELNS0_4arch9wavefront6targetE0EEEvT1_
	.globl	_ZN7rocprim17ROCPRIM_400000_NS6detail17trampoline_kernelINS0_14default_configENS1_25transform_config_selectorIhLb1EEEZNS1_14transform_implILb1ES3_S5_PhS7_NS0_8identityIhEEEE10hipError_tT2_T3_mT4_P12ihipStream_tbEUlT_E_NS1_11comp_targetILNS1_3genE9ELNS1_11target_archE1100ELNS1_3gpuE3ELNS1_3repE0EEENS1_30default_config_static_selectorELNS0_4arch9wavefront6targetE0EEEvT1_
	.p2align	8
	.type	_ZN7rocprim17ROCPRIM_400000_NS6detail17trampoline_kernelINS0_14default_configENS1_25transform_config_selectorIhLb1EEEZNS1_14transform_implILb1ES3_S5_PhS7_NS0_8identityIhEEEE10hipError_tT2_T3_mT4_P12ihipStream_tbEUlT_E_NS1_11comp_targetILNS1_3genE9ELNS1_11target_archE1100ELNS1_3gpuE3ELNS1_3repE0EEENS1_30default_config_static_selectorELNS0_4arch9wavefront6targetE0EEEvT1_,@function
_ZN7rocprim17ROCPRIM_400000_NS6detail17trampoline_kernelINS0_14default_configENS1_25transform_config_selectorIhLb1EEEZNS1_14transform_implILb1ES3_S5_PhS7_NS0_8identityIhEEEE10hipError_tT2_T3_mT4_P12ihipStream_tbEUlT_E_NS1_11comp_targetILNS1_3genE9ELNS1_11target_archE1100ELNS1_3gpuE3ELNS1_3repE0EEENS1_30default_config_static_selectorELNS0_4arch9wavefront6targetE0EEEvT1_: ; @_ZN7rocprim17ROCPRIM_400000_NS6detail17trampoline_kernelINS0_14default_configENS1_25transform_config_selectorIhLb1EEEZNS1_14transform_implILb1ES3_S5_PhS7_NS0_8identityIhEEEE10hipError_tT2_T3_mT4_P12ihipStream_tbEUlT_E_NS1_11comp_targetILNS1_3genE9ELNS1_11target_archE1100ELNS1_3gpuE3ELNS1_3repE0EEENS1_30default_config_static_selectorELNS0_4arch9wavefront6targetE0EEEvT1_
; %bb.0:
	s_clause 0x1
	s_load_b256 s[4:11], s[0:1], 0x0
	s_load_b32 s0, s[0:1], 0x28
	s_waitcnt lgkmcnt(0)
	s_add_u32 s1, s4, s6
	s_addc_u32 s2, s5, s7
	s_add_u32 s18, s10, s6
	s_addc_u32 s19, s11, s7
	s_lshl_b32 s20, s15, 14
	s_add_i32 s0, s0, -1
	s_add_u32 s16, s1, s20
	s_addc_u32 s17, s2, 0
	s_cmp_lg_u32 s15, s0
	s_mov_b32 s0, -1
	s_cbranch_scc0 .LBB119_2
; %bb.1:
	v_lshlrev_b32_e32 v5, 4, v0
	s_add_u32 s2, s18, s20
	s_addc_u32 s3, s19, 0
	s_mov_b32 s0, 0
	global_load_b128 v[1:4], v5, s[16:17] slc dlc
	s_waitcnt vmcnt(0)
	global_store_b128 v5, v[1:4], s[2:3]
.LBB119_2:
	s_and_not1_b32 vcc_lo, exec_lo, s0
	s_cbranch_vccnz .LBB119_65
; %bb.3:
	s_sub_i32 s14, s8, s20
                                        ; implicit-def: $vgpr1
	s_delay_alu instid0(SALU_CYCLE_1)
	v_cmp_gt_u32_e32 vcc_lo, s14, v0
	s_and_saveexec_b32 s0, vcc_lo
	s_cbranch_execz .LBB119_5
; %bb.4:
	global_load_u8 v1, v0, s[16:17]
.LBB119_5:
	s_or_b32 exec_lo, exec_lo, s0
	v_or_b32_e32 v2, 0x400, v0
	s_delay_alu instid0(VALU_DEP_1) | instskip(NEXT) | instid1(VALU_DEP_1)
	v_cmp_gt_u32_e64 s0, s14, v2
                                        ; implicit-def: $vgpr2
	s_and_saveexec_b32 s1, s0
	s_cbranch_execz .LBB119_7
; %bb.6:
	global_load_u8 v2, v0, s[16:17] offset:1024
.LBB119_7:
	s_or_b32 exec_lo, exec_lo, s1
	v_or_b32_e32 v3, 0x800, v0
	s_delay_alu instid0(VALU_DEP_1) | instskip(NEXT) | instid1(VALU_DEP_1)
	v_cmp_gt_u32_e64 s1, s14, v3
                                        ; implicit-def: $vgpr3
	s_and_saveexec_b32 s2, s1
	s_cbranch_execz .LBB119_9
; %bb.8:
	global_load_u8 v3, v0, s[16:17] offset:2048
.LBB119_9:
	s_or_b32 exec_lo, exec_lo, s2
	v_or_b32_e32 v4, 0xc00, v0
	s_delay_alu instid0(VALU_DEP_1) | instskip(NEXT) | instid1(VALU_DEP_1)
	v_cmp_gt_u32_e64 s2, s14, v4
                                        ; implicit-def: $vgpr4
	s_and_saveexec_b32 s3, s2
	s_cbranch_execz .LBB119_11
; %bb.10:
	global_load_u8 v4, v0, s[16:17] offset:3072
.LBB119_11:
	s_or_b32 exec_lo, exec_lo, s3
	v_or_b32_e32 v6, 0x1000, v0
                                        ; implicit-def: $vgpr5
	s_delay_alu instid0(VALU_DEP_1) | instskip(NEXT) | instid1(VALU_DEP_1)
	v_cmp_gt_u32_e64 s3, s14, v6
	s_and_saveexec_b32 s4, s3
	s_cbranch_execz .LBB119_13
; %bb.12:
	global_load_u8 v5, v6, s[16:17]
.LBB119_13:
	s_or_b32 exec_lo, exec_lo, s4
	v_or_b32_e32 v7, 0x1400, v0
                                        ; implicit-def: $vgpr6
	s_delay_alu instid0(VALU_DEP_1) | instskip(NEXT) | instid1(VALU_DEP_1)
	v_cmp_gt_u32_e64 s4, s14, v7
	s_and_saveexec_b32 s5, s4
	s_cbranch_execz .LBB119_15
; %bb.14:
	global_load_u8 v6, v7, s[16:17]
.LBB119_15:
	s_or_b32 exec_lo, exec_lo, s5
	v_or_b32_e32 v8, 0x1800, v0
                                        ; implicit-def: $vgpr7
	s_delay_alu instid0(VALU_DEP_1) | instskip(NEXT) | instid1(VALU_DEP_1)
	v_cmp_gt_u32_e64 s5, s14, v8
	s_and_saveexec_b32 s6, s5
	s_cbranch_execz .LBB119_17
; %bb.16:
	global_load_u8 v7, v8, s[16:17]
.LBB119_17:
	s_or_b32 exec_lo, exec_lo, s6
	v_or_b32_e32 v9, 0x1c00, v0
                                        ; implicit-def: $vgpr8
	s_delay_alu instid0(VALU_DEP_1) | instskip(NEXT) | instid1(VALU_DEP_1)
	v_cmp_gt_u32_e64 s6, s14, v9
	s_and_saveexec_b32 s7, s6
	s_cbranch_execz .LBB119_19
; %bb.18:
	global_load_u8 v8, v9, s[16:17]
.LBB119_19:
	s_or_b32 exec_lo, exec_lo, s7
	v_or_b32_e32 v10, 0x2000, v0
                                        ; implicit-def: $vgpr9
	s_delay_alu instid0(VALU_DEP_1) | instskip(NEXT) | instid1(VALU_DEP_1)
	v_cmp_gt_u32_e64 s7, s14, v10
	s_and_saveexec_b32 s8, s7
	s_cbranch_execz .LBB119_21
; %bb.20:
	global_load_u8 v9, v10, s[16:17]
.LBB119_21:
	s_or_b32 exec_lo, exec_lo, s8
	v_or_b32_e32 v11, 0x2400, v0
                                        ; implicit-def: $vgpr10
	s_delay_alu instid0(VALU_DEP_1) | instskip(NEXT) | instid1(VALU_DEP_1)
	v_cmp_gt_u32_e64 s8, s14, v11
	s_and_saveexec_b32 s9, s8
	s_cbranch_execz .LBB119_23
; %bb.22:
	global_load_u8 v10, v11, s[16:17]
.LBB119_23:
	s_or_b32 exec_lo, exec_lo, s9
	v_or_b32_e32 v12, 0x2800, v0
                                        ; implicit-def: $vgpr11
	s_delay_alu instid0(VALU_DEP_1) | instskip(NEXT) | instid1(VALU_DEP_1)
	v_cmp_gt_u32_e64 s9, s14, v12
	s_and_saveexec_b32 s10, s9
	s_cbranch_execz .LBB119_25
; %bb.24:
	global_load_u8 v11, v12, s[16:17]
.LBB119_25:
	s_or_b32 exec_lo, exec_lo, s10
	v_or_b32_e32 v13, 0x2c00, v0
                                        ; implicit-def: $vgpr12
	s_delay_alu instid0(VALU_DEP_1) | instskip(NEXT) | instid1(VALU_DEP_1)
	v_cmp_gt_u32_e64 s10, s14, v13
	s_and_saveexec_b32 s11, s10
	s_cbranch_execz .LBB119_27
; %bb.26:
	global_load_u8 v12, v13, s[16:17]
.LBB119_27:
	s_or_b32 exec_lo, exec_lo, s11
	v_or_b32_e32 v14, 0x3000, v0
                                        ; implicit-def: $vgpr13
	s_delay_alu instid0(VALU_DEP_1) | instskip(NEXT) | instid1(VALU_DEP_1)
	v_cmp_gt_u32_e64 s11, s14, v14
	s_and_saveexec_b32 s12, s11
	s_cbranch_execz .LBB119_29
; %bb.28:
	global_load_u8 v13, v14, s[16:17]
.LBB119_29:
	s_or_b32 exec_lo, exec_lo, s12
	v_or_b32_e32 v15, 0x3400, v0
                                        ; implicit-def: $vgpr14
	s_delay_alu instid0(VALU_DEP_1) | instskip(NEXT) | instid1(VALU_DEP_1)
	v_cmp_gt_u32_e64 s12, s14, v15
	s_and_saveexec_b32 s13, s12
	s_cbranch_execz .LBB119_31
; %bb.30:
	global_load_u8 v14, v15, s[16:17]
.LBB119_31:
	s_or_b32 exec_lo, exec_lo, s13
	v_or_b32_e32 v16, 0x3800, v0
                                        ; implicit-def: $vgpr15
	s_delay_alu instid0(VALU_DEP_1) | instskip(NEXT) | instid1(VALU_DEP_1)
	v_cmp_gt_u32_e64 s13, s14, v16
	s_and_saveexec_b32 s15, s13
	s_cbranch_execz .LBB119_33
; %bb.32:
	global_load_u8 v15, v16, s[16:17]
.LBB119_33:
	s_or_b32 exec_lo, exec_lo, s15
	v_or_b32_e32 v17, 0x3c00, v0
                                        ; implicit-def: $vgpr16
	s_delay_alu instid0(VALU_DEP_1) | instskip(NEXT) | instid1(VALU_DEP_1)
	v_cmp_gt_u32_e64 s14, s14, v17
	s_and_saveexec_b32 s15, s14
	s_cbranch_execz .LBB119_35
; %bb.34:
	global_load_u8 v16, v17, s[16:17]
.LBB119_35:
	s_or_b32 exec_lo, exec_lo, s15
	s_waitcnt vmcnt(0)
	v_and_b32_e32 v1, 0xff, v1
	v_lshlrev_b16 v2, 8, v2
	v_and_b32_e32 v3, 0xff, v3
	v_lshlrev_b16 v4, 8, v4
	;; [unrolled: 2-line block ×3, first 2 shown]
	v_or_b32_e32 v1, v1, v2
	s_add_u32 s15, s18, s20
	v_or_b32_e32 v2, v3, v4
	v_and_b32_e32 v4, 0xff, v7
	v_or_b32_e32 v3, v5, v6
	v_lshlrev_b16 v5, 8, v8
	v_and_b32_e32 v6, 0xff, v9
	v_lshlrev_b16 v7, 8, v10
	v_and_b32_e32 v8, 0xff, v11
	;; [unrolled: 2-line block ×4, first 2 shown]
	v_lshlrev_b16 v13, 8, v16
	v_or_b32_e32 v4, v4, v5
	v_or_b32_e32 v5, v6, v7
	;; [unrolled: 1-line block ×5, first 2 shown]
	v_and_b32_e32 v1, 0xffff, v1
	v_lshlrev_b32_e32 v2, 16, v2
	v_and_b32_e32 v3, 0xffff, v3
	v_lshlrev_b32_e32 v4, 16, v4
	;; [unrolled: 2-line block ×4, first 2 shown]
	s_addc_u32 s16, s19, 0
	v_add_co_u32 v0, s15, s15, v0
	v_or_b32_e32 v5, v1, v2
	v_or_b32_e32 v4, v3, v4
	;; [unrolled: 1-line block ×4, first 2 shown]
	v_add_co_ci_u32_e64 v1, null, s16, 0, s15
	s_and_saveexec_b32 s15, vcc_lo
	s_cbranch_execz .LBB119_37
; %bb.36:
	global_store_b8 v[0:1], v5, off
.LBB119_37:
	s_or_b32 exec_lo, exec_lo, s15
	s_and_saveexec_b32 s15, s0
	s_cbranch_execz .LBB119_39
; %bb.38:
	v_lshrrev_b32_e32 v6, 8, v5
	global_store_b8 v[0:1], v6, off offset:1024
.LBB119_39:
	s_or_b32 exec_lo, exec_lo, s15
	v_perm_b32 v6, v5, v5, 0x7060104
	s_delay_alu instid0(VALU_DEP_1)
	v_cndmask_b32_e64 v7, v6, v5, s1
	s_and_saveexec_b32 s0, s1
	s_cbranch_execz .LBB119_41
; %bb.40:
	global_store_d16_hi_b8 v[0:1], v7, off offset:2048
.LBB119_41:
	s_or_b32 exec_lo, exec_lo, s0
	s_delay_alu instid0(VALU_DEP_1) | instskip(NEXT) | instid1(VALU_DEP_1)
	v_perm_b32 v6, v6, v7, 0x7020504
	v_cndmask_b32_e64 v5, v6, v5, s2
	s_and_saveexec_b32 s0, s2
	s_cbranch_execz .LBB119_43
; %bb.42:
	s_delay_alu instid0(VALU_DEP_1)
	v_lshrrev_b32_e32 v5, 24, v5
	global_store_b8 v[0:1], v5, off offset:3072
.LBB119_43:
	s_or_b32 exec_lo, exec_lo, s0
	s_and_saveexec_b32 s0, s3
	s_cbranch_execz .LBB119_45
; %bb.44:
	v_add_co_u32 v5, vcc_lo, 0x1000, v0
	v_add_co_ci_u32_e32 v6, vcc_lo, 0, v1, vcc_lo
	global_store_b8 v[5:6], v4, off
.LBB119_45:
	s_or_b32 exec_lo, exec_lo, s0
	v_perm_b32 v5, v4, v4, 0x3020104
	s_delay_alu instid0(VALU_DEP_1)
	v_cndmask_b32_e64 v6, v5, v4, s4
	s_and_saveexec_b32 s0, s4
	s_cbranch_execz .LBB119_47
; %bb.46:
	v_add_co_u32 v7, vcc_lo, 0x1000, v0
	s_delay_alu instid0(VALU_DEP_2)
	v_lshrrev_b32_e32 v9, 8, v6
	v_add_co_ci_u32_e32 v8, vcc_lo, 0, v1, vcc_lo
	global_store_b8 v[7:8], v9, off offset:1024
.LBB119_47:
	s_or_b32 exec_lo, exec_lo, s0
	s_delay_alu instid0(VALU_DEP_1) | instskip(NEXT) | instid1(VALU_DEP_1)
	v_perm_b32 v5, v5, v6, 0x7060104
	v_cndmask_b32_e64 v6, v5, v4, s5
	s_and_saveexec_b32 s0, s5
	s_cbranch_execz .LBB119_49
; %bb.48:
	v_add_co_u32 v7, vcc_lo, 0x1000, v0
	v_add_co_ci_u32_e32 v8, vcc_lo, 0, v1, vcc_lo
	global_store_d16_hi_b8 v[7:8], v6, off offset:2048
.LBB119_49:
	s_or_b32 exec_lo, exec_lo, s0
	s_delay_alu instid0(VALU_DEP_1) | instskip(NEXT) | instid1(VALU_DEP_1)
	v_perm_b32 v5, v5, v6, 0x7020504
	v_cndmask_b32_e64 v4, v5, v4, s6
	s_and_saveexec_b32 s0, s6
	s_cbranch_execz .LBB119_51
; %bb.50:
	s_delay_alu instid0(VALU_DEP_1)
	v_lshrrev_b32_e32 v6, 24, v4
	v_add_co_u32 v4, vcc_lo, 0x1000, v0
	v_add_co_ci_u32_e32 v5, vcc_lo, 0, v1, vcc_lo
	global_store_b8 v[4:5], v6, off offset:3072
.LBB119_51:
	s_or_b32 exec_lo, exec_lo, s0
	s_and_saveexec_b32 s0, s7
	s_cbranch_execz .LBB119_53
; %bb.52:
	v_add_co_u32 v4, vcc_lo, 0x2000, v0
	v_add_co_ci_u32_e32 v5, vcc_lo, 0, v1, vcc_lo
	global_store_b8 v[4:5], v3, off
.LBB119_53:
	s_or_b32 exec_lo, exec_lo, s0
	v_perm_b32 v4, v3, v3, 0x3020104
	s_delay_alu instid0(VALU_DEP_1)
	v_cndmask_b32_e64 v5, v4, v3, s8
	s_and_saveexec_b32 s0, s8
	s_cbranch_execz .LBB119_55
; %bb.54:
	v_add_co_u32 v6, vcc_lo, 0x2000, v0
	s_delay_alu instid0(VALU_DEP_2)
	v_lshrrev_b32_e32 v8, 8, v5
	v_add_co_ci_u32_e32 v7, vcc_lo, 0, v1, vcc_lo
	global_store_b8 v[6:7], v8, off offset:1024
.LBB119_55:
	s_or_b32 exec_lo, exec_lo, s0
	s_delay_alu instid0(VALU_DEP_1) | instskip(NEXT) | instid1(VALU_DEP_1)
	v_perm_b32 v4, v4, v5, 0x7060104
	v_cndmask_b32_e64 v5, v4, v3, s9
	s_and_saveexec_b32 s0, s9
	s_cbranch_execz .LBB119_57
; %bb.56:
	v_add_co_u32 v6, vcc_lo, 0x2000, v0
	v_add_co_ci_u32_e32 v7, vcc_lo, 0, v1, vcc_lo
	global_store_d16_hi_b8 v[6:7], v5, off offset:2048
.LBB119_57:
	s_or_b32 exec_lo, exec_lo, s0
	s_delay_alu instid0(VALU_DEP_1) | instskip(NEXT) | instid1(VALU_DEP_1)
	v_perm_b32 v4, v4, v5, 0x7020504
	v_cndmask_b32_e64 v3, v4, v3, s10
	s_and_saveexec_b32 s0, s10
	s_cbranch_execz .LBB119_59
; %bb.58:
	s_delay_alu instid0(VALU_DEP_1)
	v_lshrrev_b32_e32 v5, 24, v3
	v_add_co_u32 v3, vcc_lo, 0x2000, v0
	v_add_co_ci_u32_e32 v4, vcc_lo, 0, v1, vcc_lo
	global_store_b8 v[3:4], v5, off offset:3072
.LBB119_59:
	s_or_b32 exec_lo, exec_lo, s0
	s_and_saveexec_b32 s0, s11
	s_cbranch_execz .LBB119_61
; %bb.60:
	v_add_co_u32 v3, vcc_lo, 0x3000, v0
	v_add_co_ci_u32_e32 v4, vcc_lo, 0, v1, vcc_lo
	global_store_b8 v[3:4], v2, off
.LBB119_61:
	s_or_b32 exec_lo, exec_lo, s0
	v_perm_b32 v3, v2, v2, 0x3020104
	s_delay_alu instid0(VALU_DEP_1)
	v_cndmask_b32_e64 v4, v3, v2, s12
	s_and_saveexec_b32 s0, s12
	s_cbranch_execnz .LBB119_66
; %bb.62:
	s_or_b32 exec_lo, exec_lo, s0
	s_delay_alu instid0(VALU_DEP_1)
	v_perm_b32 v3, v3, v4, 0x7060104
	s_and_saveexec_b32 s0, s13
	s_cbranch_execnz .LBB119_67
.LBB119_63:
	s_or_b32 exec_lo, exec_lo, s0
	s_and_saveexec_b32 s0, s14
	s_cbranch_execz .LBB119_65
.LBB119_64:
	v_cndmask_b32_e64 v2, v3, v2, s14
	v_add_co_u32 v0, vcc_lo, 0x3000, v0
	v_add_co_ci_u32_e32 v1, vcc_lo, 0, v1, vcc_lo
	s_delay_alu instid0(VALU_DEP_3)
	v_lshrrev_b32_e32 v2, 24, v2
	global_store_b8 v[0:1], v2, off offset:3072
.LBB119_65:
	s_nop 0
	s_sendmsg sendmsg(MSG_DEALLOC_VGPRS)
	s_endpgm
.LBB119_66:
	v_add_co_u32 v5, vcc_lo, 0x3000, v0
	s_delay_alu instid0(VALU_DEP_2)
	v_lshrrev_b32_e32 v7, 8, v4
	v_add_co_ci_u32_e32 v6, vcc_lo, 0, v1, vcc_lo
	global_store_b8 v[5:6], v7, off offset:1024
	s_or_b32 exec_lo, exec_lo, s0
	v_perm_b32 v3, v3, v4, 0x7060104
	s_and_saveexec_b32 s0, s13
	s_cbranch_execz .LBB119_63
.LBB119_67:
	v_add_co_u32 v4, vcc_lo, 0x3000, v0
	s_delay_alu instid0(VALU_DEP_2)
	v_cndmask_b32_e64 v6, v3, v2, s13
	v_add_co_ci_u32_e32 v5, vcc_lo, 0, v1, vcc_lo
	global_store_d16_hi_b8 v[4:5], v6, off offset:2048
	s_or_b32 exec_lo, exec_lo, s0
	s_and_saveexec_b32 s0, s14
	s_cbranch_execnz .LBB119_64
	s_branch .LBB119_65
	.section	.rodata,"a",@progbits
	.p2align	6, 0x0
	.amdhsa_kernel _ZN7rocprim17ROCPRIM_400000_NS6detail17trampoline_kernelINS0_14default_configENS1_25transform_config_selectorIhLb1EEEZNS1_14transform_implILb1ES3_S5_PhS7_NS0_8identityIhEEEE10hipError_tT2_T3_mT4_P12ihipStream_tbEUlT_E_NS1_11comp_targetILNS1_3genE9ELNS1_11target_archE1100ELNS1_3gpuE3ELNS1_3repE0EEENS1_30default_config_static_selectorELNS0_4arch9wavefront6targetE0EEEvT1_
		.amdhsa_group_segment_fixed_size 0
		.amdhsa_private_segment_fixed_size 0
		.amdhsa_kernarg_size 296
		.amdhsa_user_sgpr_count 15
		.amdhsa_user_sgpr_dispatch_ptr 0
		.amdhsa_user_sgpr_queue_ptr 0
		.amdhsa_user_sgpr_kernarg_segment_ptr 1
		.amdhsa_user_sgpr_dispatch_id 0
		.amdhsa_user_sgpr_private_segment_size 0
		.amdhsa_wavefront_size32 1
		.amdhsa_uses_dynamic_stack 0
		.amdhsa_enable_private_segment 0
		.amdhsa_system_sgpr_workgroup_id_x 1
		.amdhsa_system_sgpr_workgroup_id_y 0
		.amdhsa_system_sgpr_workgroup_id_z 0
		.amdhsa_system_sgpr_workgroup_info 0
		.amdhsa_system_vgpr_workitem_id 0
		.amdhsa_next_free_vgpr 18
		.amdhsa_next_free_sgpr 21
		.amdhsa_reserve_vcc 1
		.amdhsa_float_round_mode_32 0
		.amdhsa_float_round_mode_16_64 0
		.amdhsa_float_denorm_mode_32 3
		.amdhsa_float_denorm_mode_16_64 3
		.amdhsa_dx10_clamp 1
		.amdhsa_ieee_mode 1
		.amdhsa_fp16_overflow 0
		.amdhsa_workgroup_processor_mode 1
		.amdhsa_memory_ordered 1
		.amdhsa_forward_progress 0
		.amdhsa_shared_vgpr_count 0
		.amdhsa_exception_fp_ieee_invalid_op 0
		.amdhsa_exception_fp_denorm_src 0
		.amdhsa_exception_fp_ieee_div_zero 0
		.amdhsa_exception_fp_ieee_overflow 0
		.amdhsa_exception_fp_ieee_underflow 0
		.amdhsa_exception_fp_ieee_inexact 0
		.amdhsa_exception_int_div_zero 0
	.end_amdhsa_kernel
	.section	.text._ZN7rocprim17ROCPRIM_400000_NS6detail17trampoline_kernelINS0_14default_configENS1_25transform_config_selectorIhLb1EEEZNS1_14transform_implILb1ES3_S5_PhS7_NS0_8identityIhEEEE10hipError_tT2_T3_mT4_P12ihipStream_tbEUlT_E_NS1_11comp_targetILNS1_3genE9ELNS1_11target_archE1100ELNS1_3gpuE3ELNS1_3repE0EEENS1_30default_config_static_selectorELNS0_4arch9wavefront6targetE0EEEvT1_,"axG",@progbits,_ZN7rocprim17ROCPRIM_400000_NS6detail17trampoline_kernelINS0_14default_configENS1_25transform_config_selectorIhLb1EEEZNS1_14transform_implILb1ES3_S5_PhS7_NS0_8identityIhEEEE10hipError_tT2_T3_mT4_P12ihipStream_tbEUlT_E_NS1_11comp_targetILNS1_3genE9ELNS1_11target_archE1100ELNS1_3gpuE3ELNS1_3repE0EEENS1_30default_config_static_selectorELNS0_4arch9wavefront6targetE0EEEvT1_,comdat
.Lfunc_end119:
	.size	_ZN7rocprim17ROCPRIM_400000_NS6detail17trampoline_kernelINS0_14default_configENS1_25transform_config_selectorIhLb1EEEZNS1_14transform_implILb1ES3_S5_PhS7_NS0_8identityIhEEEE10hipError_tT2_T3_mT4_P12ihipStream_tbEUlT_E_NS1_11comp_targetILNS1_3genE9ELNS1_11target_archE1100ELNS1_3gpuE3ELNS1_3repE0EEENS1_30default_config_static_selectorELNS0_4arch9wavefront6targetE0EEEvT1_, .Lfunc_end119-_ZN7rocprim17ROCPRIM_400000_NS6detail17trampoline_kernelINS0_14default_configENS1_25transform_config_selectorIhLb1EEEZNS1_14transform_implILb1ES3_S5_PhS7_NS0_8identityIhEEEE10hipError_tT2_T3_mT4_P12ihipStream_tbEUlT_E_NS1_11comp_targetILNS1_3genE9ELNS1_11target_archE1100ELNS1_3gpuE3ELNS1_3repE0EEENS1_30default_config_static_selectorELNS0_4arch9wavefront6targetE0EEEvT1_
                                        ; -- End function
	.section	.AMDGPU.csdata,"",@progbits
; Kernel info:
; codeLenInByte = 1868
; NumSgprs: 23
; NumVgprs: 18
; ScratchSize: 0
; MemoryBound: 1
; FloatMode: 240
; IeeeMode: 1
; LDSByteSize: 0 bytes/workgroup (compile time only)
; SGPRBlocks: 2
; VGPRBlocks: 2
; NumSGPRsForWavesPerEU: 23
; NumVGPRsForWavesPerEU: 18
; Occupancy: 16
; WaveLimiterHint : 0
; COMPUTE_PGM_RSRC2:SCRATCH_EN: 0
; COMPUTE_PGM_RSRC2:USER_SGPR: 15
; COMPUTE_PGM_RSRC2:TRAP_HANDLER: 0
; COMPUTE_PGM_RSRC2:TGID_X_EN: 1
; COMPUTE_PGM_RSRC2:TGID_Y_EN: 0
; COMPUTE_PGM_RSRC2:TGID_Z_EN: 0
; COMPUTE_PGM_RSRC2:TIDIG_COMP_CNT: 0
	.section	.text._ZN7rocprim17ROCPRIM_400000_NS6detail17trampoline_kernelINS0_14default_configENS1_25transform_config_selectorIhLb1EEEZNS1_14transform_implILb1ES3_S5_PhS7_NS0_8identityIhEEEE10hipError_tT2_T3_mT4_P12ihipStream_tbEUlT_E_NS1_11comp_targetILNS1_3genE8ELNS1_11target_archE1030ELNS1_3gpuE2ELNS1_3repE0EEENS1_30default_config_static_selectorELNS0_4arch9wavefront6targetE0EEEvT1_,"axG",@progbits,_ZN7rocprim17ROCPRIM_400000_NS6detail17trampoline_kernelINS0_14default_configENS1_25transform_config_selectorIhLb1EEEZNS1_14transform_implILb1ES3_S5_PhS7_NS0_8identityIhEEEE10hipError_tT2_T3_mT4_P12ihipStream_tbEUlT_E_NS1_11comp_targetILNS1_3genE8ELNS1_11target_archE1030ELNS1_3gpuE2ELNS1_3repE0EEENS1_30default_config_static_selectorELNS0_4arch9wavefront6targetE0EEEvT1_,comdat
	.protected	_ZN7rocprim17ROCPRIM_400000_NS6detail17trampoline_kernelINS0_14default_configENS1_25transform_config_selectorIhLb1EEEZNS1_14transform_implILb1ES3_S5_PhS7_NS0_8identityIhEEEE10hipError_tT2_T3_mT4_P12ihipStream_tbEUlT_E_NS1_11comp_targetILNS1_3genE8ELNS1_11target_archE1030ELNS1_3gpuE2ELNS1_3repE0EEENS1_30default_config_static_selectorELNS0_4arch9wavefront6targetE0EEEvT1_ ; -- Begin function _ZN7rocprim17ROCPRIM_400000_NS6detail17trampoline_kernelINS0_14default_configENS1_25transform_config_selectorIhLb1EEEZNS1_14transform_implILb1ES3_S5_PhS7_NS0_8identityIhEEEE10hipError_tT2_T3_mT4_P12ihipStream_tbEUlT_E_NS1_11comp_targetILNS1_3genE8ELNS1_11target_archE1030ELNS1_3gpuE2ELNS1_3repE0EEENS1_30default_config_static_selectorELNS0_4arch9wavefront6targetE0EEEvT1_
	.globl	_ZN7rocprim17ROCPRIM_400000_NS6detail17trampoline_kernelINS0_14default_configENS1_25transform_config_selectorIhLb1EEEZNS1_14transform_implILb1ES3_S5_PhS7_NS0_8identityIhEEEE10hipError_tT2_T3_mT4_P12ihipStream_tbEUlT_E_NS1_11comp_targetILNS1_3genE8ELNS1_11target_archE1030ELNS1_3gpuE2ELNS1_3repE0EEENS1_30default_config_static_selectorELNS0_4arch9wavefront6targetE0EEEvT1_
	.p2align	8
	.type	_ZN7rocprim17ROCPRIM_400000_NS6detail17trampoline_kernelINS0_14default_configENS1_25transform_config_selectorIhLb1EEEZNS1_14transform_implILb1ES3_S5_PhS7_NS0_8identityIhEEEE10hipError_tT2_T3_mT4_P12ihipStream_tbEUlT_E_NS1_11comp_targetILNS1_3genE8ELNS1_11target_archE1030ELNS1_3gpuE2ELNS1_3repE0EEENS1_30default_config_static_selectorELNS0_4arch9wavefront6targetE0EEEvT1_,@function
_ZN7rocprim17ROCPRIM_400000_NS6detail17trampoline_kernelINS0_14default_configENS1_25transform_config_selectorIhLb1EEEZNS1_14transform_implILb1ES3_S5_PhS7_NS0_8identityIhEEEE10hipError_tT2_T3_mT4_P12ihipStream_tbEUlT_E_NS1_11comp_targetILNS1_3genE8ELNS1_11target_archE1030ELNS1_3gpuE2ELNS1_3repE0EEENS1_30default_config_static_selectorELNS0_4arch9wavefront6targetE0EEEvT1_: ; @_ZN7rocprim17ROCPRIM_400000_NS6detail17trampoline_kernelINS0_14default_configENS1_25transform_config_selectorIhLb1EEEZNS1_14transform_implILb1ES3_S5_PhS7_NS0_8identityIhEEEE10hipError_tT2_T3_mT4_P12ihipStream_tbEUlT_E_NS1_11comp_targetILNS1_3genE8ELNS1_11target_archE1030ELNS1_3gpuE2ELNS1_3repE0EEENS1_30default_config_static_selectorELNS0_4arch9wavefront6targetE0EEEvT1_
; %bb.0:
	.section	.rodata,"a",@progbits
	.p2align	6, 0x0
	.amdhsa_kernel _ZN7rocprim17ROCPRIM_400000_NS6detail17trampoline_kernelINS0_14default_configENS1_25transform_config_selectorIhLb1EEEZNS1_14transform_implILb1ES3_S5_PhS7_NS0_8identityIhEEEE10hipError_tT2_T3_mT4_P12ihipStream_tbEUlT_E_NS1_11comp_targetILNS1_3genE8ELNS1_11target_archE1030ELNS1_3gpuE2ELNS1_3repE0EEENS1_30default_config_static_selectorELNS0_4arch9wavefront6targetE0EEEvT1_
		.amdhsa_group_segment_fixed_size 0
		.amdhsa_private_segment_fixed_size 0
		.amdhsa_kernarg_size 40
		.amdhsa_user_sgpr_count 15
		.amdhsa_user_sgpr_dispatch_ptr 0
		.amdhsa_user_sgpr_queue_ptr 0
		.amdhsa_user_sgpr_kernarg_segment_ptr 1
		.amdhsa_user_sgpr_dispatch_id 0
		.amdhsa_user_sgpr_private_segment_size 0
		.amdhsa_wavefront_size32 1
		.amdhsa_uses_dynamic_stack 0
		.amdhsa_enable_private_segment 0
		.amdhsa_system_sgpr_workgroup_id_x 1
		.amdhsa_system_sgpr_workgroup_id_y 0
		.amdhsa_system_sgpr_workgroup_id_z 0
		.amdhsa_system_sgpr_workgroup_info 0
		.amdhsa_system_vgpr_workitem_id 0
		.amdhsa_next_free_vgpr 1
		.amdhsa_next_free_sgpr 1
		.amdhsa_reserve_vcc 0
		.amdhsa_float_round_mode_32 0
		.amdhsa_float_round_mode_16_64 0
		.amdhsa_float_denorm_mode_32 3
		.amdhsa_float_denorm_mode_16_64 3
		.amdhsa_dx10_clamp 1
		.amdhsa_ieee_mode 1
		.amdhsa_fp16_overflow 0
		.amdhsa_workgroup_processor_mode 1
		.amdhsa_memory_ordered 1
		.amdhsa_forward_progress 0
		.amdhsa_shared_vgpr_count 0
		.amdhsa_exception_fp_ieee_invalid_op 0
		.amdhsa_exception_fp_denorm_src 0
		.amdhsa_exception_fp_ieee_div_zero 0
		.amdhsa_exception_fp_ieee_overflow 0
		.amdhsa_exception_fp_ieee_underflow 0
		.amdhsa_exception_fp_ieee_inexact 0
		.amdhsa_exception_int_div_zero 0
	.end_amdhsa_kernel
	.section	.text._ZN7rocprim17ROCPRIM_400000_NS6detail17trampoline_kernelINS0_14default_configENS1_25transform_config_selectorIhLb1EEEZNS1_14transform_implILb1ES3_S5_PhS7_NS0_8identityIhEEEE10hipError_tT2_T3_mT4_P12ihipStream_tbEUlT_E_NS1_11comp_targetILNS1_3genE8ELNS1_11target_archE1030ELNS1_3gpuE2ELNS1_3repE0EEENS1_30default_config_static_selectorELNS0_4arch9wavefront6targetE0EEEvT1_,"axG",@progbits,_ZN7rocprim17ROCPRIM_400000_NS6detail17trampoline_kernelINS0_14default_configENS1_25transform_config_selectorIhLb1EEEZNS1_14transform_implILb1ES3_S5_PhS7_NS0_8identityIhEEEE10hipError_tT2_T3_mT4_P12ihipStream_tbEUlT_E_NS1_11comp_targetILNS1_3genE8ELNS1_11target_archE1030ELNS1_3gpuE2ELNS1_3repE0EEENS1_30default_config_static_selectorELNS0_4arch9wavefront6targetE0EEEvT1_,comdat
.Lfunc_end120:
	.size	_ZN7rocprim17ROCPRIM_400000_NS6detail17trampoline_kernelINS0_14default_configENS1_25transform_config_selectorIhLb1EEEZNS1_14transform_implILb1ES3_S5_PhS7_NS0_8identityIhEEEE10hipError_tT2_T3_mT4_P12ihipStream_tbEUlT_E_NS1_11comp_targetILNS1_3genE8ELNS1_11target_archE1030ELNS1_3gpuE2ELNS1_3repE0EEENS1_30default_config_static_selectorELNS0_4arch9wavefront6targetE0EEEvT1_, .Lfunc_end120-_ZN7rocprim17ROCPRIM_400000_NS6detail17trampoline_kernelINS0_14default_configENS1_25transform_config_selectorIhLb1EEEZNS1_14transform_implILb1ES3_S5_PhS7_NS0_8identityIhEEEE10hipError_tT2_T3_mT4_P12ihipStream_tbEUlT_E_NS1_11comp_targetILNS1_3genE8ELNS1_11target_archE1030ELNS1_3gpuE2ELNS1_3repE0EEENS1_30default_config_static_selectorELNS0_4arch9wavefront6targetE0EEEvT1_
                                        ; -- End function
	.section	.AMDGPU.csdata,"",@progbits
; Kernel info:
; codeLenInByte = 0
; NumSgprs: 0
; NumVgprs: 0
; ScratchSize: 0
; MemoryBound: 0
; FloatMode: 240
; IeeeMode: 1
; LDSByteSize: 0 bytes/workgroup (compile time only)
; SGPRBlocks: 0
; VGPRBlocks: 0
; NumSGPRsForWavesPerEU: 1
; NumVGPRsForWavesPerEU: 1
; Occupancy: 16
; WaveLimiterHint : 0
; COMPUTE_PGM_RSRC2:SCRATCH_EN: 0
; COMPUTE_PGM_RSRC2:USER_SGPR: 15
; COMPUTE_PGM_RSRC2:TRAP_HANDLER: 0
; COMPUTE_PGM_RSRC2:TGID_X_EN: 1
; COMPUTE_PGM_RSRC2:TGID_Y_EN: 0
; COMPUTE_PGM_RSRC2:TGID_Z_EN: 0
; COMPUTE_PGM_RSRC2:TIDIG_COMP_CNT: 0
	.section	.text._ZN7rocprim17ROCPRIM_400000_NS6detail17trampoline_kernelINS0_14default_configENS1_20scan_config_selectorIhEEZZNS1_9scan_implILNS1_25lookback_scan_determinismE0ELb0ELb0ES3_N6thrust23THRUST_200600_302600_NS6detail15normal_iteratorINS9_7pointerIhNS9_11hip_rocprim5par_tENS9_11use_defaultESF_EEEENSB_INSC_IjSE_SF_SF_EEEEhNS9_4plusIvEEhEEDaPvRmT3_T4_T5_mT6_P12ihipStream_tbENKUlT_T0_E_clISt17integral_constantIbLb0EESZ_EEDaSU_SV_EUlSU_E0_NS1_11comp_targetILNS1_3genE0ELNS1_11target_archE4294967295ELNS1_3gpuE0ELNS1_3repE0EEENS1_30default_config_static_selectorELNS0_4arch9wavefront6targetE0EEEvT1_,"axG",@progbits,_ZN7rocprim17ROCPRIM_400000_NS6detail17trampoline_kernelINS0_14default_configENS1_20scan_config_selectorIhEEZZNS1_9scan_implILNS1_25lookback_scan_determinismE0ELb0ELb0ES3_N6thrust23THRUST_200600_302600_NS6detail15normal_iteratorINS9_7pointerIhNS9_11hip_rocprim5par_tENS9_11use_defaultESF_EEEENSB_INSC_IjSE_SF_SF_EEEEhNS9_4plusIvEEhEEDaPvRmT3_T4_T5_mT6_P12ihipStream_tbENKUlT_T0_E_clISt17integral_constantIbLb0EESZ_EEDaSU_SV_EUlSU_E0_NS1_11comp_targetILNS1_3genE0ELNS1_11target_archE4294967295ELNS1_3gpuE0ELNS1_3repE0EEENS1_30default_config_static_selectorELNS0_4arch9wavefront6targetE0EEEvT1_,comdat
	.protected	_ZN7rocprim17ROCPRIM_400000_NS6detail17trampoline_kernelINS0_14default_configENS1_20scan_config_selectorIhEEZZNS1_9scan_implILNS1_25lookback_scan_determinismE0ELb0ELb0ES3_N6thrust23THRUST_200600_302600_NS6detail15normal_iteratorINS9_7pointerIhNS9_11hip_rocprim5par_tENS9_11use_defaultESF_EEEENSB_INSC_IjSE_SF_SF_EEEEhNS9_4plusIvEEhEEDaPvRmT3_T4_T5_mT6_P12ihipStream_tbENKUlT_T0_E_clISt17integral_constantIbLb0EESZ_EEDaSU_SV_EUlSU_E0_NS1_11comp_targetILNS1_3genE0ELNS1_11target_archE4294967295ELNS1_3gpuE0ELNS1_3repE0EEENS1_30default_config_static_selectorELNS0_4arch9wavefront6targetE0EEEvT1_ ; -- Begin function _ZN7rocprim17ROCPRIM_400000_NS6detail17trampoline_kernelINS0_14default_configENS1_20scan_config_selectorIhEEZZNS1_9scan_implILNS1_25lookback_scan_determinismE0ELb0ELb0ES3_N6thrust23THRUST_200600_302600_NS6detail15normal_iteratorINS9_7pointerIhNS9_11hip_rocprim5par_tENS9_11use_defaultESF_EEEENSB_INSC_IjSE_SF_SF_EEEEhNS9_4plusIvEEhEEDaPvRmT3_T4_T5_mT6_P12ihipStream_tbENKUlT_T0_E_clISt17integral_constantIbLb0EESZ_EEDaSU_SV_EUlSU_E0_NS1_11comp_targetILNS1_3genE0ELNS1_11target_archE4294967295ELNS1_3gpuE0ELNS1_3repE0EEENS1_30default_config_static_selectorELNS0_4arch9wavefront6targetE0EEEvT1_
	.globl	_ZN7rocprim17ROCPRIM_400000_NS6detail17trampoline_kernelINS0_14default_configENS1_20scan_config_selectorIhEEZZNS1_9scan_implILNS1_25lookback_scan_determinismE0ELb0ELb0ES3_N6thrust23THRUST_200600_302600_NS6detail15normal_iteratorINS9_7pointerIhNS9_11hip_rocprim5par_tENS9_11use_defaultESF_EEEENSB_INSC_IjSE_SF_SF_EEEEhNS9_4plusIvEEhEEDaPvRmT3_T4_T5_mT6_P12ihipStream_tbENKUlT_T0_E_clISt17integral_constantIbLb0EESZ_EEDaSU_SV_EUlSU_E0_NS1_11comp_targetILNS1_3genE0ELNS1_11target_archE4294967295ELNS1_3gpuE0ELNS1_3repE0EEENS1_30default_config_static_selectorELNS0_4arch9wavefront6targetE0EEEvT1_
	.p2align	8
	.type	_ZN7rocprim17ROCPRIM_400000_NS6detail17trampoline_kernelINS0_14default_configENS1_20scan_config_selectorIhEEZZNS1_9scan_implILNS1_25lookback_scan_determinismE0ELb0ELb0ES3_N6thrust23THRUST_200600_302600_NS6detail15normal_iteratorINS9_7pointerIhNS9_11hip_rocprim5par_tENS9_11use_defaultESF_EEEENSB_INSC_IjSE_SF_SF_EEEEhNS9_4plusIvEEhEEDaPvRmT3_T4_T5_mT6_P12ihipStream_tbENKUlT_T0_E_clISt17integral_constantIbLb0EESZ_EEDaSU_SV_EUlSU_E0_NS1_11comp_targetILNS1_3genE0ELNS1_11target_archE4294967295ELNS1_3gpuE0ELNS1_3repE0EEENS1_30default_config_static_selectorELNS0_4arch9wavefront6targetE0EEEvT1_,@function
_ZN7rocprim17ROCPRIM_400000_NS6detail17trampoline_kernelINS0_14default_configENS1_20scan_config_selectorIhEEZZNS1_9scan_implILNS1_25lookback_scan_determinismE0ELb0ELb0ES3_N6thrust23THRUST_200600_302600_NS6detail15normal_iteratorINS9_7pointerIhNS9_11hip_rocprim5par_tENS9_11use_defaultESF_EEEENSB_INSC_IjSE_SF_SF_EEEEhNS9_4plusIvEEhEEDaPvRmT3_T4_T5_mT6_P12ihipStream_tbENKUlT_T0_E_clISt17integral_constantIbLb0EESZ_EEDaSU_SV_EUlSU_E0_NS1_11comp_targetILNS1_3genE0ELNS1_11target_archE4294967295ELNS1_3gpuE0ELNS1_3repE0EEENS1_30default_config_static_selectorELNS0_4arch9wavefront6targetE0EEEvT1_: ; @_ZN7rocprim17ROCPRIM_400000_NS6detail17trampoline_kernelINS0_14default_configENS1_20scan_config_selectorIhEEZZNS1_9scan_implILNS1_25lookback_scan_determinismE0ELb0ELb0ES3_N6thrust23THRUST_200600_302600_NS6detail15normal_iteratorINS9_7pointerIhNS9_11hip_rocprim5par_tENS9_11use_defaultESF_EEEENSB_INSC_IjSE_SF_SF_EEEEhNS9_4plusIvEEhEEDaPvRmT3_T4_T5_mT6_P12ihipStream_tbENKUlT_T0_E_clISt17integral_constantIbLb0EESZ_EEDaSU_SV_EUlSU_E0_NS1_11comp_targetILNS1_3genE0ELNS1_11target_archE4294967295ELNS1_3gpuE0ELNS1_3repE0EEENS1_30default_config_static_selectorELNS0_4arch9wavefront6targetE0EEEvT1_
; %bb.0:
	.section	.rodata,"a",@progbits
	.p2align	6, 0x0
	.amdhsa_kernel _ZN7rocprim17ROCPRIM_400000_NS6detail17trampoline_kernelINS0_14default_configENS1_20scan_config_selectorIhEEZZNS1_9scan_implILNS1_25lookback_scan_determinismE0ELb0ELb0ES3_N6thrust23THRUST_200600_302600_NS6detail15normal_iteratorINS9_7pointerIhNS9_11hip_rocprim5par_tENS9_11use_defaultESF_EEEENSB_INSC_IjSE_SF_SF_EEEEhNS9_4plusIvEEhEEDaPvRmT3_T4_T5_mT6_P12ihipStream_tbENKUlT_T0_E_clISt17integral_constantIbLb0EESZ_EEDaSU_SV_EUlSU_E0_NS1_11comp_targetILNS1_3genE0ELNS1_11target_archE4294967295ELNS1_3gpuE0ELNS1_3repE0EEENS1_30default_config_static_selectorELNS0_4arch9wavefront6targetE0EEEvT1_
		.amdhsa_group_segment_fixed_size 0
		.amdhsa_private_segment_fixed_size 0
		.amdhsa_kernarg_size 32
		.amdhsa_user_sgpr_count 15
		.amdhsa_user_sgpr_dispatch_ptr 0
		.amdhsa_user_sgpr_queue_ptr 0
		.amdhsa_user_sgpr_kernarg_segment_ptr 1
		.amdhsa_user_sgpr_dispatch_id 0
		.amdhsa_user_sgpr_private_segment_size 0
		.amdhsa_wavefront_size32 1
		.amdhsa_uses_dynamic_stack 0
		.amdhsa_enable_private_segment 0
		.amdhsa_system_sgpr_workgroup_id_x 1
		.amdhsa_system_sgpr_workgroup_id_y 0
		.amdhsa_system_sgpr_workgroup_id_z 0
		.amdhsa_system_sgpr_workgroup_info 0
		.amdhsa_system_vgpr_workitem_id 0
		.amdhsa_next_free_vgpr 1
		.amdhsa_next_free_sgpr 1
		.amdhsa_reserve_vcc 0
		.amdhsa_float_round_mode_32 0
		.amdhsa_float_round_mode_16_64 0
		.amdhsa_float_denorm_mode_32 3
		.amdhsa_float_denorm_mode_16_64 3
		.amdhsa_dx10_clamp 1
		.amdhsa_ieee_mode 1
		.amdhsa_fp16_overflow 0
		.amdhsa_workgroup_processor_mode 1
		.amdhsa_memory_ordered 1
		.amdhsa_forward_progress 0
		.amdhsa_shared_vgpr_count 0
		.amdhsa_exception_fp_ieee_invalid_op 0
		.amdhsa_exception_fp_denorm_src 0
		.amdhsa_exception_fp_ieee_div_zero 0
		.amdhsa_exception_fp_ieee_overflow 0
		.amdhsa_exception_fp_ieee_underflow 0
		.amdhsa_exception_fp_ieee_inexact 0
		.amdhsa_exception_int_div_zero 0
	.end_amdhsa_kernel
	.section	.text._ZN7rocprim17ROCPRIM_400000_NS6detail17trampoline_kernelINS0_14default_configENS1_20scan_config_selectorIhEEZZNS1_9scan_implILNS1_25lookback_scan_determinismE0ELb0ELb0ES3_N6thrust23THRUST_200600_302600_NS6detail15normal_iteratorINS9_7pointerIhNS9_11hip_rocprim5par_tENS9_11use_defaultESF_EEEENSB_INSC_IjSE_SF_SF_EEEEhNS9_4plusIvEEhEEDaPvRmT3_T4_T5_mT6_P12ihipStream_tbENKUlT_T0_E_clISt17integral_constantIbLb0EESZ_EEDaSU_SV_EUlSU_E0_NS1_11comp_targetILNS1_3genE0ELNS1_11target_archE4294967295ELNS1_3gpuE0ELNS1_3repE0EEENS1_30default_config_static_selectorELNS0_4arch9wavefront6targetE0EEEvT1_,"axG",@progbits,_ZN7rocprim17ROCPRIM_400000_NS6detail17trampoline_kernelINS0_14default_configENS1_20scan_config_selectorIhEEZZNS1_9scan_implILNS1_25lookback_scan_determinismE0ELb0ELb0ES3_N6thrust23THRUST_200600_302600_NS6detail15normal_iteratorINS9_7pointerIhNS9_11hip_rocprim5par_tENS9_11use_defaultESF_EEEENSB_INSC_IjSE_SF_SF_EEEEhNS9_4plusIvEEhEEDaPvRmT3_T4_T5_mT6_P12ihipStream_tbENKUlT_T0_E_clISt17integral_constantIbLb0EESZ_EEDaSU_SV_EUlSU_E0_NS1_11comp_targetILNS1_3genE0ELNS1_11target_archE4294967295ELNS1_3gpuE0ELNS1_3repE0EEENS1_30default_config_static_selectorELNS0_4arch9wavefront6targetE0EEEvT1_,comdat
.Lfunc_end121:
	.size	_ZN7rocprim17ROCPRIM_400000_NS6detail17trampoline_kernelINS0_14default_configENS1_20scan_config_selectorIhEEZZNS1_9scan_implILNS1_25lookback_scan_determinismE0ELb0ELb0ES3_N6thrust23THRUST_200600_302600_NS6detail15normal_iteratorINS9_7pointerIhNS9_11hip_rocprim5par_tENS9_11use_defaultESF_EEEENSB_INSC_IjSE_SF_SF_EEEEhNS9_4plusIvEEhEEDaPvRmT3_T4_T5_mT6_P12ihipStream_tbENKUlT_T0_E_clISt17integral_constantIbLb0EESZ_EEDaSU_SV_EUlSU_E0_NS1_11comp_targetILNS1_3genE0ELNS1_11target_archE4294967295ELNS1_3gpuE0ELNS1_3repE0EEENS1_30default_config_static_selectorELNS0_4arch9wavefront6targetE0EEEvT1_, .Lfunc_end121-_ZN7rocprim17ROCPRIM_400000_NS6detail17trampoline_kernelINS0_14default_configENS1_20scan_config_selectorIhEEZZNS1_9scan_implILNS1_25lookback_scan_determinismE0ELb0ELb0ES3_N6thrust23THRUST_200600_302600_NS6detail15normal_iteratorINS9_7pointerIhNS9_11hip_rocprim5par_tENS9_11use_defaultESF_EEEENSB_INSC_IjSE_SF_SF_EEEEhNS9_4plusIvEEhEEDaPvRmT3_T4_T5_mT6_P12ihipStream_tbENKUlT_T0_E_clISt17integral_constantIbLb0EESZ_EEDaSU_SV_EUlSU_E0_NS1_11comp_targetILNS1_3genE0ELNS1_11target_archE4294967295ELNS1_3gpuE0ELNS1_3repE0EEENS1_30default_config_static_selectorELNS0_4arch9wavefront6targetE0EEEvT1_
                                        ; -- End function
	.section	.AMDGPU.csdata,"",@progbits
; Kernel info:
; codeLenInByte = 0
; NumSgprs: 0
; NumVgprs: 0
; ScratchSize: 0
; MemoryBound: 0
; FloatMode: 240
; IeeeMode: 1
; LDSByteSize: 0 bytes/workgroup (compile time only)
; SGPRBlocks: 0
; VGPRBlocks: 0
; NumSGPRsForWavesPerEU: 1
; NumVGPRsForWavesPerEU: 1
; Occupancy: 16
; WaveLimiterHint : 0
; COMPUTE_PGM_RSRC2:SCRATCH_EN: 0
; COMPUTE_PGM_RSRC2:USER_SGPR: 15
; COMPUTE_PGM_RSRC2:TRAP_HANDLER: 0
; COMPUTE_PGM_RSRC2:TGID_X_EN: 1
; COMPUTE_PGM_RSRC2:TGID_Y_EN: 0
; COMPUTE_PGM_RSRC2:TGID_Z_EN: 0
; COMPUTE_PGM_RSRC2:TIDIG_COMP_CNT: 0
	.section	.text._ZN7rocprim17ROCPRIM_400000_NS6detail17trampoline_kernelINS0_14default_configENS1_20scan_config_selectorIhEEZZNS1_9scan_implILNS1_25lookback_scan_determinismE0ELb0ELb0ES3_N6thrust23THRUST_200600_302600_NS6detail15normal_iteratorINS9_7pointerIhNS9_11hip_rocprim5par_tENS9_11use_defaultESF_EEEENSB_INSC_IjSE_SF_SF_EEEEhNS9_4plusIvEEhEEDaPvRmT3_T4_T5_mT6_P12ihipStream_tbENKUlT_T0_E_clISt17integral_constantIbLb0EESZ_EEDaSU_SV_EUlSU_E0_NS1_11comp_targetILNS1_3genE5ELNS1_11target_archE942ELNS1_3gpuE9ELNS1_3repE0EEENS1_30default_config_static_selectorELNS0_4arch9wavefront6targetE0EEEvT1_,"axG",@progbits,_ZN7rocprim17ROCPRIM_400000_NS6detail17trampoline_kernelINS0_14default_configENS1_20scan_config_selectorIhEEZZNS1_9scan_implILNS1_25lookback_scan_determinismE0ELb0ELb0ES3_N6thrust23THRUST_200600_302600_NS6detail15normal_iteratorINS9_7pointerIhNS9_11hip_rocprim5par_tENS9_11use_defaultESF_EEEENSB_INSC_IjSE_SF_SF_EEEEhNS9_4plusIvEEhEEDaPvRmT3_T4_T5_mT6_P12ihipStream_tbENKUlT_T0_E_clISt17integral_constantIbLb0EESZ_EEDaSU_SV_EUlSU_E0_NS1_11comp_targetILNS1_3genE5ELNS1_11target_archE942ELNS1_3gpuE9ELNS1_3repE0EEENS1_30default_config_static_selectorELNS0_4arch9wavefront6targetE0EEEvT1_,comdat
	.protected	_ZN7rocprim17ROCPRIM_400000_NS6detail17trampoline_kernelINS0_14default_configENS1_20scan_config_selectorIhEEZZNS1_9scan_implILNS1_25lookback_scan_determinismE0ELb0ELb0ES3_N6thrust23THRUST_200600_302600_NS6detail15normal_iteratorINS9_7pointerIhNS9_11hip_rocprim5par_tENS9_11use_defaultESF_EEEENSB_INSC_IjSE_SF_SF_EEEEhNS9_4plusIvEEhEEDaPvRmT3_T4_T5_mT6_P12ihipStream_tbENKUlT_T0_E_clISt17integral_constantIbLb0EESZ_EEDaSU_SV_EUlSU_E0_NS1_11comp_targetILNS1_3genE5ELNS1_11target_archE942ELNS1_3gpuE9ELNS1_3repE0EEENS1_30default_config_static_selectorELNS0_4arch9wavefront6targetE0EEEvT1_ ; -- Begin function _ZN7rocprim17ROCPRIM_400000_NS6detail17trampoline_kernelINS0_14default_configENS1_20scan_config_selectorIhEEZZNS1_9scan_implILNS1_25lookback_scan_determinismE0ELb0ELb0ES3_N6thrust23THRUST_200600_302600_NS6detail15normal_iteratorINS9_7pointerIhNS9_11hip_rocprim5par_tENS9_11use_defaultESF_EEEENSB_INSC_IjSE_SF_SF_EEEEhNS9_4plusIvEEhEEDaPvRmT3_T4_T5_mT6_P12ihipStream_tbENKUlT_T0_E_clISt17integral_constantIbLb0EESZ_EEDaSU_SV_EUlSU_E0_NS1_11comp_targetILNS1_3genE5ELNS1_11target_archE942ELNS1_3gpuE9ELNS1_3repE0EEENS1_30default_config_static_selectorELNS0_4arch9wavefront6targetE0EEEvT1_
	.globl	_ZN7rocprim17ROCPRIM_400000_NS6detail17trampoline_kernelINS0_14default_configENS1_20scan_config_selectorIhEEZZNS1_9scan_implILNS1_25lookback_scan_determinismE0ELb0ELb0ES3_N6thrust23THRUST_200600_302600_NS6detail15normal_iteratorINS9_7pointerIhNS9_11hip_rocprim5par_tENS9_11use_defaultESF_EEEENSB_INSC_IjSE_SF_SF_EEEEhNS9_4plusIvEEhEEDaPvRmT3_T4_T5_mT6_P12ihipStream_tbENKUlT_T0_E_clISt17integral_constantIbLb0EESZ_EEDaSU_SV_EUlSU_E0_NS1_11comp_targetILNS1_3genE5ELNS1_11target_archE942ELNS1_3gpuE9ELNS1_3repE0EEENS1_30default_config_static_selectorELNS0_4arch9wavefront6targetE0EEEvT1_
	.p2align	8
	.type	_ZN7rocprim17ROCPRIM_400000_NS6detail17trampoline_kernelINS0_14default_configENS1_20scan_config_selectorIhEEZZNS1_9scan_implILNS1_25lookback_scan_determinismE0ELb0ELb0ES3_N6thrust23THRUST_200600_302600_NS6detail15normal_iteratorINS9_7pointerIhNS9_11hip_rocprim5par_tENS9_11use_defaultESF_EEEENSB_INSC_IjSE_SF_SF_EEEEhNS9_4plusIvEEhEEDaPvRmT3_T4_T5_mT6_P12ihipStream_tbENKUlT_T0_E_clISt17integral_constantIbLb0EESZ_EEDaSU_SV_EUlSU_E0_NS1_11comp_targetILNS1_3genE5ELNS1_11target_archE942ELNS1_3gpuE9ELNS1_3repE0EEENS1_30default_config_static_selectorELNS0_4arch9wavefront6targetE0EEEvT1_,@function
_ZN7rocprim17ROCPRIM_400000_NS6detail17trampoline_kernelINS0_14default_configENS1_20scan_config_selectorIhEEZZNS1_9scan_implILNS1_25lookback_scan_determinismE0ELb0ELb0ES3_N6thrust23THRUST_200600_302600_NS6detail15normal_iteratorINS9_7pointerIhNS9_11hip_rocprim5par_tENS9_11use_defaultESF_EEEENSB_INSC_IjSE_SF_SF_EEEEhNS9_4plusIvEEhEEDaPvRmT3_T4_T5_mT6_P12ihipStream_tbENKUlT_T0_E_clISt17integral_constantIbLb0EESZ_EEDaSU_SV_EUlSU_E0_NS1_11comp_targetILNS1_3genE5ELNS1_11target_archE942ELNS1_3gpuE9ELNS1_3repE0EEENS1_30default_config_static_selectorELNS0_4arch9wavefront6targetE0EEEvT1_: ; @_ZN7rocprim17ROCPRIM_400000_NS6detail17trampoline_kernelINS0_14default_configENS1_20scan_config_selectorIhEEZZNS1_9scan_implILNS1_25lookback_scan_determinismE0ELb0ELb0ES3_N6thrust23THRUST_200600_302600_NS6detail15normal_iteratorINS9_7pointerIhNS9_11hip_rocprim5par_tENS9_11use_defaultESF_EEEENSB_INSC_IjSE_SF_SF_EEEEhNS9_4plusIvEEhEEDaPvRmT3_T4_T5_mT6_P12ihipStream_tbENKUlT_T0_E_clISt17integral_constantIbLb0EESZ_EEDaSU_SV_EUlSU_E0_NS1_11comp_targetILNS1_3genE5ELNS1_11target_archE942ELNS1_3gpuE9ELNS1_3repE0EEENS1_30default_config_static_selectorELNS0_4arch9wavefront6targetE0EEEvT1_
; %bb.0:
	.section	.rodata,"a",@progbits
	.p2align	6, 0x0
	.amdhsa_kernel _ZN7rocprim17ROCPRIM_400000_NS6detail17trampoline_kernelINS0_14default_configENS1_20scan_config_selectorIhEEZZNS1_9scan_implILNS1_25lookback_scan_determinismE0ELb0ELb0ES3_N6thrust23THRUST_200600_302600_NS6detail15normal_iteratorINS9_7pointerIhNS9_11hip_rocprim5par_tENS9_11use_defaultESF_EEEENSB_INSC_IjSE_SF_SF_EEEEhNS9_4plusIvEEhEEDaPvRmT3_T4_T5_mT6_P12ihipStream_tbENKUlT_T0_E_clISt17integral_constantIbLb0EESZ_EEDaSU_SV_EUlSU_E0_NS1_11comp_targetILNS1_3genE5ELNS1_11target_archE942ELNS1_3gpuE9ELNS1_3repE0EEENS1_30default_config_static_selectorELNS0_4arch9wavefront6targetE0EEEvT1_
		.amdhsa_group_segment_fixed_size 0
		.amdhsa_private_segment_fixed_size 0
		.amdhsa_kernarg_size 32
		.amdhsa_user_sgpr_count 15
		.amdhsa_user_sgpr_dispatch_ptr 0
		.amdhsa_user_sgpr_queue_ptr 0
		.amdhsa_user_sgpr_kernarg_segment_ptr 1
		.amdhsa_user_sgpr_dispatch_id 0
		.amdhsa_user_sgpr_private_segment_size 0
		.amdhsa_wavefront_size32 1
		.amdhsa_uses_dynamic_stack 0
		.amdhsa_enable_private_segment 0
		.amdhsa_system_sgpr_workgroup_id_x 1
		.amdhsa_system_sgpr_workgroup_id_y 0
		.amdhsa_system_sgpr_workgroup_id_z 0
		.amdhsa_system_sgpr_workgroup_info 0
		.amdhsa_system_vgpr_workitem_id 0
		.amdhsa_next_free_vgpr 1
		.amdhsa_next_free_sgpr 1
		.amdhsa_reserve_vcc 0
		.amdhsa_float_round_mode_32 0
		.amdhsa_float_round_mode_16_64 0
		.amdhsa_float_denorm_mode_32 3
		.amdhsa_float_denorm_mode_16_64 3
		.amdhsa_dx10_clamp 1
		.amdhsa_ieee_mode 1
		.amdhsa_fp16_overflow 0
		.amdhsa_workgroup_processor_mode 1
		.amdhsa_memory_ordered 1
		.amdhsa_forward_progress 0
		.amdhsa_shared_vgpr_count 0
		.amdhsa_exception_fp_ieee_invalid_op 0
		.amdhsa_exception_fp_denorm_src 0
		.amdhsa_exception_fp_ieee_div_zero 0
		.amdhsa_exception_fp_ieee_overflow 0
		.amdhsa_exception_fp_ieee_underflow 0
		.amdhsa_exception_fp_ieee_inexact 0
		.amdhsa_exception_int_div_zero 0
	.end_amdhsa_kernel
	.section	.text._ZN7rocprim17ROCPRIM_400000_NS6detail17trampoline_kernelINS0_14default_configENS1_20scan_config_selectorIhEEZZNS1_9scan_implILNS1_25lookback_scan_determinismE0ELb0ELb0ES3_N6thrust23THRUST_200600_302600_NS6detail15normal_iteratorINS9_7pointerIhNS9_11hip_rocprim5par_tENS9_11use_defaultESF_EEEENSB_INSC_IjSE_SF_SF_EEEEhNS9_4plusIvEEhEEDaPvRmT3_T4_T5_mT6_P12ihipStream_tbENKUlT_T0_E_clISt17integral_constantIbLb0EESZ_EEDaSU_SV_EUlSU_E0_NS1_11comp_targetILNS1_3genE5ELNS1_11target_archE942ELNS1_3gpuE9ELNS1_3repE0EEENS1_30default_config_static_selectorELNS0_4arch9wavefront6targetE0EEEvT1_,"axG",@progbits,_ZN7rocprim17ROCPRIM_400000_NS6detail17trampoline_kernelINS0_14default_configENS1_20scan_config_selectorIhEEZZNS1_9scan_implILNS1_25lookback_scan_determinismE0ELb0ELb0ES3_N6thrust23THRUST_200600_302600_NS6detail15normal_iteratorINS9_7pointerIhNS9_11hip_rocprim5par_tENS9_11use_defaultESF_EEEENSB_INSC_IjSE_SF_SF_EEEEhNS9_4plusIvEEhEEDaPvRmT3_T4_T5_mT6_P12ihipStream_tbENKUlT_T0_E_clISt17integral_constantIbLb0EESZ_EEDaSU_SV_EUlSU_E0_NS1_11comp_targetILNS1_3genE5ELNS1_11target_archE942ELNS1_3gpuE9ELNS1_3repE0EEENS1_30default_config_static_selectorELNS0_4arch9wavefront6targetE0EEEvT1_,comdat
.Lfunc_end122:
	.size	_ZN7rocprim17ROCPRIM_400000_NS6detail17trampoline_kernelINS0_14default_configENS1_20scan_config_selectorIhEEZZNS1_9scan_implILNS1_25lookback_scan_determinismE0ELb0ELb0ES3_N6thrust23THRUST_200600_302600_NS6detail15normal_iteratorINS9_7pointerIhNS9_11hip_rocprim5par_tENS9_11use_defaultESF_EEEENSB_INSC_IjSE_SF_SF_EEEEhNS9_4plusIvEEhEEDaPvRmT3_T4_T5_mT6_P12ihipStream_tbENKUlT_T0_E_clISt17integral_constantIbLb0EESZ_EEDaSU_SV_EUlSU_E0_NS1_11comp_targetILNS1_3genE5ELNS1_11target_archE942ELNS1_3gpuE9ELNS1_3repE0EEENS1_30default_config_static_selectorELNS0_4arch9wavefront6targetE0EEEvT1_, .Lfunc_end122-_ZN7rocprim17ROCPRIM_400000_NS6detail17trampoline_kernelINS0_14default_configENS1_20scan_config_selectorIhEEZZNS1_9scan_implILNS1_25lookback_scan_determinismE0ELb0ELb0ES3_N6thrust23THRUST_200600_302600_NS6detail15normal_iteratorINS9_7pointerIhNS9_11hip_rocprim5par_tENS9_11use_defaultESF_EEEENSB_INSC_IjSE_SF_SF_EEEEhNS9_4plusIvEEhEEDaPvRmT3_T4_T5_mT6_P12ihipStream_tbENKUlT_T0_E_clISt17integral_constantIbLb0EESZ_EEDaSU_SV_EUlSU_E0_NS1_11comp_targetILNS1_3genE5ELNS1_11target_archE942ELNS1_3gpuE9ELNS1_3repE0EEENS1_30default_config_static_selectorELNS0_4arch9wavefront6targetE0EEEvT1_
                                        ; -- End function
	.section	.AMDGPU.csdata,"",@progbits
; Kernel info:
; codeLenInByte = 0
; NumSgprs: 0
; NumVgprs: 0
; ScratchSize: 0
; MemoryBound: 0
; FloatMode: 240
; IeeeMode: 1
; LDSByteSize: 0 bytes/workgroup (compile time only)
; SGPRBlocks: 0
; VGPRBlocks: 0
; NumSGPRsForWavesPerEU: 1
; NumVGPRsForWavesPerEU: 1
; Occupancy: 16
; WaveLimiterHint : 0
; COMPUTE_PGM_RSRC2:SCRATCH_EN: 0
; COMPUTE_PGM_RSRC2:USER_SGPR: 15
; COMPUTE_PGM_RSRC2:TRAP_HANDLER: 0
; COMPUTE_PGM_RSRC2:TGID_X_EN: 1
; COMPUTE_PGM_RSRC2:TGID_Y_EN: 0
; COMPUTE_PGM_RSRC2:TGID_Z_EN: 0
; COMPUTE_PGM_RSRC2:TIDIG_COMP_CNT: 0
	.section	.text._ZN7rocprim17ROCPRIM_400000_NS6detail17trampoline_kernelINS0_14default_configENS1_20scan_config_selectorIhEEZZNS1_9scan_implILNS1_25lookback_scan_determinismE0ELb0ELb0ES3_N6thrust23THRUST_200600_302600_NS6detail15normal_iteratorINS9_7pointerIhNS9_11hip_rocprim5par_tENS9_11use_defaultESF_EEEENSB_INSC_IjSE_SF_SF_EEEEhNS9_4plusIvEEhEEDaPvRmT3_T4_T5_mT6_P12ihipStream_tbENKUlT_T0_E_clISt17integral_constantIbLb0EESZ_EEDaSU_SV_EUlSU_E0_NS1_11comp_targetILNS1_3genE4ELNS1_11target_archE910ELNS1_3gpuE8ELNS1_3repE0EEENS1_30default_config_static_selectorELNS0_4arch9wavefront6targetE0EEEvT1_,"axG",@progbits,_ZN7rocprim17ROCPRIM_400000_NS6detail17trampoline_kernelINS0_14default_configENS1_20scan_config_selectorIhEEZZNS1_9scan_implILNS1_25lookback_scan_determinismE0ELb0ELb0ES3_N6thrust23THRUST_200600_302600_NS6detail15normal_iteratorINS9_7pointerIhNS9_11hip_rocprim5par_tENS9_11use_defaultESF_EEEENSB_INSC_IjSE_SF_SF_EEEEhNS9_4plusIvEEhEEDaPvRmT3_T4_T5_mT6_P12ihipStream_tbENKUlT_T0_E_clISt17integral_constantIbLb0EESZ_EEDaSU_SV_EUlSU_E0_NS1_11comp_targetILNS1_3genE4ELNS1_11target_archE910ELNS1_3gpuE8ELNS1_3repE0EEENS1_30default_config_static_selectorELNS0_4arch9wavefront6targetE0EEEvT1_,comdat
	.protected	_ZN7rocprim17ROCPRIM_400000_NS6detail17trampoline_kernelINS0_14default_configENS1_20scan_config_selectorIhEEZZNS1_9scan_implILNS1_25lookback_scan_determinismE0ELb0ELb0ES3_N6thrust23THRUST_200600_302600_NS6detail15normal_iteratorINS9_7pointerIhNS9_11hip_rocprim5par_tENS9_11use_defaultESF_EEEENSB_INSC_IjSE_SF_SF_EEEEhNS9_4plusIvEEhEEDaPvRmT3_T4_T5_mT6_P12ihipStream_tbENKUlT_T0_E_clISt17integral_constantIbLb0EESZ_EEDaSU_SV_EUlSU_E0_NS1_11comp_targetILNS1_3genE4ELNS1_11target_archE910ELNS1_3gpuE8ELNS1_3repE0EEENS1_30default_config_static_selectorELNS0_4arch9wavefront6targetE0EEEvT1_ ; -- Begin function _ZN7rocprim17ROCPRIM_400000_NS6detail17trampoline_kernelINS0_14default_configENS1_20scan_config_selectorIhEEZZNS1_9scan_implILNS1_25lookback_scan_determinismE0ELb0ELb0ES3_N6thrust23THRUST_200600_302600_NS6detail15normal_iteratorINS9_7pointerIhNS9_11hip_rocprim5par_tENS9_11use_defaultESF_EEEENSB_INSC_IjSE_SF_SF_EEEEhNS9_4plusIvEEhEEDaPvRmT3_T4_T5_mT6_P12ihipStream_tbENKUlT_T0_E_clISt17integral_constantIbLb0EESZ_EEDaSU_SV_EUlSU_E0_NS1_11comp_targetILNS1_3genE4ELNS1_11target_archE910ELNS1_3gpuE8ELNS1_3repE0EEENS1_30default_config_static_selectorELNS0_4arch9wavefront6targetE0EEEvT1_
	.globl	_ZN7rocprim17ROCPRIM_400000_NS6detail17trampoline_kernelINS0_14default_configENS1_20scan_config_selectorIhEEZZNS1_9scan_implILNS1_25lookback_scan_determinismE0ELb0ELb0ES3_N6thrust23THRUST_200600_302600_NS6detail15normal_iteratorINS9_7pointerIhNS9_11hip_rocprim5par_tENS9_11use_defaultESF_EEEENSB_INSC_IjSE_SF_SF_EEEEhNS9_4plusIvEEhEEDaPvRmT3_T4_T5_mT6_P12ihipStream_tbENKUlT_T0_E_clISt17integral_constantIbLb0EESZ_EEDaSU_SV_EUlSU_E0_NS1_11comp_targetILNS1_3genE4ELNS1_11target_archE910ELNS1_3gpuE8ELNS1_3repE0EEENS1_30default_config_static_selectorELNS0_4arch9wavefront6targetE0EEEvT1_
	.p2align	8
	.type	_ZN7rocprim17ROCPRIM_400000_NS6detail17trampoline_kernelINS0_14default_configENS1_20scan_config_selectorIhEEZZNS1_9scan_implILNS1_25lookback_scan_determinismE0ELb0ELb0ES3_N6thrust23THRUST_200600_302600_NS6detail15normal_iteratorINS9_7pointerIhNS9_11hip_rocprim5par_tENS9_11use_defaultESF_EEEENSB_INSC_IjSE_SF_SF_EEEEhNS9_4plusIvEEhEEDaPvRmT3_T4_T5_mT6_P12ihipStream_tbENKUlT_T0_E_clISt17integral_constantIbLb0EESZ_EEDaSU_SV_EUlSU_E0_NS1_11comp_targetILNS1_3genE4ELNS1_11target_archE910ELNS1_3gpuE8ELNS1_3repE0EEENS1_30default_config_static_selectorELNS0_4arch9wavefront6targetE0EEEvT1_,@function
_ZN7rocprim17ROCPRIM_400000_NS6detail17trampoline_kernelINS0_14default_configENS1_20scan_config_selectorIhEEZZNS1_9scan_implILNS1_25lookback_scan_determinismE0ELb0ELb0ES3_N6thrust23THRUST_200600_302600_NS6detail15normal_iteratorINS9_7pointerIhNS9_11hip_rocprim5par_tENS9_11use_defaultESF_EEEENSB_INSC_IjSE_SF_SF_EEEEhNS9_4plusIvEEhEEDaPvRmT3_T4_T5_mT6_P12ihipStream_tbENKUlT_T0_E_clISt17integral_constantIbLb0EESZ_EEDaSU_SV_EUlSU_E0_NS1_11comp_targetILNS1_3genE4ELNS1_11target_archE910ELNS1_3gpuE8ELNS1_3repE0EEENS1_30default_config_static_selectorELNS0_4arch9wavefront6targetE0EEEvT1_: ; @_ZN7rocprim17ROCPRIM_400000_NS6detail17trampoline_kernelINS0_14default_configENS1_20scan_config_selectorIhEEZZNS1_9scan_implILNS1_25lookback_scan_determinismE0ELb0ELb0ES3_N6thrust23THRUST_200600_302600_NS6detail15normal_iteratorINS9_7pointerIhNS9_11hip_rocprim5par_tENS9_11use_defaultESF_EEEENSB_INSC_IjSE_SF_SF_EEEEhNS9_4plusIvEEhEEDaPvRmT3_T4_T5_mT6_P12ihipStream_tbENKUlT_T0_E_clISt17integral_constantIbLb0EESZ_EEDaSU_SV_EUlSU_E0_NS1_11comp_targetILNS1_3genE4ELNS1_11target_archE910ELNS1_3gpuE8ELNS1_3repE0EEENS1_30default_config_static_selectorELNS0_4arch9wavefront6targetE0EEEvT1_
; %bb.0:
	.section	.rodata,"a",@progbits
	.p2align	6, 0x0
	.amdhsa_kernel _ZN7rocprim17ROCPRIM_400000_NS6detail17trampoline_kernelINS0_14default_configENS1_20scan_config_selectorIhEEZZNS1_9scan_implILNS1_25lookback_scan_determinismE0ELb0ELb0ES3_N6thrust23THRUST_200600_302600_NS6detail15normal_iteratorINS9_7pointerIhNS9_11hip_rocprim5par_tENS9_11use_defaultESF_EEEENSB_INSC_IjSE_SF_SF_EEEEhNS9_4plusIvEEhEEDaPvRmT3_T4_T5_mT6_P12ihipStream_tbENKUlT_T0_E_clISt17integral_constantIbLb0EESZ_EEDaSU_SV_EUlSU_E0_NS1_11comp_targetILNS1_3genE4ELNS1_11target_archE910ELNS1_3gpuE8ELNS1_3repE0EEENS1_30default_config_static_selectorELNS0_4arch9wavefront6targetE0EEEvT1_
		.amdhsa_group_segment_fixed_size 0
		.amdhsa_private_segment_fixed_size 0
		.amdhsa_kernarg_size 32
		.amdhsa_user_sgpr_count 15
		.amdhsa_user_sgpr_dispatch_ptr 0
		.amdhsa_user_sgpr_queue_ptr 0
		.amdhsa_user_sgpr_kernarg_segment_ptr 1
		.amdhsa_user_sgpr_dispatch_id 0
		.amdhsa_user_sgpr_private_segment_size 0
		.amdhsa_wavefront_size32 1
		.amdhsa_uses_dynamic_stack 0
		.amdhsa_enable_private_segment 0
		.amdhsa_system_sgpr_workgroup_id_x 1
		.amdhsa_system_sgpr_workgroup_id_y 0
		.amdhsa_system_sgpr_workgroup_id_z 0
		.amdhsa_system_sgpr_workgroup_info 0
		.amdhsa_system_vgpr_workitem_id 0
		.amdhsa_next_free_vgpr 1
		.amdhsa_next_free_sgpr 1
		.amdhsa_reserve_vcc 0
		.amdhsa_float_round_mode_32 0
		.amdhsa_float_round_mode_16_64 0
		.amdhsa_float_denorm_mode_32 3
		.amdhsa_float_denorm_mode_16_64 3
		.amdhsa_dx10_clamp 1
		.amdhsa_ieee_mode 1
		.amdhsa_fp16_overflow 0
		.amdhsa_workgroup_processor_mode 1
		.amdhsa_memory_ordered 1
		.amdhsa_forward_progress 0
		.amdhsa_shared_vgpr_count 0
		.amdhsa_exception_fp_ieee_invalid_op 0
		.amdhsa_exception_fp_denorm_src 0
		.amdhsa_exception_fp_ieee_div_zero 0
		.amdhsa_exception_fp_ieee_overflow 0
		.amdhsa_exception_fp_ieee_underflow 0
		.amdhsa_exception_fp_ieee_inexact 0
		.amdhsa_exception_int_div_zero 0
	.end_amdhsa_kernel
	.section	.text._ZN7rocprim17ROCPRIM_400000_NS6detail17trampoline_kernelINS0_14default_configENS1_20scan_config_selectorIhEEZZNS1_9scan_implILNS1_25lookback_scan_determinismE0ELb0ELb0ES3_N6thrust23THRUST_200600_302600_NS6detail15normal_iteratorINS9_7pointerIhNS9_11hip_rocprim5par_tENS9_11use_defaultESF_EEEENSB_INSC_IjSE_SF_SF_EEEEhNS9_4plusIvEEhEEDaPvRmT3_T4_T5_mT6_P12ihipStream_tbENKUlT_T0_E_clISt17integral_constantIbLb0EESZ_EEDaSU_SV_EUlSU_E0_NS1_11comp_targetILNS1_3genE4ELNS1_11target_archE910ELNS1_3gpuE8ELNS1_3repE0EEENS1_30default_config_static_selectorELNS0_4arch9wavefront6targetE0EEEvT1_,"axG",@progbits,_ZN7rocprim17ROCPRIM_400000_NS6detail17trampoline_kernelINS0_14default_configENS1_20scan_config_selectorIhEEZZNS1_9scan_implILNS1_25lookback_scan_determinismE0ELb0ELb0ES3_N6thrust23THRUST_200600_302600_NS6detail15normal_iteratorINS9_7pointerIhNS9_11hip_rocprim5par_tENS9_11use_defaultESF_EEEENSB_INSC_IjSE_SF_SF_EEEEhNS9_4plusIvEEhEEDaPvRmT3_T4_T5_mT6_P12ihipStream_tbENKUlT_T0_E_clISt17integral_constantIbLb0EESZ_EEDaSU_SV_EUlSU_E0_NS1_11comp_targetILNS1_3genE4ELNS1_11target_archE910ELNS1_3gpuE8ELNS1_3repE0EEENS1_30default_config_static_selectorELNS0_4arch9wavefront6targetE0EEEvT1_,comdat
.Lfunc_end123:
	.size	_ZN7rocprim17ROCPRIM_400000_NS6detail17trampoline_kernelINS0_14default_configENS1_20scan_config_selectorIhEEZZNS1_9scan_implILNS1_25lookback_scan_determinismE0ELb0ELb0ES3_N6thrust23THRUST_200600_302600_NS6detail15normal_iteratorINS9_7pointerIhNS9_11hip_rocprim5par_tENS9_11use_defaultESF_EEEENSB_INSC_IjSE_SF_SF_EEEEhNS9_4plusIvEEhEEDaPvRmT3_T4_T5_mT6_P12ihipStream_tbENKUlT_T0_E_clISt17integral_constantIbLb0EESZ_EEDaSU_SV_EUlSU_E0_NS1_11comp_targetILNS1_3genE4ELNS1_11target_archE910ELNS1_3gpuE8ELNS1_3repE0EEENS1_30default_config_static_selectorELNS0_4arch9wavefront6targetE0EEEvT1_, .Lfunc_end123-_ZN7rocprim17ROCPRIM_400000_NS6detail17trampoline_kernelINS0_14default_configENS1_20scan_config_selectorIhEEZZNS1_9scan_implILNS1_25lookback_scan_determinismE0ELb0ELb0ES3_N6thrust23THRUST_200600_302600_NS6detail15normal_iteratorINS9_7pointerIhNS9_11hip_rocprim5par_tENS9_11use_defaultESF_EEEENSB_INSC_IjSE_SF_SF_EEEEhNS9_4plusIvEEhEEDaPvRmT3_T4_T5_mT6_P12ihipStream_tbENKUlT_T0_E_clISt17integral_constantIbLb0EESZ_EEDaSU_SV_EUlSU_E0_NS1_11comp_targetILNS1_3genE4ELNS1_11target_archE910ELNS1_3gpuE8ELNS1_3repE0EEENS1_30default_config_static_selectorELNS0_4arch9wavefront6targetE0EEEvT1_
                                        ; -- End function
	.section	.AMDGPU.csdata,"",@progbits
; Kernel info:
; codeLenInByte = 0
; NumSgprs: 0
; NumVgprs: 0
; ScratchSize: 0
; MemoryBound: 0
; FloatMode: 240
; IeeeMode: 1
; LDSByteSize: 0 bytes/workgroup (compile time only)
; SGPRBlocks: 0
; VGPRBlocks: 0
; NumSGPRsForWavesPerEU: 1
; NumVGPRsForWavesPerEU: 1
; Occupancy: 16
; WaveLimiterHint : 0
; COMPUTE_PGM_RSRC2:SCRATCH_EN: 0
; COMPUTE_PGM_RSRC2:USER_SGPR: 15
; COMPUTE_PGM_RSRC2:TRAP_HANDLER: 0
; COMPUTE_PGM_RSRC2:TGID_X_EN: 1
; COMPUTE_PGM_RSRC2:TGID_Y_EN: 0
; COMPUTE_PGM_RSRC2:TGID_Z_EN: 0
; COMPUTE_PGM_RSRC2:TIDIG_COMP_CNT: 0
	.section	.text._ZN7rocprim17ROCPRIM_400000_NS6detail17trampoline_kernelINS0_14default_configENS1_20scan_config_selectorIhEEZZNS1_9scan_implILNS1_25lookback_scan_determinismE0ELb0ELb0ES3_N6thrust23THRUST_200600_302600_NS6detail15normal_iteratorINS9_7pointerIhNS9_11hip_rocprim5par_tENS9_11use_defaultESF_EEEENSB_INSC_IjSE_SF_SF_EEEEhNS9_4plusIvEEhEEDaPvRmT3_T4_T5_mT6_P12ihipStream_tbENKUlT_T0_E_clISt17integral_constantIbLb0EESZ_EEDaSU_SV_EUlSU_E0_NS1_11comp_targetILNS1_3genE3ELNS1_11target_archE908ELNS1_3gpuE7ELNS1_3repE0EEENS1_30default_config_static_selectorELNS0_4arch9wavefront6targetE0EEEvT1_,"axG",@progbits,_ZN7rocprim17ROCPRIM_400000_NS6detail17trampoline_kernelINS0_14default_configENS1_20scan_config_selectorIhEEZZNS1_9scan_implILNS1_25lookback_scan_determinismE0ELb0ELb0ES3_N6thrust23THRUST_200600_302600_NS6detail15normal_iteratorINS9_7pointerIhNS9_11hip_rocprim5par_tENS9_11use_defaultESF_EEEENSB_INSC_IjSE_SF_SF_EEEEhNS9_4plusIvEEhEEDaPvRmT3_T4_T5_mT6_P12ihipStream_tbENKUlT_T0_E_clISt17integral_constantIbLb0EESZ_EEDaSU_SV_EUlSU_E0_NS1_11comp_targetILNS1_3genE3ELNS1_11target_archE908ELNS1_3gpuE7ELNS1_3repE0EEENS1_30default_config_static_selectorELNS0_4arch9wavefront6targetE0EEEvT1_,comdat
	.protected	_ZN7rocprim17ROCPRIM_400000_NS6detail17trampoline_kernelINS0_14default_configENS1_20scan_config_selectorIhEEZZNS1_9scan_implILNS1_25lookback_scan_determinismE0ELb0ELb0ES3_N6thrust23THRUST_200600_302600_NS6detail15normal_iteratorINS9_7pointerIhNS9_11hip_rocprim5par_tENS9_11use_defaultESF_EEEENSB_INSC_IjSE_SF_SF_EEEEhNS9_4plusIvEEhEEDaPvRmT3_T4_T5_mT6_P12ihipStream_tbENKUlT_T0_E_clISt17integral_constantIbLb0EESZ_EEDaSU_SV_EUlSU_E0_NS1_11comp_targetILNS1_3genE3ELNS1_11target_archE908ELNS1_3gpuE7ELNS1_3repE0EEENS1_30default_config_static_selectorELNS0_4arch9wavefront6targetE0EEEvT1_ ; -- Begin function _ZN7rocprim17ROCPRIM_400000_NS6detail17trampoline_kernelINS0_14default_configENS1_20scan_config_selectorIhEEZZNS1_9scan_implILNS1_25lookback_scan_determinismE0ELb0ELb0ES3_N6thrust23THRUST_200600_302600_NS6detail15normal_iteratorINS9_7pointerIhNS9_11hip_rocprim5par_tENS9_11use_defaultESF_EEEENSB_INSC_IjSE_SF_SF_EEEEhNS9_4plusIvEEhEEDaPvRmT3_T4_T5_mT6_P12ihipStream_tbENKUlT_T0_E_clISt17integral_constantIbLb0EESZ_EEDaSU_SV_EUlSU_E0_NS1_11comp_targetILNS1_3genE3ELNS1_11target_archE908ELNS1_3gpuE7ELNS1_3repE0EEENS1_30default_config_static_selectorELNS0_4arch9wavefront6targetE0EEEvT1_
	.globl	_ZN7rocprim17ROCPRIM_400000_NS6detail17trampoline_kernelINS0_14default_configENS1_20scan_config_selectorIhEEZZNS1_9scan_implILNS1_25lookback_scan_determinismE0ELb0ELb0ES3_N6thrust23THRUST_200600_302600_NS6detail15normal_iteratorINS9_7pointerIhNS9_11hip_rocprim5par_tENS9_11use_defaultESF_EEEENSB_INSC_IjSE_SF_SF_EEEEhNS9_4plusIvEEhEEDaPvRmT3_T4_T5_mT6_P12ihipStream_tbENKUlT_T0_E_clISt17integral_constantIbLb0EESZ_EEDaSU_SV_EUlSU_E0_NS1_11comp_targetILNS1_3genE3ELNS1_11target_archE908ELNS1_3gpuE7ELNS1_3repE0EEENS1_30default_config_static_selectorELNS0_4arch9wavefront6targetE0EEEvT1_
	.p2align	8
	.type	_ZN7rocprim17ROCPRIM_400000_NS6detail17trampoline_kernelINS0_14default_configENS1_20scan_config_selectorIhEEZZNS1_9scan_implILNS1_25lookback_scan_determinismE0ELb0ELb0ES3_N6thrust23THRUST_200600_302600_NS6detail15normal_iteratorINS9_7pointerIhNS9_11hip_rocprim5par_tENS9_11use_defaultESF_EEEENSB_INSC_IjSE_SF_SF_EEEEhNS9_4plusIvEEhEEDaPvRmT3_T4_T5_mT6_P12ihipStream_tbENKUlT_T0_E_clISt17integral_constantIbLb0EESZ_EEDaSU_SV_EUlSU_E0_NS1_11comp_targetILNS1_3genE3ELNS1_11target_archE908ELNS1_3gpuE7ELNS1_3repE0EEENS1_30default_config_static_selectorELNS0_4arch9wavefront6targetE0EEEvT1_,@function
_ZN7rocprim17ROCPRIM_400000_NS6detail17trampoline_kernelINS0_14default_configENS1_20scan_config_selectorIhEEZZNS1_9scan_implILNS1_25lookback_scan_determinismE0ELb0ELb0ES3_N6thrust23THRUST_200600_302600_NS6detail15normal_iteratorINS9_7pointerIhNS9_11hip_rocprim5par_tENS9_11use_defaultESF_EEEENSB_INSC_IjSE_SF_SF_EEEEhNS9_4plusIvEEhEEDaPvRmT3_T4_T5_mT6_P12ihipStream_tbENKUlT_T0_E_clISt17integral_constantIbLb0EESZ_EEDaSU_SV_EUlSU_E0_NS1_11comp_targetILNS1_3genE3ELNS1_11target_archE908ELNS1_3gpuE7ELNS1_3repE0EEENS1_30default_config_static_selectorELNS0_4arch9wavefront6targetE0EEEvT1_: ; @_ZN7rocprim17ROCPRIM_400000_NS6detail17trampoline_kernelINS0_14default_configENS1_20scan_config_selectorIhEEZZNS1_9scan_implILNS1_25lookback_scan_determinismE0ELb0ELb0ES3_N6thrust23THRUST_200600_302600_NS6detail15normal_iteratorINS9_7pointerIhNS9_11hip_rocprim5par_tENS9_11use_defaultESF_EEEENSB_INSC_IjSE_SF_SF_EEEEhNS9_4plusIvEEhEEDaPvRmT3_T4_T5_mT6_P12ihipStream_tbENKUlT_T0_E_clISt17integral_constantIbLb0EESZ_EEDaSU_SV_EUlSU_E0_NS1_11comp_targetILNS1_3genE3ELNS1_11target_archE908ELNS1_3gpuE7ELNS1_3repE0EEENS1_30default_config_static_selectorELNS0_4arch9wavefront6targetE0EEEvT1_
; %bb.0:
	.section	.rodata,"a",@progbits
	.p2align	6, 0x0
	.amdhsa_kernel _ZN7rocprim17ROCPRIM_400000_NS6detail17trampoline_kernelINS0_14default_configENS1_20scan_config_selectorIhEEZZNS1_9scan_implILNS1_25lookback_scan_determinismE0ELb0ELb0ES3_N6thrust23THRUST_200600_302600_NS6detail15normal_iteratorINS9_7pointerIhNS9_11hip_rocprim5par_tENS9_11use_defaultESF_EEEENSB_INSC_IjSE_SF_SF_EEEEhNS9_4plusIvEEhEEDaPvRmT3_T4_T5_mT6_P12ihipStream_tbENKUlT_T0_E_clISt17integral_constantIbLb0EESZ_EEDaSU_SV_EUlSU_E0_NS1_11comp_targetILNS1_3genE3ELNS1_11target_archE908ELNS1_3gpuE7ELNS1_3repE0EEENS1_30default_config_static_selectorELNS0_4arch9wavefront6targetE0EEEvT1_
		.amdhsa_group_segment_fixed_size 0
		.amdhsa_private_segment_fixed_size 0
		.amdhsa_kernarg_size 32
		.amdhsa_user_sgpr_count 15
		.amdhsa_user_sgpr_dispatch_ptr 0
		.amdhsa_user_sgpr_queue_ptr 0
		.amdhsa_user_sgpr_kernarg_segment_ptr 1
		.amdhsa_user_sgpr_dispatch_id 0
		.amdhsa_user_sgpr_private_segment_size 0
		.amdhsa_wavefront_size32 1
		.amdhsa_uses_dynamic_stack 0
		.amdhsa_enable_private_segment 0
		.amdhsa_system_sgpr_workgroup_id_x 1
		.amdhsa_system_sgpr_workgroup_id_y 0
		.amdhsa_system_sgpr_workgroup_id_z 0
		.amdhsa_system_sgpr_workgroup_info 0
		.amdhsa_system_vgpr_workitem_id 0
		.amdhsa_next_free_vgpr 1
		.amdhsa_next_free_sgpr 1
		.amdhsa_reserve_vcc 0
		.amdhsa_float_round_mode_32 0
		.amdhsa_float_round_mode_16_64 0
		.amdhsa_float_denorm_mode_32 3
		.amdhsa_float_denorm_mode_16_64 3
		.amdhsa_dx10_clamp 1
		.amdhsa_ieee_mode 1
		.amdhsa_fp16_overflow 0
		.amdhsa_workgroup_processor_mode 1
		.amdhsa_memory_ordered 1
		.amdhsa_forward_progress 0
		.amdhsa_shared_vgpr_count 0
		.amdhsa_exception_fp_ieee_invalid_op 0
		.amdhsa_exception_fp_denorm_src 0
		.amdhsa_exception_fp_ieee_div_zero 0
		.amdhsa_exception_fp_ieee_overflow 0
		.amdhsa_exception_fp_ieee_underflow 0
		.amdhsa_exception_fp_ieee_inexact 0
		.amdhsa_exception_int_div_zero 0
	.end_amdhsa_kernel
	.section	.text._ZN7rocprim17ROCPRIM_400000_NS6detail17trampoline_kernelINS0_14default_configENS1_20scan_config_selectorIhEEZZNS1_9scan_implILNS1_25lookback_scan_determinismE0ELb0ELb0ES3_N6thrust23THRUST_200600_302600_NS6detail15normal_iteratorINS9_7pointerIhNS9_11hip_rocprim5par_tENS9_11use_defaultESF_EEEENSB_INSC_IjSE_SF_SF_EEEEhNS9_4plusIvEEhEEDaPvRmT3_T4_T5_mT6_P12ihipStream_tbENKUlT_T0_E_clISt17integral_constantIbLb0EESZ_EEDaSU_SV_EUlSU_E0_NS1_11comp_targetILNS1_3genE3ELNS1_11target_archE908ELNS1_3gpuE7ELNS1_3repE0EEENS1_30default_config_static_selectorELNS0_4arch9wavefront6targetE0EEEvT1_,"axG",@progbits,_ZN7rocprim17ROCPRIM_400000_NS6detail17trampoline_kernelINS0_14default_configENS1_20scan_config_selectorIhEEZZNS1_9scan_implILNS1_25lookback_scan_determinismE0ELb0ELb0ES3_N6thrust23THRUST_200600_302600_NS6detail15normal_iteratorINS9_7pointerIhNS9_11hip_rocprim5par_tENS9_11use_defaultESF_EEEENSB_INSC_IjSE_SF_SF_EEEEhNS9_4plusIvEEhEEDaPvRmT3_T4_T5_mT6_P12ihipStream_tbENKUlT_T0_E_clISt17integral_constantIbLb0EESZ_EEDaSU_SV_EUlSU_E0_NS1_11comp_targetILNS1_3genE3ELNS1_11target_archE908ELNS1_3gpuE7ELNS1_3repE0EEENS1_30default_config_static_selectorELNS0_4arch9wavefront6targetE0EEEvT1_,comdat
.Lfunc_end124:
	.size	_ZN7rocprim17ROCPRIM_400000_NS6detail17trampoline_kernelINS0_14default_configENS1_20scan_config_selectorIhEEZZNS1_9scan_implILNS1_25lookback_scan_determinismE0ELb0ELb0ES3_N6thrust23THRUST_200600_302600_NS6detail15normal_iteratorINS9_7pointerIhNS9_11hip_rocprim5par_tENS9_11use_defaultESF_EEEENSB_INSC_IjSE_SF_SF_EEEEhNS9_4plusIvEEhEEDaPvRmT3_T4_T5_mT6_P12ihipStream_tbENKUlT_T0_E_clISt17integral_constantIbLb0EESZ_EEDaSU_SV_EUlSU_E0_NS1_11comp_targetILNS1_3genE3ELNS1_11target_archE908ELNS1_3gpuE7ELNS1_3repE0EEENS1_30default_config_static_selectorELNS0_4arch9wavefront6targetE0EEEvT1_, .Lfunc_end124-_ZN7rocprim17ROCPRIM_400000_NS6detail17trampoline_kernelINS0_14default_configENS1_20scan_config_selectorIhEEZZNS1_9scan_implILNS1_25lookback_scan_determinismE0ELb0ELb0ES3_N6thrust23THRUST_200600_302600_NS6detail15normal_iteratorINS9_7pointerIhNS9_11hip_rocprim5par_tENS9_11use_defaultESF_EEEENSB_INSC_IjSE_SF_SF_EEEEhNS9_4plusIvEEhEEDaPvRmT3_T4_T5_mT6_P12ihipStream_tbENKUlT_T0_E_clISt17integral_constantIbLb0EESZ_EEDaSU_SV_EUlSU_E0_NS1_11comp_targetILNS1_3genE3ELNS1_11target_archE908ELNS1_3gpuE7ELNS1_3repE0EEENS1_30default_config_static_selectorELNS0_4arch9wavefront6targetE0EEEvT1_
                                        ; -- End function
	.section	.AMDGPU.csdata,"",@progbits
; Kernel info:
; codeLenInByte = 0
; NumSgprs: 0
; NumVgprs: 0
; ScratchSize: 0
; MemoryBound: 0
; FloatMode: 240
; IeeeMode: 1
; LDSByteSize: 0 bytes/workgroup (compile time only)
; SGPRBlocks: 0
; VGPRBlocks: 0
; NumSGPRsForWavesPerEU: 1
; NumVGPRsForWavesPerEU: 1
; Occupancy: 16
; WaveLimiterHint : 0
; COMPUTE_PGM_RSRC2:SCRATCH_EN: 0
; COMPUTE_PGM_RSRC2:USER_SGPR: 15
; COMPUTE_PGM_RSRC2:TRAP_HANDLER: 0
; COMPUTE_PGM_RSRC2:TGID_X_EN: 1
; COMPUTE_PGM_RSRC2:TGID_Y_EN: 0
; COMPUTE_PGM_RSRC2:TGID_Z_EN: 0
; COMPUTE_PGM_RSRC2:TIDIG_COMP_CNT: 0
	.section	.text._ZN7rocprim17ROCPRIM_400000_NS6detail17trampoline_kernelINS0_14default_configENS1_20scan_config_selectorIhEEZZNS1_9scan_implILNS1_25lookback_scan_determinismE0ELb0ELb0ES3_N6thrust23THRUST_200600_302600_NS6detail15normal_iteratorINS9_7pointerIhNS9_11hip_rocprim5par_tENS9_11use_defaultESF_EEEENSB_INSC_IjSE_SF_SF_EEEEhNS9_4plusIvEEhEEDaPvRmT3_T4_T5_mT6_P12ihipStream_tbENKUlT_T0_E_clISt17integral_constantIbLb0EESZ_EEDaSU_SV_EUlSU_E0_NS1_11comp_targetILNS1_3genE2ELNS1_11target_archE906ELNS1_3gpuE6ELNS1_3repE0EEENS1_30default_config_static_selectorELNS0_4arch9wavefront6targetE0EEEvT1_,"axG",@progbits,_ZN7rocprim17ROCPRIM_400000_NS6detail17trampoline_kernelINS0_14default_configENS1_20scan_config_selectorIhEEZZNS1_9scan_implILNS1_25lookback_scan_determinismE0ELb0ELb0ES3_N6thrust23THRUST_200600_302600_NS6detail15normal_iteratorINS9_7pointerIhNS9_11hip_rocprim5par_tENS9_11use_defaultESF_EEEENSB_INSC_IjSE_SF_SF_EEEEhNS9_4plusIvEEhEEDaPvRmT3_T4_T5_mT6_P12ihipStream_tbENKUlT_T0_E_clISt17integral_constantIbLb0EESZ_EEDaSU_SV_EUlSU_E0_NS1_11comp_targetILNS1_3genE2ELNS1_11target_archE906ELNS1_3gpuE6ELNS1_3repE0EEENS1_30default_config_static_selectorELNS0_4arch9wavefront6targetE0EEEvT1_,comdat
	.protected	_ZN7rocprim17ROCPRIM_400000_NS6detail17trampoline_kernelINS0_14default_configENS1_20scan_config_selectorIhEEZZNS1_9scan_implILNS1_25lookback_scan_determinismE0ELb0ELb0ES3_N6thrust23THRUST_200600_302600_NS6detail15normal_iteratorINS9_7pointerIhNS9_11hip_rocprim5par_tENS9_11use_defaultESF_EEEENSB_INSC_IjSE_SF_SF_EEEEhNS9_4plusIvEEhEEDaPvRmT3_T4_T5_mT6_P12ihipStream_tbENKUlT_T0_E_clISt17integral_constantIbLb0EESZ_EEDaSU_SV_EUlSU_E0_NS1_11comp_targetILNS1_3genE2ELNS1_11target_archE906ELNS1_3gpuE6ELNS1_3repE0EEENS1_30default_config_static_selectorELNS0_4arch9wavefront6targetE0EEEvT1_ ; -- Begin function _ZN7rocprim17ROCPRIM_400000_NS6detail17trampoline_kernelINS0_14default_configENS1_20scan_config_selectorIhEEZZNS1_9scan_implILNS1_25lookback_scan_determinismE0ELb0ELb0ES3_N6thrust23THRUST_200600_302600_NS6detail15normal_iteratorINS9_7pointerIhNS9_11hip_rocprim5par_tENS9_11use_defaultESF_EEEENSB_INSC_IjSE_SF_SF_EEEEhNS9_4plusIvEEhEEDaPvRmT3_T4_T5_mT6_P12ihipStream_tbENKUlT_T0_E_clISt17integral_constantIbLb0EESZ_EEDaSU_SV_EUlSU_E0_NS1_11comp_targetILNS1_3genE2ELNS1_11target_archE906ELNS1_3gpuE6ELNS1_3repE0EEENS1_30default_config_static_selectorELNS0_4arch9wavefront6targetE0EEEvT1_
	.globl	_ZN7rocprim17ROCPRIM_400000_NS6detail17trampoline_kernelINS0_14default_configENS1_20scan_config_selectorIhEEZZNS1_9scan_implILNS1_25lookback_scan_determinismE0ELb0ELb0ES3_N6thrust23THRUST_200600_302600_NS6detail15normal_iteratorINS9_7pointerIhNS9_11hip_rocprim5par_tENS9_11use_defaultESF_EEEENSB_INSC_IjSE_SF_SF_EEEEhNS9_4plusIvEEhEEDaPvRmT3_T4_T5_mT6_P12ihipStream_tbENKUlT_T0_E_clISt17integral_constantIbLb0EESZ_EEDaSU_SV_EUlSU_E0_NS1_11comp_targetILNS1_3genE2ELNS1_11target_archE906ELNS1_3gpuE6ELNS1_3repE0EEENS1_30default_config_static_selectorELNS0_4arch9wavefront6targetE0EEEvT1_
	.p2align	8
	.type	_ZN7rocprim17ROCPRIM_400000_NS6detail17trampoline_kernelINS0_14default_configENS1_20scan_config_selectorIhEEZZNS1_9scan_implILNS1_25lookback_scan_determinismE0ELb0ELb0ES3_N6thrust23THRUST_200600_302600_NS6detail15normal_iteratorINS9_7pointerIhNS9_11hip_rocprim5par_tENS9_11use_defaultESF_EEEENSB_INSC_IjSE_SF_SF_EEEEhNS9_4plusIvEEhEEDaPvRmT3_T4_T5_mT6_P12ihipStream_tbENKUlT_T0_E_clISt17integral_constantIbLb0EESZ_EEDaSU_SV_EUlSU_E0_NS1_11comp_targetILNS1_3genE2ELNS1_11target_archE906ELNS1_3gpuE6ELNS1_3repE0EEENS1_30default_config_static_selectorELNS0_4arch9wavefront6targetE0EEEvT1_,@function
_ZN7rocprim17ROCPRIM_400000_NS6detail17trampoline_kernelINS0_14default_configENS1_20scan_config_selectorIhEEZZNS1_9scan_implILNS1_25lookback_scan_determinismE0ELb0ELb0ES3_N6thrust23THRUST_200600_302600_NS6detail15normal_iteratorINS9_7pointerIhNS9_11hip_rocprim5par_tENS9_11use_defaultESF_EEEENSB_INSC_IjSE_SF_SF_EEEEhNS9_4plusIvEEhEEDaPvRmT3_T4_T5_mT6_P12ihipStream_tbENKUlT_T0_E_clISt17integral_constantIbLb0EESZ_EEDaSU_SV_EUlSU_E0_NS1_11comp_targetILNS1_3genE2ELNS1_11target_archE906ELNS1_3gpuE6ELNS1_3repE0EEENS1_30default_config_static_selectorELNS0_4arch9wavefront6targetE0EEEvT1_: ; @_ZN7rocprim17ROCPRIM_400000_NS6detail17trampoline_kernelINS0_14default_configENS1_20scan_config_selectorIhEEZZNS1_9scan_implILNS1_25lookback_scan_determinismE0ELb0ELb0ES3_N6thrust23THRUST_200600_302600_NS6detail15normal_iteratorINS9_7pointerIhNS9_11hip_rocprim5par_tENS9_11use_defaultESF_EEEENSB_INSC_IjSE_SF_SF_EEEEhNS9_4plusIvEEhEEDaPvRmT3_T4_T5_mT6_P12ihipStream_tbENKUlT_T0_E_clISt17integral_constantIbLb0EESZ_EEDaSU_SV_EUlSU_E0_NS1_11comp_targetILNS1_3genE2ELNS1_11target_archE906ELNS1_3gpuE6ELNS1_3repE0EEENS1_30default_config_static_selectorELNS0_4arch9wavefront6targetE0EEEvT1_
; %bb.0:
	.section	.rodata,"a",@progbits
	.p2align	6, 0x0
	.amdhsa_kernel _ZN7rocprim17ROCPRIM_400000_NS6detail17trampoline_kernelINS0_14default_configENS1_20scan_config_selectorIhEEZZNS1_9scan_implILNS1_25lookback_scan_determinismE0ELb0ELb0ES3_N6thrust23THRUST_200600_302600_NS6detail15normal_iteratorINS9_7pointerIhNS9_11hip_rocprim5par_tENS9_11use_defaultESF_EEEENSB_INSC_IjSE_SF_SF_EEEEhNS9_4plusIvEEhEEDaPvRmT3_T4_T5_mT6_P12ihipStream_tbENKUlT_T0_E_clISt17integral_constantIbLb0EESZ_EEDaSU_SV_EUlSU_E0_NS1_11comp_targetILNS1_3genE2ELNS1_11target_archE906ELNS1_3gpuE6ELNS1_3repE0EEENS1_30default_config_static_selectorELNS0_4arch9wavefront6targetE0EEEvT1_
		.amdhsa_group_segment_fixed_size 0
		.amdhsa_private_segment_fixed_size 0
		.amdhsa_kernarg_size 32
		.amdhsa_user_sgpr_count 15
		.amdhsa_user_sgpr_dispatch_ptr 0
		.amdhsa_user_sgpr_queue_ptr 0
		.amdhsa_user_sgpr_kernarg_segment_ptr 1
		.amdhsa_user_sgpr_dispatch_id 0
		.amdhsa_user_sgpr_private_segment_size 0
		.amdhsa_wavefront_size32 1
		.amdhsa_uses_dynamic_stack 0
		.amdhsa_enable_private_segment 0
		.amdhsa_system_sgpr_workgroup_id_x 1
		.amdhsa_system_sgpr_workgroup_id_y 0
		.amdhsa_system_sgpr_workgroup_id_z 0
		.amdhsa_system_sgpr_workgroup_info 0
		.amdhsa_system_vgpr_workitem_id 0
		.amdhsa_next_free_vgpr 1
		.amdhsa_next_free_sgpr 1
		.amdhsa_reserve_vcc 0
		.amdhsa_float_round_mode_32 0
		.amdhsa_float_round_mode_16_64 0
		.amdhsa_float_denorm_mode_32 3
		.amdhsa_float_denorm_mode_16_64 3
		.amdhsa_dx10_clamp 1
		.amdhsa_ieee_mode 1
		.amdhsa_fp16_overflow 0
		.amdhsa_workgroup_processor_mode 1
		.amdhsa_memory_ordered 1
		.amdhsa_forward_progress 0
		.amdhsa_shared_vgpr_count 0
		.amdhsa_exception_fp_ieee_invalid_op 0
		.amdhsa_exception_fp_denorm_src 0
		.amdhsa_exception_fp_ieee_div_zero 0
		.amdhsa_exception_fp_ieee_overflow 0
		.amdhsa_exception_fp_ieee_underflow 0
		.amdhsa_exception_fp_ieee_inexact 0
		.amdhsa_exception_int_div_zero 0
	.end_amdhsa_kernel
	.section	.text._ZN7rocprim17ROCPRIM_400000_NS6detail17trampoline_kernelINS0_14default_configENS1_20scan_config_selectorIhEEZZNS1_9scan_implILNS1_25lookback_scan_determinismE0ELb0ELb0ES3_N6thrust23THRUST_200600_302600_NS6detail15normal_iteratorINS9_7pointerIhNS9_11hip_rocprim5par_tENS9_11use_defaultESF_EEEENSB_INSC_IjSE_SF_SF_EEEEhNS9_4plusIvEEhEEDaPvRmT3_T4_T5_mT6_P12ihipStream_tbENKUlT_T0_E_clISt17integral_constantIbLb0EESZ_EEDaSU_SV_EUlSU_E0_NS1_11comp_targetILNS1_3genE2ELNS1_11target_archE906ELNS1_3gpuE6ELNS1_3repE0EEENS1_30default_config_static_selectorELNS0_4arch9wavefront6targetE0EEEvT1_,"axG",@progbits,_ZN7rocprim17ROCPRIM_400000_NS6detail17trampoline_kernelINS0_14default_configENS1_20scan_config_selectorIhEEZZNS1_9scan_implILNS1_25lookback_scan_determinismE0ELb0ELb0ES3_N6thrust23THRUST_200600_302600_NS6detail15normal_iteratorINS9_7pointerIhNS9_11hip_rocprim5par_tENS9_11use_defaultESF_EEEENSB_INSC_IjSE_SF_SF_EEEEhNS9_4plusIvEEhEEDaPvRmT3_T4_T5_mT6_P12ihipStream_tbENKUlT_T0_E_clISt17integral_constantIbLb0EESZ_EEDaSU_SV_EUlSU_E0_NS1_11comp_targetILNS1_3genE2ELNS1_11target_archE906ELNS1_3gpuE6ELNS1_3repE0EEENS1_30default_config_static_selectorELNS0_4arch9wavefront6targetE0EEEvT1_,comdat
.Lfunc_end125:
	.size	_ZN7rocprim17ROCPRIM_400000_NS6detail17trampoline_kernelINS0_14default_configENS1_20scan_config_selectorIhEEZZNS1_9scan_implILNS1_25lookback_scan_determinismE0ELb0ELb0ES3_N6thrust23THRUST_200600_302600_NS6detail15normal_iteratorINS9_7pointerIhNS9_11hip_rocprim5par_tENS9_11use_defaultESF_EEEENSB_INSC_IjSE_SF_SF_EEEEhNS9_4plusIvEEhEEDaPvRmT3_T4_T5_mT6_P12ihipStream_tbENKUlT_T0_E_clISt17integral_constantIbLb0EESZ_EEDaSU_SV_EUlSU_E0_NS1_11comp_targetILNS1_3genE2ELNS1_11target_archE906ELNS1_3gpuE6ELNS1_3repE0EEENS1_30default_config_static_selectorELNS0_4arch9wavefront6targetE0EEEvT1_, .Lfunc_end125-_ZN7rocprim17ROCPRIM_400000_NS6detail17trampoline_kernelINS0_14default_configENS1_20scan_config_selectorIhEEZZNS1_9scan_implILNS1_25lookback_scan_determinismE0ELb0ELb0ES3_N6thrust23THRUST_200600_302600_NS6detail15normal_iteratorINS9_7pointerIhNS9_11hip_rocprim5par_tENS9_11use_defaultESF_EEEENSB_INSC_IjSE_SF_SF_EEEEhNS9_4plusIvEEhEEDaPvRmT3_T4_T5_mT6_P12ihipStream_tbENKUlT_T0_E_clISt17integral_constantIbLb0EESZ_EEDaSU_SV_EUlSU_E0_NS1_11comp_targetILNS1_3genE2ELNS1_11target_archE906ELNS1_3gpuE6ELNS1_3repE0EEENS1_30default_config_static_selectorELNS0_4arch9wavefront6targetE0EEEvT1_
                                        ; -- End function
	.section	.AMDGPU.csdata,"",@progbits
; Kernel info:
; codeLenInByte = 0
; NumSgprs: 0
; NumVgprs: 0
; ScratchSize: 0
; MemoryBound: 0
; FloatMode: 240
; IeeeMode: 1
; LDSByteSize: 0 bytes/workgroup (compile time only)
; SGPRBlocks: 0
; VGPRBlocks: 0
; NumSGPRsForWavesPerEU: 1
; NumVGPRsForWavesPerEU: 1
; Occupancy: 16
; WaveLimiterHint : 0
; COMPUTE_PGM_RSRC2:SCRATCH_EN: 0
; COMPUTE_PGM_RSRC2:USER_SGPR: 15
; COMPUTE_PGM_RSRC2:TRAP_HANDLER: 0
; COMPUTE_PGM_RSRC2:TGID_X_EN: 1
; COMPUTE_PGM_RSRC2:TGID_Y_EN: 0
; COMPUTE_PGM_RSRC2:TGID_Z_EN: 0
; COMPUTE_PGM_RSRC2:TIDIG_COMP_CNT: 0
	.section	.text._ZN7rocprim17ROCPRIM_400000_NS6detail17trampoline_kernelINS0_14default_configENS1_20scan_config_selectorIhEEZZNS1_9scan_implILNS1_25lookback_scan_determinismE0ELb0ELb0ES3_N6thrust23THRUST_200600_302600_NS6detail15normal_iteratorINS9_7pointerIhNS9_11hip_rocprim5par_tENS9_11use_defaultESF_EEEENSB_INSC_IjSE_SF_SF_EEEEhNS9_4plusIvEEhEEDaPvRmT3_T4_T5_mT6_P12ihipStream_tbENKUlT_T0_E_clISt17integral_constantIbLb0EESZ_EEDaSU_SV_EUlSU_E0_NS1_11comp_targetILNS1_3genE10ELNS1_11target_archE1201ELNS1_3gpuE5ELNS1_3repE0EEENS1_30default_config_static_selectorELNS0_4arch9wavefront6targetE0EEEvT1_,"axG",@progbits,_ZN7rocprim17ROCPRIM_400000_NS6detail17trampoline_kernelINS0_14default_configENS1_20scan_config_selectorIhEEZZNS1_9scan_implILNS1_25lookback_scan_determinismE0ELb0ELb0ES3_N6thrust23THRUST_200600_302600_NS6detail15normal_iteratorINS9_7pointerIhNS9_11hip_rocprim5par_tENS9_11use_defaultESF_EEEENSB_INSC_IjSE_SF_SF_EEEEhNS9_4plusIvEEhEEDaPvRmT3_T4_T5_mT6_P12ihipStream_tbENKUlT_T0_E_clISt17integral_constantIbLb0EESZ_EEDaSU_SV_EUlSU_E0_NS1_11comp_targetILNS1_3genE10ELNS1_11target_archE1201ELNS1_3gpuE5ELNS1_3repE0EEENS1_30default_config_static_selectorELNS0_4arch9wavefront6targetE0EEEvT1_,comdat
	.protected	_ZN7rocprim17ROCPRIM_400000_NS6detail17trampoline_kernelINS0_14default_configENS1_20scan_config_selectorIhEEZZNS1_9scan_implILNS1_25lookback_scan_determinismE0ELb0ELb0ES3_N6thrust23THRUST_200600_302600_NS6detail15normal_iteratorINS9_7pointerIhNS9_11hip_rocprim5par_tENS9_11use_defaultESF_EEEENSB_INSC_IjSE_SF_SF_EEEEhNS9_4plusIvEEhEEDaPvRmT3_T4_T5_mT6_P12ihipStream_tbENKUlT_T0_E_clISt17integral_constantIbLb0EESZ_EEDaSU_SV_EUlSU_E0_NS1_11comp_targetILNS1_3genE10ELNS1_11target_archE1201ELNS1_3gpuE5ELNS1_3repE0EEENS1_30default_config_static_selectorELNS0_4arch9wavefront6targetE0EEEvT1_ ; -- Begin function _ZN7rocprim17ROCPRIM_400000_NS6detail17trampoline_kernelINS0_14default_configENS1_20scan_config_selectorIhEEZZNS1_9scan_implILNS1_25lookback_scan_determinismE0ELb0ELb0ES3_N6thrust23THRUST_200600_302600_NS6detail15normal_iteratorINS9_7pointerIhNS9_11hip_rocprim5par_tENS9_11use_defaultESF_EEEENSB_INSC_IjSE_SF_SF_EEEEhNS9_4plusIvEEhEEDaPvRmT3_T4_T5_mT6_P12ihipStream_tbENKUlT_T0_E_clISt17integral_constantIbLb0EESZ_EEDaSU_SV_EUlSU_E0_NS1_11comp_targetILNS1_3genE10ELNS1_11target_archE1201ELNS1_3gpuE5ELNS1_3repE0EEENS1_30default_config_static_selectorELNS0_4arch9wavefront6targetE0EEEvT1_
	.globl	_ZN7rocprim17ROCPRIM_400000_NS6detail17trampoline_kernelINS0_14default_configENS1_20scan_config_selectorIhEEZZNS1_9scan_implILNS1_25lookback_scan_determinismE0ELb0ELb0ES3_N6thrust23THRUST_200600_302600_NS6detail15normal_iteratorINS9_7pointerIhNS9_11hip_rocprim5par_tENS9_11use_defaultESF_EEEENSB_INSC_IjSE_SF_SF_EEEEhNS9_4plusIvEEhEEDaPvRmT3_T4_T5_mT6_P12ihipStream_tbENKUlT_T0_E_clISt17integral_constantIbLb0EESZ_EEDaSU_SV_EUlSU_E0_NS1_11comp_targetILNS1_3genE10ELNS1_11target_archE1201ELNS1_3gpuE5ELNS1_3repE0EEENS1_30default_config_static_selectorELNS0_4arch9wavefront6targetE0EEEvT1_
	.p2align	8
	.type	_ZN7rocprim17ROCPRIM_400000_NS6detail17trampoline_kernelINS0_14default_configENS1_20scan_config_selectorIhEEZZNS1_9scan_implILNS1_25lookback_scan_determinismE0ELb0ELb0ES3_N6thrust23THRUST_200600_302600_NS6detail15normal_iteratorINS9_7pointerIhNS9_11hip_rocprim5par_tENS9_11use_defaultESF_EEEENSB_INSC_IjSE_SF_SF_EEEEhNS9_4plusIvEEhEEDaPvRmT3_T4_T5_mT6_P12ihipStream_tbENKUlT_T0_E_clISt17integral_constantIbLb0EESZ_EEDaSU_SV_EUlSU_E0_NS1_11comp_targetILNS1_3genE10ELNS1_11target_archE1201ELNS1_3gpuE5ELNS1_3repE0EEENS1_30default_config_static_selectorELNS0_4arch9wavefront6targetE0EEEvT1_,@function
_ZN7rocprim17ROCPRIM_400000_NS6detail17trampoline_kernelINS0_14default_configENS1_20scan_config_selectorIhEEZZNS1_9scan_implILNS1_25lookback_scan_determinismE0ELb0ELb0ES3_N6thrust23THRUST_200600_302600_NS6detail15normal_iteratorINS9_7pointerIhNS9_11hip_rocprim5par_tENS9_11use_defaultESF_EEEENSB_INSC_IjSE_SF_SF_EEEEhNS9_4plusIvEEhEEDaPvRmT3_T4_T5_mT6_P12ihipStream_tbENKUlT_T0_E_clISt17integral_constantIbLb0EESZ_EEDaSU_SV_EUlSU_E0_NS1_11comp_targetILNS1_3genE10ELNS1_11target_archE1201ELNS1_3gpuE5ELNS1_3repE0EEENS1_30default_config_static_selectorELNS0_4arch9wavefront6targetE0EEEvT1_: ; @_ZN7rocprim17ROCPRIM_400000_NS6detail17trampoline_kernelINS0_14default_configENS1_20scan_config_selectorIhEEZZNS1_9scan_implILNS1_25lookback_scan_determinismE0ELb0ELb0ES3_N6thrust23THRUST_200600_302600_NS6detail15normal_iteratorINS9_7pointerIhNS9_11hip_rocprim5par_tENS9_11use_defaultESF_EEEENSB_INSC_IjSE_SF_SF_EEEEhNS9_4plusIvEEhEEDaPvRmT3_T4_T5_mT6_P12ihipStream_tbENKUlT_T0_E_clISt17integral_constantIbLb0EESZ_EEDaSU_SV_EUlSU_E0_NS1_11comp_targetILNS1_3genE10ELNS1_11target_archE1201ELNS1_3gpuE5ELNS1_3repE0EEENS1_30default_config_static_selectorELNS0_4arch9wavefront6targetE0EEEvT1_
; %bb.0:
	.section	.rodata,"a",@progbits
	.p2align	6, 0x0
	.amdhsa_kernel _ZN7rocprim17ROCPRIM_400000_NS6detail17trampoline_kernelINS0_14default_configENS1_20scan_config_selectorIhEEZZNS1_9scan_implILNS1_25lookback_scan_determinismE0ELb0ELb0ES3_N6thrust23THRUST_200600_302600_NS6detail15normal_iteratorINS9_7pointerIhNS9_11hip_rocprim5par_tENS9_11use_defaultESF_EEEENSB_INSC_IjSE_SF_SF_EEEEhNS9_4plusIvEEhEEDaPvRmT3_T4_T5_mT6_P12ihipStream_tbENKUlT_T0_E_clISt17integral_constantIbLb0EESZ_EEDaSU_SV_EUlSU_E0_NS1_11comp_targetILNS1_3genE10ELNS1_11target_archE1201ELNS1_3gpuE5ELNS1_3repE0EEENS1_30default_config_static_selectorELNS0_4arch9wavefront6targetE0EEEvT1_
		.amdhsa_group_segment_fixed_size 0
		.amdhsa_private_segment_fixed_size 0
		.amdhsa_kernarg_size 32
		.amdhsa_user_sgpr_count 15
		.amdhsa_user_sgpr_dispatch_ptr 0
		.amdhsa_user_sgpr_queue_ptr 0
		.amdhsa_user_sgpr_kernarg_segment_ptr 1
		.amdhsa_user_sgpr_dispatch_id 0
		.amdhsa_user_sgpr_private_segment_size 0
		.amdhsa_wavefront_size32 1
		.amdhsa_uses_dynamic_stack 0
		.amdhsa_enable_private_segment 0
		.amdhsa_system_sgpr_workgroup_id_x 1
		.amdhsa_system_sgpr_workgroup_id_y 0
		.amdhsa_system_sgpr_workgroup_id_z 0
		.amdhsa_system_sgpr_workgroup_info 0
		.amdhsa_system_vgpr_workitem_id 0
		.amdhsa_next_free_vgpr 1
		.amdhsa_next_free_sgpr 1
		.amdhsa_reserve_vcc 0
		.amdhsa_float_round_mode_32 0
		.amdhsa_float_round_mode_16_64 0
		.amdhsa_float_denorm_mode_32 3
		.amdhsa_float_denorm_mode_16_64 3
		.amdhsa_dx10_clamp 1
		.amdhsa_ieee_mode 1
		.amdhsa_fp16_overflow 0
		.amdhsa_workgroup_processor_mode 1
		.amdhsa_memory_ordered 1
		.amdhsa_forward_progress 0
		.amdhsa_shared_vgpr_count 0
		.amdhsa_exception_fp_ieee_invalid_op 0
		.amdhsa_exception_fp_denorm_src 0
		.amdhsa_exception_fp_ieee_div_zero 0
		.amdhsa_exception_fp_ieee_overflow 0
		.amdhsa_exception_fp_ieee_underflow 0
		.amdhsa_exception_fp_ieee_inexact 0
		.amdhsa_exception_int_div_zero 0
	.end_amdhsa_kernel
	.section	.text._ZN7rocprim17ROCPRIM_400000_NS6detail17trampoline_kernelINS0_14default_configENS1_20scan_config_selectorIhEEZZNS1_9scan_implILNS1_25lookback_scan_determinismE0ELb0ELb0ES3_N6thrust23THRUST_200600_302600_NS6detail15normal_iteratorINS9_7pointerIhNS9_11hip_rocprim5par_tENS9_11use_defaultESF_EEEENSB_INSC_IjSE_SF_SF_EEEEhNS9_4plusIvEEhEEDaPvRmT3_T4_T5_mT6_P12ihipStream_tbENKUlT_T0_E_clISt17integral_constantIbLb0EESZ_EEDaSU_SV_EUlSU_E0_NS1_11comp_targetILNS1_3genE10ELNS1_11target_archE1201ELNS1_3gpuE5ELNS1_3repE0EEENS1_30default_config_static_selectorELNS0_4arch9wavefront6targetE0EEEvT1_,"axG",@progbits,_ZN7rocprim17ROCPRIM_400000_NS6detail17trampoline_kernelINS0_14default_configENS1_20scan_config_selectorIhEEZZNS1_9scan_implILNS1_25lookback_scan_determinismE0ELb0ELb0ES3_N6thrust23THRUST_200600_302600_NS6detail15normal_iteratorINS9_7pointerIhNS9_11hip_rocprim5par_tENS9_11use_defaultESF_EEEENSB_INSC_IjSE_SF_SF_EEEEhNS9_4plusIvEEhEEDaPvRmT3_T4_T5_mT6_P12ihipStream_tbENKUlT_T0_E_clISt17integral_constantIbLb0EESZ_EEDaSU_SV_EUlSU_E0_NS1_11comp_targetILNS1_3genE10ELNS1_11target_archE1201ELNS1_3gpuE5ELNS1_3repE0EEENS1_30default_config_static_selectorELNS0_4arch9wavefront6targetE0EEEvT1_,comdat
.Lfunc_end126:
	.size	_ZN7rocprim17ROCPRIM_400000_NS6detail17trampoline_kernelINS0_14default_configENS1_20scan_config_selectorIhEEZZNS1_9scan_implILNS1_25lookback_scan_determinismE0ELb0ELb0ES3_N6thrust23THRUST_200600_302600_NS6detail15normal_iteratorINS9_7pointerIhNS9_11hip_rocprim5par_tENS9_11use_defaultESF_EEEENSB_INSC_IjSE_SF_SF_EEEEhNS9_4plusIvEEhEEDaPvRmT3_T4_T5_mT6_P12ihipStream_tbENKUlT_T0_E_clISt17integral_constantIbLb0EESZ_EEDaSU_SV_EUlSU_E0_NS1_11comp_targetILNS1_3genE10ELNS1_11target_archE1201ELNS1_3gpuE5ELNS1_3repE0EEENS1_30default_config_static_selectorELNS0_4arch9wavefront6targetE0EEEvT1_, .Lfunc_end126-_ZN7rocprim17ROCPRIM_400000_NS6detail17trampoline_kernelINS0_14default_configENS1_20scan_config_selectorIhEEZZNS1_9scan_implILNS1_25lookback_scan_determinismE0ELb0ELb0ES3_N6thrust23THRUST_200600_302600_NS6detail15normal_iteratorINS9_7pointerIhNS9_11hip_rocprim5par_tENS9_11use_defaultESF_EEEENSB_INSC_IjSE_SF_SF_EEEEhNS9_4plusIvEEhEEDaPvRmT3_T4_T5_mT6_P12ihipStream_tbENKUlT_T0_E_clISt17integral_constantIbLb0EESZ_EEDaSU_SV_EUlSU_E0_NS1_11comp_targetILNS1_3genE10ELNS1_11target_archE1201ELNS1_3gpuE5ELNS1_3repE0EEENS1_30default_config_static_selectorELNS0_4arch9wavefront6targetE0EEEvT1_
                                        ; -- End function
	.section	.AMDGPU.csdata,"",@progbits
; Kernel info:
; codeLenInByte = 0
; NumSgprs: 0
; NumVgprs: 0
; ScratchSize: 0
; MemoryBound: 0
; FloatMode: 240
; IeeeMode: 1
; LDSByteSize: 0 bytes/workgroup (compile time only)
; SGPRBlocks: 0
; VGPRBlocks: 0
; NumSGPRsForWavesPerEU: 1
; NumVGPRsForWavesPerEU: 1
; Occupancy: 16
; WaveLimiterHint : 0
; COMPUTE_PGM_RSRC2:SCRATCH_EN: 0
; COMPUTE_PGM_RSRC2:USER_SGPR: 15
; COMPUTE_PGM_RSRC2:TRAP_HANDLER: 0
; COMPUTE_PGM_RSRC2:TGID_X_EN: 1
; COMPUTE_PGM_RSRC2:TGID_Y_EN: 0
; COMPUTE_PGM_RSRC2:TGID_Z_EN: 0
; COMPUTE_PGM_RSRC2:TIDIG_COMP_CNT: 0
	.section	.text._ZN7rocprim17ROCPRIM_400000_NS6detail17trampoline_kernelINS0_14default_configENS1_20scan_config_selectorIhEEZZNS1_9scan_implILNS1_25lookback_scan_determinismE0ELb0ELb0ES3_N6thrust23THRUST_200600_302600_NS6detail15normal_iteratorINS9_7pointerIhNS9_11hip_rocprim5par_tENS9_11use_defaultESF_EEEENSB_INSC_IjSE_SF_SF_EEEEhNS9_4plusIvEEhEEDaPvRmT3_T4_T5_mT6_P12ihipStream_tbENKUlT_T0_E_clISt17integral_constantIbLb0EESZ_EEDaSU_SV_EUlSU_E0_NS1_11comp_targetILNS1_3genE10ELNS1_11target_archE1200ELNS1_3gpuE4ELNS1_3repE0EEENS1_30default_config_static_selectorELNS0_4arch9wavefront6targetE0EEEvT1_,"axG",@progbits,_ZN7rocprim17ROCPRIM_400000_NS6detail17trampoline_kernelINS0_14default_configENS1_20scan_config_selectorIhEEZZNS1_9scan_implILNS1_25lookback_scan_determinismE0ELb0ELb0ES3_N6thrust23THRUST_200600_302600_NS6detail15normal_iteratorINS9_7pointerIhNS9_11hip_rocprim5par_tENS9_11use_defaultESF_EEEENSB_INSC_IjSE_SF_SF_EEEEhNS9_4plusIvEEhEEDaPvRmT3_T4_T5_mT6_P12ihipStream_tbENKUlT_T0_E_clISt17integral_constantIbLb0EESZ_EEDaSU_SV_EUlSU_E0_NS1_11comp_targetILNS1_3genE10ELNS1_11target_archE1200ELNS1_3gpuE4ELNS1_3repE0EEENS1_30default_config_static_selectorELNS0_4arch9wavefront6targetE0EEEvT1_,comdat
	.protected	_ZN7rocprim17ROCPRIM_400000_NS6detail17trampoline_kernelINS0_14default_configENS1_20scan_config_selectorIhEEZZNS1_9scan_implILNS1_25lookback_scan_determinismE0ELb0ELb0ES3_N6thrust23THRUST_200600_302600_NS6detail15normal_iteratorINS9_7pointerIhNS9_11hip_rocprim5par_tENS9_11use_defaultESF_EEEENSB_INSC_IjSE_SF_SF_EEEEhNS9_4plusIvEEhEEDaPvRmT3_T4_T5_mT6_P12ihipStream_tbENKUlT_T0_E_clISt17integral_constantIbLb0EESZ_EEDaSU_SV_EUlSU_E0_NS1_11comp_targetILNS1_3genE10ELNS1_11target_archE1200ELNS1_3gpuE4ELNS1_3repE0EEENS1_30default_config_static_selectorELNS0_4arch9wavefront6targetE0EEEvT1_ ; -- Begin function _ZN7rocprim17ROCPRIM_400000_NS6detail17trampoline_kernelINS0_14default_configENS1_20scan_config_selectorIhEEZZNS1_9scan_implILNS1_25lookback_scan_determinismE0ELb0ELb0ES3_N6thrust23THRUST_200600_302600_NS6detail15normal_iteratorINS9_7pointerIhNS9_11hip_rocprim5par_tENS9_11use_defaultESF_EEEENSB_INSC_IjSE_SF_SF_EEEEhNS9_4plusIvEEhEEDaPvRmT3_T4_T5_mT6_P12ihipStream_tbENKUlT_T0_E_clISt17integral_constantIbLb0EESZ_EEDaSU_SV_EUlSU_E0_NS1_11comp_targetILNS1_3genE10ELNS1_11target_archE1200ELNS1_3gpuE4ELNS1_3repE0EEENS1_30default_config_static_selectorELNS0_4arch9wavefront6targetE0EEEvT1_
	.globl	_ZN7rocprim17ROCPRIM_400000_NS6detail17trampoline_kernelINS0_14default_configENS1_20scan_config_selectorIhEEZZNS1_9scan_implILNS1_25lookback_scan_determinismE0ELb0ELb0ES3_N6thrust23THRUST_200600_302600_NS6detail15normal_iteratorINS9_7pointerIhNS9_11hip_rocprim5par_tENS9_11use_defaultESF_EEEENSB_INSC_IjSE_SF_SF_EEEEhNS9_4plusIvEEhEEDaPvRmT3_T4_T5_mT6_P12ihipStream_tbENKUlT_T0_E_clISt17integral_constantIbLb0EESZ_EEDaSU_SV_EUlSU_E0_NS1_11comp_targetILNS1_3genE10ELNS1_11target_archE1200ELNS1_3gpuE4ELNS1_3repE0EEENS1_30default_config_static_selectorELNS0_4arch9wavefront6targetE0EEEvT1_
	.p2align	8
	.type	_ZN7rocprim17ROCPRIM_400000_NS6detail17trampoline_kernelINS0_14default_configENS1_20scan_config_selectorIhEEZZNS1_9scan_implILNS1_25lookback_scan_determinismE0ELb0ELb0ES3_N6thrust23THRUST_200600_302600_NS6detail15normal_iteratorINS9_7pointerIhNS9_11hip_rocprim5par_tENS9_11use_defaultESF_EEEENSB_INSC_IjSE_SF_SF_EEEEhNS9_4plusIvEEhEEDaPvRmT3_T4_T5_mT6_P12ihipStream_tbENKUlT_T0_E_clISt17integral_constantIbLb0EESZ_EEDaSU_SV_EUlSU_E0_NS1_11comp_targetILNS1_3genE10ELNS1_11target_archE1200ELNS1_3gpuE4ELNS1_3repE0EEENS1_30default_config_static_selectorELNS0_4arch9wavefront6targetE0EEEvT1_,@function
_ZN7rocprim17ROCPRIM_400000_NS6detail17trampoline_kernelINS0_14default_configENS1_20scan_config_selectorIhEEZZNS1_9scan_implILNS1_25lookback_scan_determinismE0ELb0ELb0ES3_N6thrust23THRUST_200600_302600_NS6detail15normal_iteratorINS9_7pointerIhNS9_11hip_rocprim5par_tENS9_11use_defaultESF_EEEENSB_INSC_IjSE_SF_SF_EEEEhNS9_4plusIvEEhEEDaPvRmT3_T4_T5_mT6_P12ihipStream_tbENKUlT_T0_E_clISt17integral_constantIbLb0EESZ_EEDaSU_SV_EUlSU_E0_NS1_11comp_targetILNS1_3genE10ELNS1_11target_archE1200ELNS1_3gpuE4ELNS1_3repE0EEENS1_30default_config_static_selectorELNS0_4arch9wavefront6targetE0EEEvT1_: ; @_ZN7rocprim17ROCPRIM_400000_NS6detail17trampoline_kernelINS0_14default_configENS1_20scan_config_selectorIhEEZZNS1_9scan_implILNS1_25lookback_scan_determinismE0ELb0ELb0ES3_N6thrust23THRUST_200600_302600_NS6detail15normal_iteratorINS9_7pointerIhNS9_11hip_rocprim5par_tENS9_11use_defaultESF_EEEENSB_INSC_IjSE_SF_SF_EEEEhNS9_4plusIvEEhEEDaPvRmT3_T4_T5_mT6_P12ihipStream_tbENKUlT_T0_E_clISt17integral_constantIbLb0EESZ_EEDaSU_SV_EUlSU_E0_NS1_11comp_targetILNS1_3genE10ELNS1_11target_archE1200ELNS1_3gpuE4ELNS1_3repE0EEENS1_30default_config_static_selectorELNS0_4arch9wavefront6targetE0EEEvT1_
; %bb.0:
	.section	.rodata,"a",@progbits
	.p2align	6, 0x0
	.amdhsa_kernel _ZN7rocprim17ROCPRIM_400000_NS6detail17trampoline_kernelINS0_14default_configENS1_20scan_config_selectorIhEEZZNS1_9scan_implILNS1_25lookback_scan_determinismE0ELb0ELb0ES3_N6thrust23THRUST_200600_302600_NS6detail15normal_iteratorINS9_7pointerIhNS9_11hip_rocprim5par_tENS9_11use_defaultESF_EEEENSB_INSC_IjSE_SF_SF_EEEEhNS9_4plusIvEEhEEDaPvRmT3_T4_T5_mT6_P12ihipStream_tbENKUlT_T0_E_clISt17integral_constantIbLb0EESZ_EEDaSU_SV_EUlSU_E0_NS1_11comp_targetILNS1_3genE10ELNS1_11target_archE1200ELNS1_3gpuE4ELNS1_3repE0EEENS1_30default_config_static_selectorELNS0_4arch9wavefront6targetE0EEEvT1_
		.amdhsa_group_segment_fixed_size 0
		.amdhsa_private_segment_fixed_size 0
		.amdhsa_kernarg_size 32
		.amdhsa_user_sgpr_count 15
		.amdhsa_user_sgpr_dispatch_ptr 0
		.amdhsa_user_sgpr_queue_ptr 0
		.amdhsa_user_sgpr_kernarg_segment_ptr 1
		.amdhsa_user_sgpr_dispatch_id 0
		.amdhsa_user_sgpr_private_segment_size 0
		.amdhsa_wavefront_size32 1
		.amdhsa_uses_dynamic_stack 0
		.amdhsa_enable_private_segment 0
		.amdhsa_system_sgpr_workgroup_id_x 1
		.amdhsa_system_sgpr_workgroup_id_y 0
		.amdhsa_system_sgpr_workgroup_id_z 0
		.amdhsa_system_sgpr_workgroup_info 0
		.amdhsa_system_vgpr_workitem_id 0
		.amdhsa_next_free_vgpr 1
		.amdhsa_next_free_sgpr 1
		.amdhsa_reserve_vcc 0
		.amdhsa_float_round_mode_32 0
		.amdhsa_float_round_mode_16_64 0
		.amdhsa_float_denorm_mode_32 3
		.amdhsa_float_denorm_mode_16_64 3
		.amdhsa_dx10_clamp 1
		.amdhsa_ieee_mode 1
		.amdhsa_fp16_overflow 0
		.amdhsa_workgroup_processor_mode 1
		.amdhsa_memory_ordered 1
		.amdhsa_forward_progress 0
		.amdhsa_shared_vgpr_count 0
		.amdhsa_exception_fp_ieee_invalid_op 0
		.amdhsa_exception_fp_denorm_src 0
		.amdhsa_exception_fp_ieee_div_zero 0
		.amdhsa_exception_fp_ieee_overflow 0
		.amdhsa_exception_fp_ieee_underflow 0
		.amdhsa_exception_fp_ieee_inexact 0
		.amdhsa_exception_int_div_zero 0
	.end_amdhsa_kernel
	.section	.text._ZN7rocprim17ROCPRIM_400000_NS6detail17trampoline_kernelINS0_14default_configENS1_20scan_config_selectorIhEEZZNS1_9scan_implILNS1_25lookback_scan_determinismE0ELb0ELb0ES3_N6thrust23THRUST_200600_302600_NS6detail15normal_iteratorINS9_7pointerIhNS9_11hip_rocprim5par_tENS9_11use_defaultESF_EEEENSB_INSC_IjSE_SF_SF_EEEEhNS9_4plusIvEEhEEDaPvRmT3_T4_T5_mT6_P12ihipStream_tbENKUlT_T0_E_clISt17integral_constantIbLb0EESZ_EEDaSU_SV_EUlSU_E0_NS1_11comp_targetILNS1_3genE10ELNS1_11target_archE1200ELNS1_3gpuE4ELNS1_3repE0EEENS1_30default_config_static_selectorELNS0_4arch9wavefront6targetE0EEEvT1_,"axG",@progbits,_ZN7rocprim17ROCPRIM_400000_NS6detail17trampoline_kernelINS0_14default_configENS1_20scan_config_selectorIhEEZZNS1_9scan_implILNS1_25lookback_scan_determinismE0ELb0ELb0ES3_N6thrust23THRUST_200600_302600_NS6detail15normal_iteratorINS9_7pointerIhNS9_11hip_rocprim5par_tENS9_11use_defaultESF_EEEENSB_INSC_IjSE_SF_SF_EEEEhNS9_4plusIvEEhEEDaPvRmT3_T4_T5_mT6_P12ihipStream_tbENKUlT_T0_E_clISt17integral_constantIbLb0EESZ_EEDaSU_SV_EUlSU_E0_NS1_11comp_targetILNS1_3genE10ELNS1_11target_archE1200ELNS1_3gpuE4ELNS1_3repE0EEENS1_30default_config_static_selectorELNS0_4arch9wavefront6targetE0EEEvT1_,comdat
.Lfunc_end127:
	.size	_ZN7rocprim17ROCPRIM_400000_NS6detail17trampoline_kernelINS0_14default_configENS1_20scan_config_selectorIhEEZZNS1_9scan_implILNS1_25lookback_scan_determinismE0ELb0ELb0ES3_N6thrust23THRUST_200600_302600_NS6detail15normal_iteratorINS9_7pointerIhNS9_11hip_rocprim5par_tENS9_11use_defaultESF_EEEENSB_INSC_IjSE_SF_SF_EEEEhNS9_4plusIvEEhEEDaPvRmT3_T4_T5_mT6_P12ihipStream_tbENKUlT_T0_E_clISt17integral_constantIbLb0EESZ_EEDaSU_SV_EUlSU_E0_NS1_11comp_targetILNS1_3genE10ELNS1_11target_archE1200ELNS1_3gpuE4ELNS1_3repE0EEENS1_30default_config_static_selectorELNS0_4arch9wavefront6targetE0EEEvT1_, .Lfunc_end127-_ZN7rocprim17ROCPRIM_400000_NS6detail17trampoline_kernelINS0_14default_configENS1_20scan_config_selectorIhEEZZNS1_9scan_implILNS1_25lookback_scan_determinismE0ELb0ELb0ES3_N6thrust23THRUST_200600_302600_NS6detail15normal_iteratorINS9_7pointerIhNS9_11hip_rocprim5par_tENS9_11use_defaultESF_EEEENSB_INSC_IjSE_SF_SF_EEEEhNS9_4plusIvEEhEEDaPvRmT3_T4_T5_mT6_P12ihipStream_tbENKUlT_T0_E_clISt17integral_constantIbLb0EESZ_EEDaSU_SV_EUlSU_E0_NS1_11comp_targetILNS1_3genE10ELNS1_11target_archE1200ELNS1_3gpuE4ELNS1_3repE0EEENS1_30default_config_static_selectorELNS0_4arch9wavefront6targetE0EEEvT1_
                                        ; -- End function
	.section	.AMDGPU.csdata,"",@progbits
; Kernel info:
; codeLenInByte = 0
; NumSgprs: 0
; NumVgprs: 0
; ScratchSize: 0
; MemoryBound: 0
; FloatMode: 240
; IeeeMode: 1
; LDSByteSize: 0 bytes/workgroup (compile time only)
; SGPRBlocks: 0
; VGPRBlocks: 0
; NumSGPRsForWavesPerEU: 1
; NumVGPRsForWavesPerEU: 1
; Occupancy: 16
; WaveLimiterHint : 0
; COMPUTE_PGM_RSRC2:SCRATCH_EN: 0
; COMPUTE_PGM_RSRC2:USER_SGPR: 15
; COMPUTE_PGM_RSRC2:TRAP_HANDLER: 0
; COMPUTE_PGM_RSRC2:TGID_X_EN: 1
; COMPUTE_PGM_RSRC2:TGID_Y_EN: 0
; COMPUTE_PGM_RSRC2:TGID_Z_EN: 0
; COMPUTE_PGM_RSRC2:TIDIG_COMP_CNT: 0
	.section	.text._ZN7rocprim17ROCPRIM_400000_NS6detail17trampoline_kernelINS0_14default_configENS1_20scan_config_selectorIhEEZZNS1_9scan_implILNS1_25lookback_scan_determinismE0ELb0ELb0ES3_N6thrust23THRUST_200600_302600_NS6detail15normal_iteratorINS9_7pointerIhNS9_11hip_rocprim5par_tENS9_11use_defaultESF_EEEENSB_INSC_IjSE_SF_SF_EEEEhNS9_4plusIvEEhEEDaPvRmT3_T4_T5_mT6_P12ihipStream_tbENKUlT_T0_E_clISt17integral_constantIbLb0EESZ_EEDaSU_SV_EUlSU_E0_NS1_11comp_targetILNS1_3genE9ELNS1_11target_archE1100ELNS1_3gpuE3ELNS1_3repE0EEENS1_30default_config_static_selectorELNS0_4arch9wavefront6targetE0EEEvT1_,"axG",@progbits,_ZN7rocprim17ROCPRIM_400000_NS6detail17trampoline_kernelINS0_14default_configENS1_20scan_config_selectorIhEEZZNS1_9scan_implILNS1_25lookback_scan_determinismE0ELb0ELb0ES3_N6thrust23THRUST_200600_302600_NS6detail15normal_iteratorINS9_7pointerIhNS9_11hip_rocprim5par_tENS9_11use_defaultESF_EEEENSB_INSC_IjSE_SF_SF_EEEEhNS9_4plusIvEEhEEDaPvRmT3_T4_T5_mT6_P12ihipStream_tbENKUlT_T0_E_clISt17integral_constantIbLb0EESZ_EEDaSU_SV_EUlSU_E0_NS1_11comp_targetILNS1_3genE9ELNS1_11target_archE1100ELNS1_3gpuE3ELNS1_3repE0EEENS1_30default_config_static_selectorELNS0_4arch9wavefront6targetE0EEEvT1_,comdat
	.protected	_ZN7rocprim17ROCPRIM_400000_NS6detail17trampoline_kernelINS0_14default_configENS1_20scan_config_selectorIhEEZZNS1_9scan_implILNS1_25lookback_scan_determinismE0ELb0ELb0ES3_N6thrust23THRUST_200600_302600_NS6detail15normal_iteratorINS9_7pointerIhNS9_11hip_rocprim5par_tENS9_11use_defaultESF_EEEENSB_INSC_IjSE_SF_SF_EEEEhNS9_4plusIvEEhEEDaPvRmT3_T4_T5_mT6_P12ihipStream_tbENKUlT_T0_E_clISt17integral_constantIbLb0EESZ_EEDaSU_SV_EUlSU_E0_NS1_11comp_targetILNS1_3genE9ELNS1_11target_archE1100ELNS1_3gpuE3ELNS1_3repE0EEENS1_30default_config_static_selectorELNS0_4arch9wavefront6targetE0EEEvT1_ ; -- Begin function _ZN7rocprim17ROCPRIM_400000_NS6detail17trampoline_kernelINS0_14default_configENS1_20scan_config_selectorIhEEZZNS1_9scan_implILNS1_25lookback_scan_determinismE0ELb0ELb0ES3_N6thrust23THRUST_200600_302600_NS6detail15normal_iteratorINS9_7pointerIhNS9_11hip_rocprim5par_tENS9_11use_defaultESF_EEEENSB_INSC_IjSE_SF_SF_EEEEhNS9_4plusIvEEhEEDaPvRmT3_T4_T5_mT6_P12ihipStream_tbENKUlT_T0_E_clISt17integral_constantIbLb0EESZ_EEDaSU_SV_EUlSU_E0_NS1_11comp_targetILNS1_3genE9ELNS1_11target_archE1100ELNS1_3gpuE3ELNS1_3repE0EEENS1_30default_config_static_selectorELNS0_4arch9wavefront6targetE0EEEvT1_
	.globl	_ZN7rocprim17ROCPRIM_400000_NS6detail17trampoline_kernelINS0_14default_configENS1_20scan_config_selectorIhEEZZNS1_9scan_implILNS1_25lookback_scan_determinismE0ELb0ELb0ES3_N6thrust23THRUST_200600_302600_NS6detail15normal_iteratorINS9_7pointerIhNS9_11hip_rocprim5par_tENS9_11use_defaultESF_EEEENSB_INSC_IjSE_SF_SF_EEEEhNS9_4plusIvEEhEEDaPvRmT3_T4_T5_mT6_P12ihipStream_tbENKUlT_T0_E_clISt17integral_constantIbLb0EESZ_EEDaSU_SV_EUlSU_E0_NS1_11comp_targetILNS1_3genE9ELNS1_11target_archE1100ELNS1_3gpuE3ELNS1_3repE0EEENS1_30default_config_static_selectorELNS0_4arch9wavefront6targetE0EEEvT1_
	.p2align	8
	.type	_ZN7rocprim17ROCPRIM_400000_NS6detail17trampoline_kernelINS0_14default_configENS1_20scan_config_selectorIhEEZZNS1_9scan_implILNS1_25lookback_scan_determinismE0ELb0ELb0ES3_N6thrust23THRUST_200600_302600_NS6detail15normal_iteratorINS9_7pointerIhNS9_11hip_rocprim5par_tENS9_11use_defaultESF_EEEENSB_INSC_IjSE_SF_SF_EEEEhNS9_4plusIvEEhEEDaPvRmT3_T4_T5_mT6_P12ihipStream_tbENKUlT_T0_E_clISt17integral_constantIbLb0EESZ_EEDaSU_SV_EUlSU_E0_NS1_11comp_targetILNS1_3genE9ELNS1_11target_archE1100ELNS1_3gpuE3ELNS1_3repE0EEENS1_30default_config_static_selectorELNS0_4arch9wavefront6targetE0EEEvT1_,@function
_ZN7rocprim17ROCPRIM_400000_NS6detail17trampoline_kernelINS0_14default_configENS1_20scan_config_selectorIhEEZZNS1_9scan_implILNS1_25lookback_scan_determinismE0ELb0ELb0ES3_N6thrust23THRUST_200600_302600_NS6detail15normal_iteratorINS9_7pointerIhNS9_11hip_rocprim5par_tENS9_11use_defaultESF_EEEENSB_INSC_IjSE_SF_SF_EEEEhNS9_4plusIvEEhEEDaPvRmT3_T4_T5_mT6_P12ihipStream_tbENKUlT_T0_E_clISt17integral_constantIbLb0EESZ_EEDaSU_SV_EUlSU_E0_NS1_11comp_targetILNS1_3genE9ELNS1_11target_archE1100ELNS1_3gpuE3ELNS1_3repE0EEENS1_30default_config_static_selectorELNS0_4arch9wavefront6targetE0EEEvT1_: ; @_ZN7rocprim17ROCPRIM_400000_NS6detail17trampoline_kernelINS0_14default_configENS1_20scan_config_selectorIhEEZZNS1_9scan_implILNS1_25lookback_scan_determinismE0ELb0ELb0ES3_N6thrust23THRUST_200600_302600_NS6detail15normal_iteratorINS9_7pointerIhNS9_11hip_rocprim5par_tENS9_11use_defaultESF_EEEENSB_INSC_IjSE_SF_SF_EEEEhNS9_4plusIvEEhEEDaPvRmT3_T4_T5_mT6_P12ihipStream_tbENKUlT_T0_E_clISt17integral_constantIbLb0EESZ_EEDaSU_SV_EUlSU_E0_NS1_11comp_targetILNS1_3genE9ELNS1_11target_archE1100ELNS1_3gpuE3ELNS1_3repE0EEENS1_30default_config_static_selectorELNS0_4arch9wavefront6targetE0EEEvT1_
; %bb.0:
	s_load_b128 s[28:31], s[0:1], 0x0
	v_mov_b32_e32 v1, 0
	s_waitcnt lgkmcnt(0)
	global_load_u8 v1, v1, s[28:29]
	v_cmp_gt_u32_e32 vcc_lo, s30, v0
	s_waitcnt vmcnt(0)
	v_mov_b32_e32 v2, v1
	s_and_saveexec_b32 s2, vcc_lo
	s_cbranch_execz .LBB128_2
; %bb.1:
	global_load_u8 v2, v0, s[28:29]
.LBB128_2:
	s_or_b32 exec_lo, exec_lo, s2
	v_or_b32_e32 v3, 0x100, v0
	s_delay_alu instid0(VALU_DEP_1) | instskip(SKIP_1) | instid1(VALU_DEP_2)
	v_cmp_gt_u32_e64 s2, s30, v3
	v_mov_b32_e32 v3, v1
	s_and_saveexec_b32 s3, s2
	s_cbranch_execz .LBB128_4
; %bb.3:
	global_load_u8 v3, v0, s[28:29] offset:256
.LBB128_4:
	s_or_b32 exec_lo, exec_lo, s3
	v_or_b32_e32 v4, 0x200, v0
	s_delay_alu instid0(VALU_DEP_1) | instskip(SKIP_1) | instid1(VALU_DEP_2)
	v_cmp_gt_u32_e64 s3, s30, v4
	v_mov_b32_e32 v4, v1
	s_and_saveexec_b32 s4, s3
	s_cbranch_execz .LBB128_6
; %bb.5:
	global_load_u8 v4, v0, s[28:29] offset:512
.LBB128_6:
	;; [unrolled: 10-line block ×15, first 2 shown]
	s_or_b32 exec_lo, exec_lo, s17
	v_or_b32_e32 v19, 0x1000, v0
	v_mov_b32_e32 v18, v1
	s_delay_alu instid0(VALU_DEP_2) | instskip(NEXT) | instid1(VALU_DEP_1)
	v_cmp_gt_u32_e64 s17, s30, v19
	s_and_saveexec_b32 s18, s17
	s_cbranch_execz .LBB128_34
; %bb.33:
	global_load_u8 v18, v19, s[28:29]
.LBB128_34:
	s_or_b32 exec_lo, exec_lo, s18
	v_or_b32_e32 v20, 0x1100, v0
	v_mov_b32_e32 v19, v1
	s_delay_alu instid0(VALU_DEP_2) | instskip(NEXT) | instid1(VALU_DEP_1)
	v_cmp_gt_u32_e64 s18, s30, v20
	s_and_saveexec_b32 s19, s18
	s_cbranch_execz .LBB128_36
; %bb.35:
	global_load_u8 v19, v20, s[28:29]
.LBB128_36:
	;; [unrolled: 10-line block ×7, first 2 shown]
	s_or_b32 exec_lo, exec_lo, s24
	v_or_b32_e32 v25, 0x1700, v0
	s_delay_alu instid0(VALU_DEP_1) | instskip(NEXT) | instid1(VALU_DEP_1)
	v_cmp_gt_u32_e64 s24, s30, v25
	s_and_saveexec_b32 s25, s24
	s_cbranch_execz .LBB128_48
; %bb.47:
	global_load_u8 v1, v25, s[28:29]
.LBB128_48:
	s_or_b32 exec_lo, exec_lo, s25
	s_waitcnt vmcnt(0)
	ds_store_b8 v0, v2
	ds_store_b8 v0, v3 offset:256
	ds_store_b8 v0, v4 offset:512
	;; [unrolled: 1-line block ×15, first 2 shown]
	v_mad_u32_u24 v5, v0, 23, v0
	ds_store_b8 v0, v18 offset:4096
	ds_store_b8 v0, v19 offset:4352
	ds_store_b8 v0, v20 offset:4608
	ds_store_b8 v0, v21 offset:4864
	ds_store_b8 v0, v22 offset:5120
	ds_store_b8 v0, v23 offset:5376
	ds_store_b8 v0, v24 offset:5632
	ds_store_b8 v0, v1 offset:5888
	s_waitcnt lgkmcnt(0)
	s_barrier
	buffer_gl0_inv
	ds_load_2addr_b64 v[1:4], v5 offset1:1
	ds_load_b64 v[5:6], v5 offset:16
	v_mbcnt_lo_u32_b32 v48, -1, 0
	v_or_b32_e32 v52, 31, v0
	s_mov_b32 s26, exec_lo
	s_waitcnt lgkmcnt(0)
	s_barrier
	v_and_b32_e32 v50, 15, v48
	buffer_gl0_inv
	v_cmp_ne_u32_e64 s25, 0, v50
	v_lshrrev_b32_e32 v30, 8, v1
	v_lshrrev_b32_e32 v31, 16, v1
	;; [unrolled: 1-line block ×5, first 2 shown]
	v_add_nc_u16 v9, v30, v1
	v_lshrrev_b32_e32 v35, 24, v2
	v_lshrrev_b32_e32 v36, 8, v3
	v_lshrrev_b32_e32 v37, 16, v3
	v_lshrrev_b32_e32 v38, 24, v3
	v_add_nc_u16 v7, v9, v31
	v_lshrrev_b32_e32 v39, 8, v4
	v_lshrrev_b32_e32 v40, 16, v4
	v_lshrrev_b32_e32 v41, 24, v4
	v_lshrrev_b32_e32 v42, 8, v5
	;; [unrolled: 5-line block ×3, first 2 shown]
	v_add_nc_u16 v14, v8, v2
	v_lshrrev_b32_e32 v47, 24, v6
	s_delay_alu instid0(VALU_DEP_2) | instskip(NEXT) | instid1(VALU_DEP_1)
	v_add_nc_u16 v17, v14, v33
	v_add_nc_u16 v15, v17, v34
	s_delay_alu instid0(VALU_DEP_1) | instskip(NEXT) | instid1(VALU_DEP_1)
	v_add_nc_u16 v16, v15, v35
	v_add_nc_u16 v23, v16, v3
	s_delay_alu instid0(VALU_DEP_1) | instskip(NEXT) | instid1(VALU_DEP_1)
	;; [unrolled: 3-line block ×9, first 2 shown]
	v_add_nc_u16 v21, v19, v47
	v_and_b32_e32 v49, 0xff, v21
	s_delay_alu instid0(VALU_DEP_1) | instskip(NEXT) | instid1(VALU_DEP_1)
	v_mov_b32_dpp v49, v49 row_shr:1 row_mask:0xf bank_mask:0xf
	v_cndmask_b32_e64 v49, 0, v49, s25
	v_cmp_lt_u32_e64 s25, 1, v50
	s_delay_alu instid0(VALU_DEP_2) | instskip(NEXT) | instid1(VALU_DEP_1)
	v_add_nc_u16 v49, v49, v21
	v_and_b32_e32 v51, 0xff, v49
	s_delay_alu instid0(VALU_DEP_1) | instskip(NEXT) | instid1(VALU_DEP_1)
	v_mov_b32_dpp v51, v51 row_shr:2 row_mask:0xf bank_mask:0xf
	v_cndmask_b32_e64 v51, 0, v51, s25
	v_cmp_lt_u32_e64 s25, 3, v50
	s_delay_alu instid0(VALU_DEP_2) | instskip(NEXT) | instid1(VALU_DEP_1)
	;; [unrolled: 7-line block ×3, first 2 shown]
	v_add_nc_u16 v49, v49, v51
	v_and_b32_e32 v51, 0xff, v49
	s_delay_alu instid0(VALU_DEP_1) | instskip(NEXT) | instid1(VALU_DEP_1)
	v_mov_b32_dpp v51, v51 row_shr:8 row_mask:0xf bank_mask:0xf
	v_cndmask_b32_e64 v50, 0, v51, s25
	v_and_b32_e32 v51, 16, v48
	s_delay_alu instid0(VALU_DEP_2) | instskip(NEXT) | instid1(VALU_DEP_2)
	v_add_nc_u16 v49, v49, v50
	v_cmp_ne_u32_e64 s25, 0, v51
	s_delay_alu instid0(VALU_DEP_2) | instskip(SKIP_4) | instid1(VALU_DEP_2)
	v_and_b32_e32 v50, 0xff, v49
	ds_swizzle_b32 v50, v50 offset:swizzle(BROADCAST,32,15)
	s_waitcnt lgkmcnt(0)
	v_cndmask_b32_e64 v51, 0, v50, s25
	v_lshrrev_b32_e32 v50, 5, v0
	v_add_nc_u16 v49, v49, v51
	v_cmpx_eq_u32_e64 v52, v0
	s_cbranch_execz .LBB128_50
; %bb.49:
	ds_store_b8 v50, v49
.LBB128_50:
	s_or_b32 exec_lo, exec_lo, s26
	s_delay_alu instid0(SALU_CYCLE_1)
	s_mov_b32 s26, exec_lo
	s_waitcnt lgkmcnt(0)
	s_barrier
	buffer_gl0_inv
	v_cmpx_gt_u32_e32 8, v0
	s_cbranch_execz .LBB128_52
; %bb.51:
	ds_load_u8 v51, v0
	v_and_b32_e32 v53, 7, v48
	s_delay_alu instid0(VALU_DEP_1) | instskip(SKIP_2) | instid1(VALU_DEP_1)
	v_cmp_ne_u32_e64 s25, 0, v53
	s_waitcnt lgkmcnt(0)
	v_and_b32_e32 v52, 0xff, v51
	v_mov_b32_dpp v52, v52 row_shr:1 row_mask:0xf bank_mask:0xf
	s_delay_alu instid0(VALU_DEP_1) | instskip(SKIP_1) | instid1(VALU_DEP_2)
	v_cndmask_b32_e64 v52, 0, v52, s25
	v_cmp_lt_u32_e64 s25, 1, v53
	v_add_nc_u16 v51, v52, v51
	s_delay_alu instid0(VALU_DEP_1) | instskip(NEXT) | instid1(VALU_DEP_1)
	v_and_b32_e32 v52, 0xff, v51
	v_mov_b32_dpp v52, v52 row_shr:2 row_mask:0xf bank_mask:0xf
	s_delay_alu instid0(VALU_DEP_1) | instskip(SKIP_1) | instid1(VALU_DEP_2)
	v_cndmask_b32_e64 v52, 0, v52, s25
	v_cmp_lt_u32_e64 s25, 3, v53
	v_add_nc_u16 v51, v51, v52
	s_delay_alu instid0(VALU_DEP_1) | instskip(NEXT) | instid1(VALU_DEP_1)
	v_and_b32_e32 v52, 0xff, v51
	v_mov_b32_dpp v52, v52 row_shr:4 row_mask:0xf bank_mask:0xf
	s_delay_alu instid0(VALU_DEP_1) | instskip(NEXT) | instid1(VALU_DEP_1)
	v_cndmask_b32_e64 v52, 0, v52, s25
	v_add_nc_u16 v51, v51, v52
	ds_store_b8 v0, v51
.LBB128_52:
	s_or_b32 exec_lo, exec_lo, s26
	s_load_b64 s[26:27], s[0:1], 0x18
	s_mov_b32 s1, exec_lo
	s_waitcnt lgkmcnt(0)
	s_barrier
	buffer_gl0_inv
                                        ; implicit-def: $vgpr51
	v_cmpx_lt_u32_e32 31, v0
	s_cbranch_execz .LBB128_54
; %bb.53:
	v_add_nc_u32_e32 v50, -1, v50
	ds_load_u8 v51, v50
	s_waitcnt lgkmcnt(0)
	v_add_nc_u16 v49, v51, v49
.LBB128_54:
	s_or_b32 exec_lo, exec_lo, s1
	v_add_nc_u32_e32 v50, -1, v48
	s_delay_alu instid0(VALU_DEP_2) | instskip(SKIP_1) | instid1(VALU_DEP_2)
	v_and_b32_e32 v49, 0xff, v49
	s_mov_b32 s1, exec_lo
	v_cmp_gt_i32_e64 s0, 0, v50
	s_delay_alu instid0(VALU_DEP_1) | instskip(NEXT) | instid1(VALU_DEP_1)
	v_cndmask_b32_e64 v50, v50, v48, s0
	v_lshlrev_b32_e32 v50, 2, v50
	ds_bpermute_b32 v50, v50, v49
	v_mul_u32_u24_e32 v49, 23, v0
	v_cmpx_ne_u32_e32 0, v0
	s_cbranch_execz .LBB128_56
; %bb.55:
	v_cmp_eq_u32_e64 s0, 0, v48
	;;#ASMSTART
	;;#ASMEND
	s_waitcnt lgkmcnt(0)
	s_delay_alu instid0(VALU_DEP_1) | instskip(NEXT) | instid1(VALU_DEP_1)
	v_cndmask_b32_e64 v7, v50, v51, s0
	v_add_nc_u16 v1, v7, v1
	s_delay_alu instid0(VALU_DEP_1) | instskip(NEXT) | instid1(VALU_DEP_1)
	v_add_nc_u16 v9, v1, v30
	v_add_nc_u16 v7, v9, v31
	s_delay_alu instid0(VALU_DEP_1) | instskip(NEXT) | instid1(VALU_DEP_1)
	v_add_nc_u16 v8, v7, v32
	;; [unrolled: 3-line block ×11, first 2 shown]
	v_add_nc_u16 v19, v20, v46
	s_delay_alu instid0(VALU_DEP_1)
	v_add_nc_u16 v21, v19, v47
.LBB128_56:
	s_or_b32 exec_lo, exec_lo, s1
	v_lshlrev_b16 v2, 8, v28
	v_and_b32_e32 v3, 0xff, v26
	v_lshlrev_b16 v4, 8, v29
	v_and_b32_e32 v5, 0xff, v27
	;; [unrolled: 2-line block ×3, first 2 shown]
	v_or_b32_e32 v2, v3, v2
	v_lshlrev_b16 v6, 8, v24
	v_or_b32_e32 v3, v5, v4
	v_lshlrev_b16 v4, 8, v25
	v_or_b32_e32 v1, v1, v9
	v_and_b32_e32 v2, 0xffff, v2
	v_and_b32_e32 v5, 0xff, v23
	v_lshlrev_b32_e32 v3, 16, v3
	v_and_b32_e32 v22, 0xff, v22
	v_lshlrev_b16 v17, 8, v17
	v_and_b32_e32 v14, 0xff, v14
	v_and_b32_e32 v15, 0xff, v15
	v_or_b32_e32 v2, v2, v3
	v_lshlrev_b16 v3, 8, v16
	v_and_b32_e32 v9, 0xffff, v1
	v_lshlrev_b16 v1, 8, v8
	v_and_b32_e32 v7, 0xff, v7
	v_or_b32_e32 v4, v5, v4
	v_or_b32_e32 v5, v22, v6
	;; [unrolled: 1-line block ×4, first 2 shown]
	v_lshlrev_b16 v8, 8, v20
	v_and_b32_e32 v14, 0xff, v18
	v_lshlrev_b16 v15, 8, v21
	v_and_b32_e32 v16, 0xff, v19
	;; [unrolled: 2-line block ×4, first 2 shown]
	v_or_b32_e32 v1, v7, v1
	v_or_b32_e32 v7, v14, v8
	;; [unrolled: 1-line block ×5, first 2 shown]
	v_and_b32_e32 v4, 0xffff, v4
	v_lshlrev_b32_e32 v5, 16, v5
	v_and_b32_e32 v6, 0xffff, v6
	v_lshlrev_b32_e32 v3, 16, v3
	v_lshlrev_b32_e32 v12, 16, v1
	v_and_b32_e32 v7, 0xffff, v7
	v_lshlrev_b32_e32 v8, 16, v8
	v_and_b32_e32 v10, 0xffff, v10
	v_lshlrev_b32_e32 v11, 16, v11
	v_add_nc_u32_e32 v26, v0, v49
	v_or_b32_e32 v1, v4, v5
	v_or_b32_e32 v4, v6, v3
	;; [unrolled: 1-line block ×5, first 2 shown]
	s_waitcnt lgkmcnt(0)
	s_barrier
	buffer_gl0_inv
	ds_store_2addr_b64 v26, v[3:4], v[1:2] offset1:1
	ds_store_b64 v26, v[5:6] offset:16
	s_waitcnt lgkmcnt(0)
	s_barrier
	buffer_gl0_inv
	ds_load_u8 v25, v0 offset:256
	ds_load_u8 v24, v0 offset:512
	;; [unrolled: 1-line block ×23, first 2 shown]
	v_lshlrev_b32_e32 v1, 2, v0
	s_delay_alu instid0(VALU_DEP_1) | instskip(NEXT) | instid1(VALU_DEP_1)
	v_add_co_u32 v1, s0, s26, v1
	v_add_co_ci_u32_e64 v2, null, s27, 0, s0
	s_and_saveexec_b32 s0, vcc_lo
	s_cbranch_execnz .LBB128_81
; %bb.57:
	s_or_b32 exec_lo, exec_lo, s0
	s_and_saveexec_b32 s0, s2
	s_cbranch_execnz .LBB128_82
.LBB128_58:
	s_or_b32 exec_lo, exec_lo, s0
	s_and_saveexec_b32 s0, s3
	s_cbranch_execnz .LBB128_83
.LBB128_59:
	s_or_b32 exec_lo, exec_lo, s0
	s_and_saveexec_b32 s0, s4
	s_cbranch_execnz .LBB128_84
.LBB128_60:
	s_or_b32 exec_lo, exec_lo, s0
	s_and_saveexec_b32 s0, s5
	s_cbranch_execnz .LBB128_85
.LBB128_61:
	s_or_b32 exec_lo, exec_lo, s0
	s_and_saveexec_b32 s0, s6
	s_cbranch_execnz .LBB128_86
.LBB128_62:
	s_or_b32 exec_lo, exec_lo, s0
	s_and_saveexec_b32 s0, s7
	s_cbranch_execnz .LBB128_87
.LBB128_63:
	s_or_b32 exec_lo, exec_lo, s0
	s_and_saveexec_b32 s0, s8
	s_cbranch_execnz .LBB128_88
.LBB128_64:
	s_or_b32 exec_lo, exec_lo, s0
	s_and_saveexec_b32 s0, s9
	s_cbranch_execnz .LBB128_89
.LBB128_65:
	s_or_b32 exec_lo, exec_lo, s0
	s_and_saveexec_b32 s0, s10
	s_cbranch_execnz .LBB128_90
.LBB128_66:
	s_or_b32 exec_lo, exec_lo, s0
	s_and_saveexec_b32 s0, s11
	s_cbranch_execnz .LBB128_91
.LBB128_67:
	s_or_b32 exec_lo, exec_lo, s0
	s_and_saveexec_b32 s0, s12
	s_cbranch_execnz .LBB128_92
.LBB128_68:
	s_or_b32 exec_lo, exec_lo, s0
	s_and_saveexec_b32 s0, s13
	s_cbranch_execnz .LBB128_93
.LBB128_69:
	s_or_b32 exec_lo, exec_lo, s0
	s_and_saveexec_b32 s0, s14
	s_cbranch_execnz .LBB128_94
.LBB128_70:
	s_or_b32 exec_lo, exec_lo, s0
	s_and_saveexec_b32 s0, s15
	s_cbranch_execnz .LBB128_95
.LBB128_71:
	s_or_b32 exec_lo, exec_lo, s0
	s_and_saveexec_b32 s0, s16
	s_cbranch_execnz .LBB128_96
.LBB128_72:
	s_or_b32 exec_lo, exec_lo, s0
	s_and_saveexec_b32 s0, s17
	s_cbranch_execnz .LBB128_97
.LBB128_73:
	s_or_b32 exec_lo, exec_lo, s0
	s_and_saveexec_b32 s0, s18
	s_cbranch_execnz .LBB128_98
.LBB128_74:
	s_or_b32 exec_lo, exec_lo, s0
	s_and_saveexec_b32 s0, s19
	s_cbranch_execnz .LBB128_99
.LBB128_75:
	s_or_b32 exec_lo, exec_lo, s0
	s_and_saveexec_b32 s0, s20
	s_cbranch_execnz .LBB128_100
.LBB128_76:
	s_or_b32 exec_lo, exec_lo, s0
	s_and_saveexec_b32 s0, s21
	s_cbranch_execnz .LBB128_101
.LBB128_77:
	s_or_b32 exec_lo, exec_lo, s0
	s_and_saveexec_b32 s0, s22
	s_cbranch_execnz .LBB128_102
.LBB128_78:
	s_or_b32 exec_lo, exec_lo, s0
	s_and_saveexec_b32 s0, s23
	s_cbranch_execnz .LBB128_103
.LBB128_79:
	s_or_b32 exec_lo, exec_lo, s0
	s_and_saveexec_b32 s0, s24
	s_cbranch_execnz .LBB128_104
.LBB128_80:
	s_nop 0
	s_sendmsg sendmsg(MSG_DEALLOC_VGPRS)
	s_endpgm
.LBB128_81:
	ds_load_u8 v0, v0
	s_waitcnt lgkmcnt(0)
	global_store_b32 v[1:2], v0, off
	s_or_b32 exec_lo, exec_lo, s0
	s_and_saveexec_b32 s0, s2
	s_cbranch_execz .LBB128_58
.LBB128_82:
	s_waitcnt lgkmcnt(22)
	v_and_b32_e32 v0, 0xff, v25
	global_store_b32 v[1:2], v0, off offset:1024
	s_or_b32 exec_lo, exec_lo, s0
	s_and_saveexec_b32 s0, s3
	s_cbranch_execz .LBB128_59
.LBB128_83:
	s_waitcnt lgkmcnt(21)
	v_and_b32_e32 v0, 0xff, v24
	global_store_b32 v[1:2], v0, off offset:2048
	s_or_b32 exec_lo, exec_lo, s0
	s_and_saveexec_b32 s0, s4
	s_cbranch_execz .LBB128_60
.LBB128_84:
	s_waitcnt lgkmcnt(20)
	v_and_b32_e32 v0, 0xff, v23
	global_store_b32 v[1:2], v0, off offset:3072
	s_or_b32 exec_lo, exec_lo, s0
	s_and_saveexec_b32 s0, s5
	s_cbranch_execz .LBB128_61
.LBB128_85:
	s_waitcnt lgkmcnt(19)
	v_and_b32_e32 v0, 0xff, v22
	v_add_co_u32 v22, vcc_lo, 0x1000, v1
	v_add_co_ci_u32_e32 v23, vcc_lo, 0, v2, vcc_lo
	global_store_b32 v[22:23], v0, off
	s_or_b32 exec_lo, exec_lo, s0
	s_and_saveexec_b32 s0, s6
	s_cbranch_execz .LBB128_62
.LBB128_86:
	s_waitcnt lgkmcnt(18)
	v_and_b32_e32 v0, 0xff, v21
	v_add_co_u32 v21, vcc_lo, 0x1000, v1
	v_add_co_ci_u32_e32 v22, vcc_lo, 0, v2, vcc_lo
	global_store_b32 v[21:22], v0, off offset:1024
	s_or_b32 exec_lo, exec_lo, s0
	s_and_saveexec_b32 s0, s7
	s_cbranch_execz .LBB128_63
.LBB128_87:
	s_waitcnt lgkmcnt(17)
	v_and_b32_e32 v0, 0xff, v20
	v_add_co_u32 v20, vcc_lo, 0x1000, v1
	v_add_co_ci_u32_e32 v21, vcc_lo, 0, v2, vcc_lo
	global_store_b32 v[20:21], v0, off offset:2048
	s_or_b32 exec_lo, exec_lo, s0
	s_and_saveexec_b32 s0, s8
	s_cbranch_execz .LBB128_64
.LBB128_88:
	s_waitcnt lgkmcnt(16)
	v_and_b32_e32 v0, 0xff, v19
	v_add_co_u32 v19, vcc_lo, 0x1000, v1
	v_add_co_ci_u32_e32 v20, vcc_lo, 0, v2, vcc_lo
	global_store_b32 v[19:20], v0, off offset:3072
	s_or_b32 exec_lo, exec_lo, s0
	s_and_saveexec_b32 s0, s9
	s_cbranch_execz .LBB128_65
.LBB128_89:
	s_waitcnt lgkmcnt(15)
	v_and_b32_e32 v0, 0xff, v18
	v_add_co_u32 v18, vcc_lo, 0x2000, v1
	v_add_co_ci_u32_e32 v19, vcc_lo, 0, v2, vcc_lo
	global_store_b32 v[18:19], v0, off
	s_or_b32 exec_lo, exec_lo, s0
	s_and_saveexec_b32 s0, s10
	s_cbranch_execz .LBB128_66
.LBB128_90:
	s_waitcnt lgkmcnt(14)
	v_and_b32_e32 v0, 0xff, v17
	v_add_co_u32 v17, vcc_lo, 0x2000, v1
	v_add_co_ci_u32_e32 v18, vcc_lo, 0, v2, vcc_lo
	global_store_b32 v[17:18], v0, off offset:1024
	s_or_b32 exec_lo, exec_lo, s0
	s_and_saveexec_b32 s0, s11
	s_cbranch_execz .LBB128_67
.LBB128_91:
	s_waitcnt lgkmcnt(13)
	v_and_b32_e32 v0, 0xff, v16
	v_add_co_u32 v16, vcc_lo, 0x2000, v1
	v_add_co_ci_u32_e32 v17, vcc_lo, 0, v2, vcc_lo
	global_store_b32 v[16:17], v0, off offset:2048
	s_or_b32 exec_lo, exec_lo, s0
	s_and_saveexec_b32 s0, s12
	s_cbranch_execz .LBB128_68
.LBB128_92:
	s_waitcnt lgkmcnt(12)
	v_and_b32_e32 v0, 0xff, v15
	v_add_co_u32 v15, vcc_lo, 0x2000, v1
	v_add_co_ci_u32_e32 v16, vcc_lo, 0, v2, vcc_lo
	global_store_b32 v[15:16], v0, off offset:3072
	s_or_b32 exec_lo, exec_lo, s0
	s_and_saveexec_b32 s0, s13
	s_cbranch_execz .LBB128_69
.LBB128_93:
	s_waitcnt lgkmcnt(11)
	v_and_b32_e32 v0, 0xff, v14
	v_add_co_u32 v14, vcc_lo, 0x3000, v1
	v_add_co_ci_u32_e32 v15, vcc_lo, 0, v2, vcc_lo
	global_store_b32 v[14:15], v0, off
	s_or_b32 exec_lo, exec_lo, s0
	s_and_saveexec_b32 s0, s14
	s_cbranch_execz .LBB128_70
.LBB128_94:
	s_waitcnt lgkmcnt(10)
	v_and_b32_e32 v0, 0xff, v13
	v_add_co_u32 v13, vcc_lo, 0x3000, v1
	v_add_co_ci_u32_e32 v14, vcc_lo, 0, v2, vcc_lo
	global_store_b32 v[13:14], v0, off offset:1024
	s_or_b32 exec_lo, exec_lo, s0
	s_and_saveexec_b32 s0, s15
	s_cbranch_execz .LBB128_71
.LBB128_95:
	s_waitcnt lgkmcnt(9)
	v_and_b32_e32 v0, 0xff, v12
	v_add_co_u32 v12, vcc_lo, 0x3000, v1
	v_add_co_ci_u32_e32 v13, vcc_lo, 0, v2, vcc_lo
	global_store_b32 v[12:13], v0, off offset:2048
	s_or_b32 exec_lo, exec_lo, s0
	s_and_saveexec_b32 s0, s16
	s_cbranch_execz .LBB128_72
.LBB128_96:
	s_waitcnt lgkmcnt(8)
	v_and_b32_e32 v0, 0xff, v11
	v_add_co_u32 v11, vcc_lo, 0x3000, v1
	v_add_co_ci_u32_e32 v12, vcc_lo, 0, v2, vcc_lo
	global_store_b32 v[11:12], v0, off offset:3072
	s_or_b32 exec_lo, exec_lo, s0
	s_and_saveexec_b32 s0, s17
	s_cbranch_execz .LBB128_73
.LBB128_97:
	s_waitcnt lgkmcnt(7)
	v_and_b32_e32 v0, 0xff, v10
	v_add_co_u32 v10, vcc_lo, 0x4000, v1
	v_add_co_ci_u32_e32 v11, vcc_lo, 0, v2, vcc_lo
	global_store_b32 v[10:11], v0, off
	s_or_b32 exec_lo, exec_lo, s0
	s_and_saveexec_b32 s0, s18
	s_cbranch_execz .LBB128_74
.LBB128_98:
	s_waitcnt lgkmcnt(6)
	v_and_b32_e32 v0, 0xff, v9
	v_add_co_u32 v9, vcc_lo, 0x4000, v1
	v_add_co_ci_u32_e32 v10, vcc_lo, 0, v2, vcc_lo
	global_store_b32 v[9:10], v0, off offset:1024
	s_or_b32 exec_lo, exec_lo, s0
	s_and_saveexec_b32 s0, s19
	s_cbranch_execz .LBB128_75
.LBB128_99:
	s_waitcnt lgkmcnt(5)
	v_and_b32_e32 v0, 0xff, v8
	v_add_co_u32 v8, vcc_lo, 0x4000, v1
	v_add_co_ci_u32_e32 v9, vcc_lo, 0, v2, vcc_lo
	global_store_b32 v[8:9], v0, off offset:2048
	s_or_b32 exec_lo, exec_lo, s0
	s_and_saveexec_b32 s0, s20
	s_cbranch_execz .LBB128_76
.LBB128_100:
	s_waitcnt lgkmcnt(4)
	v_and_b32_e32 v0, 0xff, v7
	v_add_co_u32 v7, vcc_lo, 0x4000, v1
	v_add_co_ci_u32_e32 v8, vcc_lo, 0, v2, vcc_lo
	global_store_b32 v[7:8], v0, off offset:3072
	s_or_b32 exec_lo, exec_lo, s0
	s_and_saveexec_b32 s0, s21
	s_cbranch_execz .LBB128_77
.LBB128_101:
	s_waitcnt lgkmcnt(3)
	v_and_b32_e32 v0, 0xff, v6
	v_add_co_u32 v6, vcc_lo, 0x5000, v1
	v_add_co_ci_u32_e32 v7, vcc_lo, 0, v2, vcc_lo
	global_store_b32 v[6:7], v0, off
	s_or_b32 exec_lo, exec_lo, s0
	s_and_saveexec_b32 s0, s22
	s_cbranch_execz .LBB128_78
.LBB128_102:
	s_waitcnt lgkmcnt(2)
	v_and_b32_e32 v0, 0xff, v5
	v_add_co_u32 v5, vcc_lo, 0x5000, v1
	v_add_co_ci_u32_e32 v6, vcc_lo, 0, v2, vcc_lo
	global_store_b32 v[5:6], v0, off offset:1024
	s_or_b32 exec_lo, exec_lo, s0
	s_and_saveexec_b32 s0, s23
	s_cbranch_execz .LBB128_79
.LBB128_103:
	s_waitcnt lgkmcnt(1)
	v_and_b32_e32 v0, 0xff, v4
	v_add_co_u32 v4, vcc_lo, 0x5000, v1
	v_add_co_ci_u32_e32 v5, vcc_lo, 0, v2, vcc_lo
	global_store_b32 v[4:5], v0, off offset:2048
	s_or_b32 exec_lo, exec_lo, s0
	s_and_saveexec_b32 s0, s24
	s_cbranch_execz .LBB128_80
.LBB128_104:
	v_add_co_u32 v0, vcc_lo, 0x5000, v1
	s_waitcnt lgkmcnt(0)
	v_and_b32_e32 v3, 0xff, v3
	v_add_co_ci_u32_e32 v1, vcc_lo, 0, v2, vcc_lo
	global_store_b32 v[0:1], v3, off offset:3072
	s_nop 0
	s_sendmsg sendmsg(MSG_DEALLOC_VGPRS)
	s_endpgm
	.section	.rodata,"a",@progbits
	.p2align	6, 0x0
	.amdhsa_kernel _ZN7rocprim17ROCPRIM_400000_NS6detail17trampoline_kernelINS0_14default_configENS1_20scan_config_selectorIhEEZZNS1_9scan_implILNS1_25lookback_scan_determinismE0ELb0ELb0ES3_N6thrust23THRUST_200600_302600_NS6detail15normal_iteratorINS9_7pointerIhNS9_11hip_rocprim5par_tENS9_11use_defaultESF_EEEENSB_INSC_IjSE_SF_SF_EEEEhNS9_4plusIvEEhEEDaPvRmT3_T4_T5_mT6_P12ihipStream_tbENKUlT_T0_E_clISt17integral_constantIbLb0EESZ_EEDaSU_SV_EUlSU_E0_NS1_11comp_targetILNS1_3genE9ELNS1_11target_archE1100ELNS1_3gpuE3ELNS1_3repE0EEENS1_30default_config_static_selectorELNS0_4arch9wavefront6targetE0EEEvT1_
		.amdhsa_group_segment_fixed_size 6144
		.amdhsa_private_segment_fixed_size 0
		.amdhsa_kernarg_size 32
		.amdhsa_user_sgpr_count 15
		.amdhsa_user_sgpr_dispatch_ptr 0
		.amdhsa_user_sgpr_queue_ptr 0
		.amdhsa_user_sgpr_kernarg_segment_ptr 1
		.amdhsa_user_sgpr_dispatch_id 0
		.amdhsa_user_sgpr_private_segment_size 0
		.amdhsa_wavefront_size32 1
		.amdhsa_uses_dynamic_stack 0
		.amdhsa_enable_private_segment 0
		.amdhsa_system_sgpr_workgroup_id_x 1
		.amdhsa_system_sgpr_workgroup_id_y 0
		.amdhsa_system_sgpr_workgroup_id_z 0
		.amdhsa_system_sgpr_workgroup_info 0
		.amdhsa_system_vgpr_workitem_id 0
		.amdhsa_next_free_vgpr 54
		.amdhsa_next_free_sgpr 32
		.amdhsa_reserve_vcc 1
		.amdhsa_float_round_mode_32 0
		.amdhsa_float_round_mode_16_64 0
		.amdhsa_float_denorm_mode_32 3
		.amdhsa_float_denorm_mode_16_64 3
		.amdhsa_dx10_clamp 1
		.amdhsa_ieee_mode 1
		.amdhsa_fp16_overflow 0
		.amdhsa_workgroup_processor_mode 1
		.amdhsa_memory_ordered 1
		.amdhsa_forward_progress 0
		.amdhsa_shared_vgpr_count 0
		.amdhsa_exception_fp_ieee_invalid_op 0
		.amdhsa_exception_fp_denorm_src 0
		.amdhsa_exception_fp_ieee_div_zero 0
		.amdhsa_exception_fp_ieee_overflow 0
		.amdhsa_exception_fp_ieee_underflow 0
		.amdhsa_exception_fp_ieee_inexact 0
		.amdhsa_exception_int_div_zero 0
	.end_amdhsa_kernel
	.section	.text._ZN7rocprim17ROCPRIM_400000_NS6detail17trampoline_kernelINS0_14default_configENS1_20scan_config_selectorIhEEZZNS1_9scan_implILNS1_25lookback_scan_determinismE0ELb0ELb0ES3_N6thrust23THRUST_200600_302600_NS6detail15normal_iteratorINS9_7pointerIhNS9_11hip_rocprim5par_tENS9_11use_defaultESF_EEEENSB_INSC_IjSE_SF_SF_EEEEhNS9_4plusIvEEhEEDaPvRmT3_T4_T5_mT6_P12ihipStream_tbENKUlT_T0_E_clISt17integral_constantIbLb0EESZ_EEDaSU_SV_EUlSU_E0_NS1_11comp_targetILNS1_3genE9ELNS1_11target_archE1100ELNS1_3gpuE3ELNS1_3repE0EEENS1_30default_config_static_selectorELNS0_4arch9wavefront6targetE0EEEvT1_,"axG",@progbits,_ZN7rocprim17ROCPRIM_400000_NS6detail17trampoline_kernelINS0_14default_configENS1_20scan_config_selectorIhEEZZNS1_9scan_implILNS1_25lookback_scan_determinismE0ELb0ELb0ES3_N6thrust23THRUST_200600_302600_NS6detail15normal_iteratorINS9_7pointerIhNS9_11hip_rocprim5par_tENS9_11use_defaultESF_EEEENSB_INSC_IjSE_SF_SF_EEEEhNS9_4plusIvEEhEEDaPvRmT3_T4_T5_mT6_P12ihipStream_tbENKUlT_T0_E_clISt17integral_constantIbLb0EESZ_EEDaSU_SV_EUlSU_E0_NS1_11comp_targetILNS1_3genE9ELNS1_11target_archE1100ELNS1_3gpuE3ELNS1_3repE0EEENS1_30default_config_static_selectorELNS0_4arch9wavefront6targetE0EEEvT1_,comdat
.Lfunc_end128:
	.size	_ZN7rocprim17ROCPRIM_400000_NS6detail17trampoline_kernelINS0_14default_configENS1_20scan_config_selectorIhEEZZNS1_9scan_implILNS1_25lookback_scan_determinismE0ELb0ELb0ES3_N6thrust23THRUST_200600_302600_NS6detail15normal_iteratorINS9_7pointerIhNS9_11hip_rocprim5par_tENS9_11use_defaultESF_EEEENSB_INSC_IjSE_SF_SF_EEEEhNS9_4plusIvEEhEEDaPvRmT3_T4_T5_mT6_P12ihipStream_tbENKUlT_T0_E_clISt17integral_constantIbLb0EESZ_EEDaSU_SV_EUlSU_E0_NS1_11comp_targetILNS1_3genE9ELNS1_11target_archE1100ELNS1_3gpuE3ELNS1_3repE0EEENS1_30default_config_static_selectorELNS0_4arch9wavefront6targetE0EEEvT1_, .Lfunc_end128-_ZN7rocprim17ROCPRIM_400000_NS6detail17trampoline_kernelINS0_14default_configENS1_20scan_config_selectorIhEEZZNS1_9scan_implILNS1_25lookback_scan_determinismE0ELb0ELb0ES3_N6thrust23THRUST_200600_302600_NS6detail15normal_iteratorINS9_7pointerIhNS9_11hip_rocprim5par_tENS9_11use_defaultESF_EEEENSB_INSC_IjSE_SF_SF_EEEEhNS9_4plusIvEEhEEDaPvRmT3_T4_T5_mT6_P12ihipStream_tbENKUlT_T0_E_clISt17integral_constantIbLb0EESZ_EEDaSU_SV_EUlSU_E0_NS1_11comp_targetILNS1_3genE9ELNS1_11target_archE1100ELNS1_3gpuE3ELNS1_3repE0EEENS1_30default_config_static_selectorELNS0_4arch9wavefront6targetE0EEEvT1_
                                        ; -- End function
	.section	.AMDGPU.csdata,"",@progbits
; Kernel info:
; codeLenInByte = 4484
; NumSgprs: 34
; NumVgprs: 54
; ScratchSize: 0
; MemoryBound: 0
; FloatMode: 240
; IeeeMode: 1
; LDSByteSize: 6144 bytes/workgroup (compile time only)
; SGPRBlocks: 4
; VGPRBlocks: 6
; NumSGPRsForWavesPerEU: 34
; NumVGPRsForWavesPerEU: 54
; Occupancy: 16
; WaveLimiterHint : 0
; COMPUTE_PGM_RSRC2:SCRATCH_EN: 0
; COMPUTE_PGM_RSRC2:USER_SGPR: 15
; COMPUTE_PGM_RSRC2:TRAP_HANDLER: 0
; COMPUTE_PGM_RSRC2:TGID_X_EN: 1
; COMPUTE_PGM_RSRC2:TGID_Y_EN: 0
; COMPUTE_PGM_RSRC2:TGID_Z_EN: 0
; COMPUTE_PGM_RSRC2:TIDIG_COMP_CNT: 0
	.section	.text._ZN7rocprim17ROCPRIM_400000_NS6detail17trampoline_kernelINS0_14default_configENS1_20scan_config_selectorIhEEZZNS1_9scan_implILNS1_25lookback_scan_determinismE0ELb0ELb0ES3_N6thrust23THRUST_200600_302600_NS6detail15normal_iteratorINS9_7pointerIhNS9_11hip_rocprim5par_tENS9_11use_defaultESF_EEEENSB_INSC_IjSE_SF_SF_EEEEhNS9_4plusIvEEhEEDaPvRmT3_T4_T5_mT6_P12ihipStream_tbENKUlT_T0_E_clISt17integral_constantIbLb0EESZ_EEDaSU_SV_EUlSU_E0_NS1_11comp_targetILNS1_3genE8ELNS1_11target_archE1030ELNS1_3gpuE2ELNS1_3repE0EEENS1_30default_config_static_selectorELNS0_4arch9wavefront6targetE0EEEvT1_,"axG",@progbits,_ZN7rocprim17ROCPRIM_400000_NS6detail17trampoline_kernelINS0_14default_configENS1_20scan_config_selectorIhEEZZNS1_9scan_implILNS1_25lookback_scan_determinismE0ELb0ELb0ES3_N6thrust23THRUST_200600_302600_NS6detail15normal_iteratorINS9_7pointerIhNS9_11hip_rocprim5par_tENS9_11use_defaultESF_EEEENSB_INSC_IjSE_SF_SF_EEEEhNS9_4plusIvEEhEEDaPvRmT3_T4_T5_mT6_P12ihipStream_tbENKUlT_T0_E_clISt17integral_constantIbLb0EESZ_EEDaSU_SV_EUlSU_E0_NS1_11comp_targetILNS1_3genE8ELNS1_11target_archE1030ELNS1_3gpuE2ELNS1_3repE0EEENS1_30default_config_static_selectorELNS0_4arch9wavefront6targetE0EEEvT1_,comdat
	.protected	_ZN7rocprim17ROCPRIM_400000_NS6detail17trampoline_kernelINS0_14default_configENS1_20scan_config_selectorIhEEZZNS1_9scan_implILNS1_25lookback_scan_determinismE0ELb0ELb0ES3_N6thrust23THRUST_200600_302600_NS6detail15normal_iteratorINS9_7pointerIhNS9_11hip_rocprim5par_tENS9_11use_defaultESF_EEEENSB_INSC_IjSE_SF_SF_EEEEhNS9_4plusIvEEhEEDaPvRmT3_T4_T5_mT6_P12ihipStream_tbENKUlT_T0_E_clISt17integral_constantIbLb0EESZ_EEDaSU_SV_EUlSU_E0_NS1_11comp_targetILNS1_3genE8ELNS1_11target_archE1030ELNS1_3gpuE2ELNS1_3repE0EEENS1_30default_config_static_selectorELNS0_4arch9wavefront6targetE0EEEvT1_ ; -- Begin function _ZN7rocprim17ROCPRIM_400000_NS6detail17trampoline_kernelINS0_14default_configENS1_20scan_config_selectorIhEEZZNS1_9scan_implILNS1_25lookback_scan_determinismE0ELb0ELb0ES3_N6thrust23THRUST_200600_302600_NS6detail15normal_iteratorINS9_7pointerIhNS9_11hip_rocprim5par_tENS9_11use_defaultESF_EEEENSB_INSC_IjSE_SF_SF_EEEEhNS9_4plusIvEEhEEDaPvRmT3_T4_T5_mT6_P12ihipStream_tbENKUlT_T0_E_clISt17integral_constantIbLb0EESZ_EEDaSU_SV_EUlSU_E0_NS1_11comp_targetILNS1_3genE8ELNS1_11target_archE1030ELNS1_3gpuE2ELNS1_3repE0EEENS1_30default_config_static_selectorELNS0_4arch9wavefront6targetE0EEEvT1_
	.globl	_ZN7rocprim17ROCPRIM_400000_NS6detail17trampoline_kernelINS0_14default_configENS1_20scan_config_selectorIhEEZZNS1_9scan_implILNS1_25lookback_scan_determinismE0ELb0ELb0ES3_N6thrust23THRUST_200600_302600_NS6detail15normal_iteratorINS9_7pointerIhNS9_11hip_rocprim5par_tENS9_11use_defaultESF_EEEENSB_INSC_IjSE_SF_SF_EEEEhNS9_4plusIvEEhEEDaPvRmT3_T4_T5_mT6_P12ihipStream_tbENKUlT_T0_E_clISt17integral_constantIbLb0EESZ_EEDaSU_SV_EUlSU_E0_NS1_11comp_targetILNS1_3genE8ELNS1_11target_archE1030ELNS1_3gpuE2ELNS1_3repE0EEENS1_30default_config_static_selectorELNS0_4arch9wavefront6targetE0EEEvT1_
	.p2align	8
	.type	_ZN7rocprim17ROCPRIM_400000_NS6detail17trampoline_kernelINS0_14default_configENS1_20scan_config_selectorIhEEZZNS1_9scan_implILNS1_25lookback_scan_determinismE0ELb0ELb0ES3_N6thrust23THRUST_200600_302600_NS6detail15normal_iteratorINS9_7pointerIhNS9_11hip_rocprim5par_tENS9_11use_defaultESF_EEEENSB_INSC_IjSE_SF_SF_EEEEhNS9_4plusIvEEhEEDaPvRmT3_T4_T5_mT6_P12ihipStream_tbENKUlT_T0_E_clISt17integral_constantIbLb0EESZ_EEDaSU_SV_EUlSU_E0_NS1_11comp_targetILNS1_3genE8ELNS1_11target_archE1030ELNS1_3gpuE2ELNS1_3repE0EEENS1_30default_config_static_selectorELNS0_4arch9wavefront6targetE0EEEvT1_,@function
_ZN7rocprim17ROCPRIM_400000_NS6detail17trampoline_kernelINS0_14default_configENS1_20scan_config_selectorIhEEZZNS1_9scan_implILNS1_25lookback_scan_determinismE0ELb0ELb0ES3_N6thrust23THRUST_200600_302600_NS6detail15normal_iteratorINS9_7pointerIhNS9_11hip_rocprim5par_tENS9_11use_defaultESF_EEEENSB_INSC_IjSE_SF_SF_EEEEhNS9_4plusIvEEhEEDaPvRmT3_T4_T5_mT6_P12ihipStream_tbENKUlT_T0_E_clISt17integral_constantIbLb0EESZ_EEDaSU_SV_EUlSU_E0_NS1_11comp_targetILNS1_3genE8ELNS1_11target_archE1030ELNS1_3gpuE2ELNS1_3repE0EEENS1_30default_config_static_selectorELNS0_4arch9wavefront6targetE0EEEvT1_: ; @_ZN7rocprim17ROCPRIM_400000_NS6detail17trampoline_kernelINS0_14default_configENS1_20scan_config_selectorIhEEZZNS1_9scan_implILNS1_25lookback_scan_determinismE0ELb0ELb0ES3_N6thrust23THRUST_200600_302600_NS6detail15normal_iteratorINS9_7pointerIhNS9_11hip_rocprim5par_tENS9_11use_defaultESF_EEEENSB_INSC_IjSE_SF_SF_EEEEhNS9_4plusIvEEhEEDaPvRmT3_T4_T5_mT6_P12ihipStream_tbENKUlT_T0_E_clISt17integral_constantIbLb0EESZ_EEDaSU_SV_EUlSU_E0_NS1_11comp_targetILNS1_3genE8ELNS1_11target_archE1030ELNS1_3gpuE2ELNS1_3repE0EEENS1_30default_config_static_selectorELNS0_4arch9wavefront6targetE0EEEvT1_
; %bb.0:
	.section	.rodata,"a",@progbits
	.p2align	6, 0x0
	.amdhsa_kernel _ZN7rocprim17ROCPRIM_400000_NS6detail17trampoline_kernelINS0_14default_configENS1_20scan_config_selectorIhEEZZNS1_9scan_implILNS1_25lookback_scan_determinismE0ELb0ELb0ES3_N6thrust23THRUST_200600_302600_NS6detail15normal_iteratorINS9_7pointerIhNS9_11hip_rocprim5par_tENS9_11use_defaultESF_EEEENSB_INSC_IjSE_SF_SF_EEEEhNS9_4plusIvEEhEEDaPvRmT3_T4_T5_mT6_P12ihipStream_tbENKUlT_T0_E_clISt17integral_constantIbLb0EESZ_EEDaSU_SV_EUlSU_E0_NS1_11comp_targetILNS1_3genE8ELNS1_11target_archE1030ELNS1_3gpuE2ELNS1_3repE0EEENS1_30default_config_static_selectorELNS0_4arch9wavefront6targetE0EEEvT1_
		.amdhsa_group_segment_fixed_size 0
		.amdhsa_private_segment_fixed_size 0
		.amdhsa_kernarg_size 32
		.amdhsa_user_sgpr_count 15
		.amdhsa_user_sgpr_dispatch_ptr 0
		.amdhsa_user_sgpr_queue_ptr 0
		.amdhsa_user_sgpr_kernarg_segment_ptr 1
		.amdhsa_user_sgpr_dispatch_id 0
		.amdhsa_user_sgpr_private_segment_size 0
		.amdhsa_wavefront_size32 1
		.amdhsa_uses_dynamic_stack 0
		.amdhsa_enable_private_segment 0
		.amdhsa_system_sgpr_workgroup_id_x 1
		.amdhsa_system_sgpr_workgroup_id_y 0
		.amdhsa_system_sgpr_workgroup_id_z 0
		.amdhsa_system_sgpr_workgroup_info 0
		.amdhsa_system_vgpr_workitem_id 0
		.amdhsa_next_free_vgpr 1
		.amdhsa_next_free_sgpr 1
		.amdhsa_reserve_vcc 0
		.amdhsa_float_round_mode_32 0
		.amdhsa_float_round_mode_16_64 0
		.amdhsa_float_denorm_mode_32 3
		.amdhsa_float_denorm_mode_16_64 3
		.amdhsa_dx10_clamp 1
		.amdhsa_ieee_mode 1
		.amdhsa_fp16_overflow 0
		.amdhsa_workgroup_processor_mode 1
		.amdhsa_memory_ordered 1
		.amdhsa_forward_progress 0
		.amdhsa_shared_vgpr_count 0
		.amdhsa_exception_fp_ieee_invalid_op 0
		.amdhsa_exception_fp_denorm_src 0
		.amdhsa_exception_fp_ieee_div_zero 0
		.amdhsa_exception_fp_ieee_overflow 0
		.amdhsa_exception_fp_ieee_underflow 0
		.amdhsa_exception_fp_ieee_inexact 0
		.amdhsa_exception_int_div_zero 0
	.end_amdhsa_kernel
	.section	.text._ZN7rocprim17ROCPRIM_400000_NS6detail17trampoline_kernelINS0_14default_configENS1_20scan_config_selectorIhEEZZNS1_9scan_implILNS1_25lookback_scan_determinismE0ELb0ELb0ES3_N6thrust23THRUST_200600_302600_NS6detail15normal_iteratorINS9_7pointerIhNS9_11hip_rocprim5par_tENS9_11use_defaultESF_EEEENSB_INSC_IjSE_SF_SF_EEEEhNS9_4plusIvEEhEEDaPvRmT3_T4_T5_mT6_P12ihipStream_tbENKUlT_T0_E_clISt17integral_constantIbLb0EESZ_EEDaSU_SV_EUlSU_E0_NS1_11comp_targetILNS1_3genE8ELNS1_11target_archE1030ELNS1_3gpuE2ELNS1_3repE0EEENS1_30default_config_static_selectorELNS0_4arch9wavefront6targetE0EEEvT1_,"axG",@progbits,_ZN7rocprim17ROCPRIM_400000_NS6detail17trampoline_kernelINS0_14default_configENS1_20scan_config_selectorIhEEZZNS1_9scan_implILNS1_25lookback_scan_determinismE0ELb0ELb0ES3_N6thrust23THRUST_200600_302600_NS6detail15normal_iteratorINS9_7pointerIhNS9_11hip_rocprim5par_tENS9_11use_defaultESF_EEEENSB_INSC_IjSE_SF_SF_EEEEhNS9_4plusIvEEhEEDaPvRmT3_T4_T5_mT6_P12ihipStream_tbENKUlT_T0_E_clISt17integral_constantIbLb0EESZ_EEDaSU_SV_EUlSU_E0_NS1_11comp_targetILNS1_3genE8ELNS1_11target_archE1030ELNS1_3gpuE2ELNS1_3repE0EEENS1_30default_config_static_selectorELNS0_4arch9wavefront6targetE0EEEvT1_,comdat
.Lfunc_end129:
	.size	_ZN7rocprim17ROCPRIM_400000_NS6detail17trampoline_kernelINS0_14default_configENS1_20scan_config_selectorIhEEZZNS1_9scan_implILNS1_25lookback_scan_determinismE0ELb0ELb0ES3_N6thrust23THRUST_200600_302600_NS6detail15normal_iteratorINS9_7pointerIhNS9_11hip_rocprim5par_tENS9_11use_defaultESF_EEEENSB_INSC_IjSE_SF_SF_EEEEhNS9_4plusIvEEhEEDaPvRmT3_T4_T5_mT6_P12ihipStream_tbENKUlT_T0_E_clISt17integral_constantIbLb0EESZ_EEDaSU_SV_EUlSU_E0_NS1_11comp_targetILNS1_3genE8ELNS1_11target_archE1030ELNS1_3gpuE2ELNS1_3repE0EEENS1_30default_config_static_selectorELNS0_4arch9wavefront6targetE0EEEvT1_, .Lfunc_end129-_ZN7rocprim17ROCPRIM_400000_NS6detail17trampoline_kernelINS0_14default_configENS1_20scan_config_selectorIhEEZZNS1_9scan_implILNS1_25lookback_scan_determinismE0ELb0ELb0ES3_N6thrust23THRUST_200600_302600_NS6detail15normal_iteratorINS9_7pointerIhNS9_11hip_rocprim5par_tENS9_11use_defaultESF_EEEENSB_INSC_IjSE_SF_SF_EEEEhNS9_4plusIvEEhEEDaPvRmT3_T4_T5_mT6_P12ihipStream_tbENKUlT_T0_E_clISt17integral_constantIbLb0EESZ_EEDaSU_SV_EUlSU_E0_NS1_11comp_targetILNS1_3genE8ELNS1_11target_archE1030ELNS1_3gpuE2ELNS1_3repE0EEENS1_30default_config_static_selectorELNS0_4arch9wavefront6targetE0EEEvT1_
                                        ; -- End function
	.section	.AMDGPU.csdata,"",@progbits
; Kernel info:
; codeLenInByte = 0
; NumSgprs: 0
; NumVgprs: 0
; ScratchSize: 0
; MemoryBound: 0
; FloatMode: 240
; IeeeMode: 1
; LDSByteSize: 0 bytes/workgroup (compile time only)
; SGPRBlocks: 0
; VGPRBlocks: 0
; NumSGPRsForWavesPerEU: 1
; NumVGPRsForWavesPerEU: 1
; Occupancy: 16
; WaveLimiterHint : 0
; COMPUTE_PGM_RSRC2:SCRATCH_EN: 0
; COMPUTE_PGM_RSRC2:USER_SGPR: 15
; COMPUTE_PGM_RSRC2:TRAP_HANDLER: 0
; COMPUTE_PGM_RSRC2:TGID_X_EN: 1
; COMPUTE_PGM_RSRC2:TGID_Y_EN: 0
; COMPUTE_PGM_RSRC2:TGID_Z_EN: 0
; COMPUTE_PGM_RSRC2:TIDIG_COMP_CNT: 0
	.section	.text._ZN7rocprim17ROCPRIM_400000_NS6detail31init_lookback_scan_state_kernelINS1_19lookback_scan_stateIhLb1ELb1EEENS1_16block_id_wrapperIjLb1EEEEEvT_jT0_jPNS7_10value_typeE,"axG",@progbits,_ZN7rocprim17ROCPRIM_400000_NS6detail31init_lookback_scan_state_kernelINS1_19lookback_scan_stateIhLb1ELb1EEENS1_16block_id_wrapperIjLb1EEEEEvT_jT0_jPNS7_10value_typeE,comdat
	.protected	_ZN7rocprim17ROCPRIM_400000_NS6detail31init_lookback_scan_state_kernelINS1_19lookback_scan_stateIhLb1ELb1EEENS1_16block_id_wrapperIjLb1EEEEEvT_jT0_jPNS7_10value_typeE ; -- Begin function _ZN7rocprim17ROCPRIM_400000_NS6detail31init_lookback_scan_state_kernelINS1_19lookback_scan_stateIhLb1ELb1EEENS1_16block_id_wrapperIjLb1EEEEEvT_jT0_jPNS7_10value_typeE
	.globl	_ZN7rocprim17ROCPRIM_400000_NS6detail31init_lookback_scan_state_kernelINS1_19lookback_scan_stateIhLb1ELb1EEENS1_16block_id_wrapperIjLb1EEEEEvT_jT0_jPNS7_10value_typeE
	.p2align	8
	.type	_ZN7rocprim17ROCPRIM_400000_NS6detail31init_lookback_scan_state_kernelINS1_19lookback_scan_stateIhLb1ELb1EEENS1_16block_id_wrapperIjLb1EEEEEvT_jT0_jPNS7_10value_typeE,@function
_ZN7rocprim17ROCPRIM_400000_NS6detail31init_lookback_scan_state_kernelINS1_19lookback_scan_stateIhLb1ELb1EEENS1_16block_id_wrapperIjLb1EEEEEvT_jT0_jPNS7_10value_typeE: ; @_ZN7rocprim17ROCPRIM_400000_NS6detail31init_lookback_scan_state_kernelINS1_19lookback_scan_stateIhLb1ELb1EEENS1_16block_id_wrapperIjLb1EEEEEvT_jT0_jPNS7_10value_typeE
; %bb.0:
	s_clause 0x3
	s_load_b32 s6, s[0:1], 0x34
	s_load_b64 s[4:5], s[0:1], 0x20
	s_load_b64 s[2:3], s[0:1], 0x0
	s_load_b32 s8, s[0:1], 0x8
	s_waitcnt lgkmcnt(0)
	s_and_b32 s6, s6, 0xffff
	s_cmp_eq_u64 s[4:5], 0
	v_mad_u64_u32 v[1:2], null, s15, s6, v[0:1]
	s_cbranch_scc1 .LBB130_8
; %bb.1:
	s_load_b32 s6, s[0:1], 0x18
	s_waitcnt lgkmcnt(0)
	s_cmp_lt_u32 s6, s8
	s_cselect_b32 s7, s6, 0
	s_delay_alu instid0(VALU_DEP_1) | instid1(SALU_CYCLE_1)
	v_cmp_eq_u32_e32 vcc_lo, s7, v1
	s_mov_b32 s7, 0
	s_and_saveexec_b32 s9, vcc_lo
	s_cbranch_execz .LBB130_7
; %bb.2:
	s_add_i32 s6, s6, 32
	v_mov_b32_e32 v0, 0
	s_lshl_b64 s[6:7], s[6:7], 1
	s_mov_b32 s10, 1
	s_add_u32 s6, s2, s6
	s_addc_u32 s7, s3, s7
	global_load_u16 v2, v0, s[6:7] glc
	s_waitcnt vmcnt(0)
	v_cmp_lt_u16_e32 vcc_lo, 0xff, v2
	s_cbranch_vccnz .LBB130_6
.LBB130_3:                              ; =>This Loop Header: Depth=1
                                        ;     Child Loop BB130_4 Depth 2
	s_max_u32 s11, s10, 1
.LBB130_4:                              ;   Parent Loop BB130_3 Depth=1
                                        ; =>  This Inner Loop Header: Depth=2
	s_delay_alu instid0(SALU_CYCLE_1)
	s_add_i32 s11, s11, -1
	s_sleep 1
	s_cmp_eq_u32 s11, 0
	s_cbranch_scc0 .LBB130_4
; %bb.5:                                ;   in Loop: Header=BB130_3 Depth=1
	global_load_u16 v2, v0, s[6:7] glc
	s_cmp_lt_u32 s10, 32
	s_cselect_b32 s11, -1, 0
	s_delay_alu instid0(SALU_CYCLE_1)
	s_cmp_lg_u32 s11, 0
	s_addc_u32 s10, s10, 0
	s_waitcnt vmcnt(0)
	v_cmp_lt_u16_e32 vcc_lo, 0xff, v2
	s_cbranch_vccz .LBB130_3
.LBB130_6:
	v_mov_b32_e32 v0, 0
	global_store_b8 v0, v2, s[4:5]
.LBB130_7:
	s_or_b32 exec_lo, exec_lo, s9
.LBB130_8:
	s_delay_alu instid0(SALU_CYCLE_1) | instskip(NEXT) | instid1(VALU_DEP_1)
	s_mov_b32 s4, exec_lo
	v_cmpx_eq_u32_e32 0, v1
	s_cbranch_execz .LBB130_10
; %bb.9:
	s_load_b64 s[0:1], s[0:1], 0x10
	v_mov_b32_e32 v0, 0
	s_waitcnt lgkmcnt(0)
	global_store_b32 v0, v0, s[0:1]
.LBB130_10:
	s_or_b32 exec_lo, exec_lo, s4
	s_delay_alu instid0(SALU_CYCLE_1)
	s_mov_b32 s0, exec_lo
	v_cmpx_gt_u32_e64 s8, v1
	s_cbranch_execz .LBB130_12
; %bb.11:
	v_dual_mov_b32 v3, 0 :: v_dual_add_nc_u32 v2, 32, v1
	s_delay_alu instid0(VALU_DEP_1) | instskip(NEXT) | instid1(VALU_DEP_1)
	v_lshlrev_b64 v[4:5], 1, v[2:3]
	v_add_co_u32 v4, vcc_lo, s2, v4
	s_delay_alu instid0(VALU_DEP_2)
	v_add_co_ci_u32_e32 v5, vcc_lo, s3, v5, vcc_lo
	global_store_b16 v[4:5], v3, off
.LBB130_12:
	s_or_b32 exec_lo, exec_lo, s0
	s_delay_alu instid0(SALU_CYCLE_1)
	s_mov_b32 s0, exec_lo
	v_cmpx_gt_u32_e32 32, v1
	s_cbranch_execz .LBB130_14
; %bb.13:
	v_mov_b32_e32 v2, 0
	s_delay_alu instid0(VALU_DEP_1) | instskip(SKIP_1) | instid1(VALU_DEP_2)
	v_lshlrev_b64 v[0:1], 1, v[1:2]
	v_mov_b32_e32 v2, 0xffffff00
	v_add_co_u32 v0, vcc_lo, s2, v0
	s_delay_alu instid0(VALU_DEP_3)
	v_add_co_ci_u32_e32 v1, vcc_lo, s3, v1, vcc_lo
	global_store_b16 v[0:1], v2, off
.LBB130_14:
	s_nop 0
	s_sendmsg sendmsg(MSG_DEALLOC_VGPRS)
	s_endpgm
	.section	.rodata,"a",@progbits
	.p2align	6, 0x0
	.amdhsa_kernel _ZN7rocprim17ROCPRIM_400000_NS6detail31init_lookback_scan_state_kernelINS1_19lookback_scan_stateIhLb1ELb1EEENS1_16block_id_wrapperIjLb1EEEEEvT_jT0_jPNS7_10value_typeE
		.amdhsa_group_segment_fixed_size 0
		.amdhsa_private_segment_fixed_size 0
		.amdhsa_kernarg_size 296
		.amdhsa_user_sgpr_count 15
		.amdhsa_user_sgpr_dispatch_ptr 0
		.amdhsa_user_sgpr_queue_ptr 0
		.amdhsa_user_sgpr_kernarg_segment_ptr 1
		.amdhsa_user_sgpr_dispatch_id 0
		.amdhsa_user_sgpr_private_segment_size 0
		.amdhsa_wavefront_size32 1
		.amdhsa_uses_dynamic_stack 0
		.amdhsa_enable_private_segment 0
		.amdhsa_system_sgpr_workgroup_id_x 1
		.amdhsa_system_sgpr_workgroup_id_y 0
		.amdhsa_system_sgpr_workgroup_id_z 0
		.amdhsa_system_sgpr_workgroup_info 0
		.amdhsa_system_vgpr_workitem_id 0
		.amdhsa_next_free_vgpr 6
		.amdhsa_next_free_sgpr 16
		.amdhsa_reserve_vcc 1
		.amdhsa_float_round_mode_32 0
		.amdhsa_float_round_mode_16_64 0
		.amdhsa_float_denorm_mode_32 3
		.amdhsa_float_denorm_mode_16_64 3
		.amdhsa_dx10_clamp 1
		.amdhsa_ieee_mode 1
		.amdhsa_fp16_overflow 0
		.amdhsa_workgroup_processor_mode 1
		.amdhsa_memory_ordered 1
		.amdhsa_forward_progress 0
		.amdhsa_shared_vgpr_count 0
		.amdhsa_exception_fp_ieee_invalid_op 0
		.amdhsa_exception_fp_denorm_src 0
		.amdhsa_exception_fp_ieee_div_zero 0
		.amdhsa_exception_fp_ieee_overflow 0
		.amdhsa_exception_fp_ieee_underflow 0
		.amdhsa_exception_fp_ieee_inexact 0
		.amdhsa_exception_int_div_zero 0
	.end_amdhsa_kernel
	.section	.text._ZN7rocprim17ROCPRIM_400000_NS6detail31init_lookback_scan_state_kernelINS1_19lookback_scan_stateIhLb1ELb1EEENS1_16block_id_wrapperIjLb1EEEEEvT_jT0_jPNS7_10value_typeE,"axG",@progbits,_ZN7rocprim17ROCPRIM_400000_NS6detail31init_lookback_scan_state_kernelINS1_19lookback_scan_stateIhLb1ELb1EEENS1_16block_id_wrapperIjLb1EEEEEvT_jT0_jPNS7_10value_typeE,comdat
.Lfunc_end130:
	.size	_ZN7rocprim17ROCPRIM_400000_NS6detail31init_lookback_scan_state_kernelINS1_19lookback_scan_stateIhLb1ELb1EEENS1_16block_id_wrapperIjLb1EEEEEvT_jT0_jPNS7_10value_typeE, .Lfunc_end130-_ZN7rocprim17ROCPRIM_400000_NS6detail31init_lookback_scan_state_kernelINS1_19lookback_scan_stateIhLb1ELb1EEENS1_16block_id_wrapperIjLb1EEEEEvT_jT0_jPNS7_10value_typeE
                                        ; -- End function
	.section	.AMDGPU.csdata,"",@progbits
; Kernel info:
; codeLenInByte = 424
; NumSgprs: 18
; NumVgprs: 6
; ScratchSize: 0
; MemoryBound: 0
; FloatMode: 240
; IeeeMode: 1
; LDSByteSize: 0 bytes/workgroup (compile time only)
; SGPRBlocks: 2
; VGPRBlocks: 0
; NumSGPRsForWavesPerEU: 18
; NumVGPRsForWavesPerEU: 6
; Occupancy: 16
; WaveLimiterHint : 0
; COMPUTE_PGM_RSRC2:SCRATCH_EN: 0
; COMPUTE_PGM_RSRC2:USER_SGPR: 15
; COMPUTE_PGM_RSRC2:TRAP_HANDLER: 0
; COMPUTE_PGM_RSRC2:TGID_X_EN: 1
; COMPUTE_PGM_RSRC2:TGID_Y_EN: 0
; COMPUTE_PGM_RSRC2:TGID_Z_EN: 0
; COMPUTE_PGM_RSRC2:TIDIG_COMP_CNT: 0
	.section	.text._ZN7rocprim17ROCPRIM_400000_NS6detail17trampoline_kernelINS0_14default_configENS1_20scan_config_selectorIhEEZZNS1_9scan_implILNS1_25lookback_scan_determinismE0ELb0ELb0ES3_N6thrust23THRUST_200600_302600_NS6detail15normal_iteratorINS9_7pointerIhNS9_11hip_rocprim5par_tENS9_11use_defaultESF_EEEENSB_INSC_IjSE_SF_SF_EEEEhNS9_4plusIvEEhEEDaPvRmT3_T4_T5_mT6_P12ihipStream_tbENKUlT_T0_E_clISt17integral_constantIbLb1EESZ_EEDaSU_SV_EUlSU_E_NS1_11comp_targetILNS1_3genE0ELNS1_11target_archE4294967295ELNS1_3gpuE0ELNS1_3repE0EEENS1_30default_config_static_selectorELNS0_4arch9wavefront6targetE0EEEvT1_,"axG",@progbits,_ZN7rocprim17ROCPRIM_400000_NS6detail17trampoline_kernelINS0_14default_configENS1_20scan_config_selectorIhEEZZNS1_9scan_implILNS1_25lookback_scan_determinismE0ELb0ELb0ES3_N6thrust23THRUST_200600_302600_NS6detail15normal_iteratorINS9_7pointerIhNS9_11hip_rocprim5par_tENS9_11use_defaultESF_EEEENSB_INSC_IjSE_SF_SF_EEEEhNS9_4plusIvEEhEEDaPvRmT3_T4_T5_mT6_P12ihipStream_tbENKUlT_T0_E_clISt17integral_constantIbLb1EESZ_EEDaSU_SV_EUlSU_E_NS1_11comp_targetILNS1_3genE0ELNS1_11target_archE4294967295ELNS1_3gpuE0ELNS1_3repE0EEENS1_30default_config_static_selectorELNS0_4arch9wavefront6targetE0EEEvT1_,comdat
	.protected	_ZN7rocprim17ROCPRIM_400000_NS6detail17trampoline_kernelINS0_14default_configENS1_20scan_config_selectorIhEEZZNS1_9scan_implILNS1_25lookback_scan_determinismE0ELb0ELb0ES3_N6thrust23THRUST_200600_302600_NS6detail15normal_iteratorINS9_7pointerIhNS9_11hip_rocprim5par_tENS9_11use_defaultESF_EEEENSB_INSC_IjSE_SF_SF_EEEEhNS9_4plusIvEEhEEDaPvRmT3_T4_T5_mT6_P12ihipStream_tbENKUlT_T0_E_clISt17integral_constantIbLb1EESZ_EEDaSU_SV_EUlSU_E_NS1_11comp_targetILNS1_3genE0ELNS1_11target_archE4294967295ELNS1_3gpuE0ELNS1_3repE0EEENS1_30default_config_static_selectorELNS0_4arch9wavefront6targetE0EEEvT1_ ; -- Begin function _ZN7rocprim17ROCPRIM_400000_NS6detail17trampoline_kernelINS0_14default_configENS1_20scan_config_selectorIhEEZZNS1_9scan_implILNS1_25lookback_scan_determinismE0ELb0ELb0ES3_N6thrust23THRUST_200600_302600_NS6detail15normal_iteratorINS9_7pointerIhNS9_11hip_rocprim5par_tENS9_11use_defaultESF_EEEENSB_INSC_IjSE_SF_SF_EEEEhNS9_4plusIvEEhEEDaPvRmT3_T4_T5_mT6_P12ihipStream_tbENKUlT_T0_E_clISt17integral_constantIbLb1EESZ_EEDaSU_SV_EUlSU_E_NS1_11comp_targetILNS1_3genE0ELNS1_11target_archE4294967295ELNS1_3gpuE0ELNS1_3repE0EEENS1_30default_config_static_selectorELNS0_4arch9wavefront6targetE0EEEvT1_
	.globl	_ZN7rocprim17ROCPRIM_400000_NS6detail17trampoline_kernelINS0_14default_configENS1_20scan_config_selectorIhEEZZNS1_9scan_implILNS1_25lookback_scan_determinismE0ELb0ELb0ES3_N6thrust23THRUST_200600_302600_NS6detail15normal_iteratorINS9_7pointerIhNS9_11hip_rocprim5par_tENS9_11use_defaultESF_EEEENSB_INSC_IjSE_SF_SF_EEEEhNS9_4plusIvEEhEEDaPvRmT3_T4_T5_mT6_P12ihipStream_tbENKUlT_T0_E_clISt17integral_constantIbLb1EESZ_EEDaSU_SV_EUlSU_E_NS1_11comp_targetILNS1_3genE0ELNS1_11target_archE4294967295ELNS1_3gpuE0ELNS1_3repE0EEENS1_30default_config_static_selectorELNS0_4arch9wavefront6targetE0EEEvT1_
	.p2align	8
	.type	_ZN7rocprim17ROCPRIM_400000_NS6detail17trampoline_kernelINS0_14default_configENS1_20scan_config_selectorIhEEZZNS1_9scan_implILNS1_25lookback_scan_determinismE0ELb0ELb0ES3_N6thrust23THRUST_200600_302600_NS6detail15normal_iteratorINS9_7pointerIhNS9_11hip_rocprim5par_tENS9_11use_defaultESF_EEEENSB_INSC_IjSE_SF_SF_EEEEhNS9_4plusIvEEhEEDaPvRmT3_T4_T5_mT6_P12ihipStream_tbENKUlT_T0_E_clISt17integral_constantIbLb1EESZ_EEDaSU_SV_EUlSU_E_NS1_11comp_targetILNS1_3genE0ELNS1_11target_archE4294967295ELNS1_3gpuE0ELNS1_3repE0EEENS1_30default_config_static_selectorELNS0_4arch9wavefront6targetE0EEEvT1_,@function
_ZN7rocprim17ROCPRIM_400000_NS6detail17trampoline_kernelINS0_14default_configENS1_20scan_config_selectorIhEEZZNS1_9scan_implILNS1_25lookback_scan_determinismE0ELb0ELb0ES3_N6thrust23THRUST_200600_302600_NS6detail15normal_iteratorINS9_7pointerIhNS9_11hip_rocprim5par_tENS9_11use_defaultESF_EEEENSB_INSC_IjSE_SF_SF_EEEEhNS9_4plusIvEEhEEDaPvRmT3_T4_T5_mT6_P12ihipStream_tbENKUlT_T0_E_clISt17integral_constantIbLb1EESZ_EEDaSU_SV_EUlSU_E_NS1_11comp_targetILNS1_3genE0ELNS1_11target_archE4294967295ELNS1_3gpuE0ELNS1_3repE0EEENS1_30default_config_static_selectorELNS0_4arch9wavefront6targetE0EEEvT1_: ; @_ZN7rocprim17ROCPRIM_400000_NS6detail17trampoline_kernelINS0_14default_configENS1_20scan_config_selectorIhEEZZNS1_9scan_implILNS1_25lookback_scan_determinismE0ELb0ELb0ES3_N6thrust23THRUST_200600_302600_NS6detail15normal_iteratorINS9_7pointerIhNS9_11hip_rocprim5par_tENS9_11use_defaultESF_EEEENSB_INSC_IjSE_SF_SF_EEEEhNS9_4plusIvEEhEEDaPvRmT3_T4_T5_mT6_P12ihipStream_tbENKUlT_T0_E_clISt17integral_constantIbLb1EESZ_EEDaSU_SV_EUlSU_E_NS1_11comp_targetILNS1_3genE0ELNS1_11target_archE4294967295ELNS1_3gpuE0ELNS1_3repE0EEENS1_30default_config_static_selectorELNS0_4arch9wavefront6targetE0EEEvT1_
; %bb.0:
	.section	.rodata,"a",@progbits
	.p2align	6, 0x0
	.amdhsa_kernel _ZN7rocprim17ROCPRIM_400000_NS6detail17trampoline_kernelINS0_14default_configENS1_20scan_config_selectorIhEEZZNS1_9scan_implILNS1_25lookback_scan_determinismE0ELb0ELb0ES3_N6thrust23THRUST_200600_302600_NS6detail15normal_iteratorINS9_7pointerIhNS9_11hip_rocprim5par_tENS9_11use_defaultESF_EEEENSB_INSC_IjSE_SF_SF_EEEEhNS9_4plusIvEEhEEDaPvRmT3_T4_T5_mT6_P12ihipStream_tbENKUlT_T0_E_clISt17integral_constantIbLb1EESZ_EEDaSU_SV_EUlSU_E_NS1_11comp_targetILNS1_3genE0ELNS1_11target_archE4294967295ELNS1_3gpuE0ELNS1_3repE0EEENS1_30default_config_static_selectorELNS0_4arch9wavefront6targetE0EEEvT1_
		.amdhsa_group_segment_fixed_size 0
		.amdhsa_private_segment_fixed_size 0
		.amdhsa_kernarg_size 96
		.amdhsa_user_sgpr_count 15
		.amdhsa_user_sgpr_dispatch_ptr 0
		.amdhsa_user_sgpr_queue_ptr 0
		.amdhsa_user_sgpr_kernarg_segment_ptr 1
		.amdhsa_user_sgpr_dispatch_id 0
		.amdhsa_user_sgpr_private_segment_size 0
		.amdhsa_wavefront_size32 1
		.amdhsa_uses_dynamic_stack 0
		.amdhsa_enable_private_segment 0
		.amdhsa_system_sgpr_workgroup_id_x 1
		.amdhsa_system_sgpr_workgroup_id_y 0
		.amdhsa_system_sgpr_workgroup_id_z 0
		.amdhsa_system_sgpr_workgroup_info 0
		.amdhsa_system_vgpr_workitem_id 0
		.amdhsa_next_free_vgpr 1
		.amdhsa_next_free_sgpr 1
		.amdhsa_reserve_vcc 0
		.amdhsa_float_round_mode_32 0
		.amdhsa_float_round_mode_16_64 0
		.amdhsa_float_denorm_mode_32 3
		.amdhsa_float_denorm_mode_16_64 3
		.amdhsa_dx10_clamp 1
		.amdhsa_ieee_mode 1
		.amdhsa_fp16_overflow 0
		.amdhsa_workgroup_processor_mode 1
		.amdhsa_memory_ordered 1
		.amdhsa_forward_progress 0
		.amdhsa_shared_vgpr_count 0
		.amdhsa_exception_fp_ieee_invalid_op 0
		.amdhsa_exception_fp_denorm_src 0
		.amdhsa_exception_fp_ieee_div_zero 0
		.amdhsa_exception_fp_ieee_overflow 0
		.amdhsa_exception_fp_ieee_underflow 0
		.amdhsa_exception_fp_ieee_inexact 0
		.amdhsa_exception_int_div_zero 0
	.end_amdhsa_kernel
	.section	.text._ZN7rocprim17ROCPRIM_400000_NS6detail17trampoline_kernelINS0_14default_configENS1_20scan_config_selectorIhEEZZNS1_9scan_implILNS1_25lookback_scan_determinismE0ELb0ELb0ES3_N6thrust23THRUST_200600_302600_NS6detail15normal_iteratorINS9_7pointerIhNS9_11hip_rocprim5par_tENS9_11use_defaultESF_EEEENSB_INSC_IjSE_SF_SF_EEEEhNS9_4plusIvEEhEEDaPvRmT3_T4_T5_mT6_P12ihipStream_tbENKUlT_T0_E_clISt17integral_constantIbLb1EESZ_EEDaSU_SV_EUlSU_E_NS1_11comp_targetILNS1_3genE0ELNS1_11target_archE4294967295ELNS1_3gpuE0ELNS1_3repE0EEENS1_30default_config_static_selectorELNS0_4arch9wavefront6targetE0EEEvT1_,"axG",@progbits,_ZN7rocprim17ROCPRIM_400000_NS6detail17trampoline_kernelINS0_14default_configENS1_20scan_config_selectorIhEEZZNS1_9scan_implILNS1_25lookback_scan_determinismE0ELb0ELb0ES3_N6thrust23THRUST_200600_302600_NS6detail15normal_iteratorINS9_7pointerIhNS9_11hip_rocprim5par_tENS9_11use_defaultESF_EEEENSB_INSC_IjSE_SF_SF_EEEEhNS9_4plusIvEEhEEDaPvRmT3_T4_T5_mT6_P12ihipStream_tbENKUlT_T0_E_clISt17integral_constantIbLb1EESZ_EEDaSU_SV_EUlSU_E_NS1_11comp_targetILNS1_3genE0ELNS1_11target_archE4294967295ELNS1_3gpuE0ELNS1_3repE0EEENS1_30default_config_static_selectorELNS0_4arch9wavefront6targetE0EEEvT1_,comdat
.Lfunc_end131:
	.size	_ZN7rocprim17ROCPRIM_400000_NS6detail17trampoline_kernelINS0_14default_configENS1_20scan_config_selectorIhEEZZNS1_9scan_implILNS1_25lookback_scan_determinismE0ELb0ELb0ES3_N6thrust23THRUST_200600_302600_NS6detail15normal_iteratorINS9_7pointerIhNS9_11hip_rocprim5par_tENS9_11use_defaultESF_EEEENSB_INSC_IjSE_SF_SF_EEEEhNS9_4plusIvEEhEEDaPvRmT3_T4_T5_mT6_P12ihipStream_tbENKUlT_T0_E_clISt17integral_constantIbLb1EESZ_EEDaSU_SV_EUlSU_E_NS1_11comp_targetILNS1_3genE0ELNS1_11target_archE4294967295ELNS1_3gpuE0ELNS1_3repE0EEENS1_30default_config_static_selectorELNS0_4arch9wavefront6targetE0EEEvT1_, .Lfunc_end131-_ZN7rocprim17ROCPRIM_400000_NS6detail17trampoline_kernelINS0_14default_configENS1_20scan_config_selectorIhEEZZNS1_9scan_implILNS1_25lookback_scan_determinismE0ELb0ELb0ES3_N6thrust23THRUST_200600_302600_NS6detail15normal_iteratorINS9_7pointerIhNS9_11hip_rocprim5par_tENS9_11use_defaultESF_EEEENSB_INSC_IjSE_SF_SF_EEEEhNS9_4plusIvEEhEEDaPvRmT3_T4_T5_mT6_P12ihipStream_tbENKUlT_T0_E_clISt17integral_constantIbLb1EESZ_EEDaSU_SV_EUlSU_E_NS1_11comp_targetILNS1_3genE0ELNS1_11target_archE4294967295ELNS1_3gpuE0ELNS1_3repE0EEENS1_30default_config_static_selectorELNS0_4arch9wavefront6targetE0EEEvT1_
                                        ; -- End function
	.section	.AMDGPU.csdata,"",@progbits
; Kernel info:
; codeLenInByte = 0
; NumSgprs: 0
; NumVgprs: 0
; ScratchSize: 0
; MemoryBound: 0
; FloatMode: 240
; IeeeMode: 1
; LDSByteSize: 0 bytes/workgroup (compile time only)
; SGPRBlocks: 0
; VGPRBlocks: 0
; NumSGPRsForWavesPerEU: 1
; NumVGPRsForWavesPerEU: 1
; Occupancy: 16
; WaveLimiterHint : 0
; COMPUTE_PGM_RSRC2:SCRATCH_EN: 0
; COMPUTE_PGM_RSRC2:USER_SGPR: 15
; COMPUTE_PGM_RSRC2:TRAP_HANDLER: 0
; COMPUTE_PGM_RSRC2:TGID_X_EN: 1
; COMPUTE_PGM_RSRC2:TGID_Y_EN: 0
; COMPUTE_PGM_RSRC2:TGID_Z_EN: 0
; COMPUTE_PGM_RSRC2:TIDIG_COMP_CNT: 0
	.section	.text._ZN7rocprim17ROCPRIM_400000_NS6detail17trampoline_kernelINS0_14default_configENS1_20scan_config_selectorIhEEZZNS1_9scan_implILNS1_25lookback_scan_determinismE0ELb0ELb0ES3_N6thrust23THRUST_200600_302600_NS6detail15normal_iteratorINS9_7pointerIhNS9_11hip_rocprim5par_tENS9_11use_defaultESF_EEEENSB_INSC_IjSE_SF_SF_EEEEhNS9_4plusIvEEhEEDaPvRmT3_T4_T5_mT6_P12ihipStream_tbENKUlT_T0_E_clISt17integral_constantIbLb1EESZ_EEDaSU_SV_EUlSU_E_NS1_11comp_targetILNS1_3genE5ELNS1_11target_archE942ELNS1_3gpuE9ELNS1_3repE0EEENS1_30default_config_static_selectorELNS0_4arch9wavefront6targetE0EEEvT1_,"axG",@progbits,_ZN7rocprim17ROCPRIM_400000_NS6detail17trampoline_kernelINS0_14default_configENS1_20scan_config_selectorIhEEZZNS1_9scan_implILNS1_25lookback_scan_determinismE0ELb0ELb0ES3_N6thrust23THRUST_200600_302600_NS6detail15normal_iteratorINS9_7pointerIhNS9_11hip_rocprim5par_tENS9_11use_defaultESF_EEEENSB_INSC_IjSE_SF_SF_EEEEhNS9_4plusIvEEhEEDaPvRmT3_T4_T5_mT6_P12ihipStream_tbENKUlT_T0_E_clISt17integral_constantIbLb1EESZ_EEDaSU_SV_EUlSU_E_NS1_11comp_targetILNS1_3genE5ELNS1_11target_archE942ELNS1_3gpuE9ELNS1_3repE0EEENS1_30default_config_static_selectorELNS0_4arch9wavefront6targetE0EEEvT1_,comdat
	.protected	_ZN7rocprim17ROCPRIM_400000_NS6detail17trampoline_kernelINS0_14default_configENS1_20scan_config_selectorIhEEZZNS1_9scan_implILNS1_25lookback_scan_determinismE0ELb0ELb0ES3_N6thrust23THRUST_200600_302600_NS6detail15normal_iteratorINS9_7pointerIhNS9_11hip_rocprim5par_tENS9_11use_defaultESF_EEEENSB_INSC_IjSE_SF_SF_EEEEhNS9_4plusIvEEhEEDaPvRmT3_T4_T5_mT6_P12ihipStream_tbENKUlT_T0_E_clISt17integral_constantIbLb1EESZ_EEDaSU_SV_EUlSU_E_NS1_11comp_targetILNS1_3genE5ELNS1_11target_archE942ELNS1_3gpuE9ELNS1_3repE0EEENS1_30default_config_static_selectorELNS0_4arch9wavefront6targetE0EEEvT1_ ; -- Begin function _ZN7rocprim17ROCPRIM_400000_NS6detail17trampoline_kernelINS0_14default_configENS1_20scan_config_selectorIhEEZZNS1_9scan_implILNS1_25lookback_scan_determinismE0ELb0ELb0ES3_N6thrust23THRUST_200600_302600_NS6detail15normal_iteratorINS9_7pointerIhNS9_11hip_rocprim5par_tENS9_11use_defaultESF_EEEENSB_INSC_IjSE_SF_SF_EEEEhNS9_4plusIvEEhEEDaPvRmT3_T4_T5_mT6_P12ihipStream_tbENKUlT_T0_E_clISt17integral_constantIbLb1EESZ_EEDaSU_SV_EUlSU_E_NS1_11comp_targetILNS1_3genE5ELNS1_11target_archE942ELNS1_3gpuE9ELNS1_3repE0EEENS1_30default_config_static_selectorELNS0_4arch9wavefront6targetE0EEEvT1_
	.globl	_ZN7rocprim17ROCPRIM_400000_NS6detail17trampoline_kernelINS0_14default_configENS1_20scan_config_selectorIhEEZZNS1_9scan_implILNS1_25lookback_scan_determinismE0ELb0ELb0ES3_N6thrust23THRUST_200600_302600_NS6detail15normal_iteratorINS9_7pointerIhNS9_11hip_rocprim5par_tENS9_11use_defaultESF_EEEENSB_INSC_IjSE_SF_SF_EEEEhNS9_4plusIvEEhEEDaPvRmT3_T4_T5_mT6_P12ihipStream_tbENKUlT_T0_E_clISt17integral_constantIbLb1EESZ_EEDaSU_SV_EUlSU_E_NS1_11comp_targetILNS1_3genE5ELNS1_11target_archE942ELNS1_3gpuE9ELNS1_3repE0EEENS1_30default_config_static_selectorELNS0_4arch9wavefront6targetE0EEEvT1_
	.p2align	8
	.type	_ZN7rocprim17ROCPRIM_400000_NS6detail17trampoline_kernelINS0_14default_configENS1_20scan_config_selectorIhEEZZNS1_9scan_implILNS1_25lookback_scan_determinismE0ELb0ELb0ES3_N6thrust23THRUST_200600_302600_NS6detail15normal_iteratorINS9_7pointerIhNS9_11hip_rocprim5par_tENS9_11use_defaultESF_EEEENSB_INSC_IjSE_SF_SF_EEEEhNS9_4plusIvEEhEEDaPvRmT3_T4_T5_mT6_P12ihipStream_tbENKUlT_T0_E_clISt17integral_constantIbLb1EESZ_EEDaSU_SV_EUlSU_E_NS1_11comp_targetILNS1_3genE5ELNS1_11target_archE942ELNS1_3gpuE9ELNS1_3repE0EEENS1_30default_config_static_selectorELNS0_4arch9wavefront6targetE0EEEvT1_,@function
_ZN7rocprim17ROCPRIM_400000_NS6detail17trampoline_kernelINS0_14default_configENS1_20scan_config_selectorIhEEZZNS1_9scan_implILNS1_25lookback_scan_determinismE0ELb0ELb0ES3_N6thrust23THRUST_200600_302600_NS6detail15normal_iteratorINS9_7pointerIhNS9_11hip_rocprim5par_tENS9_11use_defaultESF_EEEENSB_INSC_IjSE_SF_SF_EEEEhNS9_4plusIvEEhEEDaPvRmT3_T4_T5_mT6_P12ihipStream_tbENKUlT_T0_E_clISt17integral_constantIbLb1EESZ_EEDaSU_SV_EUlSU_E_NS1_11comp_targetILNS1_3genE5ELNS1_11target_archE942ELNS1_3gpuE9ELNS1_3repE0EEENS1_30default_config_static_selectorELNS0_4arch9wavefront6targetE0EEEvT1_: ; @_ZN7rocprim17ROCPRIM_400000_NS6detail17trampoline_kernelINS0_14default_configENS1_20scan_config_selectorIhEEZZNS1_9scan_implILNS1_25lookback_scan_determinismE0ELb0ELb0ES3_N6thrust23THRUST_200600_302600_NS6detail15normal_iteratorINS9_7pointerIhNS9_11hip_rocprim5par_tENS9_11use_defaultESF_EEEENSB_INSC_IjSE_SF_SF_EEEEhNS9_4plusIvEEhEEDaPvRmT3_T4_T5_mT6_P12ihipStream_tbENKUlT_T0_E_clISt17integral_constantIbLb1EESZ_EEDaSU_SV_EUlSU_E_NS1_11comp_targetILNS1_3genE5ELNS1_11target_archE942ELNS1_3gpuE9ELNS1_3repE0EEENS1_30default_config_static_selectorELNS0_4arch9wavefront6targetE0EEEvT1_
; %bb.0:
	.section	.rodata,"a",@progbits
	.p2align	6, 0x0
	.amdhsa_kernel _ZN7rocprim17ROCPRIM_400000_NS6detail17trampoline_kernelINS0_14default_configENS1_20scan_config_selectorIhEEZZNS1_9scan_implILNS1_25lookback_scan_determinismE0ELb0ELb0ES3_N6thrust23THRUST_200600_302600_NS6detail15normal_iteratorINS9_7pointerIhNS9_11hip_rocprim5par_tENS9_11use_defaultESF_EEEENSB_INSC_IjSE_SF_SF_EEEEhNS9_4plusIvEEhEEDaPvRmT3_T4_T5_mT6_P12ihipStream_tbENKUlT_T0_E_clISt17integral_constantIbLb1EESZ_EEDaSU_SV_EUlSU_E_NS1_11comp_targetILNS1_3genE5ELNS1_11target_archE942ELNS1_3gpuE9ELNS1_3repE0EEENS1_30default_config_static_selectorELNS0_4arch9wavefront6targetE0EEEvT1_
		.amdhsa_group_segment_fixed_size 0
		.amdhsa_private_segment_fixed_size 0
		.amdhsa_kernarg_size 96
		.amdhsa_user_sgpr_count 15
		.amdhsa_user_sgpr_dispatch_ptr 0
		.amdhsa_user_sgpr_queue_ptr 0
		.amdhsa_user_sgpr_kernarg_segment_ptr 1
		.amdhsa_user_sgpr_dispatch_id 0
		.amdhsa_user_sgpr_private_segment_size 0
		.amdhsa_wavefront_size32 1
		.amdhsa_uses_dynamic_stack 0
		.amdhsa_enable_private_segment 0
		.amdhsa_system_sgpr_workgroup_id_x 1
		.amdhsa_system_sgpr_workgroup_id_y 0
		.amdhsa_system_sgpr_workgroup_id_z 0
		.amdhsa_system_sgpr_workgroup_info 0
		.amdhsa_system_vgpr_workitem_id 0
		.amdhsa_next_free_vgpr 1
		.amdhsa_next_free_sgpr 1
		.amdhsa_reserve_vcc 0
		.amdhsa_float_round_mode_32 0
		.amdhsa_float_round_mode_16_64 0
		.amdhsa_float_denorm_mode_32 3
		.amdhsa_float_denorm_mode_16_64 3
		.amdhsa_dx10_clamp 1
		.amdhsa_ieee_mode 1
		.amdhsa_fp16_overflow 0
		.amdhsa_workgroup_processor_mode 1
		.amdhsa_memory_ordered 1
		.amdhsa_forward_progress 0
		.amdhsa_shared_vgpr_count 0
		.amdhsa_exception_fp_ieee_invalid_op 0
		.amdhsa_exception_fp_denorm_src 0
		.amdhsa_exception_fp_ieee_div_zero 0
		.amdhsa_exception_fp_ieee_overflow 0
		.amdhsa_exception_fp_ieee_underflow 0
		.amdhsa_exception_fp_ieee_inexact 0
		.amdhsa_exception_int_div_zero 0
	.end_amdhsa_kernel
	.section	.text._ZN7rocprim17ROCPRIM_400000_NS6detail17trampoline_kernelINS0_14default_configENS1_20scan_config_selectorIhEEZZNS1_9scan_implILNS1_25lookback_scan_determinismE0ELb0ELb0ES3_N6thrust23THRUST_200600_302600_NS6detail15normal_iteratorINS9_7pointerIhNS9_11hip_rocprim5par_tENS9_11use_defaultESF_EEEENSB_INSC_IjSE_SF_SF_EEEEhNS9_4plusIvEEhEEDaPvRmT3_T4_T5_mT6_P12ihipStream_tbENKUlT_T0_E_clISt17integral_constantIbLb1EESZ_EEDaSU_SV_EUlSU_E_NS1_11comp_targetILNS1_3genE5ELNS1_11target_archE942ELNS1_3gpuE9ELNS1_3repE0EEENS1_30default_config_static_selectorELNS0_4arch9wavefront6targetE0EEEvT1_,"axG",@progbits,_ZN7rocprim17ROCPRIM_400000_NS6detail17trampoline_kernelINS0_14default_configENS1_20scan_config_selectorIhEEZZNS1_9scan_implILNS1_25lookback_scan_determinismE0ELb0ELb0ES3_N6thrust23THRUST_200600_302600_NS6detail15normal_iteratorINS9_7pointerIhNS9_11hip_rocprim5par_tENS9_11use_defaultESF_EEEENSB_INSC_IjSE_SF_SF_EEEEhNS9_4plusIvEEhEEDaPvRmT3_T4_T5_mT6_P12ihipStream_tbENKUlT_T0_E_clISt17integral_constantIbLb1EESZ_EEDaSU_SV_EUlSU_E_NS1_11comp_targetILNS1_3genE5ELNS1_11target_archE942ELNS1_3gpuE9ELNS1_3repE0EEENS1_30default_config_static_selectorELNS0_4arch9wavefront6targetE0EEEvT1_,comdat
.Lfunc_end132:
	.size	_ZN7rocprim17ROCPRIM_400000_NS6detail17trampoline_kernelINS0_14default_configENS1_20scan_config_selectorIhEEZZNS1_9scan_implILNS1_25lookback_scan_determinismE0ELb0ELb0ES3_N6thrust23THRUST_200600_302600_NS6detail15normal_iteratorINS9_7pointerIhNS9_11hip_rocprim5par_tENS9_11use_defaultESF_EEEENSB_INSC_IjSE_SF_SF_EEEEhNS9_4plusIvEEhEEDaPvRmT3_T4_T5_mT6_P12ihipStream_tbENKUlT_T0_E_clISt17integral_constantIbLb1EESZ_EEDaSU_SV_EUlSU_E_NS1_11comp_targetILNS1_3genE5ELNS1_11target_archE942ELNS1_3gpuE9ELNS1_3repE0EEENS1_30default_config_static_selectorELNS0_4arch9wavefront6targetE0EEEvT1_, .Lfunc_end132-_ZN7rocprim17ROCPRIM_400000_NS6detail17trampoline_kernelINS0_14default_configENS1_20scan_config_selectorIhEEZZNS1_9scan_implILNS1_25lookback_scan_determinismE0ELb0ELb0ES3_N6thrust23THRUST_200600_302600_NS6detail15normal_iteratorINS9_7pointerIhNS9_11hip_rocprim5par_tENS9_11use_defaultESF_EEEENSB_INSC_IjSE_SF_SF_EEEEhNS9_4plusIvEEhEEDaPvRmT3_T4_T5_mT6_P12ihipStream_tbENKUlT_T0_E_clISt17integral_constantIbLb1EESZ_EEDaSU_SV_EUlSU_E_NS1_11comp_targetILNS1_3genE5ELNS1_11target_archE942ELNS1_3gpuE9ELNS1_3repE0EEENS1_30default_config_static_selectorELNS0_4arch9wavefront6targetE0EEEvT1_
                                        ; -- End function
	.section	.AMDGPU.csdata,"",@progbits
; Kernel info:
; codeLenInByte = 0
; NumSgprs: 0
; NumVgprs: 0
; ScratchSize: 0
; MemoryBound: 0
; FloatMode: 240
; IeeeMode: 1
; LDSByteSize: 0 bytes/workgroup (compile time only)
; SGPRBlocks: 0
; VGPRBlocks: 0
; NumSGPRsForWavesPerEU: 1
; NumVGPRsForWavesPerEU: 1
; Occupancy: 16
; WaveLimiterHint : 0
; COMPUTE_PGM_RSRC2:SCRATCH_EN: 0
; COMPUTE_PGM_RSRC2:USER_SGPR: 15
; COMPUTE_PGM_RSRC2:TRAP_HANDLER: 0
; COMPUTE_PGM_RSRC2:TGID_X_EN: 1
; COMPUTE_PGM_RSRC2:TGID_Y_EN: 0
; COMPUTE_PGM_RSRC2:TGID_Z_EN: 0
; COMPUTE_PGM_RSRC2:TIDIG_COMP_CNT: 0
	.section	.text._ZN7rocprim17ROCPRIM_400000_NS6detail17trampoline_kernelINS0_14default_configENS1_20scan_config_selectorIhEEZZNS1_9scan_implILNS1_25lookback_scan_determinismE0ELb0ELb0ES3_N6thrust23THRUST_200600_302600_NS6detail15normal_iteratorINS9_7pointerIhNS9_11hip_rocprim5par_tENS9_11use_defaultESF_EEEENSB_INSC_IjSE_SF_SF_EEEEhNS9_4plusIvEEhEEDaPvRmT3_T4_T5_mT6_P12ihipStream_tbENKUlT_T0_E_clISt17integral_constantIbLb1EESZ_EEDaSU_SV_EUlSU_E_NS1_11comp_targetILNS1_3genE4ELNS1_11target_archE910ELNS1_3gpuE8ELNS1_3repE0EEENS1_30default_config_static_selectorELNS0_4arch9wavefront6targetE0EEEvT1_,"axG",@progbits,_ZN7rocprim17ROCPRIM_400000_NS6detail17trampoline_kernelINS0_14default_configENS1_20scan_config_selectorIhEEZZNS1_9scan_implILNS1_25lookback_scan_determinismE0ELb0ELb0ES3_N6thrust23THRUST_200600_302600_NS6detail15normal_iteratorINS9_7pointerIhNS9_11hip_rocprim5par_tENS9_11use_defaultESF_EEEENSB_INSC_IjSE_SF_SF_EEEEhNS9_4plusIvEEhEEDaPvRmT3_T4_T5_mT6_P12ihipStream_tbENKUlT_T0_E_clISt17integral_constantIbLb1EESZ_EEDaSU_SV_EUlSU_E_NS1_11comp_targetILNS1_3genE4ELNS1_11target_archE910ELNS1_3gpuE8ELNS1_3repE0EEENS1_30default_config_static_selectorELNS0_4arch9wavefront6targetE0EEEvT1_,comdat
	.protected	_ZN7rocprim17ROCPRIM_400000_NS6detail17trampoline_kernelINS0_14default_configENS1_20scan_config_selectorIhEEZZNS1_9scan_implILNS1_25lookback_scan_determinismE0ELb0ELb0ES3_N6thrust23THRUST_200600_302600_NS6detail15normal_iteratorINS9_7pointerIhNS9_11hip_rocprim5par_tENS9_11use_defaultESF_EEEENSB_INSC_IjSE_SF_SF_EEEEhNS9_4plusIvEEhEEDaPvRmT3_T4_T5_mT6_P12ihipStream_tbENKUlT_T0_E_clISt17integral_constantIbLb1EESZ_EEDaSU_SV_EUlSU_E_NS1_11comp_targetILNS1_3genE4ELNS1_11target_archE910ELNS1_3gpuE8ELNS1_3repE0EEENS1_30default_config_static_selectorELNS0_4arch9wavefront6targetE0EEEvT1_ ; -- Begin function _ZN7rocprim17ROCPRIM_400000_NS6detail17trampoline_kernelINS0_14default_configENS1_20scan_config_selectorIhEEZZNS1_9scan_implILNS1_25lookback_scan_determinismE0ELb0ELb0ES3_N6thrust23THRUST_200600_302600_NS6detail15normal_iteratorINS9_7pointerIhNS9_11hip_rocprim5par_tENS9_11use_defaultESF_EEEENSB_INSC_IjSE_SF_SF_EEEEhNS9_4plusIvEEhEEDaPvRmT3_T4_T5_mT6_P12ihipStream_tbENKUlT_T0_E_clISt17integral_constantIbLb1EESZ_EEDaSU_SV_EUlSU_E_NS1_11comp_targetILNS1_3genE4ELNS1_11target_archE910ELNS1_3gpuE8ELNS1_3repE0EEENS1_30default_config_static_selectorELNS0_4arch9wavefront6targetE0EEEvT1_
	.globl	_ZN7rocprim17ROCPRIM_400000_NS6detail17trampoline_kernelINS0_14default_configENS1_20scan_config_selectorIhEEZZNS1_9scan_implILNS1_25lookback_scan_determinismE0ELb0ELb0ES3_N6thrust23THRUST_200600_302600_NS6detail15normal_iteratorINS9_7pointerIhNS9_11hip_rocprim5par_tENS9_11use_defaultESF_EEEENSB_INSC_IjSE_SF_SF_EEEEhNS9_4plusIvEEhEEDaPvRmT3_T4_T5_mT6_P12ihipStream_tbENKUlT_T0_E_clISt17integral_constantIbLb1EESZ_EEDaSU_SV_EUlSU_E_NS1_11comp_targetILNS1_3genE4ELNS1_11target_archE910ELNS1_3gpuE8ELNS1_3repE0EEENS1_30default_config_static_selectorELNS0_4arch9wavefront6targetE0EEEvT1_
	.p2align	8
	.type	_ZN7rocprim17ROCPRIM_400000_NS6detail17trampoline_kernelINS0_14default_configENS1_20scan_config_selectorIhEEZZNS1_9scan_implILNS1_25lookback_scan_determinismE0ELb0ELb0ES3_N6thrust23THRUST_200600_302600_NS6detail15normal_iteratorINS9_7pointerIhNS9_11hip_rocprim5par_tENS9_11use_defaultESF_EEEENSB_INSC_IjSE_SF_SF_EEEEhNS9_4plusIvEEhEEDaPvRmT3_T4_T5_mT6_P12ihipStream_tbENKUlT_T0_E_clISt17integral_constantIbLb1EESZ_EEDaSU_SV_EUlSU_E_NS1_11comp_targetILNS1_3genE4ELNS1_11target_archE910ELNS1_3gpuE8ELNS1_3repE0EEENS1_30default_config_static_selectorELNS0_4arch9wavefront6targetE0EEEvT1_,@function
_ZN7rocprim17ROCPRIM_400000_NS6detail17trampoline_kernelINS0_14default_configENS1_20scan_config_selectorIhEEZZNS1_9scan_implILNS1_25lookback_scan_determinismE0ELb0ELb0ES3_N6thrust23THRUST_200600_302600_NS6detail15normal_iteratorINS9_7pointerIhNS9_11hip_rocprim5par_tENS9_11use_defaultESF_EEEENSB_INSC_IjSE_SF_SF_EEEEhNS9_4plusIvEEhEEDaPvRmT3_T4_T5_mT6_P12ihipStream_tbENKUlT_T0_E_clISt17integral_constantIbLb1EESZ_EEDaSU_SV_EUlSU_E_NS1_11comp_targetILNS1_3genE4ELNS1_11target_archE910ELNS1_3gpuE8ELNS1_3repE0EEENS1_30default_config_static_selectorELNS0_4arch9wavefront6targetE0EEEvT1_: ; @_ZN7rocprim17ROCPRIM_400000_NS6detail17trampoline_kernelINS0_14default_configENS1_20scan_config_selectorIhEEZZNS1_9scan_implILNS1_25lookback_scan_determinismE0ELb0ELb0ES3_N6thrust23THRUST_200600_302600_NS6detail15normal_iteratorINS9_7pointerIhNS9_11hip_rocprim5par_tENS9_11use_defaultESF_EEEENSB_INSC_IjSE_SF_SF_EEEEhNS9_4plusIvEEhEEDaPvRmT3_T4_T5_mT6_P12ihipStream_tbENKUlT_T0_E_clISt17integral_constantIbLb1EESZ_EEDaSU_SV_EUlSU_E_NS1_11comp_targetILNS1_3genE4ELNS1_11target_archE910ELNS1_3gpuE8ELNS1_3repE0EEENS1_30default_config_static_selectorELNS0_4arch9wavefront6targetE0EEEvT1_
; %bb.0:
	.section	.rodata,"a",@progbits
	.p2align	6, 0x0
	.amdhsa_kernel _ZN7rocprim17ROCPRIM_400000_NS6detail17trampoline_kernelINS0_14default_configENS1_20scan_config_selectorIhEEZZNS1_9scan_implILNS1_25lookback_scan_determinismE0ELb0ELb0ES3_N6thrust23THRUST_200600_302600_NS6detail15normal_iteratorINS9_7pointerIhNS9_11hip_rocprim5par_tENS9_11use_defaultESF_EEEENSB_INSC_IjSE_SF_SF_EEEEhNS9_4plusIvEEhEEDaPvRmT3_T4_T5_mT6_P12ihipStream_tbENKUlT_T0_E_clISt17integral_constantIbLb1EESZ_EEDaSU_SV_EUlSU_E_NS1_11comp_targetILNS1_3genE4ELNS1_11target_archE910ELNS1_3gpuE8ELNS1_3repE0EEENS1_30default_config_static_selectorELNS0_4arch9wavefront6targetE0EEEvT1_
		.amdhsa_group_segment_fixed_size 0
		.amdhsa_private_segment_fixed_size 0
		.amdhsa_kernarg_size 96
		.amdhsa_user_sgpr_count 15
		.amdhsa_user_sgpr_dispatch_ptr 0
		.amdhsa_user_sgpr_queue_ptr 0
		.amdhsa_user_sgpr_kernarg_segment_ptr 1
		.amdhsa_user_sgpr_dispatch_id 0
		.amdhsa_user_sgpr_private_segment_size 0
		.amdhsa_wavefront_size32 1
		.amdhsa_uses_dynamic_stack 0
		.amdhsa_enable_private_segment 0
		.amdhsa_system_sgpr_workgroup_id_x 1
		.amdhsa_system_sgpr_workgroup_id_y 0
		.amdhsa_system_sgpr_workgroup_id_z 0
		.amdhsa_system_sgpr_workgroup_info 0
		.amdhsa_system_vgpr_workitem_id 0
		.amdhsa_next_free_vgpr 1
		.amdhsa_next_free_sgpr 1
		.amdhsa_reserve_vcc 0
		.amdhsa_float_round_mode_32 0
		.amdhsa_float_round_mode_16_64 0
		.amdhsa_float_denorm_mode_32 3
		.amdhsa_float_denorm_mode_16_64 3
		.amdhsa_dx10_clamp 1
		.amdhsa_ieee_mode 1
		.amdhsa_fp16_overflow 0
		.amdhsa_workgroup_processor_mode 1
		.amdhsa_memory_ordered 1
		.amdhsa_forward_progress 0
		.amdhsa_shared_vgpr_count 0
		.amdhsa_exception_fp_ieee_invalid_op 0
		.amdhsa_exception_fp_denorm_src 0
		.amdhsa_exception_fp_ieee_div_zero 0
		.amdhsa_exception_fp_ieee_overflow 0
		.amdhsa_exception_fp_ieee_underflow 0
		.amdhsa_exception_fp_ieee_inexact 0
		.amdhsa_exception_int_div_zero 0
	.end_amdhsa_kernel
	.section	.text._ZN7rocprim17ROCPRIM_400000_NS6detail17trampoline_kernelINS0_14default_configENS1_20scan_config_selectorIhEEZZNS1_9scan_implILNS1_25lookback_scan_determinismE0ELb0ELb0ES3_N6thrust23THRUST_200600_302600_NS6detail15normal_iteratorINS9_7pointerIhNS9_11hip_rocprim5par_tENS9_11use_defaultESF_EEEENSB_INSC_IjSE_SF_SF_EEEEhNS9_4plusIvEEhEEDaPvRmT3_T4_T5_mT6_P12ihipStream_tbENKUlT_T0_E_clISt17integral_constantIbLb1EESZ_EEDaSU_SV_EUlSU_E_NS1_11comp_targetILNS1_3genE4ELNS1_11target_archE910ELNS1_3gpuE8ELNS1_3repE0EEENS1_30default_config_static_selectorELNS0_4arch9wavefront6targetE0EEEvT1_,"axG",@progbits,_ZN7rocprim17ROCPRIM_400000_NS6detail17trampoline_kernelINS0_14default_configENS1_20scan_config_selectorIhEEZZNS1_9scan_implILNS1_25lookback_scan_determinismE0ELb0ELb0ES3_N6thrust23THRUST_200600_302600_NS6detail15normal_iteratorINS9_7pointerIhNS9_11hip_rocprim5par_tENS9_11use_defaultESF_EEEENSB_INSC_IjSE_SF_SF_EEEEhNS9_4plusIvEEhEEDaPvRmT3_T4_T5_mT6_P12ihipStream_tbENKUlT_T0_E_clISt17integral_constantIbLb1EESZ_EEDaSU_SV_EUlSU_E_NS1_11comp_targetILNS1_3genE4ELNS1_11target_archE910ELNS1_3gpuE8ELNS1_3repE0EEENS1_30default_config_static_selectorELNS0_4arch9wavefront6targetE0EEEvT1_,comdat
.Lfunc_end133:
	.size	_ZN7rocprim17ROCPRIM_400000_NS6detail17trampoline_kernelINS0_14default_configENS1_20scan_config_selectorIhEEZZNS1_9scan_implILNS1_25lookback_scan_determinismE0ELb0ELb0ES3_N6thrust23THRUST_200600_302600_NS6detail15normal_iteratorINS9_7pointerIhNS9_11hip_rocprim5par_tENS9_11use_defaultESF_EEEENSB_INSC_IjSE_SF_SF_EEEEhNS9_4plusIvEEhEEDaPvRmT3_T4_T5_mT6_P12ihipStream_tbENKUlT_T0_E_clISt17integral_constantIbLb1EESZ_EEDaSU_SV_EUlSU_E_NS1_11comp_targetILNS1_3genE4ELNS1_11target_archE910ELNS1_3gpuE8ELNS1_3repE0EEENS1_30default_config_static_selectorELNS0_4arch9wavefront6targetE0EEEvT1_, .Lfunc_end133-_ZN7rocprim17ROCPRIM_400000_NS6detail17trampoline_kernelINS0_14default_configENS1_20scan_config_selectorIhEEZZNS1_9scan_implILNS1_25lookback_scan_determinismE0ELb0ELb0ES3_N6thrust23THRUST_200600_302600_NS6detail15normal_iteratorINS9_7pointerIhNS9_11hip_rocprim5par_tENS9_11use_defaultESF_EEEENSB_INSC_IjSE_SF_SF_EEEEhNS9_4plusIvEEhEEDaPvRmT3_T4_T5_mT6_P12ihipStream_tbENKUlT_T0_E_clISt17integral_constantIbLb1EESZ_EEDaSU_SV_EUlSU_E_NS1_11comp_targetILNS1_3genE4ELNS1_11target_archE910ELNS1_3gpuE8ELNS1_3repE0EEENS1_30default_config_static_selectorELNS0_4arch9wavefront6targetE0EEEvT1_
                                        ; -- End function
	.section	.AMDGPU.csdata,"",@progbits
; Kernel info:
; codeLenInByte = 0
; NumSgprs: 0
; NumVgprs: 0
; ScratchSize: 0
; MemoryBound: 0
; FloatMode: 240
; IeeeMode: 1
; LDSByteSize: 0 bytes/workgroup (compile time only)
; SGPRBlocks: 0
; VGPRBlocks: 0
; NumSGPRsForWavesPerEU: 1
; NumVGPRsForWavesPerEU: 1
; Occupancy: 16
; WaveLimiterHint : 0
; COMPUTE_PGM_RSRC2:SCRATCH_EN: 0
; COMPUTE_PGM_RSRC2:USER_SGPR: 15
; COMPUTE_PGM_RSRC2:TRAP_HANDLER: 0
; COMPUTE_PGM_RSRC2:TGID_X_EN: 1
; COMPUTE_PGM_RSRC2:TGID_Y_EN: 0
; COMPUTE_PGM_RSRC2:TGID_Z_EN: 0
; COMPUTE_PGM_RSRC2:TIDIG_COMP_CNT: 0
	.section	.text._ZN7rocprim17ROCPRIM_400000_NS6detail17trampoline_kernelINS0_14default_configENS1_20scan_config_selectorIhEEZZNS1_9scan_implILNS1_25lookback_scan_determinismE0ELb0ELb0ES3_N6thrust23THRUST_200600_302600_NS6detail15normal_iteratorINS9_7pointerIhNS9_11hip_rocprim5par_tENS9_11use_defaultESF_EEEENSB_INSC_IjSE_SF_SF_EEEEhNS9_4plusIvEEhEEDaPvRmT3_T4_T5_mT6_P12ihipStream_tbENKUlT_T0_E_clISt17integral_constantIbLb1EESZ_EEDaSU_SV_EUlSU_E_NS1_11comp_targetILNS1_3genE3ELNS1_11target_archE908ELNS1_3gpuE7ELNS1_3repE0EEENS1_30default_config_static_selectorELNS0_4arch9wavefront6targetE0EEEvT1_,"axG",@progbits,_ZN7rocprim17ROCPRIM_400000_NS6detail17trampoline_kernelINS0_14default_configENS1_20scan_config_selectorIhEEZZNS1_9scan_implILNS1_25lookback_scan_determinismE0ELb0ELb0ES3_N6thrust23THRUST_200600_302600_NS6detail15normal_iteratorINS9_7pointerIhNS9_11hip_rocprim5par_tENS9_11use_defaultESF_EEEENSB_INSC_IjSE_SF_SF_EEEEhNS9_4plusIvEEhEEDaPvRmT3_T4_T5_mT6_P12ihipStream_tbENKUlT_T0_E_clISt17integral_constantIbLb1EESZ_EEDaSU_SV_EUlSU_E_NS1_11comp_targetILNS1_3genE3ELNS1_11target_archE908ELNS1_3gpuE7ELNS1_3repE0EEENS1_30default_config_static_selectorELNS0_4arch9wavefront6targetE0EEEvT1_,comdat
	.protected	_ZN7rocprim17ROCPRIM_400000_NS6detail17trampoline_kernelINS0_14default_configENS1_20scan_config_selectorIhEEZZNS1_9scan_implILNS1_25lookback_scan_determinismE0ELb0ELb0ES3_N6thrust23THRUST_200600_302600_NS6detail15normal_iteratorINS9_7pointerIhNS9_11hip_rocprim5par_tENS9_11use_defaultESF_EEEENSB_INSC_IjSE_SF_SF_EEEEhNS9_4plusIvEEhEEDaPvRmT3_T4_T5_mT6_P12ihipStream_tbENKUlT_T0_E_clISt17integral_constantIbLb1EESZ_EEDaSU_SV_EUlSU_E_NS1_11comp_targetILNS1_3genE3ELNS1_11target_archE908ELNS1_3gpuE7ELNS1_3repE0EEENS1_30default_config_static_selectorELNS0_4arch9wavefront6targetE0EEEvT1_ ; -- Begin function _ZN7rocprim17ROCPRIM_400000_NS6detail17trampoline_kernelINS0_14default_configENS1_20scan_config_selectorIhEEZZNS1_9scan_implILNS1_25lookback_scan_determinismE0ELb0ELb0ES3_N6thrust23THRUST_200600_302600_NS6detail15normal_iteratorINS9_7pointerIhNS9_11hip_rocprim5par_tENS9_11use_defaultESF_EEEENSB_INSC_IjSE_SF_SF_EEEEhNS9_4plusIvEEhEEDaPvRmT3_T4_T5_mT6_P12ihipStream_tbENKUlT_T0_E_clISt17integral_constantIbLb1EESZ_EEDaSU_SV_EUlSU_E_NS1_11comp_targetILNS1_3genE3ELNS1_11target_archE908ELNS1_3gpuE7ELNS1_3repE0EEENS1_30default_config_static_selectorELNS0_4arch9wavefront6targetE0EEEvT1_
	.globl	_ZN7rocprim17ROCPRIM_400000_NS6detail17trampoline_kernelINS0_14default_configENS1_20scan_config_selectorIhEEZZNS1_9scan_implILNS1_25lookback_scan_determinismE0ELb0ELb0ES3_N6thrust23THRUST_200600_302600_NS6detail15normal_iteratorINS9_7pointerIhNS9_11hip_rocprim5par_tENS9_11use_defaultESF_EEEENSB_INSC_IjSE_SF_SF_EEEEhNS9_4plusIvEEhEEDaPvRmT3_T4_T5_mT6_P12ihipStream_tbENKUlT_T0_E_clISt17integral_constantIbLb1EESZ_EEDaSU_SV_EUlSU_E_NS1_11comp_targetILNS1_3genE3ELNS1_11target_archE908ELNS1_3gpuE7ELNS1_3repE0EEENS1_30default_config_static_selectorELNS0_4arch9wavefront6targetE0EEEvT1_
	.p2align	8
	.type	_ZN7rocprim17ROCPRIM_400000_NS6detail17trampoline_kernelINS0_14default_configENS1_20scan_config_selectorIhEEZZNS1_9scan_implILNS1_25lookback_scan_determinismE0ELb0ELb0ES3_N6thrust23THRUST_200600_302600_NS6detail15normal_iteratorINS9_7pointerIhNS9_11hip_rocprim5par_tENS9_11use_defaultESF_EEEENSB_INSC_IjSE_SF_SF_EEEEhNS9_4plusIvEEhEEDaPvRmT3_T4_T5_mT6_P12ihipStream_tbENKUlT_T0_E_clISt17integral_constantIbLb1EESZ_EEDaSU_SV_EUlSU_E_NS1_11comp_targetILNS1_3genE3ELNS1_11target_archE908ELNS1_3gpuE7ELNS1_3repE0EEENS1_30default_config_static_selectorELNS0_4arch9wavefront6targetE0EEEvT1_,@function
_ZN7rocprim17ROCPRIM_400000_NS6detail17trampoline_kernelINS0_14default_configENS1_20scan_config_selectorIhEEZZNS1_9scan_implILNS1_25lookback_scan_determinismE0ELb0ELb0ES3_N6thrust23THRUST_200600_302600_NS6detail15normal_iteratorINS9_7pointerIhNS9_11hip_rocprim5par_tENS9_11use_defaultESF_EEEENSB_INSC_IjSE_SF_SF_EEEEhNS9_4plusIvEEhEEDaPvRmT3_T4_T5_mT6_P12ihipStream_tbENKUlT_T0_E_clISt17integral_constantIbLb1EESZ_EEDaSU_SV_EUlSU_E_NS1_11comp_targetILNS1_3genE3ELNS1_11target_archE908ELNS1_3gpuE7ELNS1_3repE0EEENS1_30default_config_static_selectorELNS0_4arch9wavefront6targetE0EEEvT1_: ; @_ZN7rocprim17ROCPRIM_400000_NS6detail17trampoline_kernelINS0_14default_configENS1_20scan_config_selectorIhEEZZNS1_9scan_implILNS1_25lookback_scan_determinismE0ELb0ELb0ES3_N6thrust23THRUST_200600_302600_NS6detail15normal_iteratorINS9_7pointerIhNS9_11hip_rocprim5par_tENS9_11use_defaultESF_EEEENSB_INSC_IjSE_SF_SF_EEEEhNS9_4plusIvEEhEEDaPvRmT3_T4_T5_mT6_P12ihipStream_tbENKUlT_T0_E_clISt17integral_constantIbLb1EESZ_EEDaSU_SV_EUlSU_E_NS1_11comp_targetILNS1_3genE3ELNS1_11target_archE908ELNS1_3gpuE7ELNS1_3repE0EEENS1_30default_config_static_selectorELNS0_4arch9wavefront6targetE0EEEvT1_
; %bb.0:
	.section	.rodata,"a",@progbits
	.p2align	6, 0x0
	.amdhsa_kernel _ZN7rocprim17ROCPRIM_400000_NS6detail17trampoline_kernelINS0_14default_configENS1_20scan_config_selectorIhEEZZNS1_9scan_implILNS1_25lookback_scan_determinismE0ELb0ELb0ES3_N6thrust23THRUST_200600_302600_NS6detail15normal_iteratorINS9_7pointerIhNS9_11hip_rocprim5par_tENS9_11use_defaultESF_EEEENSB_INSC_IjSE_SF_SF_EEEEhNS9_4plusIvEEhEEDaPvRmT3_T4_T5_mT6_P12ihipStream_tbENKUlT_T0_E_clISt17integral_constantIbLb1EESZ_EEDaSU_SV_EUlSU_E_NS1_11comp_targetILNS1_3genE3ELNS1_11target_archE908ELNS1_3gpuE7ELNS1_3repE0EEENS1_30default_config_static_selectorELNS0_4arch9wavefront6targetE0EEEvT1_
		.amdhsa_group_segment_fixed_size 0
		.amdhsa_private_segment_fixed_size 0
		.amdhsa_kernarg_size 96
		.amdhsa_user_sgpr_count 15
		.amdhsa_user_sgpr_dispatch_ptr 0
		.amdhsa_user_sgpr_queue_ptr 0
		.amdhsa_user_sgpr_kernarg_segment_ptr 1
		.amdhsa_user_sgpr_dispatch_id 0
		.amdhsa_user_sgpr_private_segment_size 0
		.amdhsa_wavefront_size32 1
		.amdhsa_uses_dynamic_stack 0
		.amdhsa_enable_private_segment 0
		.amdhsa_system_sgpr_workgroup_id_x 1
		.amdhsa_system_sgpr_workgroup_id_y 0
		.amdhsa_system_sgpr_workgroup_id_z 0
		.amdhsa_system_sgpr_workgroup_info 0
		.amdhsa_system_vgpr_workitem_id 0
		.amdhsa_next_free_vgpr 1
		.amdhsa_next_free_sgpr 1
		.amdhsa_reserve_vcc 0
		.amdhsa_float_round_mode_32 0
		.amdhsa_float_round_mode_16_64 0
		.amdhsa_float_denorm_mode_32 3
		.amdhsa_float_denorm_mode_16_64 3
		.amdhsa_dx10_clamp 1
		.amdhsa_ieee_mode 1
		.amdhsa_fp16_overflow 0
		.amdhsa_workgroup_processor_mode 1
		.amdhsa_memory_ordered 1
		.amdhsa_forward_progress 0
		.amdhsa_shared_vgpr_count 0
		.amdhsa_exception_fp_ieee_invalid_op 0
		.amdhsa_exception_fp_denorm_src 0
		.amdhsa_exception_fp_ieee_div_zero 0
		.amdhsa_exception_fp_ieee_overflow 0
		.amdhsa_exception_fp_ieee_underflow 0
		.amdhsa_exception_fp_ieee_inexact 0
		.amdhsa_exception_int_div_zero 0
	.end_amdhsa_kernel
	.section	.text._ZN7rocprim17ROCPRIM_400000_NS6detail17trampoline_kernelINS0_14default_configENS1_20scan_config_selectorIhEEZZNS1_9scan_implILNS1_25lookback_scan_determinismE0ELb0ELb0ES3_N6thrust23THRUST_200600_302600_NS6detail15normal_iteratorINS9_7pointerIhNS9_11hip_rocprim5par_tENS9_11use_defaultESF_EEEENSB_INSC_IjSE_SF_SF_EEEEhNS9_4plusIvEEhEEDaPvRmT3_T4_T5_mT6_P12ihipStream_tbENKUlT_T0_E_clISt17integral_constantIbLb1EESZ_EEDaSU_SV_EUlSU_E_NS1_11comp_targetILNS1_3genE3ELNS1_11target_archE908ELNS1_3gpuE7ELNS1_3repE0EEENS1_30default_config_static_selectorELNS0_4arch9wavefront6targetE0EEEvT1_,"axG",@progbits,_ZN7rocprim17ROCPRIM_400000_NS6detail17trampoline_kernelINS0_14default_configENS1_20scan_config_selectorIhEEZZNS1_9scan_implILNS1_25lookback_scan_determinismE0ELb0ELb0ES3_N6thrust23THRUST_200600_302600_NS6detail15normal_iteratorINS9_7pointerIhNS9_11hip_rocprim5par_tENS9_11use_defaultESF_EEEENSB_INSC_IjSE_SF_SF_EEEEhNS9_4plusIvEEhEEDaPvRmT3_T4_T5_mT6_P12ihipStream_tbENKUlT_T0_E_clISt17integral_constantIbLb1EESZ_EEDaSU_SV_EUlSU_E_NS1_11comp_targetILNS1_3genE3ELNS1_11target_archE908ELNS1_3gpuE7ELNS1_3repE0EEENS1_30default_config_static_selectorELNS0_4arch9wavefront6targetE0EEEvT1_,comdat
.Lfunc_end134:
	.size	_ZN7rocprim17ROCPRIM_400000_NS6detail17trampoline_kernelINS0_14default_configENS1_20scan_config_selectorIhEEZZNS1_9scan_implILNS1_25lookback_scan_determinismE0ELb0ELb0ES3_N6thrust23THRUST_200600_302600_NS6detail15normal_iteratorINS9_7pointerIhNS9_11hip_rocprim5par_tENS9_11use_defaultESF_EEEENSB_INSC_IjSE_SF_SF_EEEEhNS9_4plusIvEEhEEDaPvRmT3_T4_T5_mT6_P12ihipStream_tbENKUlT_T0_E_clISt17integral_constantIbLb1EESZ_EEDaSU_SV_EUlSU_E_NS1_11comp_targetILNS1_3genE3ELNS1_11target_archE908ELNS1_3gpuE7ELNS1_3repE0EEENS1_30default_config_static_selectorELNS0_4arch9wavefront6targetE0EEEvT1_, .Lfunc_end134-_ZN7rocprim17ROCPRIM_400000_NS6detail17trampoline_kernelINS0_14default_configENS1_20scan_config_selectorIhEEZZNS1_9scan_implILNS1_25lookback_scan_determinismE0ELb0ELb0ES3_N6thrust23THRUST_200600_302600_NS6detail15normal_iteratorINS9_7pointerIhNS9_11hip_rocprim5par_tENS9_11use_defaultESF_EEEENSB_INSC_IjSE_SF_SF_EEEEhNS9_4plusIvEEhEEDaPvRmT3_T4_T5_mT6_P12ihipStream_tbENKUlT_T0_E_clISt17integral_constantIbLb1EESZ_EEDaSU_SV_EUlSU_E_NS1_11comp_targetILNS1_3genE3ELNS1_11target_archE908ELNS1_3gpuE7ELNS1_3repE0EEENS1_30default_config_static_selectorELNS0_4arch9wavefront6targetE0EEEvT1_
                                        ; -- End function
	.section	.AMDGPU.csdata,"",@progbits
; Kernel info:
; codeLenInByte = 0
; NumSgprs: 0
; NumVgprs: 0
; ScratchSize: 0
; MemoryBound: 0
; FloatMode: 240
; IeeeMode: 1
; LDSByteSize: 0 bytes/workgroup (compile time only)
; SGPRBlocks: 0
; VGPRBlocks: 0
; NumSGPRsForWavesPerEU: 1
; NumVGPRsForWavesPerEU: 1
; Occupancy: 16
; WaveLimiterHint : 0
; COMPUTE_PGM_RSRC2:SCRATCH_EN: 0
; COMPUTE_PGM_RSRC2:USER_SGPR: 15
; COMPUTE_PGM_RSRC2:TRAP_HANDLER: 0
; COMPUTE_PGM_RSRC2:TGID_X_EN: 1
; COMPUTE_PGM_RSRC2:TGID_Y_EN: 0
; COMPUTE_PGM_RSRC2:TGID_Z_EN: 0
; COMPUTE_PGM_RSRC2:TIDIG_COMP_CNT: 0
	.section	.text._ZN7rocprim17ROCPRIM_400000_NS6detail17trampoline_kernelINS0_14default_configENS1_20scan_config_selectorIhEEZZNS1_9scan_implILNS1_25lookback_scan_determinismE0ELb0ELb0ES3_N6thrust23THRUST_200600_302600_NS6detail15normal_iteratorINS9_7pointerIhNS9_11hip_rocprim5par_tENS9_11use_defaultESF_EEEENSB_INSC_IjSE_SF_SF_EEEEhNS9_4plusIvEEhEEDaPvRmT3_T4_T5_mT6_P12ihipStream_tbENKUlT_T0_E_clISt17integral_constantIbLb1EESZ_EEDaSU_SV_EUlSU_E_NS1_11comp_targetILNS1_3genE2ELNS1_11target_archE906ELNS1_3gpuE6ELNS1_3repE0EEENS1_30default_config_static_selectorELNS0_4arch9wavefront6targetE0EEEvT1_,"axG",@progbits,_ZN7rocprim17ROCPRIM_400000_NS6detail17trampoline_kernelINS0_14default_configENS1_20scan_config_selectorIhEEZZNS1_9scan_implILNS1_25lookback_scan_determinismE0ELb0ELb0ES3_N6thrust23THRUST_200600_302600_NS6detail15normal_iteratorINS9_7pointerIhNS9_11hip_rocprim5par_tENS9_11use_defaultESF_EEEENSB_INSC_IjSE_SF_SF_EEEEhNS9_4plusIvEEhEEDaPvRmT3_T4_T5_mT6_P12ihipStream_tbENKUlT_T0_E_clISt17integral_constantIbLb1EESZ_EEDaSU_SV_EUlSU_E_NS1_11comp_targetILNS1_3genE2ELNS1_11target_archE906ELNS1_3gpuE6ELNS1_3repE0EEENS1_30default_config_static_selectorELNS0_4arch9wavefront6targetE0EEEvT1_,comdat
	.protected	_ZN7rocprim17ROCPRIM_400000_NS6detail17trampoline_kernelINS0_14default_configENS1_20scan_config_selectorIhEEZZNS1_9scan_implILNS1_25lookback_scan_determinismE0ELb0ELb0ES3_N6thrust23THRUST_200600_302600_NS6detail15normal_iteratorINS9_7pointerIhNS9_11hip_rocprim5par_tENS9_11use_defaultESF_EEEENSB_INSC_IjSE_SF_SF_EEEEhNS9_4plusIvEEhEEDaPvRmT3_T4_T5_mT6_P12ihipStream_tbENKUlT_T0_E_clISt17integral_constantIbLb1EESZ_EEDaSU_SV_EUlSU_E_NS1_11comp_targetILNS1_3genE2ELNS1_11target_archE906ELNS1_3gpuE6ELNS1_3repE0EEENS1_30default_config_static_selectorELNS0_4arch9wavefront6targetE0EEEvT1_ ; -- Begin function _ZN7rocprim17ROCPRIM_400000_NS6detail17trampoline_kernelINS0_14default_configENS1_20scan_config_selectorIhEEZZNS1_9scan_implILNS1_25lookback_scan_determinismE0ELb0ELb0ES3_N6thrust23THRUST_200600_302600_NS6detail15normal_iteratorINS9_7pointerIhNS9_11hip_rocprim5par_tENS9_11use_defaultESF_EEEENSB_INSC_IjSE_SF_SF_EEEEhNS9_4plusIvEEhEEDaPvRmT3_T4_T5_mT6_P12ihipStream_tbENKUlT_T0_E_clISt17integral_constantIbLb1EESZ_EEDaSU_SV_EUlSU_E_NS1_11comp_targetILNS1_3genE2ELNS1_11target_archE906ELNS1_3gpuE6ELNS1_3repE0EEENS1_30default_config_static_selectorELNS0_4arch9wavefront6targetE0EEEvT1_
	.globl	_ZN7rocprim17ROCPRIM_400000_NS6detail17trampoline_kernelINS0_14default_configENS1_20scan_config_selectorIhEEZZNS1_9scan_implILNS1_25lookback_scan_determinismE0ELb0ELb0ES3_N6thrust23THRUST_200600_302600_NS6detail15normal_iteratorINS9_7pointerIhNS9_11hip_rocprim5par_tENS9_11use_defaultESF_EEEENSB_INSC_IjSE_SF_SF_EEEEhNS9_4plusIvEEhEEDaPvRmT3_T4_T5_mT6_P12ihipStream_tbENKUlT_T0_E_clISt17integral_constantIbLb1EESZ_EEDaSU_SV_EUlSU_E_NS1_11comp_targetILNS1_3genE2ELNS1_11target_archE906ELNS1_3gpuE6ELNS1_3repE0EEENS1_30default_config_static_selectorELNS0_4arch9wavefront6targetE0EEEvT1_
	.p2align	8
	.type	_ZN7rocprim17ROCPRIM_400000_NS6detail17trampoline_kernelINS0_14default_configENS1_20scan_config_selectorIhEEZZNS1_9scan_implILNS1_25lookback_scan_determinismE0ELb0ELb0ES3_N6thrust23THRUST_200600_302600_NS6detail15normal_iteratorINS9_7pointerIhNS9_11hip_rocprim5par_tENS9_11use_defaultESF_EEEENSB_INSC_IjSE_SF_SF_EEEEhNS9_4plusIvEEhEEDaPvRmT3_T4_T5_mT6_P12ihipStream_tbENKUlT_T0_E_clISt17integral_constantIbLb1EESZ_EEDaSU_SV_EUlSU_E_NS1_11comp_targetILNS1_3genE2ELNS1_11target_archE906ELNS1_3gpuE6ELNS1_3repE0EEENS1_30default_config_static_selectorELNS0_4arch9wavefront6targetE0EEEvT1_,@function
_ZN7rocprim17ROCPRIM_400000_NS6detail17trampoline_kernelINS0_14default_configENS1_20scan_config_selectorIhEEZZNS1_9scan_implILNS1_25lookback_scan_determinismE0ELb0ELb0ES3_N6thrust23THRUST_200600_302600_NS6detail15normal_iteratorINS9_7pointerIhNS9_11hip_rocprim5par_tENS9_11use_defaultESF_EEEENSB_INSC_IjSE_SF_SF_EEEEhNS9_4plusIvEEhEEDaPvRmT3_T4_T5_mT6_P12ihipStream_tbENKUlT_T0_E_clISt17integral_constantIbLb1EESZ_EEDaSU_SV_EUlSU_E_NS1_11comp_targetILNS1_3genE2ELNS1_11target_archE906ELNS1_3gpuE6ELNS1_3repE0EEENS1_30default_config_static_selectorELNS0_4arch9wavefront6targetE0EEEvT1_: ; @_ZN7rocprim17ROCPRIM_400000_NS6detail17trampoline_kernelINS0_14default_configENS1_20scan_config_selectorIhEEZZNS1_9scan_implILNS1_25lookback_scan_determinismE0ELb0ELb0ES3_N6thrust23THRUST_200600_302600_NS6detail15normal_iteratorINS9_7pointerIhNS9_11hip_rocprim5par_tENS9_11use_defaultESF_EEEENSB_INSC_IjSE_SF_SF_EEEEhNS9_4plusIvEEhEEDaPvRmT3_T4_T5_mT6_P12ihipStream_tbENKUlT_T0_E_clISt17integral_constantIbLb1EESZ_EEDaSU_SV_EUlSU_E_NS1_11comp_targetILNS1_3genE2ELNS1_11target_archE906ELNS1_3gpuE6ELNS1_3repE0EEENS1_30default_config_static_selectorELNS0_4arch9wavefront6targetE0EEEvT1_
; %bb.0:
	.section	.rodata,"a",@progbits
	.p2align	6, 0x0
	.amdhsa_kernel _ZN7rocprim17ROCPRIM_400000_NS6detail17trampoline_kernelINS0_14default_configENS1_20scan_config_selectorIhEEZZNS1_9scan_implILNS1_25lookback_scan_determinismE0ELb0ELb0ES3_N6thrust23THRUST_200600_302600_NS6detail15normal_iteratorINS9_7pointerIhNS9_11hip_rocprim5par_tENS9_11use_defaultESF_EEEENSB_INSC_IjSE_SF_SF_EEEEhNS9_4plusIvEEhEEDaPvRmT3_T4_T5_mT6_P12ihipStream_tbENKUlT_T0_E_clISt17integral_constantIbLb1EESZ_EEDaSU_SV_EUlSU_E_NS1_11comp_targetILNS1_3genE2ELNS1_11target_archE906ELNS1_3gpuE6ELNS1_3repE0EEENS1_30default_config_static_selectorELNS0_4arch9wavefront6targetE0EEEvT1_
		.amdhsa_group_segment_fixed_size 0
		.amdhsa_private_segment_fixed_size 0
		.amdhsa_kernarg_size 96
		.amdhsa_user_sgpr_count 15
		.amdhsa_user_sgpr_dispatch_ptr 0
		.amdhsa_user_sgpr_queue_ptr 0
		.amdhsa_user_sgpr_kernarg_segment_ptr 1
		.amdhsa_user_sgpr_dispatch_id 0
		.amdhsa_user_sgpr_private_segment_size 0
		.amdhsa_wavefront_size32 1
		.amdhsa_uses_dynamic_stack 0
		.amdhsa_enable_private_segment 0
		.amdhsa_system_sgpr_workgroup_id_x 1
		.amdhsa_system_sgpr_workgroup_id_y 0
		.amdhsa_system_sgpr_workgroup_id_z 0
		.amdhsa_system_sgpr_workgroup_info 0
		.amdhsa_system_vgpr_workitem_id 0
		.amdhsa_next_free_vgpr 1
		.amdhsa_next_free_sgpr 1
		.amdhsa_reserve_vcc 0
		.amdhsa_float_round_mode_32 0
		.amdhsa_float_round_mode_16_64 0
		.amdhsa_float_denorm_mode_32 3
		.amdhsa_float_denorm_mode_16_64 3
		.amdhsa_dx10_clamp 1
		.amdhsa_ieee_mode 1
		.amdhsa_fp16_overflow 0
		.amdhsa_workgroup_processor_mode 1
		.amdhsa_memory_ordered 1
		.amdhsa_forward_progress 0
		.amdhsa_shared_vgpr_count 0
		.amdhsa_exception_fp_ieee_invalid_op 0
		.amdhsa_exception_fp_denorm_src 0
		.amdhsa_exception_fp_ieee_div_zero 0
		.amdhsa_exception_fp_ieee_overflow 0
		.amdhsa_exception_fp_ieee_underflow 0
		.amdhsa_exception_fp_ieee_inexact 0
		.amdhsa_exception_int_div_zero 0
	.end_amdhsa_kernel
	.section	.text._ZN7rocprim17ROCPRIM_400000_NS6detail17trampoline_kernelINS0_14default_configENS1_20scan_config_selectorIhEEZZNS1_9scan_implILNS1_25lookback_scan_determinismE0ELb0ELb0ES3_N6thrust23THRUST_200600_302600_NS6detail15normal_iteratorINS9_7pointerIhNS9_11hip_rocprim5par_tENS9_11use_defaultESF_EEEENSB_INSC_IjSE_SF_SF_EEEEhNS9_4plusIvEEhEEDaPvRmT3_T4_T5_mT6_P12ihipStream_tbENKUlT_T0_E_clISt17integral_constantIbLb1EESZ_EEDaSU_SV_EUlSU_E_NS1_11comp_targetILNS1_3genE2ELNS1_11target_archE906ELNS1_3gpuE6ELNS1_3repE0EEENS1_30default_config_static_selectorELNS0_4arch9wavefront6targetE0EEEvT1_,"axG",@progbits,_ZN7rocprim17ROCPRIM_400000_NS6detail17trampoline_kernelINS0_14default_configENS1_20scan_config_selectorIhEEZZNS1_9scan_implILNS1_25lookback_scan_determinismE0ELb0ELb0ES3_N6thrust23THRUST_200600_302600_NS6detail15normal_iteratorINS9_7pointerIhNS9_11hip_rocprim5par_tENS9_11use_defaultESF_EEEENSB_INSC_IjSE_SF_SF_EEEEhNS9_4plusIvEEhEEDaPvRmT3_T4_T5_mT6_P12ihipStream_tbENKUlT_T0_E_clISt17integral_constantIbLb1EESZ_EEDaSU_SV_EUlSU_E_NS1_11comp_targetILNS1_3genE2ELNS1_11target_archE906ELNS1_3gpuE6ELNS1_3repE0EEENS1_30default_config_static_selectorELNS0_4arch9wavefront6targetE0EEEvT1_,comdat
.Lfunc_end135:
	.size	_ZN7rocprim17ROCPRIM_400000_NS6detail17trampoline_kernelINS0_14default_configENS1_20scan_config_selectorIhEEZZNS1_9scan_implILNS1_25lookback_scan_determinismE0ELb0ELb0ES3_N6thrust23THRUST_200600_302600_NS6detail15normal_iteratorINS9_7pointerIhNS9_11hip_rocprim5par_tENS9_11use_defaultESF_EEEENSB_INSC_IjSE_SF_SF_EEEEhNS9_4plusIvEEhEEDaPvRmT3_T4_T5_mT6_P12ihipStream_tbENKUlT_T0_E_clISt17integral_constantIbLb1EESZ_EEDaSU_SV_EUlSU_E_NS1_11comp_targetILNS1_3genE2ELNS1_11target_archE906ELNS1_3gpuE6ELNS1_3repE0EEENS1_30default_config_static_selectorELNS0_4arch9wavefront6targetE0EEEvT1_, .Lfunc_end135-_ZN7rocprim17ROCPRIM_400000_NS6detail17trampoline_kernelINS0_14default_configENS1_20scan_config_selectorIhEEZZNS1_9scan_implILNS1_25lookback_scan_determinismE0ELb0ELb0ES3_N6thrust23THRUST_200600_302600_NS6detail15normal_iteratorINS9_7pointerIhNS9_11hip_rocprim5par_tENS9_11use_defaultESF_EEEENSB_INSC_IjSE_SF_SF_EEEEhNS9_4plusIvEEhEEDaPvRmT3_T4_T5_mT6_P12ihipStream_tbENKUlT_T0_E_clISt17integral_constantIbLb1EESZ_EEDaSU_SV_EUlSU_E_NS1_11comp_targetILNS1_3genE2ELNS1_11target_archE906ELNS1_3gpuE6ELNS1_3repE0EEENS1_30default_config_static_selectorELNS0_4arch9wavefront6targetE0EEEvT1_
                                        ; -- End function
	.section	.AMDGPU.csdata,"",@progbits
; Kernel info:
; codeLenInByte = 0
; NumSgprs: 0
; NumVgprs: 0
; ScratchSize: 0
; MemoryBound: 0
; FloatMode: 240
; IeeeMode: 1
; LDSByteSize: 0 bytes/workgroup (compile time only)
; SGPRBlocks: 0
; VGPRBlocks: 0
; NumSGPRsForWavesPerEU: 1
; NumVGPRsForWavesPerEU: 1
; Occupancy: 16
; WaveLimiterHint : 0
; COMPUTE_PGM_RSRC2:SCRATCH_EN: 0
; COMPUTE_PGM_RSRC2:USER_SGPR: 15
; COMPUTE_PGM_RSRC2:TRAP_HANDLER: 0
; COMPUTE_PGM_RSRC2:TGID_X_EN: 1
; COMPUTE_PGM_RSRC2:TGID_Y_EN: 0
; COMPUTE_PGM_RSRC2:TGID_Z_EN: 0
; COMPUTE_PGM_RSRC2:TIDIG_COMP_CNT: 0
	.section	.text._ZN7rocprim17ROCPRIM_400000_NS6detail17trampoline_kernelINS0_14default_configENS1_20scan_config_selectorIhEEZZNS1_9scan_implILNS1_25lookback_scan_determinismE0ELb0ELb0ES3_N6thrust23THRUST_200600_302600_NS6detail15normal_iteratorINS9_7pointerIhNS9_11hip_rocprim5par_tENS9_11use_defaultESF_EEEENSB_INSC_IjSE_SF_SF_EEEEhNS9_4plusIvEEhEEDaPvRmT3_T4_T5_mT6_P12ihipStream_tbENKUlT_T0_E_clISt17integral_constantIbLb1EESZ_EEDaSU_SV_EUlSU_E_NS1_11comp_targetILNS1_3genE10ELNS1_11target_archE1201ELNS1_3gpuE5ELNS1_3repE0EEENS1_30default_config_static_selectorELNS0_4arch9wavefront6targetE0EEEvT1_,"axG",@progbits,_ZN7rocprim17ROCPRIM_400000_NS6detail17trampoline_kernelINS0_14default_configENS1_20scan_config_selectorIhEEZZNS1_9scan_implILNS1_25lookback_scan_determinismE0ELb0ELb0ES3_N6thrust23THRUST_200600_302600_NS6detail15normal_iteratorINS9_7pointerIhNS9_11hip_rocprim5par_tENS9_11use_defaultESF_EEEENSB_INSC_IjSE_SF_SF_EEEEhNS9_4plusIvEEhEEDaPvRmT3_T4_T5_mT6_P12ihipStream_tbENKUlT_T0_E_clISt17integral_constantIbLb1EESZ_EEDaSU_SV_EUlSU_E_NS1_11comp_targetILNS1_3genE10ELNS1_11target_archE1201ELNS1_3gpuE5ELNS1_3repE0EEENS1_30default_config_static_selectorELNS0_4arch9wavefront6targetE0EEEvT1_,comdat
	.protected	_ZN7rocprim17ROCPRIM_400000_NS6detail17trampoline_kernelINS0_14default_configENS1_20scan_config_selectorIhEEZZNS1_9scan_implILNS1_25lookback_scan_determinismE0ELb0ELb0ES3_N6thrust23THRUST_200600_302600_NS6detail15normal_iteratorINS9_7pointerIhNS9_11hip_rocprim5par_tENS9_11use_defaultESF_EEEENSB_INSC_IjSE_SF_SF_EEEEhNS9_4plusIvEEhEEDaPvRmT3_T4_T5_mT6_P12ihipStream_tbENKUlT_T0_E_clISt17integral_constantIbLb1EESZ_EEDaSU_SV_EUlSU_E_NS1_11comp_targetILNS1_3genE10ELNS1_11target_archE1201ELNS1_3gpuE5ELNS1_3repE0EEENS1_30default_config_static_selectorELNS0_4arch9wavefront6targetE0EEEvT1_ ; -- Begin function _ZN7rocprim17ROCPRIM_400000_NS6detail17trampoline_kernelINS0_14default_configENS1_20scan_config_selectorIhEEZZNS1_9scan_implILNS1_25lookback_scan_determinismE0ELb0ELb0ES3_N6thrust23THRUST_200600_302600_NS6detail15normal_iteratorINS9_7pointerIhNS9_11hip_rocprim5par_tENS9_11use_defaultESF_EEEENSB_INSC_IjSE_SF_SF_EEEEhNS9_4plusIvEEhEEDaPvRmT3_T4_T5_mT6_P12ihipStream_tbENKUlT_T0_E_clISt17integral_constantIbLb1EESZ_EEDaSU_SV_EUlSU_E_NS1_11comp_targetILNS1_3genE10ELNS1_11target_archE1201ELNS1_3gpuE5ELNS1_3repE0EEENS1_30default_config_static_selectorELNS0_4arch9wavefront6targetE0EEEvT1_
	.globl	_ZN7rocprim17ROCPRIM_400000_NS6detail17trampoline_kernelINS0_14default_configENS1_20scan_config_selectorIhEEZZNS1_9scan_implILNS1_25lookback_scan_determinismE0ELb0ELb0ES3_N6thrust23THRUST_200600_302600_NS6detail15normal_iteratorINS9_7pointerIhNS9_11hip_rocprim5par_tENS9_11use_defaultESF_EEEENSB_INSC_IjSE_SF_SF_EEEEhNS9_4plusIvEEhEEDaPvRmT3_T4_T5_mT6_P12ihipStream_tbENKUlT_T0_E_clISt17integral_constantIbLb1EESZ_EEDaSU_SV_EUlSU_E_NS1_11comp_targetILNS1_3genE10ELNS1_11target_archE1201ELNS1_3gpuE5ELNS1_3repE0EEENS1_30default_config_static_selectorELNS0_4arch9wavefront6targetE0EEEvT1_
	.p2align	8
	.type	_ZN7rocprim17ROCPRIM_400000_NS6detail17trampoline_kernelINS0_14default_configENS1_20scan_config_selectorIhEEZZNS1_9scan_implILNS1_25lookback_scan_determinismE0ELb0ELb0ES3_N6thrust23THRUST_200600_302600_NS6detail15normal_iteratorINS9_7pointerIhNS9_11hip_rocprim5par_tENS9_11use_defaultESF_EEEENSB_INSC_IjSE_SF_SF_EEEEhNS9_4plusIvEEhEEDaPvRmT3_T4_T5_mT6_P12ihipStream_tbENKUlT_T0_E_clISt17integral_constantIbLb1EESZ_EEDaSU_SV_EUlSU_E_NS1_11comp_targetILNS1_3genE10ELNS1_11target_archE1201ELNS1_3gpuE5ELNS1_3repE0EEENS1_30default_config_static_selectorELNS0_4arch9wavefront6targetE0EEEvT1_,@function
_ZN7rocprim17ROCPRIM_400000_NS6detail17trampoline_kernelINS0_14default_configENS1_20scan_config_selectorIhEEZZNS1_9scan_implILNS1_25lookback_scan_determinismE0ELb0ELb0ES3_N6thrust23THRUST_200600_302600_NS6detail15normal_iteratorINS9_7pointerIhNS9_11hip_rocprim5par_tENS9_11use_defaultESF_EEEENSB_INSC_IjSE_SF_SF_EEEEhNS9_4plusIvEEhEEDaPvRmT3_T4_T5_mT6_P12ihipStream_tbENKUlT_T0_E_clISt17integral_constantIbLb1EESZ_EEDaSU_SV_EUlSU_E_NS1_11comp_targetILNS1_3genE10ELNS1_11target_archE1201ELNS1_3gpuE5ELNS1_3repE0EEENS1_30default_config_static_selectorELNS0_4arch9wavefront6targetE0EEEvT1_: ; @_ZN7rocprim17ROCPRIM_400000_NS6detail17trampoline_kernelINS0_14default_configENS1_20scan_config_selectorIhEEZZNS1_9scan_implILNS1_25lookback_scan_determinismE0ELb0ELb0ES3_N6thrust23THRUST_200600_302600_NS6detail15normal_iteratorINS9_7pointerIhNS9_11hip_rocprim5par_tENS9_11use_defaultESF_EEEENSB_INSC_IjSE_SF_SF_EEEEhNS9_4plusIvEEhEEDaPvRmT3_T4_T5_mT6_P12ihipStream_tbENKUlT_T0_E_clISt17integral_constantIbLb1EESZ_EEDaSU_SV_EUlSU_E_NS1_11comp_targetILNS1_3genE10ELNS1_11target_archE1201ELNS1_3gpuE5ELNS1_3repE0EEENS1_30default_config_static_selectorELNS0_4arch9wavefront6targetE0EEEvT1_
; %bb.0:
	.section	.rodata,"a",@progbits
	.p2align	6, 0x0
	.amdhsa_kernel _ZN7rocprim17ROCPRIM_400000_NS6detail17trampoline_kernelINS0_14default_configENS1_20scan_config_selectorIhEEZZNS1_9scan_implILNS1_25lookback_scan_determinismE0ELb0ELb0ES3_N6thrust23THRUST_200600_302600_NS6detail15normal_iteratorINS9_7pointerIhNS9_11hip_rocprim5par_tENS9_11use_defaultESF_EEEENSB_INSC_IjSE_SF_SF_EEEEhNS9_4plusIvEEhEEDaPvRmT3_T4_T5_mT6_P12ihipStream_tbENKUlT_T0_E_clISt17integral_constantIbLb1EESZ_EEDaSU_SV_EUlSU_E_NS1_11comp_targetILNS1_3genE10ELNS1_11target_archE1201ELNS1_3gpuE5ELNS1_3repE0EEENS1_30default_config_static_selectorELNS0_4arch9wavefront6targetE0EEEvT1_
		.amdhsa_group_segment_fixed_size 0
		.amdhsa_private_segment_fixed_size 0
		.amdhsa_kernarg_size 96
		.amdhsa_user_sgpr_count 15
		.amdhsa_user_sgpr_dispatch_ptr 0
		.amdhsa_user_sgpr_queue_ptr 0
		.amdhsa_user_sgpr_kernarg_segment_ptr 1
		.amdhsa_user_sgpr_dispatch_id 0
		.amdhsa_user_sgpr_private_segment_size 0
		.amdhsa_wavefront_size32 1
		.amdhsa_uses_dynamic_stack 0
		.amdhsa_enable_private_segment 0
		.amdhsa_system_sgpr_workgroup_id_x 1
		.amdhsa_system_sgpr_workgroup_id_y 0
		.amdhsa_system_sgpr_workgroup_id_z 0
		.amdhsa_system_sgpr_workgroup_info 0
		.amdhsa_system_vgpr_workitem_id 0
		.amdhsa_next_free_vgpr 1
		.amdhsa_next_free_sgpr 1
		.amdhsa_reserve_vcc 0
		.amdhsa_float_round_mode_32 0
		.amdhsa_float_round_mode_16_64 0
		.amdhsa_float_denorm_mode_32 3
		.amdhsa_float_denorm_mode_16_64 3
		.amdhsa_dx10_clamp 1
		.amdhsa_ieee_mode 1
		.amdhsa_fp16_overflow 0
		.amdhsa_workgroup_processor_mode 1
		.amdhsa_memory_ordered 1
		.amdhsa_forward_progress 0
		.amdhsa_shared_vgpr_count 0
		.amdhsa_exception_fp_ieee_invalid_op 0
		.amdhsa_exception_fp_denorm_src 0
		.amdhsa_exception_fp_ieee_div_zero 0
		.amdhsa_exception_fp_ieee_overflow 0
		.amdhsa_exception_fp_ieee_underflow 0
		.amdhsa_exception_fp_ieee_inexact 0
		.amdhsa_exception_int_div_zero 0
	.end_amdhsa_kernel
	.section	.text._ZN7rocprim17ROCPRIM_400000_NS6detail17trampoline_kernelINS0_14default_configENS1_20scan_config_selectorIhEEZZNS1_9scan_implILNS1_25lookback_scan_determinismE0ELb0ELb0ES3_N6thrust23THRUST_200600_302600_NS6detail15normal_iteratorINS9_7pointerIhNS9_11hip_rocprim5par_tENS9_11use_defaultESF_EEEENSB_INSC_IjSE_SF_SF_EEEEhNS9_4plusIvEEhEEDaPvRmT3_T4_T5_mT6_P12ihipStream_tbENKUlT_T0_E_clISt17integral_constantIbLb1EESZ_EEDaSU_SV_EUlSU_E_NS1_11comp_targetILNS1_3genE10ELNS1_11target_archE1201ELNS1_3gpuE5ELNS1_3repE0EEENS1_30default_config_static_selectorELNS0_4arch9wavefront6targetE0EEEvT1_,"axG",@progbits,_ZN7rocprim17ROCPRIM_400000_NS6detail17trampoline_kernelINS0_14default_configENS1_20scan_config_selectorIhEEZZNS1_9scan_implILNS1_25lookback_scan_determinismE0ELb0ELb0ES3_N6thrust23THRUST_200600_302600_NS6detail15normal_iteratorINS9_7pointerIhNS9_11hip_rocprim5par_tENS9_11use_defaultESF_EEEENSB_INSC_IjSE_SF_SF_EEEEhNS9_4plusIvEEhEEDaPvRmT3_T4_T5_mT6_P12ihipStream_tbENKUlT_T0_E_clISt17integral_constantIbLb1EESZ_EEDaSU_SV_EUlSU_E_NS1_11comp_targetILNS1_3genE10ELNS1_11target_archE1201ELNS1_3gpuE5ELNS1_3repE0EEENS1_30default_config_static_selectorELNS0_4arch9wavefront6targetE0EEEvT1_,comdat
.Lfunc_end136:
	.size	_ZN7rocprim17ROCPRIM_400000_NS6detail17trampoline_kernelINS0_14default_configENS1_20scan_config_selectorIhEEZZNS1_9scan_implILNS1_25lookback_scan_determinismE0ELb0ELb0ES3_N6thrust23THRUST_200600_302600_NS6detail15normal_iteratorINS9_7pointerIhNS9_11hip_rocprim5par_tENS9_11use_defaultESF_EEEENSB_INSC_IjSE_SF_SF_EEEEhNS9_4plusIvEEhEEDaPvRmT3_T4_T5_mT6_P12ihipStream_tbENKUlT_T0_E_clISt17integral_constantIbLb1EESZ_EEDaSU_SV_EUlSU_E_NS1_11comp_targetILNS1_3genE10ELNS1_11target_archE1201ELNS1_3gpuE5ELNS1_3repE0EEENS1_30default_config_static_selectorELNS0_4arch9wavefront6targetE0EEEvT1_, .Lfunc_end136-_ZN7rocprim17ROCPRIM_400000_NS6detail17trampoline_kernelINS0_14default_configENS1_20scan_config_selectorIhEEZZNS1_9scan_implILNS1_25lookback_scan_determinismE0ELb0ELb0ES3_N6thrust23THRUST_200600_302600_NS6detail15normal_iteratorINS9_7pointerIhNS9_11hip_rocprim5par_tENS9_11use_defaultESF_EEEENSB_INSC_IjSE_SF_SF_EEEEhNS9_4plusIvEEhEEDaPvRmT3_T4_T5_mT6_P12ihipStream_tbENKUlT_T0_E_clISt17integral_constantIbLb1EESZ_EEDaSU_SV_EUlSU_E_NS1_11comp_targetILNS1_3genE10ELNS1_11target_archE1201ELNS1_3gpuE5ELNS1_3repE0EEENS1_30default_config_static_selectorELNS0_4arch9wavefront6targetE0EEEvT1_
                                        ; -- End function
	.section	.AMDGPU.csdata,"",@progbits
; Kernel info:
; codeLenInByte = 0
; NumSgprs: 0
; NumVgprs: 0
; ScratchSize: 0
; MemoryBound: 0
; FloatMode: 240
; IeeeMode: 1
; LDSByteSize: 0 bytes/workgroup (compile time only)
; SGPRBlocks: 0
; VGPRBlocks: 0
; NumSGPRsForWavesPerEU: 1
; NumVGPRsForWavesPerEU: 1
; Occupancy: 16
; WaveLimiterHint : 0
; COMPUTE_PGM_RSRC2:SCRATCH_EN: 0
; COMPUTE_PGM_RSRC2:USER_SGPR: 15
; COMPUTE_PGM_RSRC2:TRAP_HANDLER: 0
; COMPUTE_PGM_RSRC2:TGID_X_EN: 1
; COMPUTE_PGM_RSRC2:TGID_Y_EN: 0
; COMPUTE_PGM_RSRC2:TGID_Z_EN: 0
; COMPUTE_PGM_RSRC2:TIDIG_COMP_CNT: 0
	.section	.text._ZN7rocprim17ROCPRIM_400000_NS6detail17trampoline_kernelINS0_14default_configENS1_20scan_config_selectorIhEEZZNS1_9scan_implILNS1_25lookback_scan_determinismE0ELb0ELb0ES3_N6thrust23THRUST_200600_302600_NS6detail15normal_iteratorINS9_7pointerIhNS9_11hip_rocprim5par_tENS9_11use_defaultESF_EEEENSB_INSC_IjSE_SF_SF_EEEEhNS9_4plusIvEEhEEDaPvRmT3_T4_T5_mT6_P12ihipStream_tbENKUlT_T0_E_clISt17integral_constantIbLb1EESZ_EEDaSU_SV_EUlSU_E_NS1_11comp_targetILNS1_3genE10ELNS1_11target_archE1200ELNS1_3gpuE4ELNS1_3repE0EEENS1_30default_config_static_selectorELNS0_4arch9wavefront6targetE0EEEvT1_,"axG",@progbits,_ZN7rocprim17ROCPRIM_400000_NS6detail17trampoline_kernelINS0_14default_configENS1_20scan_config_selectorIhEEZZNS1_9scan_implILNS1_25lookback_scan_determinismE0ELb0ELb0ES3_N6thrust23THRUST_200600_302600_NS6detail15normal_iteratorINS9_7pointerIhNS9_11hip_rocprim5par_tENS9_11use_defaultESF_EEEENSB_INSC_IjSE_SF_SF_EEEEhNS9_4plusIvEEhEEDaPvRmT3_T4_T5_mT6_P12ihipStream_tbENKUlT_T0_E_clISt17integral_constantIbLb1EESZ_EEDaSU_SV_EUlSU_E_NS1_11comp_targetILNS1_3genE10ELNS1_11target_archE1200ELNS1_3gpuE4ELNS1_3repE0EEENS1_30default_config_static_selectorELNS0_4arch9wavefront6targetE0EEEvT1_,comdat
	.protected	_ZN7rocprim17ROCPRIM_400000_NS6detail17trampoline_kernelINS0_14default_configENS1_20scan_config_selectorIhEEZZNS1_9scan_implILNS1_25lookback_scan_determinismE0ELb0ELb0ES3_N6thrust23THRUST_200600_302600_NS6detail15normal_iteratorINS9_7pointerIhNS9_11hip_rocprim5par_tENS9_11use_defaultESF_EEEENSB_INSC_IjSE_SF_SF_EEEEhNS9_4plusIvEEhEEDaPvRmT3_T4_T5_mT6_P12ihipStream_tbENKUlT_T0_E_clISt17integral_constantIbLb1EESZ_EEDaSU_SV_EUlSU_E_NS1_11comp_targetILNS1_3genE10ELNS1_11target_archE1200ELNS1_3gpuE4ELNS1_3repE0EEENS1_30default_config_static_selectorELNS0_4arch9wavefront6targetE0EEEvT1_ ; -- Begin function _ZN7rocprim17ROCPRIM_400000_NS6detail17trampoline_kernelINS0_14default_configENS1_20scan_config_selectorIhEEZZNS1_9scan_implILNS1_25lookback_scan_determinismE0ELb0ELb0ES3_N6thrust23THRUST_200600_302600_NS6detail15normal_iteratorINS9_7pointerIhNS9_11hip_rocprim5par_tENS9_11use_defaultESF_EEEENSB_INSC_IjSE_SF_SF_EEEEhNS9_4plusIvEEhEEDaPvRmT3_T4_T5_mT6_P12ihipStream_tbENKUlT_T0_E_clISt17integral_constantIbLb1EESZ_EEDaSU_SV_EUlSU_E_NS1_11comp_targetILNS1_3genE10ELNS1_11target_archE1200ELNS1_3gpuE4ELNS1_3repE0EEENS1_30default_config_static_selectorELNS0_4arch9wavefront6targetE0EEEvT1_
	.globl	_ZN7rocprim17ROCPRIM_400000_NS6detail17trampoline_kernelINS0_14default_configENS1_20scan_config_selectorIhEEZZNS1_9scan_implILNS1_25lookback_scan_determinismE0ELb0ELb0ES3_N6thrust23THRUST_200600_302600_NS6detail15normal_iteratorINS9_7pointerIhNS9_11hip_rocprim5par_tENS9_11use_defaultESF_EEEENSB_INSC_IjSE_SF_SF_EEEEhNS9_4plusIvEEhEEDaPvRmT3_T4_T5_mT6_P12ihipStream_tbENKUlT_T0_E_clISt17integral_constantIbLb1EESZ_EEDaSU_SV_EUlSU_E_NS1_11comp_targetILNS1_3genE10ELNS1_11target_archE1200ELNS1_3gpuE4ELNS1_3repE0EEENS1_30default_config_static_selectorELNS0_4arch9wavefront6targetE0EEEvT1_
	.p2align	8
	.type	_ZN7rocprim17ROCPRIM_400000_NS6detail17trampoline_kernelINS0_14default_configENS1_20scan_config_selectorIhEEZZNS1_9scan_implILNS1_25lookback_scan_determinismE0ELb0ELb0ES3_N6thrust23THRUST_200600_302600_NS6detail15normal_iteratorINS9_7pointerIhNS9_11hip_rocprim5par_tENS9_11use_defaultESF_EEEENSB_INSC_IjSE_SF_SF_EEEEhNS9_4plusIvEEhEEDaPvRmT3_T4_T5_mT6_P12ihipStream_tbENKUlT_T0_E_clISt17integral_constantIbLb1EESZ_EEDaSU_SV_EUlSU_E_NS1_11comp_targetILNS1_3genE10ELNS1_11target_archE1200ELNS1_3gpuE4ELNS1_3repE0EEENS1_30default_config_static_selectorELNS0_4arch9wavefront6targetE0EEEvT1_,@function
_ZN7rocprim17ROCPRIM_400000_NS6detail17trampoline_kernelINS0_14default_configENS1_20scan_config_selectorIhEEZZNS1_9scan_implILNS1_25lookback_scan_determinismE0ELb0ELb0ES3_N6thrust23THRUST_200600_302600_NS6detail15normal_iteratorINS9_7pointerIhNS9_11hip_rocprim5par_tENS9_11use_defaultESF_EEEENSB_INSC_IjSE_SF_SF_EEEEhNS9_4plusIvEEhEEDaPvRmT3_T4_T5_mT6_P12ihipStream_tbENKUlT_T0_E_clISt17integral_constantIbLb1EESZ_EEDaSU_SV_EUlSU_E_NS1_11comp_targetILNS1_3genE10ELNS1_11target_archE1200ELNS1_3gpuE4ELNS1_3repE0EEENS1_30default_config_static_selectorELNS0_4arch9wavefront6targetE0EEEvT1_: ; @_ZN7rocprim17ROCPRIM_400000_NS6detail17trampoline_kernelINS0_14default_configENS1_20scan_config_selectorIhEEZZNS1_9scan_implILNS1_25lookback_scan_determinismE0ELb0ELb0ES3_N6thrust23THRUST_200600_302600_NS6detail15normal_iteratorINS9_7pointerIhNS9_11hip_rocprim5par_tENS9_11use_defaultESF_EEEENSB_INSC_IjSE_SF_SF_EEEEhNS9_4plusIvEEhEEDaPvRmT3_T4_T5_mT6_P12ihipStream_tbENKUlT_T0_E_clISt17integral_constantIbLb1EESZ_EEDaSU_SV_EUlSU_E_NS1_11comp_targetILNS1_3genE10ELNS1_11target_archE1200ELNS1_3gpuE4ELNS1_3repE0EEENS1_30default_config_static_selectorELNS0_4arch9wavefront6targetE0EEEvT1_
; %bb.0:
	.section	.rodata,"a",@progbits
	.p2align	6, 0x0
	.amdhsa_kernel _ZN7rocprim17ROCPRIM_400000_NS6detail17trampoline_kernelINS0_14default_configENS1_20scan_config_selectorIhEEZZNS1_9scan_implILNS1_25lookback_scan_determinismE0ELb0ELb0ES3_N6thrust23THRUST_200600_302600_NS6detail15normal_iteratorINS9_7pointerIhNS9_11hip_rocprim5par_tENS9_11use_defaultESF_EEEENSB_INSC_IjSE_SF_SF_EEEEhNS9_4plusIvEEhEEDaPvRmT3_T4_T5_mT6_P12ihipStream_tbENKUlT_T0_E_clISt17integral_constantIbLb1EESZ_EEDaSU_SV_EUlSU_E_NS1_11comp_targetILNS1_3genE10ELNS1_11target_archE1200ELNS1_3gpuE4ELNS1_3repE0EEENS1_30default_config_static_selectorELNS0_4arch9wavefront6targetE0EEEvT1_
		.amdhsa_group_segment_fixed_size 0
		.amdhsa_private_segment_fixed_size 0
		.amdhsa_kernarg_size 96
		.amdhsa_user_sgpr_count 15
		.amdhsa_user_sgpr_dispatch_ptr 0
		.amdhsa_user_sgpr_queue_ptr 0
		.amdhsa_user_sgpr_kernarg_segment_ptr 1
		.amdhsa_user_sgpr_dispatch_id 0
		.amdhsa_user_sgpr_private_segment_size 0
		.amdhsa_wavefront_size32 1
		.amdhsa_uses_dynamic_stack 0
		.amdhsa_enable_private_segment 0
		.amdhsa_system_sgpr_workgroup_id_x 1
		.amdhsa_system_sgpr_workgroup_id_y 0
		.amdhsa_system_sgpr_workgroup_id_z 0
		.amdhsa_system_sgpr_workgroup_info 0
		.amdhsa_system_vgpr_workitem_id 0
		.amdhsa_next_free_vgpr 1
		.amdhsa_next_free_sgpr 1
		.amdhsa_reserve_vcc 0
		.amdhsa_float_round_mode_32 0
		.amdhsa_float_round_mode_16_64 0
		.amdhsa_float_denorm_mode_32 3
		.amdhsa_float_denorm_mode_16_64 3
		.amdhsa_dx10_clamp 1
		.amdhsa_ieee_mode 1
		.amdhsa_fp16_overflow 0
		.amdhsa_workgroup_processor_mode 1
		.amdhsa_memory_ordered 1
		.amdhsa_forward_progress 0
		.amdhsa_shared_vgpr_count 0
		.amdhsa_exception_fp_ieee_invalid_op 0
		.amdhsa_exception_fp_denorm_src 0
		.amdhsa_exception_fp_ieee_div_zero 0
		.amdhsa_exception_fp_ieee_overflow 0
		.amdhsa_exception_fp_ieee_underflow 0
		.amdhsa_exception_fp_ieee_inexact 0
		.amdhsa_exception_int_div_zero 0
	.end_amdhsa_kernel
	.section	.text._ZN7rocprim17ROCPRIM_400000_NS6detail17trampoline_kernelINS0_14default_configENS1_20scan_config_selectorIhEEZZNS1_9scan_implILNS1_25lookback_scan_determinismE0ELb0ELb0ES3_N6thrust23THRUST_200600_302600_NS6detail15normal_iteratorINS9_7pointerIhNS9_11hip_rocprim5par_tENS9_11use_defaultESF_EEEENSB_INSC_IjSE_SF_SF_EEEEhNS9_4plusIvEEhEEDaPvRmT3_T4_T5_mT6_P12ihipStream_tbENKUlT_T0_E_clISt17integral_constantIbLb1EESZ_EEDaSU_SV_EUlSU_E_NS1_11comp_targetILNS1_3genE10ELNS1_11target_archE1200ELNS1_3gpuE4ELNS1_3repE0EEENS1_30default_config_static_selectorELNS0_4arch9wavefront6targetE0EEEvT1_,"axG",@progbits,_ZN7rocprim17ROCPRIM_400000_NS6detail17trampoline_kernelINS0_14default_configENS1_20scan_config_selectorIhEEZZNS1_9scan_implILNS1_25lookback_scan_determinismE0ELb0ELb0ES3_N6thrust23THRUST_200600_302600_NS6detail15normal_iteratorINS9_7pointerIhNS9_11hip_rocprim5par_tENS9_11use_defaultESF_EEEENSB_INSC_IjSE_SF_SF_EEEEhNS9_4plusIvEEhEEDaPvRmT3_T4_T5_mT6_P12ihipStream_tbENKUlT_T0_E_clISt17integral_constantIbLb1EESZ_EEDaSU_SV_EUlSU_E_NS1_11comp_targetILNS1_3genE10ELNS1_11target_archE1200ELNS1_3gpuE4ELNS1_3repE0EEENS1_30default_config_static_selectorELNS0_4arch9wavefront6targetE0EEEvT1_,comdat
.Lfunc_end137:
	.size	_ZN7rocprim17ROCPRIM_400000_NS6detail17trampoline_kernelINS0_14default_configENS1_20scan_config_selectorIhEEZZNS1_9scan_implILNS1_25lookback_scan_determinismE0ELb0ELb0ES3_N6thrust23THRUST_200600_302600_NS6detail15normal_iteratorINS9_7pointerIhNS9_11hip_rocprim5par_tENS9_11use_defaultESF_EEEENSB_INSC_IjSE_SF_SF_EEEEhNS9_4plusIvEEhEEDaPvRmT3_T4_T5_mT6_P12ihipStream_tbENKUlT_T0_E_clISt17integral_constantIbLb1EESZ_EEDaSU_SV_EUlSU_E_NS1_11comp_targetILNS1_3genE10ELNS1_11target_archE1200ELNS1_3gpuE4ELNS1_3repE0EEENS1_30default_config_static_selectorELNS0_4arch9wavefront6targetE0EEEvT1_, .Lfunc_end137-_ZN7rocprim17ROCPRIM_400000_NS6detail17trampoline_kernelINS0_14default_configENS1_20scan_config_selectorIhEEZZNS1_9scan_implILNS1_25lookback_scan_determinismE0ELb0ELb0ES3_N6thrust23THRUST_200600_302600_NS6detail15normal_iteratorINS9_7pointerIhNS9_11hip_rocprim5par_tENS9_11use_defaultESF_EEEENSB_INSC_IjSE_SF_SF_EEEEhNS9_4plusIvEEhEEDaPvRmT3_T4_T5_mT6_P12ihipStream_tbENKUlT_T0_E_clISt17integral_constantIbLb1EESZ_EEDaSU_SV_EUlSU_E_NS1_11comp_targetILNS1_3genE10ELNS1_11target_archE1200ELNS1_3gpuE4ELNS1_3repE0EEENS1_30default_config_static_selectorELNS0_4arch9wavefront6targetE0EEEvT1_
                                        ; -- End function
	.section	.AMDGPU.csdata,"",@progbits
; Kernel info:
; codeLenInByte = 0
; NumSgprs: 0
; NumVgprs: 0
; ScratchSize: 0
; MemoryBound: 0
; FloatMode: 240
; IeeeMode: 1
; LDSByteSize: 0 bytes/workgroup (compile time only)
; SGPRBlocks: 0
; VGPRBlocks: 0
; NumSGPRsForWavesPerEU: 1
; NumVGPRsForWavesPerEU: 1
; Occupancy: 16
; WaveLimiterHint : 0
; COMPUTE_PGM_RSRC2:SCRATCH_EN: 0
; COMPUTE_PGM_RSRC2:USER_SGPR: 15
; COMPUTE_PGM_RSRC2:TRAP_HANDLER: 0
; COMPUTE_PGM_RSRC2:TGID_X_EN: 1
; COMPUTE_PGM_RSRC2:TGID_Y_EN: 0
; COMPUTE_PGM_RSRC2:TGID_Z_EN: 0
; COMPUTE_PGM_RSRC2:TIDIG_COMP_CNT: 0
	.section	.text._ZN7rocprim17ROCPRIM_400000_NS6detail17trampoline_kernelINS0_14default_configENS1_20scan_config_selectorIhEEZZNS1_9scan_implILNS1_25lookback_scan_determinismE0ELb0ELb0ES3_N6thrust23THRUST_200600_302600_NS6detail15normal_iteratorINS9_7pointerIhNS9_11hip_rocprim5par_tENS9_11use_defaultESF_EEEENSB_INSC_IjSE_SF_SF_EEEEhNS9_4plusIvEEhEEDaPvRmT3_T4_T5_mT6_P12ihipStream_tbENKUlT_T0_E_clISt17integral_constantIbLb1EESZ_EEDaSU_SV_EUlSU_E_NS1_11comp_targetILNS1_3genE9ELNS1_11target_archE1100ELNS1_3gpuE3ELNS1_3repE0EEENS1_30default_config_static_selectorELNS0_4arch9wavefront6targetE0EEEvT1_,"axG",@progbits,_ZN7rocprim17ROCPRIM_400000_NS6detail17trampoline_kernelINS0_14default_configENS1_20scan_config_selectorIhEEZZNS1_9scan_implILNS1_25lookback_scan_determinismE0ELb0ELb0ES3_N6thrust23THRUST_200600_302600_NS6detail15normal_iteratorINS9_7pointerIhNS9_11hip_rocprim5par_tENS9_11use_defaultESF_EEEENSB_INSC_IjSE_SF_SF_EEEEhNS9_4plusIvEEhEEDaPvRmT3_T4_T5_mT6_P12ihipStream_tbENKUlT_T0_E_clISt17integral_constantIbLb1EESZ_EEDaSU_SV_EUlSU_E_NS1_11comp_targetILNS1_3genE9ELNS1_11target_archE1100ELNS1_3gpuE3ELNS1_3repE0EEENS1_30default_config_static_selectorELNS0_4arch9wavefront6targetE0EEEvT1_,comdat
	.protected	_ZN7rocprim17ROCPRIM_400000_NS6detail17trampoline_kernelINS0_14default_configENS1_20scan_config_selectorIhEEZZNS1_9scan_implILNS1_25lookback_scan_determinismE0ELb0ELb0ES3_N6thrust23THRUST_200600_302600_NS6detail15normal_iteratorINS9_7pointerIhNS9_11hip_rocprim5par_tENS9_11use_defaultESF_EEEENSB_INSC_IjSE_SF_SF_EEEEhNS9_4plusIvEEhEEDaPvRmT3_T4_T5_mT6_P12ihipStream_tbENKUlT_T0_E_clISt17integral_constantIbLb1EESZ_EEDaSU_SV_EUlSU_E_NS1_11comp_targetILNS1_3genE9ELNS1_11target_archE1100ELNS1_3gpuE3ELNS1_3repE0EEENS1_30default_config_static_selectorELNS0_4arch9wavefront6targetE0EEEvT1_ ; -- Begin function _ZN7rocprim17ROCPRIM_400000_NS6detail17trampoline_kernelINS0_14default_configENS1_20scan_config_selectorIhEEZZNS1_9scan_implILNS1_25lookback_scan_determinismE0ELb0ELb0ES3_N6thrust23THRUST_200600_302600_NS6detail15normal_iteratorINS9_7pointerIhNS9_11hip_rocprim5par_tENS9_11use_defaultESF_EEEENSB_INSC_IjSE_SF_SF_EEEEhNS9_4plusIvEEhEEDaPvRmT3_T4_T5_mT6_P12ihipStream_tbENKUlT_T0_E_clISt17integral_constantIbLb1EESZ_EEDaSU_SV_EUlSU_E_NS1_11comp_targetILNS1_3genE9ELNS1_11target_archE1100ELNS1_3gpuE3ELNS1_3repE0EEENS1_30default_config_static_selectorELNS0_4arch9wavefront6targetE0EEEvT1_
	.globl	_ZN7rocprim17ROCPRIM_400000_NS6detail17trampoline_kernelINS0_14default_configENS1_20scan_config_selectorIhEEZZNS1_9scan_implILNS1_25lookback_scan_determinismE0ELb0ELb0ES3_N6thrust23THRUST_200600_302600_NS6detail15normal_iteratorINS9_7pointerIhNS9_11hip_rocprim5par_tENS9_11use_defaultESF_EEEENSB_INSC_IjSE_SF_SF_EEEEhNS9_4plusIvEEhEEDaPvRmT3_T4_T5_mT6_P12ihipStream_tbENKUlT_T0_E_clISt17integral_constantIbLb1EESZ_EEDaSU_SV_EUlSU_E_NS1_11comp_targetILNS1_3genE9ELNS1_11target_archE1100ELNS1_3gpuE3ELNS1_3repE0EEENS1_30default_config_static_selectorELNS0_4arch9wavefront6targetE0EEEvT1_
	.p2align	8
	.type	_ZN7rocprim17ROCPRIM_400000_NS6detail17trampoline_kernelINS0_14default_configENS1_20scan_config_selectorIhEEZZNS1_9scan_implILNS1_25lookback_scan_determinismE0ELb0ELb0ES3_N6thrust23THRUST_200600_302600_NS6detail15normal_iteratorINS9_7pointerIhNS9_11hip_rocprim5par_tENS9_11use_defaultESF_EEEENSB_INSC_IjSE_SF_SF_EEEEhNS9_4plusIvEEhEEDaPvRmT3_T4_T5_mT6_P12ihipStream_tbENKUlT_T0_E_clISt17integral_constantIbLb1EESZ_EEDaSU_SV_EUlSU_E_NS1_11comp_targetILNS1_3genE9ELNS1_11target_archE1100ELNS1_3gpuE3ELNS1_3repE0EEENS1_30default_config_static_selectorELNS0_4arch9wavefront6targetE0EEEvT1_,@function
_ZN7rocprim17ROCPRIM_400000_NS6detail17trampoline_kernelINS0_14default_configENS1_20scan_config_selectorIhEEZZNS1_9scan_implILNS1_25lookback_scan_determinismE0ELb0ELb0ES3_N6thrust23THRUST_200600_302600_NS6detail15normal_iteratorINS9_7pointerIhNS9_11hip_rocprim5par_tENS9_11use_defaultESF_EEEENSB_INSC_IjSE_SF_SF_EEEEhNS9_4plusIvEEhEEDaPvRmT3_T4_T5_mT6_P12ihipStream_tbENKUlT_T0_E_clISt17integral_constantIbLb1EESZ_EEDaSU_SV_EUlSU_E_NS1_11comp_targetILNS1_3genE9ELNS1_11target_archE1100ELNS1_3gpuE3ELNS1_3repE0EEENS1_30default_config_static_selectorELNS0_4arch9wavefront6targetE0EEEvT1_: ; @_ZN7rocprim17ROCPRIM_400000_NS6detail17trampoline_kernelINS0_14default_configENS1_20scan_config_selectorIhEEZZNS1_9scan_implILNS1_25lookback_scan_determinismE0ELb0ELb0ES3_N6thrust23THRUST_200600_302600_NS6detail15normal_iteratorINS9_7pointerIhNS9_11hip_rocprim5par_tENS9_11use_defaultESF_EEEENSB_INSC_IjSE_SF_SF_EEEEhNS9_4plusIvEEhEEDaPvRmT3_T4_T5_mT6_P12ihipStream_tbENKUlT_T0_E_clISt17integral_constantIbLb1EESZ_EEDaSU_SV_EUlSU_E_NS1_11comp_targetILNS1_3genE9ELNS1_11target_archE1100ELNS1_3gpuE3ELNS1_3repE0EEENS1_30default_config_static_selectorELNS0_4arch9wavefront6targetE0EEEvT1_
; %bb.0:
	s_load_b64 s[6:7], s[0:1], 0x28
	v_cmp_ne_u32_e64 s2, 0, v0
	v_cmp_eq_u32_e64 s3, 0, v0
	s_delay_alu instid0(VALU_DEP_1)
	s_and_saveexec_b32 s4, s3
	s_cbranch_execz .LBB138_4
; %bb.1:
	s_mov_b32 s8, exec_lo
	s_mov_b32 s5, exec_lo
	v_mbcnt_lo_u32_b32 v1, s8, 0
                                        ; implicit-def: $vgpr2
	s_delay_alu instid0(VALU_DEP_1)
	v_cmpx_eq_u32_e32 0, v1
	s_cbranch_execz .LBB138_3
; %bb.2:
	s_load_b64 s[10:11], s[0:1], 0x58
	s_bcnt1_i32_b32 s8, s8
	s_delay_alu instid0(SALU_CYCLE_1)
	v_dual_mov_b32 v2, 0 :: v_dual_mov_b32 v3, s8
	s_waitcnt lgkmcnt(0)
	global_atomic_add_u32 v2, v2, v3, s[10:11] glc
.LBB138_3:
	s_or_b32 exec_lo, exec_lo, s5
	s_waitcnt vmcnt(0)
	v_readfirstlane_b32 s5, v2
	s_delay_alu instid0(VALU_DEP_1)
	v_dual_mov_b32 v2, 0 :: v_dual_add_nc_u32 v1, s5, v1
	ds_store_b32 v2, v1
.LBB138_4:
	s_or_b32 exec_lo, exec_lo, s4
	v_mov_b32_e32 v6, 0
	s_clause 0x2
	s_load_b256 s[16:23], s[0:1], 0x0
	s_load_b32 s4, s[0:1], 0x30
	s_load_b256 s[8:15], s[0:1], 0x38
	s_waitcnt lgkmcnt(0)
	s_barrier
	buffer_gl0_inv
	ds_load_b32 v1, v6
	s_waitcnt lgkmcnt(0)
	s_barrier
	buffer_gl0_inv
	s_add_u32 s1, s16, s18
	s_addc_u32 s24, s17, s19
	s_add_i32 s0, s4, -1
	s_delay_alu instid0(SALU_CYCLE_1) | instskip(NEXT) | instid1(SALU_CYCLE_1)
	s_mul_i32 s4, s0, 0x1800
	s_sub_u32 s5, s22, s4
	v_mul_lo_u32 v5, 0x1800, v1
	v_readfirstlane_b32 s17, v1
	v_cmp_ne_u32_e64 s0, s0, v1
	s_subb_u32 s16, s23, 0
	s_mov_b32 s4, -1
	s_delay_alu instid0(VALU_DEP_1) | instskip(NEXT) | instid1(VALU_DEP_3)
	s_and_b32 vcc_lo, exec_lo, s0
	v_add_co_u32 v1, s1, s1, v5
	s_delay_alu instid0(VALU_DEP_1)
	v_add_co_ci_u32_e64 v2, null, s24, 0, s1
	s_cbranch_vccz .LBB138_6
; %bb.5:
	s_delay_alu instid0(VALU_DEP_2) | instskip(NEXT) | instid1(VALU_DEP_2)
	v_add_co_u32 v3, vcc_lo, v1, v0
	v_add_co_ci_u32_e32 v4, vcc_lo, 0, v2, vcc_lo
	s_mov_b32 s4, 0
	s_delay_alu instid0(VALU_DEP_2)
	v_add_co_u32 v7, vcc_lo, 0x1000, v3
	s_clause 0x7
	flat_load_u8 v9, v[3:4]
	flat_load_u8 v10, v[3:4] offset:256
	flat_load_u8 v11, v[3:4] offset:512
	;; [unrolled: 1-line block ×7, first 2 shown]
	v_add_co_ci_u32_e32 v8, vcc_lo, 0, v4, vcc_lo
	s_clause 0xf
	flat_load_u8 v17, v[3:4] offset:2048
	flat_load_u8 v18, v[3:4] offset:2304
	flat_load_u8 v19, v[3:4] offset:2560
	flat_load_u8 v20, v[3:4] offset:2816
	flat_load_u8 v21, v[3:4] offset:3072
	flat_load_u8 v22, v[3:4] offset:3328
	flat_load_u8 v23, v[3:4] offset:3584
	flat_load_u8 v3, v[3:4] offset:3840
	flat_load_u8 v4, v[7:8]
	flat_load_u8 v24, v[7:8] offset:256
	flat_load_u8 v25, v[7:8] offset:512
	;; [unrolled: 1-line block ×7, first 2 shown]
	s_waitcnt vmcnt(23) lgkmcnt(23)
	ds_store_b8 v0, v9
	s_waitcnt vmcnt(22) lgkmcnt(23)
	ds_store_b8 v0, v10 offset:256
	s_waitcnt vmcnt(21) lgkmcnt(23)
	ds_store_b8 v0, v11 offset:512
	;; [unrolled: 2-line block ×23, first 2 shown]
	s_waitcnt lgkmcnt(0)
	s_barrier
.LBB138_6:
	v_cmp_gt_u32_e64 s1, s5, v0
	s_and_not1_b32 vcc_lo, exec_lo, s4
	s_cbranch_vccnz .LBB138_56
; %bb.7:
	flat_load_u8 v3, v[1:2]
	s_waitcnt vmcnt(0) lgkmcnt(0)
	v_mov_b32_e32 v4, v3
	s_and_saveexec_b32 s4, s1
	s_cbranch_execz .LBB138_9
; %bb.8:
	v_add_co_u32 v7, vcc_lo, v1, v0
	v_add_co_ci_u32_e32 v8, vcc_lo, 0, v2, vcc_lo
	flat_load_u8 v4, v[7:8]
.LBB138_9:
	s_or_b32 exec_lo, exec_lo, s4
	v_or_b32_e32 v7, 0x100, v0
	s_delay_alu instid0(VALU_DEP_1)
	v_cmp_gt_u32_e32 vcc_lo, s5, v7
	v_mov_b32_e32 v7, v3
	s_and_saveexec_b32 s1, vcc_lo
	s_cbranch_execz .LBB138_11
; %bb.10:
	v_add_co_u32 v7, vcc_lo, v1, v0
	v_add_co_ci_u32_e32 v8, vcc_lo, 0, v2, vcc_lo
	flat_load_u8 v7, v[7:8] offset:256
.LBB138_11:
	s_or_b32 exec_lo, exec_lo, s1
	v_or_b32_e32 v8, 0x200, v0
	s_delay_alu instid0(VALU_DEP_1)
	v_cmp_gt_u32_e32 vcc_lo, s5, v8
	v_mov_b32_e32 v8, v3
	s_and_saveexec_b32 s1, vcc_lo
	s_cbranch_execz .LBB138_13
; %bb.12:
	v_add_co_u32 v8, vcc_lo, v1, v0
	v_add_co_ci_u32_e32 v9, vcc_lo, 0, v2, vcc_lo
	flat_load_u8 v8, v[8:9] offset:512
.LBB138_13:
	;; [unrolled: 12-line block ×15, first 2 shown]
	s_or_b32 exec_lo, exec_lo, s1
	v_or_b32_e32 v23, 0x1000, v0
	v_mov_b32_e32 v22, v3
	s_mov_b32 s1, exec_lo
	s_delay_alu instid0(VALU_DEP_2)
	v_cmpx_gt_u32_e64 s5, v23
	s_cbranch_execz .LBB138_41
; %bb.40:
	v_add_co_u32 v22, vcc_lo, v1, v23
	v_add_co_ci_u32_e32 v23, vcc_lo, 0, v2, vcc_lo
	flat_load_u8 v22, v[22:23]
.LBB138_41:
	s_or_b32 exec_lo, exec_lo, s1
	v_or_b32_e32 v24, 0x1100, v0
	v_mov_b32_e32 v23, v3
	s_mov_b32 s1, exec_lo
	s_delay_alu instid0(VALU_DEP_2)
	v_cmpx_gt_u32_e64 s5, v24
	s_cbranch_execz .LBB138_43
; %bb.42:
	v_add_co_u32 v23, vcc_lo, v1, v24
	v_add_co_ci_u32_e32 v24, vcc_lo, 0, v2, vcc_lo
	flat_load_u8 v23, v[23:24]
.LBB138_43:
	s_or_b32 exec_lo, exec_lo, s1
	v_or_b32_e32 v25, 0x1200, v0
	v_mov_b32_e32 v24, v3
	s_mov_b32 s1, exec_lo
	s_delay_alu instid0(VALU_DEP_2)
	v_cmpx_gt_u32_e64 s5, v25
	s_cbranch_execz .LBB138_45
; %bb.44:
	v_add_co_u32 v24, vcc_lo, v1, v25
	v_add_co_ci_u32_e32 v25, vcc_lo, 0, v2, vcc_lo
	flat_load_u8 v24, v[24:25]
.LBB138_45:
	s_or_b32 exec_lo, exec_lo, s1
	v_or_b32_e32 v26, 0x1300, v0
	v_mov_b32_e32 v25, v3
	s_mov_b32 s1, exec_lo
	s_delay_alu instid0(VALU_DEP_2)
	v_cmpx_gt_u32_e64 s5, v26
	s_cbranch_execz .LBB138_47
; %bb.46:
	v_add_co_u32 v25, vcc_lo, v1, v26
	v_add_co_ci_u32_e32 v26, vcc_lo, 0, v2, vcc_lo
	flat_load_u8 v25, v[25:26]
.LBB138_47:
	s_or_b32 exec_lo, exec_lo, s1
	v_or_b32_e32 v27, 0x1400, v0
	v_mov_b32_e32 v26, v3
	s_mov_b32 s1, exec_lo
	s_delay_alu instid0(VALU_DEP_2)
	v_cmpx_gt_u32_e64 s5, v27
	s_cbranch_execz .LBB138_49
; %bb.48:
	v_add_co_u32 v26, vcc_lo, v1, v27
	v_add_co_ci_u32_e32 v27, vcc_lo, 0, v2, vcc_lo
	flat_load_u8 v26, v[26:27]
.LBB138_49:
	s_or_b32 exec_lo, exec_lo, s1
	v_or_b32_e32 v28, 0x1500, v0
	v_mov_b32_e32 v27, v3
	s_mov_b32 s1, exec_lo
	s_delay_alu instid0(VALU_DEP_2)
	v_cmpx_gt_u32_e64 s5, v28
	s_cbranch_execz .LBB138_51
; %bb.50:
	v_add_co_u32 v27, vcc_lo, v1, v28
	v_add_co_ci_u32_e32 v28, vcc_lo, 0, v2, vcc_lo
	flat_load_u8 v27, v[27:28]
.LBB138_51:
	s_or_b32 exec_lo, exec_lo, s1
	v_or_b32_e32 v29, 0x1600, v0
	v_mov_b32_e32 v28, v3
	s_mov_b32 s1, exec_lo
	s_delay_alu instid0(VALU_DEP_2)
	v_cmpx_gt_u32_e64 s5, v29
	s_cbranch_execz .LBB138_53
; %bb.52:
	v_add_co_u32 v28, vcc_lo, v1, v29
	v_add_co_ci_u32_e32 v29, vcc_lo, 0, v2, vcc_lo
	flat_load_u8 v28, v[28:29]
.LBB138_53:
	s_or_b32 exec_lo, exec_lo, s1
	v_or_b32_e32 v29, 0x1700, v0
	s_mov_b32 s1, exec_lo
	s_delay_alu instid0(VALU_DEP_1)
	v_cmpx_gt_u32_e64 s5, v29
	s_cbranch_execz .LBB138_55
; %bb.54:
	v_add_co_u32 v1, vcc_lo, v1, v29
	v_add_co_ci_u32_e32 v2, vcc_lo, 0, v2, vcc_lo
	flat_load_u8 v3, v[1:2]
.LBB138_55:
	s_or_b32 exec_lo, exec_lo, s1
	s_waitcnt vmcnt(0) lgkmcnt(0)
	ds_store_b8 v0, v4
	ds_store_b8 v0, v7 offset:256
	ds_store_b8 v0, v8 offset:512
	;; [unrolled: 1-line block ×23, first 2 shown]
	s_waitcnt lgkmcnt(0)
	s_barrier
.LBB138_56:
	v_mul_u32_u24_e32 v13, 24, v0
	buffer_gl0_inv
	v_mbcnt_lo_u32_b32 v32, -1, 0
	v_lshrrev_b32_e32 v33, 5, v0
	v_or_b32_e32 v34, 31, v0
	ds_load_2addr_b64 v[1:4], v13 offset1:1
	ds_load_b64 v[7:8], v13 offset:16
	s_cmp_lg_u32 s17, 0
	s_waitcnt lgkmcnt(0)
	s_barrier
	buffer_gl0_inv
	v_lshrrev_b32_e32 v29, 8, v1
	v_lshrrev_b32_e32 v30, 16, v1
	;; [unrolled: 1-line block ×18, first 2 shown]
	s_cbranch_scc0 .LBB138_86
; %bb.57:
	v_add_nc_u16 v9, v29, v1
	s_mov_b32 s1, exec_lo
	s_delay_alu instid0(VALU_DEP_1) | instskip(NEXT) | instid1(VALU_DEP_1)
	v_add_nc_u16 v9, v9, v30
	v_add_nc_u16 v9, v9, v31
	s_delay_alu instid0(VALU_DEP_1) | instskip(NEXT) | instid1(VALU_DEP_1)
	v_add_nc_u16 v9, v9, v2
	v_add_nc_u16 v9, v9, v26
	;; [unrolled: 3-line block ×11, first 2 shown]
	s_delay_alu instid0(VALU_DEP_1) | instskip(NEXT) | instid1(VALU_DEP_1)
	v_and_b32_e32 v10, 0xff, v9
	v_mov_b32_dpp v10, v10 row_shr:1 row_mask:0xf bank_mask:0xf
	v_and_b32_e32 v11, 15, v32
	s_delay_alu instid0(VALU_DEP_1) | instskip(NEXT) | instid1(VALU_DEP_3)
	v_cmp_ne_u32_e32 vcc_lo, 0, v11
	v_cndmask_b32_e32 v10, 0, v10, vcc_lo
	v_cmp_lt_u32_e32 vcc_lo, 1, v11
	s_delay_alu instid0(VALU_DEP_2) | instskip(NEXT) | instid1(VALU_DEP_1)
	v_add_nc_u16 v9, v10, v9
	v_and_b32_e32 v10, 0xff, v9
	s_delay_alu instid0(VALU_DEP_1) | instskip(NEXT) | instid1(VALU_DEP_1)
	v_mov_b32_dpp v10, v10 row_shr:2 row_mask:0xf bank_mask:0xf
	v_cndmask_b32_e32 v10, 0, v10, vcc_lo
	v_cmp_lt_u32_e32 vcc_lo, 3, v11
	s_delay_alu instid0(VALU_DEP_2) | instskip(NEXT) | instid1(VALU_DEP_1)
	v_add_nc_u16 v9, v9, v10
	v_and_b32_e32 v10, 0xff, v9
	s_delay_alu instid0(VALU_DEP_1) | instskip(NEXT) | instid1(VALU_DEP_1)
	v_mov_b32_dpp v10, v10 row_shr:4 row_mask:0xf bank_mask:0xf
	v_cndmask_b32_e32 v10, 0, v10, vcc_lo
	v_cmp_lt_u32_e32 vcc_lo, 7, v11
	v_and_b32_e32 v11, 16, v32
	s_delay_alu instid0(VALU_DEP_3) | instskip(NEXT) | instid1(VALU_DEP_1)
	v_add_nc_u16 v9, v9, v10
	v_and_b32_e32 v10, 0xff, v9
	s_delay_alu instid0(VALU_DEP_1) | instskip(NEXT) | instid1(VALU_DEP_1)
	v_mov_b32_dpp v10, v10 row_shr:8 row_mask:0xf bank_mask:0xf
	v_cndmask_b32_e32 v10, 0, v10, vcc_lo
	v_cmp_ne_u32_e32 vcc_lo, 0, v11
	s_delay_alu instid0(VALU_DEP_2) | instskip(NEXT) | instid1(VALU_DEP_1)
	v_add_nc_u16 v9, v9, v10
	v_and_b32_e32 v10, 0xff, v9
	ds_swizzle_b32 v10, v10 offset:swizzle(BROADCAST,32,15)
	s_waitcnt lgkmcnt(0)
	v_cndmask_b32_e32 v10, 0, v10, vcc_lo
	s_delay_alu instid0(VALU_DEP_1)
	v_add_nc_u16 v9, v9, v10
	v_cmpx_eq_u32_e64 v34, v0
	s_cbranch_execz .LBB138_59
; %bb.58:
	ds_store_b8 v33, v9
.LBB138_59:
	s_or_b32 exec_lo, exec_lo, s1
	s_delay_alu instid0(SALU_CYCLE_1)
	s_mov_b32 s1, exec_lo
	s_waitcnt lgkmcnt(0)
	s_barrier
	buffer_gl0_inv
	v_cmpx_gt_u32_e32 8, v0
	s_cbranch_execz .LBB138_61
; %bb.60:
	ds_load_u8 v10, v0
	s_waitcnt lgkmcnt(0)
	v_and_b32_e32 v11, 0xff, v10
	s_delay_alu instid0(VALU_DEP_1) | instskip(SKIP_1) | instid1(VALU_DEP_1)
	v_mov_b32_dpp v11, v11 row_shr:1 row_mask:0xf bank_mask:0xf
	v_and_b32_e32 v12, 7, v32
	v_cmp_ne_u32_e32 vcc_lo, 0, v12
	s_delay_alu instid0(VALU_DEP_3) | instskip(SKIP_1) | instid1(VALU_DEP_2)
	v_cndmask_b32_e32 v11, 0, v11, vcc_lo
	v_cmp_lt_u32_e32 vcc_lo, 1, v12
	v_add_nc_u16 v10, v11, v10
	s_delay_alu instid0(VALU_DEP_1) | instskip(NEXT) | instid1(VALU_DEP_1)
	v_and_b32_e32 v11, 0xff, v10
	v_mov_b32_dpp v11, v11 row_shr:2 row_mask:0xf bank_mask:0xf
	s_delay_alu instid0(VALU_DEP_1) | instskip(SKIP_1) | instid1(VALU_DEP_2)
	v_cndmask_b32_e32 v11, 0, v11, vcc_lo
	v_cmp_lt_u32_e32 vcc_lo, 3, v12
	v_add_nc_u16 v10, v10, v11
	s_delay_alu instid0(VALU_DEP_1) | instskip(NEXT) | instid1(VALU_DEP_1)
	v_and_b32_e32 v11, 0xff, v10
	v_mov_b32_dpp v11, v11 row_shr:4 row_mask:0xf bank_mask:0xf
	s_delay_alu instid0(VALU_DEP_1) | instskip(NEXT) | instid1(VALU_DEP_1)
	v_cndmask_b32_e32 v11, 0, v11, vcc_lo
	v_add_nc_u16 v10, v10, v11
	ds_store_b8 v0, v10
.LBB138_61:
	s_or_b32 exec_lo, exec_lo, s1
	v_cmp_gt_u32_e32 vcc_lo, 32, v0
	s_mov_b32 s4, exec_lo
	s_waitcnt lgkmcnt(0)
	s_barrier
	buffer_gl0_inv
                                        ; implicit-def: $vgpr35
	v_cmpx_lt_u32_e32 31, v0
	s_cbranch_execz .LBB138_63
; %bb.62:
	v_add_nc_u32_e32 v10, -1, v33
	ds_load_u8 v35, v10
	s_waitcnt lgkmcnt(0)
	v_add_nc_u16 v9, v35, v9
.LBB138_63:
	s_or_b32 exec_lo, exec_lo, s4
	v_add_nc_u32_e32 v10, -1, v32
	s_delay_alu instid0(VALU_DEP_2) | instskip(NEXT) | instid1(VALU_DEP_2)
	v_and_b32_e32 v9, 0xff, v9
	v_cmp_gt_i32_e64 s1, 0, v10
	s_delay_alu instid0(VALU_DEP_1) | instskip(SKIP_1) | instid1(VALU_DEP_2)
	v_cndmask_b32_e64 v10, v10, v32, s1
	v_cmp_eq_u32_e64 s1, 0, v32
	v_lshlrev_b32_e32 v10, 2, v10
	ds_bpermute_b32 v36, v10, v9
	s_and_saveexec_b32 s22, vcc_lo
	s_cbranch_execz .LBB138_85
; %bb.64:
	v_mov_b32_e32 v11, 0
	ds_load_u8 v37, v11 offset:7
	s_and_saveexec_b32 s4, s1
	s_cbranch_execz .LBB138_66
; %bb.65:
	s_waitcnt lgkmcnt(0)
	v_and_b32_e32 v9, 0xff, v37
	s_add_i32 s24, s17, 32
	s_mov_b32 s25, 0
	s_delay_alu instid0(SALU_CYCLE_1) | instskip(NEXT) | instid1(VALU_DEP_1)
	s_lshl_b64 s[24:25], s[24:25], 1
	v_or_b32_e32 v9, 0x100, v9
	s_add_u32 s24, s6, s24
	s_addc_u32 s25, s7, s25
	global_store_b16 v11, v9, s[24:25]
.LBB138_66:
	s_or_b32 exec_lo, exec_lo, s4
	v_xad_u32 v9, v32, -1, s17
	s_mov_b32 s24, 1
	s_mov_b32 s23, 0
	s_mov_b32 s4, exec_lo
	s_delay_alu instid0(VALU_DEP_1) | instskip(NEXT) | instid1(VALU_DEP_1)
	v_add_nc_u32_e32 v10, 32, v9
	v_lshlrev_b64 v[10:11], 1, v[10:11]
	s_delay_alu instid0(VALU_DEP_1) | instskip(NEXT) | instid1(VALU_DEP_2)
	v_add_co_u32 v10, vcc_lo, s6, v10
	v_add_co_ci_u32_e32 v11, vcc_lo, s7, v11, vcc_lo
	global_load_u16 v12, v[10:11], off glc
	s_waitcnt vmcnt(0)
	v_lshrrev_b16 v40, 8, v12
	s_delay_alu instid0(VALU_DEP_1)
	v_cmpx_eq_u16_e32 0, v40
	s_cbranch_execz .LBB138_71
	.p2align	6
.LBB138_67:                             ; =>This Loop Header: Depth=1
                                        ;     Child Loop BB138_68 Depth 2
	s_max_u32 s25, s24, 1
.LBB138_68:                             ;   Parent Loop BB138_67 Depth=1
                                        ; =>  This Inner Loop Header: Depth=2
	s_delay_alu instid0(SALU_CYCLE_1)
	s_add_i32 s25, s25, -1
	s_sleep 1
	s_cmp_eq_u32 s25, 0
	s_cbranch_scc0 .LBB138_68
; %bb.69:                               ;   in Loop: Header=BB138_67 Depth=1
	global_load_u16 v12, v[10:11], off glc
	s_cmp_lt_u32 s24, 32
	s_cselect_b32 s25, -1, 0
	s_delay_alu instid0(SALU_CYCLE_1) | instskip(SKIP_3) | instid1(VALU_DEP_1)
	s_cmp_lg_u32 s25, 0
	s_addc_u32 s24, s24, 0
	s_waitcnt vmcnt(0)
	v_lshrrev_b16 v40, 8, v12
	v_cmp_ne_u16_e32 vcc_lo, 0, v40
	s_or_b32 s23, vcc_lo, s23
	s_delay_alu instid0(SALU_CYCLE_1)
	s_and_not1_b32 exec_lo, exec_lo, s23
	s_cbranch_execnz .LBB138_67
; %bb.70:
	s_or_b32 exec_lo, exec_lo, s23
.LBB138_71:
	s_delay_alu instid0(SALU_CYCLE_1)
	s_or_b32 exec_lo, exec_lo, s4
	v_cmp_ne_u32_e32 vcc_lo, 31, v32
	v_lshlrev_b32_e64 v39, v32, -1
	v_cmp_gt_u32_e64 s4, 30, v32
	v_add_co_ci_u32_e32 v10, vcc_lo, 0, v32, vcc_lo
	v_cmp_eq_u16_e32 vcc_lo, 2, v40
	s_delay_alu instid0(VALU_DEP_3) | instskip(SKIP_1) | instid1(VALU_DEP_4)
	v_cndmask_b32_e64 v41, 0, 1, s4
	v_cmp_gt_u32_e64 s4, 28, v32
	v_lshlrev_b32_e32 v38, 2, v10
	v_and_or_b32 v42, vcc_lo, v39, 0x80000000
	s_delay_alu instid0(VALU_DEP_4) | instskip(NEXT) | instid1(VALU_DEP_4)
	v_lshlrev_b32_e32 v41, 1, v41
	v_cndmask_b32_e64 v43, 0, 1, s4
	s_delay_alu instid0(VALU_DEP_3) | instskip(NEXT) | instid1(VALU_DEP_3)
	v_ctz_i32_b32_e32 v46, v42
	v_add_lshl_u32 v41, v41, v32, 2
	s_delay_alu instid0(VALU_DEP_3) | instskip(NEXT) | instid1(VALU_DEP_3)
	v_lshlrev_b32_e32 v43, 2, v43
	v_cmp_lt_u32_e32 vcc_lo, v32, v46
	v_and_b32_e32 v11, 0xff, v12
	s_delay_alu instid0(VALU_DEP_3) | instskip(SKIP_3) | instid1(VALU_DEP_1)
	v_add_lshl_u32 v43, v43, v32, 2
	ds_bpermute_b32 v10, v38, v11
	s_waitcnt lgkmcnt(0)
	v_add_nc_u16 v10, v12, v10
	v_and_b32_e32 v42, 0xff, v10
	v_cndmask_b32_e32 v10, v12, v10, vcc_lo
	s_delay_alu instid0(VALU_DEP_2) | instskip(SKIP_4) | instid1(VALU_DEP_2)
	v_cndmask_b32_e32 v11, v11, v42, vcc_lo
	ds_bpermute_b32 v42, v41, v11
	s_waitcnt lgkmcnt(0)
	v_add_nc_u16 v44, v10, v42
	v_add_nc_u32_e32 v42, 2, v32
	v_and_b32_e32 v45, 0xff, v44
	s_delay_alu instid0(VALU_DEP_2) | instskip(NEXT) | instid1(VALU_DEP_1)
	v_cmp_gt_u32_e64 s4, v42, v46
	v_cndmask_b32_e64 v11, v45, v11, s4
	v_cndmask_b32_e64 v10, v44, v10, s4
	v_cmp_gt_u32_e64 s4, 24, v32
	ds_bpermute_b32 v45, v43, v11
	v_cndmask_b32_e64 v44, 0, 1, s4
	s_waitcnt lgkmcnt(0)
	v_add_nc_u16 v47, v10, v45
	s_delay_alu instid0(VALU_DEP_2) | instskip(SKIP_1) | instid1(VALU_DEP_3)
	v_lshlrev_b32_e32 v45, 3, v44
	v_add_nc_u32_e32 v44, 4, v32
	v_and_b32_e32 v48, 0xff, v47
	s_delay_alu instid0(VALU_DEP_3) | instskip(NEXT) | instid1(VALU_DEP_3)
	v_add_lshl_u32 v45, v45, v32, 2
	v_cmp_gt_u32_e64 s4, v44, v46
	s_delay_alu instid0(VALU_DEP_1)
	v_cndmask_b32_e64 v11, v48, v11, s4
	v_cndmask_b32_e64 v10, v47, v10, s4
	v_cmp_gt_u32_e64 s4, 16, v32
	ds_bpermute_b32 v48, v45, v11
	v_cndmask_b32_e64 v47, 0, 1, s4
	s_waitcnt lgkmcnt(0)
	v_add_nc_u16 v50, v10, v48
	s_delay_alu instid0(VALU_DEP_2) | instskip(SKIP_1) | instid1(VALU_DEP_3)
	v_lshlrev_b32_e32 v48, 4, v47
	v_add_nc_u32_e32 v47, 8, v32
	v_and_b32_e32 v49, 0xff, v50
	s_delay_alu instid0(VALU_DEP_3) | instskip(NEXT) | instid1(VALU_DEP_3)
	v_add_lshl_u32 v48, v48, v32, 2
	v_cmp_gt_u32_e64 s4, v47, v46
	s_delay_alu instid0(VALU_DEP_1)
	v_cndmask_b32_e64 v11, v49, v11, s4
	v_add_nc_u32_e32 v49, 16, v32
	v_cndmask_b32_e64 v10, v50, v10, s4
	ds_bpermute_b32 v11, v48, v11
	v_cmp_le_u32_e64 s4, v49, v46
	s_waitcnt lgkmcnt(0)
	s_delay_alu instid0(VALU_DEP_1) | instskip(NEXT) | instid1(VALU_DEP_1)
	v_cndmask_b32_e64 v11, 0, v11, s4
	v_add_nc_u16 v10, v10, v11
	s_delay_alu instid0(VALU_DEP_1)
	v_dual_cndmask_b32 v11, v12, v10 :: v_dual_mov_b32 v10, 0
	s_branch .LBB138_73
.LBB138_72:                             ;   in Loop: Header=BB138_73 Depth=1
	s_or_b32 exec_lo, exec_lo, s4
	v_cmp_eq_u16_e32 vcc_lo, 2, v40
	v_subrev_nc_u32_e32 v9, 32, v9
	v_and_or_b32 v51, vcc_lo, v39, 0x80000000
	s_delay_alu instid0(VALU_DEP_1) | instskip(NEXT) | instid1(VALU_DEP_1)
	v_ctz_i32_b32_e32 v51, v51
	v_cmp_lt_u32_e32 vcc_lo, v32, v51
	v_and_b32_e32 v11, 0xff, v50
	v_cmp_gt_u32_e64 s4, v42, v51
	ds_bpermute_b32 v12, v38, v11
	s_waitcnt lgkmcnt(0)
	v_add_nc_u16 v12, v50, v12
	s_delay_alu instid0(VALU_DEP_1) | instskip(SKIP_1) | instid1(VALU_DEP_2)
	v_and_b32_e32 v52, 0xff, v12
	v_cndmask_b32_e32 v12, v50, v12, vcc_lo
	v_cndmask_b32_e32 v11, v11, v52, vcc_lo
	ds_bpermute_b32 v52, v41, v11
	s_waitcnt lgkmcnt(0)
	v_add_nc_u16 v52, v12, v52
	s_delay_alu instid0(VALU_DEP_1) | instskip(SKIP_1) | instid1(VALU_DEP_2)
	v_and_b32_e32 v53, 0xff, v52
	v_cndmask_b32_e64 v12, v52, v12, s4
	v_cndmask_b32_e64 v11, v53, v11, s4
	v_cmp_gt_u32_e64 s4, v44, v51
	ds_bpermute_b32 v53, v43, v11
	s_waitcnt lgkmcnt(0)
	v_add_nc_u16 v52, v12, v53
	s_delay_alu instid0(VALU_DEP_1) | instskip(SKIP_1) | instid1(VALU_DEP_2)
	v_and_b32_e32 v53, 0xff, v52
	v_cndmask_b32_e64 v12, v52, v12, s4
	v_cndmask_b32_e64 v11, v53, v11, s4
	v_cmp_gt_u32_e64 s4, v47, v51
	ds_bpermute_b32 v53, v45, v11
	s_waitcnt lgkmcnt(0)
	v_add_nc_u16 v52, v12, v53
	s_delay_alu instid0(VALU_DEP_1) | instskip(SKIP_1) | instid1(VALU_DEP_2)
	v_and_b32_e32 v53, 0xff, v52
	v_cndmask_b32_e64 v12, v52, v12, s4
	v_cndmask_b32_e64 v11, v53, v11, s4
	v_cmp_le_u32_e64 s4, v49, v51
	ds_bpermute_b32 v11, v48, v11
	s_waitcnt lgkmcnt(0)
	v_cndmask_b32_e64 v11, 0, v11, s4
	s_delay_alu instid0(VALU_DEP_1) | instskip(NEXT) | instid1(VALU_DEP_1)
	v_add_nc_u16 v11, v12, v11
	v_cndmask_b32_e32 v11, v50, v11, vcc_lo
	s_delay_alu instid0(VALU_DEP_1)
	v_add_nc_u16 v11, v11, v46
.LBB138_73:                             ; =>This Loop Header: Depth=1
                                        ;     Child Loop BB138_76 Depth 2
                                        ;       Child Loop BB138_77 Depth 3
	v_and_b32_e32 v12, 0xff, v40
	s_delay_alu instid0(VALU_DEP_2) | instskip(NEXT) | instid1(VALU_DEP_2)
	v_mov_b32_e32 v46, v11
	v_cmp_ne_u16_e32 vcc_lo, 2, v12
	v_cndmask_b32_e64 v12, 0, 1, vcc_lo
	;;#ASMSTART
	;;#ASMEND
	s_delay_alu instid0(VALU_DEP_1)
	v_cmp_ne_u32_e32 vcc_lo, 0, v12
	s_cmp_lg_u32 vcc_lo, exec_lo
	s_cbranch_scc1 .LBB138_80
; %bb.74:                               ;   in Loop: Header=BB138_73 Depth=1
	v_lshlrev_b64 v[11:12], 1, v[9:10]
	s_mov_b32 s4, exec_lo
	s_delay_alu instid0(VALU_DEP_1) | instskip(NEXT) | instid1(VALU_DEP_2)
	v_add_co_u32 v11, vcc_lo, s6, v11
	v_add_co_ci_u32_e32 v12, vcc_lo, s7, v12, vcc_lo
	global_load_u16 v50, v[11:12], off glc
	s_waitcnt vmcnt(0)
	v_lshrrev_b16 v40, 8, v50
	s_delay_alu instid0(VALU_DEP_1)
	v_cmpx_eq_u16_e32 0, v40
	s_cbranch_execz .LBB138_72
; %bb.75:                               ;   in Loop: Header=BB138_73 Depth=1
	s_mov_b32 s24, 1
	s_mov_b32 s23, 0
	.p2align	6
.LBB138_76:                             ;   Parent Loop BB138_73 Depth=1
                                        ; =>  This Loop Header: Depth=2
                                        ;       Child Loop BB138_77 Depth 3
	s_max_u32 s25, s24, 1
.LBB138_77:                             ;   Parent Loop BB138_73 Depth=1
                                        ;     Parent Loop BB138_76 Depth=2
                                        ; =>    This Inner Loop Header: Depth=3
	s_delay_alu instid0(SALU_CYCLE_1)
	s_add_i32 s25, s25, -1
	s_sleep 1
	s_cmp_eq_u32 s25, 0
	s_cbranch_scc0 .LBB138_77
; %bb.78:                               ;   in Loop: Header=BB138_76 Depth=2
	global_load_u16 v50, v[11:12], off glc
	s_cmp_lt_u32 s24, 32
	s_cselect_b32 s25, -1, 0
	s_delay_alu instid0(SALU_CYCLE_1) | instskip(SKIP_3) | instid1(VALU_DEP_1)
	s_cmp_lg_u32 s25, 0
	s_addc_u32 s24, s24, 0
	s_waitcnt vmcnt(0)
	v_lshrrev_b16 v40, 8, v50
	v_cmp_ne_u16_e32 vcc_lo, 0, v40
	s_or_b32 s23, vcc_lo, s23
	s_delay_alu instid0(SALU_CYCLE_1)
	s_and_not1_b32 exec_lo, exec_lo, s23
	s_cbranch_execnz .LBB138_76
; %bb.79:                               ;   in Loop: Header=BB138_73 Depth=1
	s_or_b32 exec_lo, exec_lo, s23
	s_branch .LBB138_72
.LBB138_80:                             ;   in Loop: Header=BB138_73 Depth=1
                                        ; implicit-def: $vgpr11
                                        ; implicit-def: $vgpr40
	s_cbranch_execz .LBB138_73
; %bb.81:
	s_and_saveexec_b32 s4, s1
	s_cbranch_execz .LBB138_83
; %bb.82:
	v_add_nc_u16 v9, v46, v37
	s_add_i32 s24, s17, 32
	s_mov_b32 s25, 0
	v_mov_b32_e32 v10, 0
	s_lshl_b64 s[24:25], s[24:25], 1
	v_and_b32_e32 v9, 0xff, v9
	s_add_u32 s24, s6, s24
	s_addc_u32 s25, s7, s25
	s_delay_alu instid0(VALU_DEP_1)
	v_or_b32_e32 v9, 0x200, v9
	global_store_b16 v10, v9, s[24:25]
.LBB138_83:
	s_or_b32 exec_lo, exec_lo, s4
	s_delay_alu instid0(SALU_CYCLE_1)
	s_and_b32 exec_lo, exec_lo, s3
	s_cbranch_execz .LBB138_85
; %bb.84:
	v_mov_b32_e32 v9, 0
	ds_store_b8 v9, v46 offset:7
.LBB138_85:
	s_or_b32 exec_lo, exec_lo, s22
	v_mov_b32_e32 v9, 0
	s_waitcnt lgkmcnt(0)
	s_waitcnt_vscnt null, 0x0
	s_barrier
	buffer_gl0_inv
	v_cndmask_b32_e64 v10, v36, v35, s1
	ds_load_u8 v9, v9 offset:7
	v_cndmask_b32_e64 v10, v10, 0, s3
	s_delay_alu instid0(VALU_DEP_1) | instskip(SKIP_1) | instid1(VALU_DEP_1)
	v_add_nc_u16 v10, v10, v1
	s_waitcnt lgkmcnt(0)
	v_add_nc_u16 v9, v10, v9
	s_delay_alu instid0(VALU_DEP_1) | instskip(NEXT) | instid1(VALU_DEP_1)
	v_add_nc_u16 v10, v9, v29
	v_add_nc_u16 v11, v10, v30
	s_delay_alu instid0(VALU_DEP_1) | instskip(NEXT) | instid1(VALU_DEP_1)
	v_add_nc_u16 v12, v11, v31
	;; [unrolled: 3-line block ×11, first 2 shown]
	v_add_nc_u16 v53, v52, v15
	s_delay_alu instid0(VALU_DEP_1)
	v_add_nc_u16 v54, v53, v16
	s_branch .LBB138_100
.LBB138_86:
                                        ; implicit-def: $vgpr9
                                        ; implicit-def: $vgpr10
                                        ; implicit-def: $vgpr11
                                        ; implicit-def: $vgpr12
                                        ; implicit-def: $vgpr35
                                        ; implicit-def: $vgpr36
                                        ; implicit-def: $vgpr37
                                        ; implicit-def: $vgpr38
                                        ; implicit-def: $vgpr39
                                        ; implicit-def: $vgpr40
                                        ; implicit-def: $vgpr41
                                        ; implicit-def: $vgpr42
                                        ; implicit-def: $vgpr44
                                        ; implicit-def: $vgpr47
                                        ; implicit-def: $vgpr48
                                        ; implicit-def: $vgpr50
                                        ; implicit-def: $vgpr43
                                        ; implicit-def: $vgpr45
                                        ; implicit-def: $vgpr46
                                        ; implicit-def: $vgpr49
                                        ; implicit-def: $vgpr51
                                        ; implicit-def: $vgpr52
                                        ; implicit-def: $vgpr53
                                        ; implicit-def: $vgpr54
	s_cbranch_execz .LBB138_100
; %bb.87:
	s_cmp_lg_u64 s[12:13], 0
	v_mov_b32_e32 v9, v1
	s_cselect_b32 s1, -1, 0
	s_delay_alu instid0(SALU_CYCLE_1) | instskip(NEXT) | instid1(SALU_CYCLE_1)
	s_and_b32 s3, s3, s1
	s_and_saveexec_b32 s1, s3
	s_cbranch_execz .LBB138_89
; %bb.88:
	v_mov_b32_e32 v9, 0
	global_load_u8 v9, v9, s[8:9]
	s_waitcnt vmcnt(0)
	v_add_nc_u16 v9, v9, v1
.LBB138_89:
	s_or_b32 exec_lo, exec_lo, s1
	s_delay_alu instid0(VALU_DEP_1) | instskip(SKIP_2) | instid1(VALU_DEP_2)
	v_add_nc_u16 v10, v9, v29
	v_and_b32_e32 v55, 15, v32
	s_mov_b32 s1, exec_lo
	v_add_nc_u16 v11, v10, v30
	s_delay_alu instid0(VALU_DEP_2) | instskip(NEXT) | instid1(VALU_DEP_2)
	v_cmp_ne_u32_e32 vcc_lo, 0, v55
	v_add_nc_u16 v12, v11, v31
	s_delay_alu instid0(VALU_DEP_1) | instskip(NEXT) | instid1(VALU_DEP_1)
	v_add_nc_u16 v35, v12, v2
	v_add_nc_u16 v36, v35, v26
	s_delay_alu instid0(VALU_DEP_1) | instskip(NEXT) | instid1(VALU_DEP_1)
	v_add_nc_u16 v37, v36, v27
	;; [unrolled: 3-line block ×10, first 2 shown]
	v_add_nc_u16 v54, v53, v16
	s_delay_alu instid0(VALU_DEP_1) | instskip(NEXT) | instid1(VALU_DEP_1)
	v_and_b32_e32 v1, 0xff, v54
	v_mov_b32_dpp v1, v1 row_shr:1 row_mask:0xf bank_mask:0xf
	s_delay_alu instid0(VALU_DEP_1) | instskip(SKIP_1) | instid1(VALU_DEP_2)
	v_cndmask_b32_e32 v1, 0, v1, vcc_lo
	v_cmp_lt_u32_e32 vcc_lo, 1, v55
	v_add_nc_u16 v1, v54, v1
	s_delay_alu instid0(VALU_DEP_1) | instskip(NEXT) | instid1(VALU_DEP_1)
	v_and_b32_e32 v56, 0xff, v1
	v_mov_b32_dpp v56, v56 row_shr:2 row_mask:0xf bank_mask:0xf
	s_delay_alu instid0(VALU_DEP_1) | instskip(SKIP_1) | instid1(VALU_DEP_2)
	v_cndmask_b32_e32 v56, 0, v56, vcc_lo
	v_cmp_lt_u32_e32 vcc_lo, 3, v55
	;; [unrolled: 7-line block ×3, first 2 shown]
	v_add_nc_u16 v1, v1, v56
	s_delay_alu instid0(VALU_DEP_1) | instskip(NEXT) | instid1(VALU_DEP_1)
	v_and_b32_e32 v56, 0xff, v1
	v_mov_b32_dpp v56, v56 row_shr:8 row_mask:0xf bank_mask:0xf
	s_delay_alu instid0(VALU_DEP_1) | instskip(SKIP_1) | instid1(VALU_DEP_2)
	v_cndmask_b32_e32 v55, 0, v56, vcc_lo
	v_and_b32_e32 v56, 16, v32
	v_add_nc_u16 v1, v1, v55
	s_delay_alu instid0(VALU_DEP_2) | instskip(NEXT) | instid1(VALU_DEP_2)
	v_cmp_ne_u32_e32 vcc_lo, 0, v56
	v_and_b32_e32 v55, 0xff, v1
	ds_swizzle_b32 v55, v55 offset:swizzle(BROADCAST,32,15)
	s_waitcnt lgkmcnt(0)
	v_cndmask_b32_e32 v55, 0, v55, vcc_lo
	s_delay_alu instid0(VALU_DEP_1)
	v_add_nc_u16 v1, v1, v55
	v_cmpx_eq_u32_e64 v34, v0
	s_cbranch_execz .LBB138_91
; %bb.90:
	ds_store_b8 v33, v1
.LBB138_91:
	s_or_b32 exec_lo, exec_lo, s1
	s_delay_alu instid0(SALU_CYCLE_1)
	s_mov_b32 s1, exec_lo
	s_waitcnt lgkmcnt(0)
	s_barrier
	buffer_gl0_inv
	v_cmpx_gt_u32_e32 8, v0
	s_cbranch_execz .LBB138_93
; %bb.92:
	ds_load_u8 v34, v0
	s_waitcnt lgkmcnt(0)
	v_and_b32_e32 v55, 0xff, v34
	s_delay_alu instid0(VALU_DEP_1) | instskip(SKIP_1) | instid1(VALU_DEP_1)
	v_mov_b32_dpp v55, v55 row_shr:1 row_mask:0xf bank_mask:0xf
	v_and_b32_e32 v56, 7, v32
	v_cmp_ne_u32_e32 vcc_lo, 0, v56
	s_delay_alu instid0(VALU_DEP_3) | instskip(SKIP_1) | instid1(VALU_DEP_2)
	v_cndmask_b32_e32 v55, 0, v55, vcc_lo
	v_cmp_lt_u32_e32 vcc_lo, 1, v56
	v_add_nc_u16 v34, v55, v34
	s_delay_alu instid0(VALU_DEP_1) | instskip(NEXT) | instid1(VALU_DEP_1)
	v_and_b32_e32 v55, 0xff, v34
	v_mov_b32_dpp v55, v55 row_shr:2 row_mask:0xf bank_mask:0xf
	s_delay_alu instid0(VALU_DEP_1) | instskip(SKIP_1) | instid1(VALU_DEP_2)
	v_cndmask_b32_e32 v55, 0, v55, vcc_lo
	v_cmp_lt_u32_e32 vcc_lo, 3, v56
	v_add_nc_u16 v34, v34, v55
	s_delay_alu instid0(VALU_DEP_1) | instskip(NEXT) | instid1(VALU_DEP_1)
	v_and_b32_e32 v55, 0xff, v34
	v_mov_b32_dpp v55, v55 row_shr:4 row_mask:0xf bank_mask:0xf
	s_delay_alu instid0(VALU_DEP_1) | instskip(NEXT) | instid1(VALU_DEP_1)
	v_cndmask_b32_e32 v55, 0, v55, vcc_lo
	v_add_nc_u16 v34, v34, v55
	ds_store_b8 v0, v34
.LBB138_93:
	s_or_b32 exec_lo, exec_lo, s1
	s_delay_alu instid0(SALU_CYCLE_1)
	s_mov_b32 s1, exec_lo
	s_waitcnt lgkmcnt(0)
	s_barrier
	buffer_gl0_inv
                                        ; implicit-def: $vgpr34
	v_cmpx_lt_u32_e32 31, v0
	s_cbranch_execz .LBB138_95
; %bb.94:
	v_add_nc_u32_e32 v33, -1, v33
	ds_load_u8 v34, v33
	s_waitcnt lgkmcnt(0)
	v_add_nc_u16 v1, v34, v1
.LBB138_95:
	s_or_b32 exec_lo, exec_lo, s1
	v_add_nc_u32_e32 v33, -1, v32
	s_delay_alu instid0(VALU_DEP_2) | instskip(NEXT) | instid1(VALU_DEP_2)
	v_and_b32_e32 v1, 0xff, v1
	v_cmp_gt_i32_e32 vcc_lo, 0, v33
	v_cndmask_b32_e32 v33, v33, v32, vcc_lo
	s_delay_alu instid0(VALU_DEP_1)
	v_lshlrev_b32_e32 v33, 2, v33
	ds_bpermute_b32 v1, v33, v1
	s_and_saveexec_b32 s1, s2
	s_cbranch_execz .LBB138_97
; %bb.96:
	v_cmp_eq_u32_e32 vcc_lo, 0, v32
	;;#ASMSTART
	;;#ASMEND
	s_waitcnt lgkmcnt(0)
	v_cndmask_b32_e32 v1, v1, v34, vcc_lo
	s_delay_alu instid0(VALU_DEP_1) | instskip(NEXT) | instid1(VALU_DEP_1)
	v_add_nc_u16 v9, v1, v9
	v_add_nc_u16 v10, v9, v29
	s_delay_alu instid0(VALU_DEP_1) | instskip(NEXT) | instid1(VALU_DEP_1)
	v_add_nc_u16 v11, v10, v30
	v_add_nc_u16 v12, v11, v31
	;; [unrolled: 3-line block ×12, first 2 shown]
.LBB138_97:
	s_or_b32 exec_lo, exec_lo, s1
	s_delay_alu instid0(SALU_CYCLE_1)
	s_mov_b32 s1, exec_lo
	v_cmpx_eq_u32_e32 0xff, v0
	s_cbranch_execz .LBB138_99
; %bb.98:
	s_waitcnt lgkmcnt(0)
	v_dual_mov_b32 v2, 0 :: v_dual_and_b32 v1, 0xff, v54
	s_delay_alu instid0(VALU_DEP_1)
	v_or_b32_e32 v1, 0x200, v1
	global_store_b16 v2, v1, s[6:7] offset:64
.LBB138_99:
	s_or_b32 exec_lo, exec_lo, s1
.LBB138_100:
	v_lshlrev_b64 v[2:3], 2, v[5:6]
	s_lshl_b64 s[2:3], s[18:19], 2
	v_lshlrev_b16 v22, 8, v47
	s_add_u32 s1, s20, s2
	s_addc_u32 s2, s21, s3
	v_and_b32_e32 v26, 0xff, v44
	v_add_co_u32 v2, vcc_lo, s1, v2
	v_add_co_ci_u32_e32 v3, vcc_lo, s2, v3, vcc_lo
	v_lshlrev_b16 v23, 8, v50
	v_and_b32_e32 v27, 0xff, v48
	v_lshlrev_b16 v20, 8, v40
	v_and_b32_e32 v24, 0xff, v39
	;; [unrolled: 2-line block ×9, first 2 shown]
	s_waitcnt lgkmcnt(0)
	v_lshlrev_b16 v1, 8, v45
	v_and_b32_e32 v7, 0xff, v43
	v_lshlrev_b16 v4, 8, v49
	v_and_b32_e32 v8, 0xff, v46
	v_lshlrev_b32_e32 v29, 2, v0
	s_and_b32 vcc_lo, exec_lo, s0
	s_mov_b32 s0, -1
	s_waitcnt_vscnt null, 0x0
	s_barrier
	buffer_gl0_inv
	s_cbranch_vccz .LBB138_102
; %bb.101:
	v_or_b32_e32 v28, v26, v22
	v_or_b32_e32 v30, v27, v23
	;; [unrolled: 1-line block ×5, first 2 shown]
	v_and_b32_e32 v28, 0xffff, v28
	v_lshlrev_b32_e32 v30, 16, v30
	v_or_b32_e32 v34, v19, v16
	v_or_b32_e32 v35, v17, v14
	v_and_b32_e32 v36, 0xffff, v31
	v_or_b32_e32 v37, v10, v6
	v_or_b32_e32 v31, v28, v30
	v_or_b32_e32 v30, v11, v12
	v_lshlrev_b32_e32 v28, 16, v32
	v_and_b32_e32 v32, 0xffff, v33
	v_lshlrev_b32_e32 v33, 16, v34
	v_and_b32_e32 v34, 0xffff, v35
	v_or_b32_e32 v35, v9, v5
	v_or_b32_e32 v38, v7, v1
	;; [unrolled: 1-line block ×3, first 2 shown]
	v_lshlrev_b32_e32 v40, 16, v30
	v_lshlrev_b32_e32 v37, 16, v37
	v_and_b32_e32 v35, 0xffff, v35
	v_and_b32_e32 v38, 0xffff, v38
	v_lshlrev_b32_e32 v39, 16, v39
	v_or_b32_e32 v30, v36, v28
	v_or_b32_e32 v33, v32, v33
	;; [unrolled: 1-line block ×5, first 2 shown]
	ds_store_2addr_b64 v13, v[32:33], v[30:31] offset1:1
	ds_store_b64 v13, v[34:35] offset:16
	v_add_co_u32 v30, vcc_lo, v2, v29
	s_waitcnt lgkmcnt(0)
	s_barrier
	buffer_gl0_inv
	ds_load_u8 v28, v0
	ds_load_u8 v34, v0 offset:256
	ds_load_u8 v35, v0 offset:512
	;; [unrolled: 1-line block ×23, first 2 shown]
	v_add_co_ci_u32_e32 v31, vcc_lo, 0, v3, vcc_lo
	v_add_co_u32 v32, vcc_lo, 0x1000, v30
	s_mov_b32 s0, 0
	s_delay_alu instid0(VALU_DEP_2)
	v_add_co_ci_u32_e32 v33, vcc_lo, 0, v31, vcc_lo
	s_waitcnt lgkmcnt(23)
	flat_store_b32 v[30:31], v28
	s_waitcnt lgkmcnt(23)
	flat_store_b32 v[30:31], v34 offset:1024
	s_waitcnt lgkmcnt(23)
	flat_store_b32 v[30:31], v35 offset:2048
	;; [unrolled: 2-line block ×3, first 2 shown]
	s_waitcnt lgkmcnt(23)
	flat_store_b32 v[32:33], v37
	s_waitcnt lgkmcnt(23)
	flat_store_b32 v[32:33], v38 offset:1024
	s_waitcnt lgkmcnt(23)
	flat_store_b32 v[32:33], v39 offset:2048
	;; [unrolled: 2-line block ×3, first 2 shown]
	v_add_co_u32 v32, vcc_lo, 0x2000, v30
	v_add_co_ci_u32_e32 v33, vcc_lo, 0, v31, vcc_lo
	v_add_co_u32 v34, vcc_lo, 0x3000, v30
	v_add_co_ci_u32_e32 v35, vcc_lo, 0, v31, vcc_lo
	s_waitcnt lgkmcnt(23)
	flat_store_b32 v[32:33], v41
	s_waitcnt lgkmcnt(23)
	flat_store_b32 v[32:33], v42 offset:1024
	s_waitcnt lgkmcnt(23)
	flat_store_b32 v[32:33], v43 offset:2048
	;; [unrolled: 2-line block ×3, first 2 shown]
	s_waitcnt lgkmcnt(23)
	flat_store_b32 v[34:35], v45
	s_waitcnt lgkmcnt(23)
	flat_store_b32 v[34:35], v46 offset:1024
	s_waitcnt lgkmcnt(23)
	flat_store_b32 v[34:35], v47 offset:2048
	;; [unrolled: 2-line block ×3, first 2 shown]
	v_add_co_u32 v32, vcc_lo, 0x4000, v30
	v_add_co_ci_u32_e32 v33, vcc_lo, 0, v31, vcc_lo
	v_add_co_u32 v30, vcc_lo, 0x5000, v30
	v_add_co_ci_u32_e32 v31, vcc_lo, 0, v31, vcc_lo
	s_waitcnt lgkmcnt(23)
	flat_store_b32 v[32:33], v49
	s_waitcnt lgkmcnt(23)
	flat_store_b32 v[32:33], v50 offset:1024
	s_waitcnt lgkmcnt(23)
	flat_store_b32 v[32:33], v51 offset:2048
	;; [unrolled: 2-line block ×3, first 2 shown]
	s_waitcnt lgkmcnt(23)
	flat_store_b32 v[30:31], v53
	s_waitcnt lgkmcnt(23)
	flat_store_b32 v[30:31], v54 offset:1024
	s_waitcnt lgkmcnt(23)
	flat_store_b32 v[30:31], v55 offset:2048
	s_waitcnt lgkmcnt(23)
	flat_store_b32 v[30:31], v56 offset:3072
.LBB138_102:
	s_and_not1_b32 vcc_lo, exec_lo, s0
	s_cbranch_vccnz .LBB138_159
; %bb.103:
	v_or_b32_e32 v22, v26, v22
	v_or_b32_e32 v23, v27, v23
	;; [unrolled: 1-line block ×12, first 2 shown]
	v_and_b32_e32 v22, 0xffff, v22
	v_lshlrev_b32_e32 v23, 16, v23
	v_and_b32_e32 v17, 0xffff, v20
	v_lshlrev_b32_e32 v19, 16, v21
	v_and_b32_e32 v18, 0xffff, v18
	v_lshlrev_b32_e32 v16, 16, v16
	v_and_b32_e32 v20, 0xffff, v14
	v_lshlrev_b32_e32 v7, 16, v11
	v_and_b32_e32 v8, 0xffff, v5
	v_lshlrev_b32_e32 v6, 16, v6
	v_and_b32_e32 v1, 0xffff, v1
	v_lshlrev_b32_e32 v9, 16, v4
	v_or_b32_e32 v14, v17, v19
	v_or_b32_e32 v5, v18, v16
	;; [unrolled: 1-line block ×5, first 2 shown]
	v_mov_b32_e32 v1, 0
	v_or_b32_e32 v15, v22, v23
	ds_store_2addr_b64 v13, v[4:5], v[14:15] offset1:1
	ds_store_b64 v13, v[6:7] offset:16
	s_waitcnt lgkmcnt(0)
	s_waitcnt_vscnt null, 0x0
	s_barrier
	buffer_gl0_inv
	ds_load_u8 v5, v0
	ds_load_u8 v4, v0 offset:256
	ds_load_u8 v7, v0 offset:512
	;; [unrolled: 1-line block ×23, first 2 shown]
	v_add_co_u32 v2, vcc_lo, v2, v29
	v_add_co_ci_u32_e32 v3, vcc_lo, 0, v3, vcc_lo
	s_mov_b32 s0, exec_lo
	v_cmpx_gt_u32_e64 s5, v0
	s_cbranch_execz .LBB138_105
; %bb.104:
	s_waitcnt lgkmcnt(23)
	v_and_b32_e32 v29, 0xff, v5
	flat_store_b32 v[2:3], v29
.LBB138_105:
	s_or_b32 exec_lo, exec_lo, s0
	v_or_b32_e32 v29, 0x100, v0
	s_mov_b32 s0, exec_lo
	s_delay_alu instid0(VALU_DEP_1)
	v_cmpx_gt_u32_e64 s5, v29
	s_cbranch_execz .LBB138_107
; %bb.106:
	s_waitcnt lgkmcnt(22)
	v_and_b32_e32 v29, 0xff, v4
	flat_store_b32 v[2:3], v29 offset:1024
.LBB138_107:
	s_or_b32 exec_lo, exec_lo, s0
	v_or_b32_e32 v29, 0x200, v0
	s_mov_b32 s0, exec_lo
	s_delay_alu instid0(VALU_DEP_1)
	v_cmpx_gt_u32_e64 s5, v29
	s_cbranch_execz .LBB138_109
; %bb.108:
	s_waitcnt lgkmcnt(21)
	v_and_b32_e32 v29, 0xff, v7
	flat_store_b32 v[2:3], v29 offset:2048
.LBB138_109:
	;; [unrolled: 11-line block ×3, first 2 shown]
	s_or_b32 exec_lo, exec_lo, s0
	v_or_b32_e32 v29, 0x400, v0
	s_mov_b32 s0, exec_lo
	s_delay_alu instid0(VALU_DEP_1)
	v_cmpx_gt_u32_e64 s5, v29
	s_cbranch_execz .LBB138_113
; %bb.112:
	v_add_co_u32 v29, vcc_lo, 0x1000, v2
	s_waitcnt lgkmcnt(19)
	v_and_b32_e32 v31, 0xff, v6
	v_add_co_ci_u32_e32 v30, vcc_lo, 0, v3, vcc_lo
	flat_store_b32 v[29:30], v31
.LBB138_113:
	s_or_b32 exec_lo, exec_lo, s0
	v_or_b32_e32 v29, 0x500, v0
	s_mov_b32 s0, exec_lo
	s_delay_alu instid0(VALU_DEP_1)
	v_cmpx_gt_u32_e64 s5, v29
	s_cbranch_execz .LBB138_115
; %bb.114:
	v_add_co_u32 v29, vcc_lo, 0x1000, v2
	s_waitcnt lgkmcnt(18)
	v_and_b32_e32 v31, 0xff, v9
	v_add_co_ci_u32_e32 v30, vcc_lo, 0, v3, vcc_lo
	flat_store_b32 v[29:30], v31 offset:1024
.LBB138_115:
	s_or_b32 exec_lo, exec_lo, s0
	v_or_b32_e32 v29, 0x600, v0
	s_mov_b32 s0, exec_lo
	s_delay_alu instid0(VALU_DEP_1)
	v_cmpx_gt_u32_e64 s5, v29
	s_cbranch_execz .LBB138_117
; %bb.116:
	v_add_co_u32 v29, vcc_lo, 0x1000, v2
	s_waitcnt lgkmcnt(17)
	v_and_b32_e32 v31, 0xff, v18
	v_add_co_ci_u32_e32 v30, vcc_lo, 0, v3, vcc_lo
	flat_store_b32 v[29:30], v31 offset:2048
.LBB138_117:
	s_or_b32 exec_lo, exec_lo, s0
	v_or_b32_e32 v29, 0x700, v0
	s_mov_b32 s0, exec_lo
	s_delay_alu instid0(VALU_DEP_1)
	v_cmpx_gt_u32_e64 s5, v29
	s_cbranch_execz .LBB138_119
; %bb.118:
	v_add_co_u32 v29, vcc_lo, 0x1000, v2
	s_waitcnt lgkmcnt(16)
	v_and_b32_e32 v31, 0xff, v15
	v_add_co_ci_u32_e32 v30, vcc_lo, 0, v3, vcc_lo
	flat_store_b32 v[29:30], v31 offset:3072
.LBB138_119:
	s_or_b32 exec_lo, exec_lo, s0
	v_or_b32_e32 v29, 0x800, v0
	s_mov_b32 s0, exec_lo
	s_delay_alu instid0(VALU_DEP_1)
	v_cmpx_gt_u32_e64 s5, v29
	s_cbranch_execz .LBB138_121
; %bb.120:
	v_add_co_u32 v29, vcc_lo, 0x2000, v2
	s_waitcnt lgkmcnt(15)
	v_and_b32_e32 v31, 0xff, v17
	v_add_co_ci_u32_e32 v30, vcc_lo, 0, v3, vcc_lo
	flat_store_b32 v[29:30], v31
.LBB138_121:
	s_or_b32 exec_lo, exec_lo, s0
	v_or_b32_e32 v29, 0x900, v0
	s_mov_b32 s0, exec_lo
	s_delay_alu instid0(VALU_DEP_1)
	v_cmpx_gt_u32_e64 s5, v29
	s_cbranch_execz .LBB138_123
; %bb.122:
	v_add_co_u32 v29, vcc_lo, 0x2000, v2
	s_waitcnt lgkmcnt(14)
	v_and_b32_e32 v31, 0xff, v24
	v_add_co_ci_u32_e32 v30, vcc_lo, 0, v3, vcc_lo
	flat_store_b32 v[29:30], v31 offset:1024
.LBB138_123:
	s_or_b32 exec_lo, exec_lo, s0
	v_or_b32_e32 v29, 0xa00, v0
	s_mov_b32 s0, exec_lo
	s_delay_alu instid0(VALU_DEP_1)
	v_cmpx_gt_u32_e64 s5, v29
	s_cbranch_execz .LBB138_125
; %bb.124:
	v_add_co_u32 v29, vcc_lo, 0x2000, v2
	s_waitcnt lgkmcnt(13)
	v_and_b32_e32 v31, 0xff, v21
	v_add_co_ci_u32_e32 v30, vcc_lo, 0, v3, vcc_lo
	flat_store_b32 v[29:30], v31 offset:2048
.LBB138_125:
	s_or_b32 exec_lo, exec_lo, s0
	v_or_b32_e32 v29, 0xb00, v0
	s_mov_b32 s0, exec_lo
	s_delay_alu instid0(VALU_DEP_1)
	v_cmpx_gt_u32_e64 s5, v29
	s_cbranch_execz .LBB138_127
; %bb.126:
	v_add_co_u32 v29, vcc_lo, 0x2000, v2
	s_waitcnt lgkmcnt(12)
	v_and_b32_e32 v31, 0xff, v20
	v_add_co_ci_u32_e32 v30, vcc_lo, 0, v3, vcc_lo
	flat_store_b32 v[29:30], v31 offset:3072
.LBB138_127:
	;; [unrolled: 52-line block ×5, first 2 shown]
	s_or_b32 exec_lo, exec_lo, s0
	v_cmp_lt_u64_e64 s0, s[14:15], 2
	s_delay_alu instid0(VALU_DEP_1)
	s_and_b32 vcc_lo, exec_lo, s0
	s_cbranch_vccnz .LBB138_159
; %bb.152:
	s_add_u32 s0, s5, -1
	s_addc_u32 s1, s16, -1
	s_add_u32 s2, 0, 0xaaaa0000
	s_addc_u32 s3, 0, 42
	s_mul_hi_u32 s5, s2, 0xffffffe8
	s_add_i32 s3, s3, 0xaaaaa80
	s_sub_i32 s5, s5, s2
	s_mul_i32 s6, s3, 0xffffffe8
	s_mul_i32 s4, s2, 0xffffffe8
	s_add_i32 s5, s5, s6
	s_mul_hi_u32 s7, s3, s4
	s_mul_i32 s6, s3, s4
	s_mul_i32 s8, s2, s5
	s_mul_hi_u32 s4, s2, s4
	s_mul_hi_u32 s9, s2, s5
	s_add_u32 s4, s4, s8
	s_addc_u32 s8, 0, s9
	s_mul_hi_u32 s9, s3, s5
	s_add_u32 s4, s4, s6
	s_addc_u32 s4, s8, s7
	s_mul_i32 s5, s3, s5
	s_addc_u32 s6, s9, 0
	s_add_u32 s4, s4, s5
	s_delay_alu instid0(SALU_CYCLE_1) | instskip(SKIP_2) | instid1(VALU_DEP_1)
	v_add_co_u32 v2, s2, s2, s4
	s_addc_u32 s4, 0, s6
	s_cmp_lg_u32 s2, 0
	v_readfirstlane_b32 s2, v2
	s_addc_u32 s3, s3, s4
	s_delay_alu instid0(SALU_CYCLE_1) | instskip(SKIP_1) | instid1(VALU_DEP_1)
	s_mul_i32 s4, s0, s3
	s_mul_hi_u32 s6, s0, s3
	s_mul_hi_u32 s5, s0, s2
	s_mul_i32 s7, s1, s2
	s_add_u32 s4, s5, s4
	s_addc_u32 s5, 0, s6
	s_mul_hi_u32 s2, s1, s2
	s_mul_hi_u32 s6, s1, s3
	s_add_u32 s4, s4, s7
	s_addc_u32 s2, s5, s2
	s_mul_i32 s3, s1, s3
	s_addc_u32 s4, s6, 0
	s_add_u32 s2, s2, s3
	s_addc_u32 s3, 0, s4
	s_mul_i32 s5, s2, 24
	s_add_u32 s4, s2, 1
	v_sub_co_u32 v2, s5, s0, s5
	s_addc_u32 s6, s3, 0
	s_mul_i32 s8, s3, 24
	s_mul_hi_u32 s12, s2, 24
	s_delay_alu instid0(VALU_DEP_1)
	v_sub_co_u32 v3, s9, v2, 24
	s_add_u32 s7, s2, 2
	s_addc_u32 s13, s3, 0
	s_add_i32 s12, s12, s8
	s_cmp_lg_u32 s5, 0
	v_readfirstlane_b32 s5, v3
	s_subb_u32 s8, s1, s12
	s_cmp_lg_u32 s9, 0
	s_subb_u32 s9, s8, 0
	s_delay_alu instid0(VALU_DEP_1) | instskip(SKIP_4) | instid1(SALU_CYCLE_1)
	s_cmp_gt_u32 s5, 23
	s_cselect_b32 s5, -1, 0
	s_cmp_eq_u32 s9, 0
	v_readfirstlane_b32 s9, v2
	s_cselect_b32 s5, s5, -1
	s_cmp_lg_u32 s5, 0
	s_cselect_b32 s4, s7, s4
	s_cselect_b32 s5, s13, s6
	s_cmp_gt_u32 s9, 23
	s_cselect_b32 s6, -1, 0
	s_cmp_eq_u32 s8, 0
	s_cselect_b32 s6, s6, -1
	s_delay_alu instid0(SALU_CYCLE_1) | instskip(SKIP_2) | instid1(SALU_CYCLE_1)
	s_cmp_lg_u32 s6, 0
	s_cselect_b32 s3, s5, s3
	s_cselect_b32 s2, s4, s2
	v_cmp_eq_u64_e32 vcc_lo, s[2:3], v[0:1]
	s_and_saveexec_b32 s2, vcc_lo
	s_cbranch_execz .LBB138_159
; %bb.153:
	v_mul_hi_u32_u24_e32 v1, 24, v0
	v_sub_co_u32 v0, vcc_lo, s0, v13
	s_mov_b32 s0, 0
	s_mov_b32 s4, 0
	s_delay_alu instid0(VALU_DEP_2) | instskip(SKIP_3) | instid1(VALU_DEP_1)
	v_sub_co_ci_u32_e32 v1, vcc_lo, s1, v1, vcc_lo
	s_mov_b32 s3, 0
	s_mov_b32 s2, 0
	s_mov_b32 s1, exec_lo
	v_cmpx_lt_i64_e32 11, v[0:1]
	s_xor_b32 s1, exec_lo, s1
	s_cbranch_execnz .LBB138_160
; %bb.154:
	s_and_not1_saveexec_b32 s1, s1
	s_cbranch_execnz .LBB138_205
.LBB138_155:
	s_or_b32 exec_lo, exec_lo, s1
	s_and_saveexec_b32 s1, s4
	s_cbranch_execnz .LBB138_222
.LBB138_156:
	s_or_b32 exec_lo, exec_lo, s1
	s_and_saveexec_b32 s1, s3
	s_cbranch_execnz .LBB138_223
.LBB138_157:
	s_or_b32 exec_lo, exec_lo, s1
	s_and_saveexec_b32 s1, s2
	s_delay_alu instid0(SALU_CYCLE_1)
	s_xor_b32 s1, exec_lo, s1
	s_cbranch_execnz .LBB138_224
.LBB138_158:
	s_or_b32 exec_lo, exec_lo, s1
	s_delay_alu instid0(SALU_CYCLE_1)
	s_and_b32 exec_lo, exec_lo, s0
	s_cbranch_execnz .LBB138_225
.LBB138_159:
	s_endpgm
.LBB138_160:
	s_mov_b32 s5, exec_lo
	v_cmpx_lt_i64_e32 17, v[0:1]
	s_xor_b32 s5, exec_lo, s5
	s_cbranch_execz .LBB138_182
; %bb.161:
	s_mov_b32 s6, exec_lo
                                        ; implicit-def: $vgpr10
	v_cmpx_lt_i64_e32 20, v[0:1]
	s_xor_b32 s6, exec_lo, s6
	s_cbranch_execz .LBB138_171
; %bb.162:
	s_mov_b32 s7, 0
	s_mov_b32 s2, exec_lo
                                        ; implicit-def: $vgpr10
	v_cmpx_lt_i64_e32 21, v[0:1]
	s_xor_b32 s2, exec_lo, s2
	s_cbranch_execz .LBB138_168
; %bb.163:
	s_mov_b32 s7, exec_lo
	v_cmpx_lt_i64_e32 22, v[0:1]
	s_xor_b32 s7, exec_lo, s7
	s_cbranch_execz .LBB138_165
; %bb.164:
	v_mov_b32_e32 v2, 0
                                        ; implicit-def: $vgpr27
	s_waitcnt lgkmcnt(0)
	global_store_b8 v2, v28, s[10:11]
.LBB138_165:
	s_or_saveexec_b32 s7, s7
	s_mov_b32 s8, 0
	s_xor_b32 exec_lo, exec_lo, s7
; %bb.166:
	s_delay_alu instid0(SALU_CYCLE_1)
	s_mov_b32 s8, exec_lo
; %bb.167:
	s_or_b32 exec_lo, exec_lo, s7
	s_waitcnt lgkmcnt(1)
	v_mov_b32_e32 v10, v27
	s_and_b32 s7, s8, exec_lo
                                        ; implicit-def: $vgpr11
.LBB138_168:
	s_and_not1_saveexec_b32 s2, s2
; %bb.169:
	s_mov_b32 s3, exec_lo
                                        ; implicit-def: $vgpr10
; %bb.170:
	s_or_b32 exec_lo, exec_lo, s2
	s_delay_alu instid0(SALU_CYCLE_1)
	s_and_b32 s2, s7, exec_lo
	s_and_b32 s3, s3, exec_lo
                                        ; implicit-def: $vgpr25
                                        ; implicit-def: $vgpr12
                                        ; implicit-def: $vgpr22
.LBB138_171:
	s_and_not1_saveexec_b32 s6, s6
	s_cbranch_execz .LBB138_181
; %bb.172:
	s_mov_b32 s7, 0
	s_mov_b32 s4, exec_lo
	v_cmpx_lt_i64_e32 18, v[0:1]
	s_xor_b32 s4, exec_lo, s4
	s_cbranch_execz .LBB138_178
; %bb.173:
	s_mov_b32 s8, exec_lo
	v_cmpx_lt_i64_e32 19, v[0:1]
	s_xor_b32 s8, exec_lo, s8
; %bb.174:
	s_mov_b32 s7, exec_lo
                                        ; implicit-def: $vgpr22
; %bb.175:
	s_and_not1_saveexec_b32 s8, s8
	s_cbranch_execz .LBB138_177
; %bb.176:
	v_mov_b32_e32 v2, 0
                                        ; implicit-def: $vgpr12
	s_waitcnt lgkmcnt(4)
	global_store_b8 v2, v22, s[10:11]
.LBB138_177:
	s_or_b32 exec_lo, exec_lo, s8
	s_delay_alu instid0(SALU_CYCLE_1)
	s_and_b32 s7, s7, exec_lo
                                        ; implicit-def: $vgpr25
.LBB138_178:
	s_and_not1_saveexec_b32 s4, s4
	s_cbranch_execz .LBB138_180
; %bb.179:
	v_mov_b32_e32 v2, 0
                                        ; implicit-def: $vgpr12
	s_waitcnt lgkmcnt(5)
	global_store_b8 v2, v25, s[10:11]
.LBB138_180:
	s_or_b32 exec_lo, exec_lo, s4
	s_delay_alu instid0(SALU_CYCLE_1)
	s_and_b32 s4, s7, exec_lo
                                        ; implicit-def: $vgpr10
                                        ; implicit-def: $vgpr11
.LBB138_181:
	s_or_b32 exec_lo, exec_lo, s6
	s_delay_alu instid0(SALU_CYCLE_1)
	s_and_b32 s2, s2, exec_lo
	s_and_b32 s3, s3, exec_lo
	;; [unrolled: 1-line block ×3, first 2 shown]
                                        ; implicit-def: $vgpr19
                                        ; implicit-def: $vgpr14
                                        ; implicit-def: $vgpr16
                                        ; implicit-def: $vgpr23
                                        ; implicit-def: $vgpr26
.LBB138_182:
	s_and_not1_saveexec_b32 s5, s5
	s_cbranch_execz .LBB138_204
; %bb.183:
	s_mov_b32 s6, s2
	s_mov_b32 s7, exec_lo
	v_cmpx_lt_i64_e32 14, v[0:1]
	s_xor_b32 s7, exec_lo, s7
	s_cbranch_execz .LBB138_193
; %bb.184:
	s_mov_b32 s6, exec_lo
	v_cmpx_lt_i64_e32 15, v[0:1]
	s_xor_b32 s6, exec_lo, s6
	s_cbranch_execz .LBB138_190
; %bb.185:
	;; [unrolled: 5-line block ×3, first 2 shown]
	v_mov_b32_e32 v2, 0
                                        ; implicit-def: $vgpr23
	s_waitcnt lgkmcnt(6)
	global_store_b8 v2, v26, s[10:11]
.LBB138_187:
	s_and_not1_saveexec_b32 s8, s8
	s_cbranch_execz .LBB138_189
; %bb.188:
	v_mov_b32_e32 v2, 0
	s_waitcnt lgkmcnt(7)
	global_store_b8 v2, v23, s[10:11]
.LBB138_189:
	s_or_b32 exec_lo, exec_lo, s8
                                        ; implicit-def: $vgpr10
.LBB138_190:
	s_or_saveexec_b32 s6, s6
	s_mov_b32 s8, s2
	s_xor_b32 exec_lo, exec_lo, s6
; %bb.191:
	s_delay_alu instid0(SALU_CYCLE_1)
	s_or_b32 s8, s2, exec_lo
; %bb.192:
	s_or_b32 exec_lo, exec_lo, s6
	s_delay_alu instid0(SALU_CYCLE_1) | instskip(SKIP_1) | instid1(SALU_CYCLE_1)
	s_and_not1_b32 s6, s2, exec_lo
	s_and_b32 s8, s8, exec_lo
                                        ; implicit-def: $vgpr19
                                        ; implicit-def: $vgpr14
                                        ; implicit-def: $vgpr16
	s_or_b32 s6, s6, s8
.LBB138_193:
	s_or_saveexec_b32 s7, s7
	s_mov_b32 s8, s3
                                        ; implicit-def: $vgpr11
	s_xor_b32 exec_lo, exec_lo, s7
	s_cbranch_execz .LBB138_203
; %bb.194:
	s_mov_b32 s9, s3
	s_mov_b32 s12, s6
	s_mov_b32 s8, exec_lo
                                        ; implicit-def: $vgpr10
                                        ; implicit-def: $vgpr11
	v_cmpx_lt_i64_e32 12, v[0:1]
	s_xor_b32 s8, exec_lo, s8
	s_cbranch_execz .LBB138_200
; %bb.195:
	s_mov_b32 s9, s6
	s_mov_b32 s12, exec_lo
	v_cmpx_lt_i64_e32 13, v[0:1]
	s_xor_b32 s12, exec_lo, s12
; %bb.196:
	s_or_b32 s9, s6, exec_lo
                                        ; implicit-def: $vgpr14
; %bb.197:
	s_or_saveexec_b32 s13, s12
	s_mov_b32 s12, s3
	s_xor_b32 exec_lo, exec_lo, s13
; %bb.198:
	s_delay_alu instid0(SALU_CYCLE_1)
	s_or_b32 s12, s3, exec_lo
                                        ; implicit-def: $vgpr16
; %bb.199:
	s_or_b32 exec_lo, exec_lo, s13
	s_waitcnt lgkmcnt(2)
	v_dual_mov_b32 v10, v16 :: v_dual_mov_b32 v11, v14
	s_and_not1_b32 s13, s6, exec_lo
	s_and_b32 s9, s9, exec_lo
	s_and_not1_b32 s14, s3, exec_lo
	s_and_b32 s15, s12, exec_lo
	s_or_b32 s12, s13, s9
	s_or_b32 s9, s14, s15
                                        ; implicit-def: $vgpr19
.LBB138_200:
	s_and_not1_saveexec_b32 s8, s8
	s_cbranch_execz .LBB138_202
; %bb.201:
	s_waitcnt lgkmcnt(2)
	v_mov_b32_e32 v11, v19
	s_or_b32 s9, s9, exec_lo
                                        ; implicit-def: $vgpr10
.LBB138_202:
	s_or_b32 exec_lo, exec_lo, s8
	s_delay_alu instid0(SALU_CYCLE_1)
	s_and_not1_b32 s6, s6, exec_lo
	s_and_b32 s8, s12, exec_lo
	s_and_not1_b32 s12, s3, exec_lo
	s_and_b32 s9, s9, exec_lo
	s_or_b32 s6, s6, s8
	s_or_b32 s8, s12, s9
.LBB138_203:
	s_or_b32 exec_lo, exec_lo, s7
	s_delay_alu instid0(SALU_CYCLE_1)
	s_and_not1_b32 s2, s2, exec_lo
	s_and_b32 s6, s6, exec_lo
	s_and_not1_b32 s3, s3, exec_lo
	s_and_b32 s7, s8, exec_lo
	s_or_b32 s2, s2, s6
	s_or_b32 s3, s3, s7
                                        ; implicit-def: $vgpr12
.LBB138_204:
	s_or_b32 exec_lo, exec_lo, s5
	s_delay_alu instid0(SALU_CYCLE_1)
	s_and_b32 s2, s2, exec_lo
	s_and_b32 s3, s3, exec_lo
	;; [unrolled: 1-line block ×3, first 2 shown]
                                        ; implicit-def: $vgpr18
                                        ; implicit-def: $vgpr15
                                        ; implicit-def: $vgpr17
                                        ; implicit-def: $vgpr24
                                        ; implicit-def: $vgpr21
                                        ; implicit-def: $vgpr20
	s_and_not1_saveexec_b32 s1, s1
	s_cbranch_execz .LBB138_155
.LBB138_205:
	s_mov_b32 s6, -1
	s_mov_b32 s5, s4
	s_mov_b32 s8, s3
	;; [unrolled: 1-line block ×3, first 2 shown]
	s_mov_b32 s0, exec_lo
                                        ; implicit-def: $vgpr10
                                        ; implicit-def: $vgpr11
                                        ; implicit-def: $vgpr12
	v_cmpx_lt_i64_e32 5, v[0:1]
	s_cbranch_execz .LBB138_221
; %bb.206:
	s_mov_b32 s5, s4
	s_mov_b32 s6, exec_lo
                                        ; implicit-def: $vgpr12
	v_cmpx_lt_i64_e32 8, v[0:1]
	s_xor_b32 s6, exec_lo, s6
	s_cbranch_execz .LBB138_216
; %bb.207:
	s_mov_b32 s5, exec_lo
	v_cmpx_lt_i64_e32 9, v[0:1]
	s_xor_b32 s5, exec_lo, s5
	s_cbranch_execz .LBB138_213
; %bb.208:
	s_mov_b32 s7, exec_lo
	v_cmpx_lt_i64_e32 10, v[0:1]
	s_xor_b32 s7, exec_lo, s7
; %bb.209:
                                        ; implicit-def: $vgpr21
; %bb.210:
	s_delay_alu instid0(SALU_CYCLE_1)
	s_and_not1_saveexec_b32 s7, s7
	s_cbranch_execz .LBB138_212
; %bb.211:
	s_waitcnt lgkmcnt(12)
	v_mov_b32_e32 v20, v21
.LBB138_212:
	s_or_b32 exec_lo, exec_lo, s7
                                        ; implicit-def: $vgpr24
.LBB138_213:
	s_and_not1_saveexec_b32 s5, s5
	s_cbranch_execz .LBB138_215
; %bb.214:
	s_waitcnt lgkmcnt(12)
	v_mov_b32_e32 v20, v24
.LBB138_215:
	s_or_b32 exec_lo, exec_lo, s5
	s_waitcnt lgkmcnt(3)
	s_delay_alu instid0(VALU_DEP_1)
	v_mov_b32_e32 v12, v20
	s_or_b32 s5, s4, exec_lo
                                        ; implicit-def: $vgpr18
                                        ; implicit-def: $vgpr15
                                        ; implicit-def: $vgpr17
.LBB138_216:
	s_or_saveexec_b32 s6, s6
	s_mov_b32 s9, s3
	s_mov_b32 s8, s2
                                        ; implicit-def: $vgpr10
                                        ; implicit-def: $vgpr11
	s_xor_b32 exec_lo, exec_lo, s6
	s_cbranch_execz .LBB138_220
; %bb.217:
	s_mov_b32 s8, -1
	s_mov_b32 s7, s5
	s_mov_b32 s9, s3
	s_mov_b32 s12, exec_lo
	v_cmpx_lt_i64_e32 6, v[0:1]
; %bb.218:
	v_cmp_lt_i64_e32 vcc_lo, 7, v[0:1]
	s_and_not1_b32 s7, s5, exec_lo
	s_xor_b32 s8, exec_lo, -1
	s_or_b32 s9, s3, exec_lo
                                        ; implicit-def: $vgpr18
	s_and_b32 s13, vcc_lo, exec_lo
	s_delay_alu instid0(SALU_CYCLE_1)
	s_or_b32 s7, s7, s13
; %bb.219:
	s_or_b32 exec_lo, exec_lo, s12
	s_delay_alu instid0(SALU_CYCLE_1)
	s_and_not1_b32 s12, s2, exec_lo
	s_and_b32 s8, s8, exec_lo
	s_waitcnt lgkmcnt(2)
	v_dual_mov_b32 v10, v18 :: v_dual_mov_b32 v11, v15
	v_mov_b32_e32 v12, v17
	s_or_b32 s8, s12, s8
	s_and_not1_b32 s12, s3, exec_lo
	s_and_b32 s9, s9, exec_lo
	s_and_not1_b32 s5, s5, exec_lo
	s_and_b32 s7, s7, exec_lo
	s_or_b32 s9, s12, s9
	s_or_b32 s5, s5, s7
.LBB138_220:
	s_or_b32 exec_lo, exec_lo, s6
	s_delay_alu instid0(SALU_CYCLE_1)
	s_and_not1_b32 s7, s2, exec_lo
	s_and_b32 s8, s8, exec_lo
	s_and_b32 s9, s9, exec_lo
	s_or_b32 s7, s7, s8
	s_and_not1_b32 s8, s3, exec_lo
	s_and_not1_b32 s12, s4, exec_lo
	s_and_b32 s5, s5, exec_lo
	s_xor_b32 s6, exec_lo, -1
	s_or_b32 s8, s8, s9
	s_or_b32 s5, s12, s5
.LBB138_221:
	s_or_b32 exec_lo, exec_lo, s0
	s_delay_alu instid0(SALU_CYCLE_1)
	s_and_not1_b32 s2, s2, exec_lo
	s_and_b32 s7, s7, exec_lo
	s_and_b32 s0, s6, exec_lo
	s_and_not1_b32 s3, s3, exec_lo
	s_and_b32 s6, s8, exec_lo
	s_and_not1_b32 s4, s4, exec_lo
	s_and_b32 s5, s5, exec_lo
	s_or_b32 s2, s2, s7
	s_or_b32 s3, s3, s6
	s_or_b32 s4, s4, s5
	s_or_b32 exec_lo, exec_lo, s1
	s_and_saveexec_b32 s1, s4
	s_cbranch_execz .LBB138_156
.LBB138_222:
	v_mov_b32_e32 v2, 0
	s_and_not1_b32 s3, s3, exec_lo
                                        ; implicit-def: $vgpr10
                                        ; implicit-def: $vgpr11
	s_waitcnt lgkmcnt(3)
	global_store_b8 v2, v12, s[10:11]
	s_or_b32 exec_lo, exec_lo, s1
	s_and_saveexec_b32 s1, s3
	s_cbranch_execz .LBB138_157
.LBB138_223:
	v_mov_b32_e32 v2, 0
                                        ; implicit-def: $vgpr10
	s_waitcnt lgkmcnt(2)
	global_store_b8 v2, v11, s[10:11]
	s_or_b32 exec_lo, exec_lo, s1
	s_and_saveexec_b32 s1, s2
	s_delay_alu instid0(SALU_CYCLE_1)
	s_xor_b32 s1, exec_lo, s1
	s_cbranch_execz .LBB138_158
.LBB138_224:
	v_mov_b32_e32 v2, 0
	s_waitcnt lgkmcnt(8)
	global_store_b8 v2, v10, s[10:11]
	s_or_b32 exec_lo, exec_lo, s1
	s_delay_alu instid0(SALU_CYCLE_1)
	s_and_b32 exec_lo, exec_lo, s0
	s_cbranch_execz .LBB138_159
.LBB138_225:
	s_mov_b32 s0, exec_lo
	v_cmpx_lt_i64_e32 2, v[0:1]
	s_xor_b32 s0, exec_lo, s0
	s_cbranch_execz .LBB138_235
; %bb.226:
	s_mov_b32 s1, exec_lo
	v_cmpx_lt_i64_e32 3, v[0:1]
	s_xor_b32 s1, exec_lo, s1
	s_cbranch_execz .LBB138_232
; %bb.227:
	;; [unrolled: 5-line block ×3, first 2 shown]
	v_mov_b32_e32 v0, 0
                                        ; implicit-def: $vgpr6
	s_waitcnt lgkmcnt(18)
	global_store_b8 v0, v9, s[10:11]
.LBB138_229:
	s_and_not1_saveexec_b32 s2, s2
	s_cbranch_execz .LBB138_231
; %bb.230:
	v_mov_b32_e32 v0, 0
	s_waitcnt lgkmcnt(19)
	global_store_b8 v0, v6, s[10:11]
.LBB138_231:
	s_or_b32 exec_lo, exec_lo, s2
                                        ; implicit-def: $vgpr8
.LBB138_232:
	s_and_not1_saveexec_b32 s1, s1
	s_cbranch_execz .LBB138_234
; %bb.233:
	v_mov_b32_e32 v0, 0
	s_waitcnt lgkmcnt(20)
	global_store_b8 v0, v8, s[10:11]
.LBB138_234:
	s_or_b32 exec_lo, exec_lo, s1
                                        ; implicit-def: $vgpr0_vgpr1
                                        ; implicit-def: $vgpr7
                                        ; implicit-def: $vgpr4
                                        ; implicit-def: $vgpr5
.LBB138_235:
	s_and_not1_saveexec_b32 s0, s0
	s_cbranch_execz .LBB138_159
; %bb.236:
	s_mov_b32 s0, exec_lo
	v_cmpx_lt_i64_e32 1, v[0:1]
	s_xor_b32 s0, exec_lo, s0
	s_cbranch_execz .LBB138_238
; %bb.237:
	v_mov_b32_e32 v0, 0
                                        ; implicit-def: $vgpr4
                                        ; implicit-def: $vgpr5
	s_waitcnt lgkmcnt(21)
	global_store_b8 v0, v7, s[10:11]
                                        ; implicit-def: $vgpr0_vgpr1
.LBB138_238:
	s_and_not1_saveexec_b32 s0, s0
	s_cbranch_execz .LBB138_159
; %bb.239:
	s_mov_b32 s0, exec_lo
	v_cmpx_ne_u64_e32 1, v[0:1]
	s_xor_b32 s0, exec_lo, s0
	s_cbranch_execz .LBB138_241
; %bb.240:
	v_mov_b32_e32 v0, 0
                                        ; implicit-def: $vgpr4
	s_waitcnt lgkmcnt(23)
	global_store_b8 v0, v5, s[10:11]
.LBB138_241:
	s_and_not1_saveexec_b32 s0, s0
	s_cbranch_execz .LBB138_159
; %bb.242:
	v_mov_b32_e32 v0, 0
	s_waitcnt lgkmcnt(22)
	global_store_b8 v0, v4, s[10:11]
	s_endpgm
	.section	.rodata,"a",@progbits
	.p2align	6, 0x0
	.amdhsa_kernel _ZN7rocprim17ROCPRIM_400000_NS6detail17trampoline_kernelINS0_14default_configENS1_20scan_config_selectorIhEEZZNS1_9scan_implILNS1_25lookback_scan_determinismE0ELb0ELb0ES3_N6thrust23THRUST_200600_302600_NS6detail15normal_iteratorINS9_7pointerIhNS9_11hip_rocprim5par_tENS9_11use_defaultESF_EEEENSB_INSC_IjSE_SF_SF_EEEEhNS9_4plusIvEEhEEDaPvRmT3_T4_T5_mT6_P12ihipStream_tbENKUlT_T0_E_clISt17integral_constantIbLb1EESZ_EEDaSU_SV_EUlSU_E_NS1_11comp_targetILNS1_3genE9ELNS1_11target_archE1100ELNS1_3gpuE3ELNS1_3repE0EEENS1_30default_config_static_selectorELNS0_4arch9wavefront6targetE0EEEvT1_
		.amdhsa_group_segment_fixed_size 6144
		.amdhsa_private_segment_fixed_size 0
		.amdhsa_kernarg_size 96
		.amdhsa_user_sgpr_count 15
		.amdhsa_user_sgpr_dispatch_ptr 0
		.amdhsa_user_sgpr_queue_ptr 0
		.amdhsa_user_sgpr_kernarg_segment_ptr 1
		.amdhsa_user_sgpr_dispatch_id 0
		.amdhsa_user_sgpr_private_segment_size 0
		.amdhsa_wavefront_size32 1
		.amdhsa_uses_dynamic_stack 0
		.amdhsa_enable_private_segment 0
		.amdhsa_system_sgpr_workgroup_id_x 1
		.amdhsa_system_sgpr_workgroup_id_y 0
		.amdhsa_system_sgpr_workgroup_id_z 0
		.amdhsa_system_sgpr_workgroup_info 0
		.amdhsa_system_vgpr_workitem_id 0
		.amdhsa_next_free_vgpr 57
		.amdhsa_next_free_sgpr 26
		.amdhsa_reserve_vcc 1
		.amdhsa_float_round_mode_32 0
		.amdhsa_float_round_mode_16_64 0
		.amdhsa_float_denorm_mode_32 3
		.amdhsa_float_denorm_mode_16_64 3
		.amdhsa_dx10_clamp 1
		.amdhsa_ieee_mode 1
		.amdhsa_fp16_overflow 0
		.amdhsa_workgroup_processor_mode 1
		.amdhsa_memory_ordered 1
		.amdhsa_forward_progress 0
		.amdhsa_shared_vgpr_count 0
		.amdhsa_exception_fp_ieee_invalid_op 0
		.amdhsa_exception_fp_denorm_src 0
		.amdhsa_exception_fp_ieee_div_zero 0
		.amdhsa_exception_fp_ieee_overflow 0
		.amdhsa_exception_fp_ieee_underflow 0
		.amdhsa_exception_fp_ieee_inexact 0
		.amdhsa_exception_int_div_zero 0
	.end_amdhsa_kernel
	.section	.text._ZN7rocprim17ROCPRIM_400000_NS6detail17trampoline_kernelINS0_14default_configENS1_20scan_config_selectorIhEEZZNS1_9scan_implILNS1_25lookback_scan_determinismE0ELb0ELb0ES3_N6thrust23THRUST_200600_302600_NS6detail15normal_iteratorINS9_7pointerIhNS9_11hip_rocprim5par_tENS9_11use_defaultESF_EEEENSB_INSC_IjSE_SF_SF_EEEEhNS9_4plusIvEEhEEDaPvRmT3_T4_T5_mT6_P12ihipStream_tbENKUlT_T0_E_clISt17integral_constantIbLb1EESZ_EEDaSU_SV_EUlSU_E_NS1_11comp_targetILNS1_3genE9ELNS1_11target_archE1100ELNS1_3gpuE3ELNS1_3repE0EEENS1_30default_config_static_selectorELNS0_4arch9wavefront6targetE0EEEvT1_,"axG",@progbits,_ZN7rocprim17ROCPRIM_400000_NS6detail17trampoline_kernelINS0_14default_configENS1_20scan_config_selectorIhEEZZNS1_9scan_implILNS1_25lookback_scan_determinismE0ELb0ELb0ES3_N6thrust23THRUST_200600_302600_NS6detail15normal_iteratorINS9_7pointerIhNS9_11hip_rocprim5par_tENS9_11use_defaultESF_EEEENSB_INSC_IjSE_SF_SF_EEEEhNS9_4plusIvEEhEEDaPvRmT3_T4_T5_mT6_P12ihipStream_tbENKUlT_T0_E_clISt17integral_constantIbLb1EESZ_EEDaSU_SV_EUlSU_E_NS1_11comp_targetILNS1_3genE9ELNS1_11target_archE1100ELNS1_3gpuE3ELNS1_3repE0EEENS1_30default_config_static_selectorELNS0_4arch9wavefront6targetE0EEEvT1_,comdat
.Lfunc_end138:
	.size	_ZN7rocprim17ROCPRIM_400000_NS6detail17trampoline_kernelINS0_14default_configENS1_20scan_config_selectorIhEEZZNS1_9scan_implILNS1_25lookback_scan_determinismE0ELb0ELb0ES3_N6thrust23THRUST_200600_302600_NS6detail15normal_iteratorINS9_7pointerIhNS9_11hip_rocprim5par_tENS9_11use_defaultESF_EEEENSB_INSC_IjSE_SF_SF_EEEEhNS9_4plusIvEEhEEDaPvRmT3_T4_T5_mT6_P12ihipStream_tbENKUlT_T0_E_clISt17integral_constantIbLb1EESZ_EEDaSU_SV_EUlSU_E_NS1_11comp_targetILNS1_3genE9ELNS1_11target_archE1100ELNS1_3gpuE3ELNS1_3repE0EEENS1_30default_config_static_selectorELNS0_4arch9wavefront6targetE0EEEvT1_, .Lfunc_end138-_ZN7rocprim17ROCPRIM_400000_NS6detail17trampoline_kernelINS0_14default_configENS1_20scan_config_selectorIhEEZZNS1_9scan_implILNS1_25lookback_scan_determinismE0ELb0ELb0ES3_N6thrust23THRUST_200600_302600_NS6detail15normal_iteratorINS9_7pointerIhNS9_11hip_rocprim5par_tENS9_11use_defaultESF_EEEENSB_INSC_IjSE_SF_SF_EEEEhNS9_4plusIvEEhEEDaPvRmT3_T4_T5_mT6_P12ihipStream_tbENKUlT_T0_E_clISt17integral_constantIbLb1EESZ_EEDaSU_SV_EUlSU_E_NS1_11comp_targetILNS1_3genE9ELNS1_11target_archE1100ELNS1_3gpuE3ELNS1_3repE0EEENS1_30default_config_static_selectorELNS0_4arch9wavefront6targetE0EEEvT1_
                                        ; -- End function
	.section	.AMDGPU.csdata,"",@progbits
; Kernel info:
; codeLenInByte = 10856
; NumSgprs: 28
; NumVgprs: 57
; ScratchSize: 0
; MemoryBound: 0
; FloatMode: 240
; IeeeMode: 1
; LDSByteSize: 6144 bytes/workgroup (compile time only)
; SGPRBlocks: 3
; VGPRBlocks: 7
; NumSGPRsForWavesPerEU: 28
; NumVGPRsForWavesPerEU: 57
; Occupancy: 16
; WaveLimiterHint : 1
; COMPUTE_PGM_RSRC2:SCRATCH_EN: 0
; COMPUTE_PGM_RSRC2:USER_SGPR: 15
; COMPUTE_PGM_RSRC2:TRAP_HANDLER: 0
; COMPUTE_PGM_RSRC2:TGID_X_EN: 1
; COMPUTE_PGM_RSRC2:TGID_Y_EN: 0
; COMPUTE_PGM_RSRC2:TGID_Z_EN: 0
; COMPUTE_PGM_RSRC2:TIDIG_COMP_CNT: 0
	.section	.text._ZN7rocprim17ROCPRIM_400000_NS6detail17trampoline_kernelINS0_14default_configENS1_20scan_config_selectorIhEEZZNS1_9scan_implILNS1_25lookback_scan_determinismE0ELb0ELb0ES3_N6thrust23THRUST_200600_302600_NS6detail15normal_iteratorINS9_7pointerIhNS9_11hip_rocprim5par_tENS9_11use_defaultESF_EEEENSB_INSC_IjSE_SF_SF_EEEEhNS9_4plusIvEEhEEDaPvRmT3_T4_T5_mT6_P12ihipStream_tbENKUlT_T0_E_clISt17integral_constantIbLb1EESZ_EEDaSU_SV_EUlSU_E_NS1_11comp_targetILNS1_3genE8ELNS1_11target_archE1030ELNS1_3gpuE2ELNS1_3repE0EEENS1_30default_config_static_selectorELNS0_4arch9wavefront6targetE0EEEvT1_,"axG",@progbits,_ZN7rocprim17ROCPRIM_400000_NS6detail17trampoline_kernelINS0_14default_configENS1_20scan_config_selectorIhEEZZNS1_9scan_implILNS1_25lookback_scan_determinismE0ELb0ELb0ES3_N6thrust23THRUST_200600_302600_NS6detail15normal_iteratorINS9_7pointerIhNS9_11hip_rocprim5par_tENS9_11use_defaultESF_EEEENSB_INSC_IjSE_SF_SF_EEEEhNS9_4plusIvEEhEEDaPvRmT3_T4_T5_mT6_P12ihipStream_tbENKUlT_T0_E_clISt17integral_constantIbLb1EESZ_EEDaSU_SV_EUlSU_E_NS1_11comp_targetILNS1_3genE8ELNS1_11target_archE1030ELNS1_3gpuE2ELNS1_3repE0EEENS1_30default_config_static_selectorELNS0_4arch9wavefront6targetE0EEEvT1_,comdat
	.protected	_ZN7rocprim17ROCPRIM_400000_NS6detail17trampoline_kernelINS0_14default_configENS1_20scan_config_selectorIhEEZZNS1_9scan_implILNS1_25lookback_scan_determinismE0ELb0ELb0ES3_N6thrust23THRUST_200600_302600_NS6detail15normal_iteratorINS9_7pointerIhNS9_11hip_rocprim5par_tENS9_11use_defaultESF_EEEENSB_INSC_IjSE_SF_SF_EEEEhNS9_4plusIvEEhEEDaPvRmT3_T4_T5_mT6_P12ihipStream_tbENKUlT_T0_E_clISt17integral_constantIbLb1EESZ_EEDaSU_SV_EUlSU_E_NS1_11comp_targetILNS1_3genE8ELNS1_11target_archE1030ELNS1_3gpuE2ELNS1_3repE0EEENS1_30default_config_static_selectorELNS0_4arch9wavefront6targetE0EEEvT1_ ; -- Begin function _ZN7rocprim17ROCPRIM_400000_NS6detail17trampoline_kernelINS0_14default_configENS1_20scan_config_selectorIhEEZZNS1_9scan_implILNS1_25lookback_scan_determinismE0ELb0ELb0ES3_N6thrust23THRUST_200600_302600_NS6detail15normal_iteratorINS9_7pointerIhNS9_11hip_rocprim5par_tENS9_11use_defaultESF_EEEENSB_INSC_IjSE_SF_SF_EEEEhNS9_4plusIvEEhEEDaPvRmT3_T4_T5_mT6_P12ihipStream_tbENKUlT_T0_E_clISt17integral_constantIbLb1EESZ_EEDaSU_SV_EUlSU_E_NS1_11comp_targetILNS1_3genE8ELNS1_11target_archE1030ELNS1_3gpuE2ELNS1_3repE0EEENS1_30default_config_static_selectorELNS0_4arch9wavefront6targetE0EEEvT1_
	.globl	_ZN7rocprim17ROCPRIM_400000_NS6detail17trampoline_kernelINS0_14default_configENS1_20scan_config_selectorIhEEZZNS1_9scan_implILNS1_25lookback_scan_determinismE0ELb0ELb0ES3_N6thrust23THRUST_200600_302600_NS6detail15normal_iteratorINS9_7pointerIhNS9_11hip_rocprim5par_tENS9_11use_defaultESF_EEEENSB_INSC_IjSE_SF_SF_EEEEhNS9_4plusIvEEhEEDaPvRmT3_T4_T5_mT6_P12ihipStream_tbENKUlT_T0_E_clISt17integral_constantIbLb1EESZ_EEDaSU_SV_EUlSU_E_NS1_11comp_targetILNS1_3genE8ELNS1_11target_archE1030ELNS1_3gpuE2ELNS1_3repE0EEENS1_30default_config_static_selectorELNS0_4arch9wavefront6targetE0EEEvT1_
	.p2align	8
	.type	_ZN7rocprim17ROCPRIM_400000_NS6detail17trampoline_kernelINS0_14default_configENS1_20scan_config_selectorIhEEZZNS1_9scan_implILNS1_25lookback_scan_determinismE0ELb0ELb0ES3_N6thrust23THRUST_200600_302600_NS6detail15normal_iteratorINS9_7pointerIhNS9_11hip_rocprim5par_tENS9_11use_defaultESF_EEEENSB_INSC_IjSE_SF_SF_EEEEhNS9_4plusIvEEhEEDaPvRmT3_T4_T5_mT6_P12ihipStream_tbENKUlT_T0_E_clISt17integral_constantIbLb1EESZ_EEDaSU_SV_EUlSU_E_NS1_11comp_targetILNS1_3genE8ELNS1_11target_archE1030ELNS1_3gpuE2ELNS1_3repE0EEENS1_30default_config_static_selectorELNS0_4arch9wavefront6targetE0EEEvT1_,@function
_ZN7rocprim17ROCPRIM_400000_NS6detail17trampoline_kernelINS0_14default_configENS1_20scan_config_selectorIhEEZZNS1_9scan_implILNS1_25lookback_scan_determinismE0ELb0ELb0ES3_N6thrust23THRUST_200600_302600_NS6detail15normal_iteratorINS9_7pointerIhNS9_11hip_rocprim5par_tENS9_11use_defaultESF_EEEENSB_INSC_IjSE_SF_SF_EEEEhNS9_4plusIvEEhEEDaPvRmT3_T4_T5_mT6_P12ihipStream_tbENKUlT_T0_E_clISt17integral_constantIbLb1EESZ_EEDaSU_SV_EUlSU_E_NS1_11comp_targetILNS1_3genE8ELNS1_11target_archE1030ELNS1_3gpuE2ELNS1_3repE0EEENS1_30default_config_static_selectorELNS0_4arch9wavefront6targetE0EEEvT1_: ; @_ZN7rocprim17ROCPRIM_400000_NS6detail17trampoline_kernelINS0_14default_configENS1_20scan_config_selectorIhEEZZNS1_9scan_implILNS1_25lookback_scan_determinismE0ELb0ELb0ES3_N6thrust23THRUST_200600_302600_NS6detail15normal_iteratorINS9_7pointerIhNS9_11hip_rocprim5par_tENS9_11use_defaultESF_EEEENSB_INSC_IjSE_SF_SF_EEEEhNS9_4plusIvEEhEEDaPvRmT3_T4_T5_mT6_P12ihipStream_tbENKUlT_T0_E_clISt17integral_constantIbLb1EESZ_EEDaSU_SV_EUlSU_E_NS1_11comp_targetILNS1_3genE8ELNS1_11target_archE1030ELNS1_3gpuE2ELNS1_3repE0EEENS1_30default_config_static_selectorELNS0_4arch9wavefront6targetE0EEEvT1_
; %bb.0:
	.section	.rodata,"a",@progbits
	.p2align	6, 0x0
	.amdhsa_kernel _ZN7rocprim17ROCPRIM_400000_NS6detail17trampoline_kernelINS0_14default_configENS1_20scan_config_selectorIhEEZZNS1_9scan_implILNS1_25lookback_scan_determinismE0ELb0ELb0ES3_N6thrust23THRUST_200600_302600_NS6detail15normal_iteratorINS9_7pointerIhNS9_11hip_rocprim5par_tENS9_11use_defaultESF_EEEENSB_INSC_IjSE_SF_SF_EEEEhNS9_4plusIvEEhEEDaPvRmT3_T4_T5_mT6_P12ihipStream_tbENKUlT_T0_E_clISt17integral_constantIbLb1EESZ_EEDaSU_SV_EUlSU_E_NS1_11comp_targetILNS1_3genE8ELNS1_11target_archE1030ELNS1_3gpuE2ELNS1_3repE0EEENS1_30default_config_static_selectorELNS0_4arch9wavefront6targetE0EEEvT1_
		.amdhsa_group_segment_fixed_size 0
		.amdhsa_private_segment_fixed_size 0
		.amdhsa_kernarg_size 96
		.amdhsa_user_sgpr_count 15
		.amdhsa_user_sgpr_dispatch_ptr 0
		.amdhsa_user_sgpr_queue_ptr 0
		.amdhsa_user_sgpr_kernarg_segment_ptr 1
		.amdhsa_user_sgpr_dispatch_id 0
		.amdhsa_user_sgpr_private_segment_size 0
		.amdhsa_wavefront_size32 1
		.amdhsa_uses_dynamic_stack 0
		.amdhsa_enable_private_segment 0
		.amdhsa_system_sgpr_workgroup_id_x 1
		.amdhsa_system_sgpr_workgroup_id_y 0
		.amdhsa_system_sgpr_workgroup_id_z 0
		.amdhsa_system_sgpr_workgroup_info 0
		.amdhsa_system_vgpr_workitem_id 0
		.amdhsa_next_free_vgpr 1
		.amdhsa_next_free_sgpr 1
		.amdhsa_reserve_vcc 0
		.amdhsa_float_round_mode_32 0
		.amdhsa_float_round_mode_16_64 0
		.amdhsa_float_denorm_mode_32 3
		.amdhsa_float_denorm_mode_16_64 3
		.amdhsa_dx10_clamp 1
		.amdhsa_ieee_mode 1
		.amdhsa_fp16_overflow 0
		.amdhsa_workgroup_processor_mode 1
		.amdhsa_memory_ordered 1
		.amdhsa_forward_progress 0
		.amdhsa_shared_vgpr_count 0
		.amdhsa_exception_fp_ieee_invalid_op 0
		.amdhsa_exception_fp_denorm_src 0
		.amdhsa_exception_fp_ieee_div_zero 0
		.amdhsa_exception_fp_ieee_overflow 0
		.amdhsa_exception_fp_ieee_underflow 0
		.amdhsa_exception_fp_ieee_inexact 0
		.amdhsa_exception_int_div_zero 0
	.end_amdhsa_kernel
	.section	.text._ZN7rocprim17ROCPRIM_400000_NS6detail17trampoline_kernelINS0_14default_configENS1_20scan_config_selectorIhEEZZNS1_9scan_implILNS1_25lookback_scan_determinismE0ELb0ELb0ES3_N6thrust23THRUST_200600_302600_NS6detail15normal_iteratorINS9_7pointerIhNS9_11hip_rocprim5par_tENS9_11use_defaultESF_EEEENSB_INSC_IjSE_SF_SF_EEEEhNS9_4plusIvEEhEEDaPvRmT3_T4_T5_mT6_P12ihipStream_tbENKUlT_T0_E_clISt17integral_constantIbLb1EESZ_EEDaSU_SV_EUlSU_E_NS1_11comp_targetILNS1_3genE8ELNS1_11target_archE1030ELNS1_3gpuE2ELNS1_3repE0EEENS1_30default_config_static_selectorELNS0_4arch9wavefront6targetE0EEEvT1_,"axG",@progbits,_ZN7rocprim17ROCPRIM_400000_NS6detail17trampoline_kernelINS0_14default_configENS1_20scan_config_selectorIhEEZZNS1_9scan_implILNS1_25lookback_scan_determinismE0ELb0ELb0ES3_N6thrust23THRUST_200600_302600_NS6detail15normal_iteratorINS9_7pointerIhNS9_11hip_rocprim5par_tENS9_11use_defaultESF_EEEENSB_INSC_IjSE_SF_SF_EEEEhNS9_4plusIvEEhEEDaPvRmT3_T4_T5_mT6_P12ihipStream_tbENKUlT_T0_E_clISt17integral_constantIbLb1EESZ_EEDaSU_SV_EUlSU_E_NS1_11comp_targetILNS1_3genE8ELNS1_11target_archE1030ELNS1_3gpuE2ELNS1_3repE0EEENS1_30default_config_static_selectorELNS0_4arch9wavefront6targetE0EEEvT1_,comdat
.Lfunc_end139:
	.size	_ZN7rocprim17ROCPRIM_400000_NS6detail17trampoline_kernelINS0_14default_configENS1_20scan_config_selectorIhEEZZNS1_9scan_implILNS1_25lookback_scan_determinismE0ELb0ELb0ES3_N6thrust23THRUST_200600_302600_NS6detail15normal_iteratorINS9_7pointerIhNS9_11hip_rocprim5par_tENS9_11use_defaultESF_EEEENSB_INSC_IjSE_SF_SF_EEEEhNS9_4plusIvEEhEEDaPvRmT3_T4_T5_mT6_P12ihipStream_tbENKUlT_T0_E_clISt17integral_constantIbLb1EESZ_EEDaSU_SV_EUlSU_E_NS1_11comp_targetILNS1_3genE8ELNS1_11target_archE1030ELNS1_3gpuE2ELNS1_3repE0EEENS1_30default_config_static_selectorELNS0_4arch9wavefront6targetE0EEEvT1_, .Lfunc_end139-_ZN7rocprim17ROCPRIM_400000_NS6detail17trampoline_kernelINS0_14default_configENS1_20scan_config_selectorIhEEZZNS1_9scan_implILNS1_25lookback_scan_determinismE0ELb0ELb0ES3_N6thrust23THRUST_200600_302600_NS6detail15normal_iteratorINS9_7pointerIhNS9_11hip_rocprim5par_tENS9_11use_defaultESF_EEEENSB_INSC_IjSE_SF_SF_EEEEhNS9_4plusIvEEhEEDaPvRmT3_T4_T5_mT6_P12ihipStream_tbENKUlT_T0_E_clISt17integral_constantIbLb1EESZ_EEDaSU_SV_EUlSU_E_NS1_11comp_targetILNS1_3genE8ELNS1_11target_archE1030ELNS1_3gpuE2ELNS1_3repE0EEENS1_30default_config_static_selectorELNS0_4arch9wavefront6targetE0EEEvT1_
                                        ; -- End function
	.section	.AMDGPU.csdata,"",@progbits
; Kernel info:
; codeLenInByte = 0
; NumSgprs: 0
; NumVgprs: 0
; ScratchSize: 0
; MemoryBound: 0
; FloatMode: 240
; IeeeMode: 1
; LDSByteSize: 0 bytes/workgroup (compile time only)
; SGPRBlocks: 0
; VGPRBlocks: 0
; NumSGPRsForWavesPerEU: 1
; NumVGPRsForWavesPerEU: 1
; Occupancy: 16
; WaveLimiterHint : 0
; COMPUTE_PGM_RSRC2:SCRATCH_EN: 0
; COMPUTE_PGM_RSRC2:USER_SGPR: 15
; COMPUTE_PGM_RSRC2:TRAP_HANDLER: 0
; COMPUTE_PGM_RSRC2:TGID_X_EN: 1
; COMPUTE_PGM_RSRC2:TGID_Y_EN: 0
; COMPUTE_PGM_RSRC2:TGID_Z_EN: 0
; COMPUTE_PGM_RSRC2:TIDIG_COMP_CNT: 0
	.section	.text._ZN7rocprim17ROCPRIM_400000_NS6detail17trampoline_kernelINS0_14default_configENS1_20scan_config_selectorIhEEZZNS1_9scan_implILNS1_25lookback_scan_determinismE0ELb0ELb0ES3_N6thrust23THRUST_200600_302600_NS6detail15normal_iteratorINS9_7pointerIhNS9_11hip_rocprim5par_tENS9_11use_defaultESF_EEEENSB_INSC_IjSE_SF_SF_EEEEhNS9_4plusIvEEhEEDaPvRmT3_T4_T5_mT6_P12ihipStream_tbENKUlT_T0_E_clISt17integral_constantIbLb1EESZ_EEDaSU_SV_EUlSU_E0_NS1_11comp_targetILNS1_3genE0ELNS1_11target_archE4294967295ELNS1_3gpuE0ELNS1_3repE0EEENS1_30default_config_static_selectorELNS0_4arch9wavefront6targetE0EEEvT1_,"axG",@progbits,_ZN7rocprim17ROCPRIM_400000_NS6detail17trampoline_kernelINS0_14default_configENS1_20scan_config_selectorIhEEZZNS1_9scan_implILNS1_25lookback_scan_determinismE0ELb0ELb0ES3_N6thrust23THRUST_200600_302600_NS6detail15normal_iteratorINS9_7pointerIhNS9_11hip_rocprim5par_tENS9_11use_defaultESF_EEEENSB_INSC_IjSE_SF_SF_EEEEhNS9_4plusIvEEhEEDaPvRmT3_T4_T5_mT6_P12ihipStream_tbENKUlT_T0_E_clISt17integral_constantIbLb1EESZ_EEDaSU_SV_EUlSU_E0_NS1_11comp_targetILNS1_3genE0ELNS1_11target_archE4294967295ELNS1_3gpuE0ELNS1_3repE0EEENS1_30default_config_static_selectorELNS0_4arch9wavefront6targetE0EEEvT1_,comdat
	.protected	_ZN7rocprim17ROCPRIM_400000_NS6detail17trampoline_kernelINS0_14default_configENS1_20scan_config_selectorIhEEZZNS1_9scan_implILNS1_25lookback_scan_determinismE0ELb0ELb0ES3_N6thrust23THRUST_200600_302600_NS6detail15normal_iteratorINS9_7pointerIhNS9_11hip_rocprim5par_tENS9_11use_defaultESF_EEEENSB_INSC_IjSE_SF_SF_EEEEhNS9_4plusIvEEhEEDaPvRmT3_T4_T5_mT6_P12ihipStream_tbENKUlT_T0_E_clISt17integral_constantIbLb1EESZ_EEDaSU_SV_EUlSU_E0_NS1_11comp_targetILNS1_3genE0ELNS1_11target_archE4294967295ELNS1_3gpuE0ELNS1_3repE0EEENS1_30default_config_static_selectorELNS0_4arch9wavefront6targetE0EEEvT1_ ; -- Begin function _ZN7rocprim17ROCPRIM_400000_NS6detail17trampoline_kernelINS0_14default_configENS1_20scan_config_selectorIhEEZZNS1_9scan_implILNS1_25lookback_scan_determinismE0ELb0ELb0ES3_N6thrust23THRUST_200600_302600_NS6detail15normal_iteratorINS9_7pointerIhNS9_11hip_rocprim5par_tENS9_11use_defaultESF_EEEENSB_INSC_IjSE_SF_SF_EEEEhNS9_4plusIvEEhEEDaPvRmT3_T4_T5_mT6_P12ihipStream_tbENKUlT_T0_E_clISt17integral_constantIbLb1EESZ_EEDaSU_SV_EUlSU_E0_NS1_11comp_targetILNS1_3genE0ELNS1_11target_archE4294967295ELNS1_3gpuE0ELNS1_3repE0EEENS1_30default_config_static_selectorELNS0_4arch9wavefront6targetE0EEEvT1_
	.globl	_ZN7rocprim17ROCPRIM_400000_NS6detail17trampoline_kernelINS0_14default_configENS1_20scan_config_selectorIhEEZZNS1_9scan_implILNS1_25lookback_scan_determinismE0ELb0ELb0ES3_N6thrust23THRUST_200600_302600_NS6detail15normal_iteratorINS9_7pointerIhNS9_11hip_rocprim5par_tENS9_11use_defaultESF_EEEENSB_INSC_IjSE_SF_SF_EEEEhNS9_4plusIvEEhEEDaPvRmT3_T4_T5_mT6_P12ihipStream_tbENKUlT_T0_E_clISt17integral_constantIbLb1EESZ_EEDaSU_SV_EUlSU_E0_NS1_11comp_targetILNS1_3genE0ELNS1_11target_archE4294967295ELNS1_3gpuE0ELNS1_3repE0EEENS1_30default_config_static_selectorELNS0_4arch9wavefront6targetE0EEEvT1_
	.p2align	8
	.type	_ZN7rocprim17ROCPRIM_400000_NS6detail17trampoline_kernelINS0_14default_configENS1_20scan_config_selectorIhEEZZNS1_9scan_implILNS1_25lookback_scan_determinismE0ELb0ELb0ES3_N6thrust23THRUST_200600_302600_NS6detail15normal_iteratorINS9_7pointerIhNS9_11hip_rocprim5par_tENS9_11use_defaultESF_EEEENSB_INSC_IjSE_SF_SF_EEEEhNS9_4plusIvEEhEEDaPvRmT3_T4_T5_mT6_P12ihipStream_tbENKUlT_T0_E_clISt17integral_constantIbLb1EESZ_EEDaSU_SV_EUlSU_E0_NS1_11comp_targetILNS1_3genE0ELNS1_11target_archE4294967295ELNS1_3gpuE0ELNS1_3repE0EEENS1_30default_config_static_selectorELNS0_4arch9wavefront6targetE0EEEvT1_,@function
_ZN7rocprim17ROCPRIM_400000_NS6detail17trampoline_kernelINS0_14default_configENS1_20scan_config_selectorIhEEZZNS1_9scan_implILNS1_25lookback_scan_determinismE0ELb0ELb0ES3_N6thrust23THRUST_200600_302600_NS6detail15normal_iteratorINS9_7pointerIhNS9_11hip_rocprim5par_tENS9_11use_defaultESF_EEEENSB_INSC_IjSE_SF_SF_EEEEhNS9_4plusIvEEhEEDaPvRmT3_T4_T5_mT6_P12ihipStream_tbENKUlT_T0_E_clISt17integral_constantIbLb1EESZ_EEDaSU_SV_EUlSU_E0_NS1_11comp_targetILNS1_3genE0ELNS1_11target_archE4294967295ELNS1_3gpuE0ELNS1_3repE0EEENS1_30default_config_static_selectorELNS0_4arch9wavefront6targetE0EEEvT1_: ; @_ZN7rocprim17ROCPRIM_400000_NS6detail17trampoline_kernelINS0_14default_configENS1_20scan_config_selectorIhEEZZNS1_9scan_implILNS1_25lookback_scan_determinismE0ELb0ELb0ES3_N6thrust23THRUST_200600_302600_NS6detail15normal_iteratorINS9_7pointerIhNS9_11hip_rocprim5par_tENS9_11use_defaultESF_EEEENSB_INSC_IjSE_SF_SF_EEEEhNS9_4plusIvEEhEEDaPvRmT3_T4_T5_mT6_P12ihipStream_tbENKUlT_T0_E_clISt17integral_constantIbLb1EESZ_EEDaSU_SV_EUlSU_E0_NS1_11comp_targetILNS1_3genE0ELNS1_11target_archE4294967295ELNS1_3gpuE0ELNS1_3repE0EEENS1_30default_config_static_selectorELNS0_4arch9wavefront6targetE0EEEvT1_
; %bb.0:
	.section	.rodata,"a",@progbits
	.p2align	6, 0x0
	.amdhsa_kernel _ZN7rocprim17ROCPRIM_400000_NS6detail17trampoline_kernelINS0_14default_configENS1_20scan_config_selectorIhEEZZNS1_9scan_implILNS1_25lookback_scan_determinismE0ELb0ELb0ES3_N6thrust23THRUST_200600_302600_NS6detail15normal_iteratorINS9_7pointerIhNS9_11hip_rocprim5par_tENS9_11use_defaultESF_EEEENSB_INSC_IjSE_SF_SF_EEEEhNS9_4plusIvEEhEEDaPvRmT3_T4_T5_mT6_P12ihipStream_tbENKUlT_T0_E_clISt17integral_constantIbLb1EESZ_EEDaSU_SV_EUlSU_E0_NS1_11comp_targetILNS1_3genE0ELNS1_11target_archE4294967295ELNS1_3gpuE0ELNS1_3repE0EEENS1_30default_config_static_selectorELNS0_4arch9wavefront6targetE0EEEvT1_
		.amdhsa_group_segment_fixed_size 0
		.amdhsa_private_segment_fixed_size 0
		.amdhsa_kernarg_size 32
		.amdhsa_user_sgpr_count 15
		.amdhsa_user_sgpr_dispatch_ptr 0
		.amdhsa_user_sgpr_queue_ptr 0
		.amdhsa_user_sgpr_kernarg_segment_ptr 1
		.amdhsa_user_sgpr_dispatch_id 0
		.amdhsa_user_sgpr_private_segment_size 0
		.amdhsa_wavefront_size32 1
		.amdhsa_uses_dynamic_stack 0
		.amdhsa_enable_private_segment 0
		.amdhsa_system_sgpr_workgroup_id_x 1
		.amdhsa_system_sgpr_workgroup_id_y 0
		.amdhsa_system_sgpr_workgroup_id_z 0
		.amdhsa_system_sgpr_workgroup_info 0
		.amdhsa_system_vgpr_workitem_id 0
		.amdhsa_next_free_vgpr 1
		.amdhsa_next_free_sgpr 1
		.amdhsa_reserve_vcc 0
		.amdhsa_float_round_mode_32 0
		.amdhsa_float_round_mode_16_64 0
		.amdhsa_float_denorm_mode_32 3
		.amdhsa_float_denorm_mode_16_64 3
		.amdhsa_dx10_clamp 1
		.amdhsa_ieee_mode 1
		.amdhsa_fp16_overflow 0
		.amdhsa_workgroup_processor_mode 1
		.amdhsa_memory_ordered 1
		.amdhsa_forward_progress 0
		.amdhsa_shared_vgpr_count 0
		.amdhsa_exception_fp_ieee_invalid_op 0
		.amdhsa_exception_fp_denorm_src 0
		.amdhsa_exception_fp_ieee_div_zero 0
		.amdhsa_exception_fp_ieee_overflow 0
		.amdhsa_exception_fp_ieee_underflow 0
		.amdhsa_exception_fp_ieee_inexact 0
		.amdhsa_exception_int_div_zero 0
	.end_amdhsa_kernel
	.section	.text._ZN7rocprim17ROCPRIM_400000_NS6detail17trampoline_kernelINS0_14default_configENS1_20scan_config_selectorIhEEZZNS1_9scan_implILNS1_25lookback_scan_determinismE0ELb0ELb0ES3_N6thrust23THRUST_200600_302600_NS6detail15normal_iteratorINS9_7pointerIhNS9_11hip_rocprim5par_tENS9_11use_defaultESF_EEEENSB_INSC_IjSE_SF_SF_EEEEhNS9_4plusIvEEhEEDaPvRmT3_T4_T5_mT6_P12ihipStream_tbENKUlT_T0_E_clISt17integral_constantIbLb1EESZ_EEDaSU_SV_EUlSU_E0_NS1_11comp_targetILNS1_3genE0ELNS1_11target_archE4294967295ELNS1_3gpuE0ELNS1_3repE0EEENS1_30default_config_static_selectorELNS0_4arch9wavefront6targetE0EEEvT1_,"axG",@progbits,_ZN7rocprim17ROCPRIM_400000_NS6detail17trampoline_kernelINS0_14default_configENS1_20scan_config_selectorIhEEZZNS1_9scan_implILNS1_25lookback_scan_determinismE0ELb0ELb0ES3_N6thrust23THRUST_200600_302600_NS6detail15normal_iteratorINS9_7pointerIhNS9_11hip_rocprim5par_tENS9_11use_defaultESF_EEEENSB_INSC_IjSE_SF_SF_EEEEhNS9_4plusIvEEhEEDaPvRmT3_T4_T5_mT6_P12ihipStream_tbENKUlT_T0_E_clISt17integral_constantIbLb1EESZ_EEDaSU_SV_EUlSU_E0_NS1_11comp_targetILNS1_3genE0ELNS1_11target_archE4294967295ELNS1_3gpuE0ELNS1_3repE0EEENS1_30default_config_static_selectorELNS0_4arch9wavefront6targetE0EEEvT1_,comdat
.Lfunc_end140:
	.size	_ZN7rocprim17ROCPRIM_400000_NS6detail17trampoline_kernelINS0_14default_configENS1_20scan_config_selectorIhEEZZNS1_9scan_implILNS1_25lookback_scan_determinismE0ELb0ELb0ES3_N6thrust23THRUST_200600_302600_NS6detail15normal_iteratorINS9_7pointerIhNS9_11hip_rocprim5par_tENS9_11use_defaultESF_EEEENSB_INSC_IjSE_SF_SF_EEEEhNS9_4plusIvEEhEEDaPvRmT3_T4_T5_mT6_P12ihipStream_tbENKUlT_T0_E_clISt17integral_constantIbLb1EESZ_EEDaSU_SV_EUlSU_E0_NS1_11comp_targetILNS1_3genE0ELNS1_11target_archE4294967295ELNS1_3gpuE0ELNS1_3repE0EEENS1_30default_config_static_selectorELNS0_4arch9wavefront6targetE0EEEvT1_, .Lfunc_end140-_ZN7rocprim17ROCPRIM_400000_NS6detail17trampoline_kernelINS0_14default_configENS1_20scan_config_selectorIhEEZZNS1_9scan_implILNS1_25lookback_scan_determinismE0ELb0ELb0ES3_N6thrust23THRUST_200600_302600_NS6detail15normal_iteratorINS9_7pointerIhNS9_11hip_rocprim5par_tENS9_11use_defaultESF_EEEENSB_INSC_IjSE_SF_SF_EEEEhNS9_4plusIvEEhEEDaPvRmT3_T4_T5_mT6_P12ihipStream_tbENKUlT_T0_E_clISt17integral_constantIbLb1EESZ_EEDaSU_SV_EUlSU_E0_NS1_11comp_targetILNS1_3genE0ELNS1_11target_archE4294967295ELNS1_3gpuE0ELNS1_3repE0EEENS1_30default_config_static_selectorELNS0_4arch9wavefront6targetE0EEEvT1_
                                        ; -- End function
	.section	.AMDGPU.csdata,"",@progbits
; Kernel info:
; codeLenInByte = 0
; NumSgprs: 0
; NumVgprs: 0
; ScratchSize: 0
; MemoryBound: 0
; FloatMode: 240
; IeeeMode: 1
; LDSByteSize: 0 bytes/workgroup (compile time only)
; SGPRBlocks: 0
; VGPRBlocks: 0
; NumSGPRsForWavesPerEU: 1
; NumVGPRsForWavesPerEU: 1
; Occupancy: 16
; WaveLimiterHint : 0
; COMPUTE_PGM_RSRC2:SCRATCH_EN: 0
; COMPUTE_PGM_RSRC2:USER_SGPR: 15
; COMPUTE_PGM_RSRC2:TRAP_HANDLER: 0
; COMPUTE_PGM_RSRC2:TGID_X_EN: 1
; COMPUTE_PGM_RSRC2:TGID_Y_EN: 0
; COMPUTE_PGM_RSRC2:TGID_Z_EN: 0
; COMPUTE_PGM_RSRC2:TIDIG_COMP_CNT: 0
	.section	.text._ZN7rocprim17ROCPRIM_400000_NS6detail17trampoline_kernelINS0_14default_configENS1_20scan_config_selectorIhEEZZNS1_9scan_implILNS1_25lookback_scan_determinismE0ELb0ELb0ES3_N6thrust23THRUST_200600_302600_NS6detail15normal_iteratorINS9_7pointerIhNS9_11hip_rocprim5par_tENS9_11use_defaultESF_EEEENSB_INSC_IjSE_SF_SF_EEEEhNS9_4plusIvEEhEEDaPvRmT3_T4_T5_mT6_P12ihipStream_tbENKUlT_T0_E_clISt17integral_constantIbLb1EESZ_EEDaSU_SV_EUlSU_E0_NS1_11comp_targetILNS1_3genE5ELNS1_11target_archE942ELNS1_3gpuE9ELNS1_3repE0EEENS1_30default_config_static_selectorELNS0_4arch9wavefront6targetE0EEEvT1_,"axG",@progbits,_ZN7rocprim17ROCPRIM_400000_NS6detail17trampoline_kernelINS0_14default_configENS1_20scan_config_selectorIhEEZZNS1_9scan_implILNS1_25lookback_scan_determinismE0ELb0ELb0ES3_N6thrust23THRUST_200600_302600_NS6detail15normal_iteratorINS9_7pointerIhNS9_11hip_rocprim5par_tENS9_11use_defaultESF_EEEENSB_INSC_IjSE_SF_SF_EEEEhNS9_4plusIvEEhEEDaPvRmT3_T4_T5_mT6_P12ihipStream_tbENKUlT_T0_E_clISt17integral_constantIbLb1EESZ_EEDaSU_SV_EUlSU_E0_NS1_11comp_targetILNS1_3genE5ELNS1_11target_archE942ELNS1_3gpuE9ELNS1_3repE0EEENS1_30default_config_static_selectorELNS0_4arch9wavefront6targetE0EEEvT1_,comdat
	.protected	_ZN7rocprim17ROCPRIM_400000_NS6detail17trampoline_kernelINS0_14default_configENS1_20scan_config_selectorIhEEZZNS1_9scan_implILNS1_25lookback_scan_determinismE0ELb0ELb0ES3_N6thrust23THRUST_200600_302600_NS6detail15normal_iteratorINS9_7pointerIhNS9_11hip_rocprim5par_tENS9_11use_defaultESF_EEEENSB_INSC_IjSE_SF_SF_EEEEhNS9_4plusIvEEhEEDaPvRmT3_T4_T5_mT6_P12ihipStream_tbENKUlT_T0_E_clISt17integral_constantIbLb1EESZ_EEDaSU_SV_EUlSU_E0_NS1_11comp_targetILNS1_3genE5ELNS1_11target_archE942ELNS1_3gpuE9ELNS1_3repE0EEENS1_30default_config_static_selectorELNS0_4arch9wavefront6targetE0EEEvT1_ ; -- Begin function _ZN7rocprim17ROCPRIM_400000_NS6detail17trampoline_kernelINS0_14default_configENS1_20scan_config_selectorIhEEZZNS1_9scan_implILNS1_25lookback_scan_determinismE0ELb0ELb0ES3_N6thrust23THRUST_200600_302600_NS6detail15normal_iteratorINS9_7pointerIhNS9_11hip_rocprim5par_tENS9_11use_defaultESF_EEEENSB_INSC_IjSE_SF_SF_EEEEhNS9_4plusIvEEhEEDaPvRmT3_T4_T5_mT6_P12ihipStream_tbENKUlT_T0_E_clISt17integral_constantIbLb1EESZ_EEDaSU_SV_EUlSU_E0_NS1_11comp_targetILNS1_3genE5ELNS1_11target_archE942ELNS1_3gpuE9ELNS1_3repE0EEENS1_30default_config_static_selectorELNS0_4arch9wavefront6targetE0EEEvT1_
	.globl	_ZN7rocprim17ROCPRIM_400000_NS6detail17trampoline_kernelINS0_14default_configENS1_20scan_config_selectorIhEEZZNS1_9scan_implILNS1_25lookback_scan_determinismE0ELb0ELb0ES3_N6thrust23THRUST_200600_302600_NS6detail15normal_iteratorINS9_7pointerIhNS9_11hip_rocprim5par_tENS9_11use_defaultESF_EEEENSB_INSC_IjSE_SF_SF_EEEEhNS9_4plusIvEEhEEDaPvRmT3_T4_T5_mT6_P12ihipStream_tbENKUlT_T0_E_clISt17integral_constantIbLb1EESZ_EEDaSU_SV_EUlSU_E0_NS1_11comp_targetILNS1_3genE5ELNS1_11target_archE942ELNS1_3gpuE9ELNS1_3repE0EEENS1_30default_config_static_selectorELNS0_4arch9wavefront6targetE0EEEvT1_
	.p2align	8
	.type	_ZN7rocprim17ROCPRIM_400000_NS6detail17trampoline_kernelINS0_14default_configENS1_20scan_config_selectorIhEEZZNS1_9scan_implILNS1_25lookback_scan_determinismE0ELb0ELb0ES3_N6thrust23THRUST_200600_302600_NS6detail15normal_iteratorINS9_7pointerIhNS9_11hip_rocprim5par_tENS9_11use_defaultESF_EEEENSB_INSC_IjSE_SF_SF_EEEEhNS9_4plusIvEEhEEDaPvRmT3_T4_T5_mT6_P12ihipStream_tbENKUlT_T0_E_clISt17integral_constantIbLb1EESZ_EEDaSU_SV_EUlSU_E0_NS1_11comp_targetILNS1_3genE5ELNS1_11target_archE942ELNS1_3gpuE9ELNS1_3repE0EEENS1_30default_config_static_selectorELNS0_4arch9wavefront6targetE0EEEvT1_,@function
_ZN7rocprim17ROCPRIM_400000_NS6detail17trampoline_kernelINS0_14default_configENS1_20scan_config_selectorIhEEZZNS1_9scan_implILNS1_25lookback_scan_determinismE0ELb0ELb0ES3_N6thrust23THRUST_200600_302600_NS6detail15normal_iteratorINS9_7pointerIhNS9_11hip_rocprim5par_tENS9_11use_defaultESF_EEEENSB_INSC_IjSE_SF_SF_EEEEhNS9_4plusIvEEhEEDaPvRmT3_T4_T5_mT6_P12ihipStream_tbENKUlT_T0_E_clISt17integral_constantIbLb1EESZ_EEDaSU_SV_EUlSU_E0_NS1_11comp_targetILNS1_3genE5ELNS1_11target_archE942ELNS1_3gpuE9ELNS1_3repE0EEENS1_30default_config_static_selectorELNS0_4arch9wavefront6targetE0EEEvT1_: ; @_ZN7rocprim17ROCPRIM_400000_NS6detail17trampoline_kernelINS0_14default_configENS1_20scan_config_selectorIhEEZZNS1_9scan_implILNS1_25lookback_scan_determinismE0ELb0ELb0ES3_N6thrust23THRUST_200600_302600_NS6detail15normal_iteratorINS9_7pointerIhNS9_11hip_rocprim5par_tENS9_11use_defaultESF_EEEENSB_INSC_IjSE_SF_SF_EEEEhNS9_4plusIvEEhEEDaPvRmT3_T4_T5_mT6_P12ihipStream_tbENKUlT_T0_E_clISt17integral_constantIbLb1EESZ_EEDaSU_SV_EUlSU_E0_NS1_11comp_targetILNS1_3genE5ELNS1_11target_archE942ELNS1_3gpuE9ELNS1_3repE0EEENS1_30default_config_static_selectorELNS0_4arch9wavefront6targetE0EEEvT1_
; %bb.0:
	.section	.rodata,"a",@progbits
	.p2align	6, 0x0
	.amdhsa_kernel _ZN7rocprim17ROCPRIM_400000_NS6detail17trampoline_kernelINS0_14default_configENS1_20scan_config_selectorIhEEZZNS1_9scan_implILNS1_25lookback_scan_determinismE0ELb0ELb0ES3_N6thrust23THRUST_200600_302600_NS6detail15normal_iteratorINS9_7pointerIhNS9_11hip_rocprim5par_tENS9_11use_defaultESF_EEEENSB_INSC_IjSE_SF_SF_EEEEhNS9_4plusIvEEhEEDaPvRmT3_T4_T5_mT6_P12ihipStream_tbENKUlT_T0_E_clISt17integral_constantIbLb1EESZ_EEDaSU_SV_EUlSU_E0_NS1_11comp_targetILNS1_3genE5ELNS1_11target_archE942ELNS1_3gpuE9ELNS1_3repE0EEENS1_30default_config_static_selectorELNS0_4arch9wavefront6targetE0EEEvT1_
		.amdhsa_group_segment_fixed_size 0
		.amdhsa_private_segment_fixed_size 0
		.amdhsa_kernarg_size 32
		.amdhsa_user_sgpr_count 15
		.amdhsa_user_sgpr_dispatch_ptr 0
		.amdhsa_user_sgpr_queue_ptr 0
		.amdhsa_user_sgpr_kernarg_segment_ptr 1
		.amdhsa_user_sgpr_dispatch_id 0
		.amdhsa_user_sgpr_private_segment_size 0
		.amdhsa_wavefront_size32 1
		.amdhsa_uses_dynamic_stack 0
		.amdhsa_enable_private_segment 0
		.amdhsa_system_sgpr_workgroup_id_x 1
		.amdhsa_system_sgpr_workgroup_id_y 0
		.amdhsa_system_sgpr_workgroup_id_z 0
		.amdhsa_system_sgpr_workgroup_info 0
		.amdhsa_system_vgpr_workitem_id 0
		.amdhsa_next_free_vgpr 1
		.amdhsa_next_free_sgpr 1
		.amdhsa_reserve_vcc 0
		.amdhsa_float_round_mode_32 0
		.amdhsa_float_round_mode_16_64 0
		.amdhsa_float_denorm_mode_32 3
		.amdhsa_float_denorm_mode_16_64 3
		.amdhsa_dx10_clamp 1
		.amdhsa_ieee_mode 1
		.amdhsa_fp16_overflow 0
		.amdhsa_workgroup_processor_mode 1
		.amdhsa_memory_ordered 1
		.amdhsa_forward_progress 0
		.amdhsa_shared_vgpr_count 0
		.amdhsa_exception_fp_ieee_invalid_op 0
		.amdhsa_exception_fp_denorm_src 0
		.amdhsa_exception_fp_ieee_div_zero 0
		.amdhsa_exception_fp_ieee_overflow 0
		.amdhsa_exception_fp_ieee_underflow 0
		.amdhsa_exception_fp_ieee_inexact 0
		.amdhsa_exception_int_div_zero 0
	.end_amdhsa_kernel
	.section	.text._ZN7rocprim17ROCPRIM_400000_NS6detail17trampoline_kernelINS0_14default_configENS1_20scan_config_selectorIhEEZZNS1_9scan_implILNS1_25lookback_scan_determinismE0ELb0ELb0ES3_N6thrust23THRUST_200600_302600_NS6detail15normal_iteratorINS9_7pointerIhNS9_11hip_rocprim5par_tENS9_11use_defaultESF_EEEENSB_INSC_IjSE_SF_SF_EEEEhNS9_4plusIvEEhEEDaPvRmT3_T4_T5_mT6_P12ihipStream_tbENKUlT_T0_E_clISt17integral_constantIbLb1EESZ_EEDaSU_SV_EUlSU_E0_NS1_11comp_targetILNS1_3genE5ELNS1_11target_archE942ELNS1_3gpuE9ELNS1_3repE0EEENS1_30default_config_static_selectorELNS0_4arch9wavefront6targetE0EEEvT1_,"axG",@progbits,_ZN7rocprim17ROCPRIM_400000_NS6detail17trampoline_kernelINS0_14default_configENS1_20scan_config_selectorIhEEZZNS1_9scan_implILNS1_25lookback_scan_determinismE0ELb0ELb0ES3_N6thrust23THRUST_200600_302600_NS6detail15normal_iteratorINS9_7pointerIhNS9_11hip_rocprim5par_tENS9_11use_defaultESF_EEEENSB_INSC_IjSE_SF_SF_EEEEhNS9_4plusIvEEhEEDaPvRmT3_T4_T5_mT6_P12ihipStream_tbENKUlT_T0_E_clISt17integral_constantIbLb1EESZ_EEDaSU_SV_EUlSU_E0_NS1_11comp_targetILNS1_3genE5ELNS1_11target_archE942ELNS1_3gpuE9ELNS1_3repE0EEENS1_30default_config_static_selectorELNS0_4arch9wavefront6targetE0EEEvT1_,comdat
.Lfunc_end141:
	.size	_ZN7rocprim17ROCPRIM_400000_NS6detail17trampoline_kernelINS0_14default_configENS1_20scan_config_selectorIhEEZZNS1_9scan_implILNS1_25lookback_scan_determinismE0ELb0ELb0ES3_N6thrust23THRUST_200600_302600_NS6detail15normal_iteratorINS9_7pointerIhNS9_11hip_rocprim5par_tENS9_11use_defaultESF_EEEENSB_INSC_IjSE_SF_SF_EEEEhNS9_4plusIvEEhEEDaPvRmT3_T4_T5_mT6_P12ihipStream_tbENKUlT_T0_E_clISt17integral_constantIbLb1EESZ_EEDaSU_SV_EUlSU_E0_NS1_11comp_targetILNS1_3genE5ELNS1_11target_archE942ELNS1_3gpuE9ELNS1_3repE0EEENS1_30default_config_static_selectorELNS0_4arch9wavefront6targetE0EEEvT1_, .Lfunc_end141-_ZN7rocprim17ROCPRIM_400000_NS6detail17trampoline_kernelINS0_14default_configENS1_20scan_config_selectorIhEEZZNS1_9scan_implILNS1_25lookback_scan_determinismE0ELb0ELb0ES3_N6thrust23THRUST_200600_302600_NS6detail15normal_iteratorINS9_7pointerIhNS9_11hip_rocprim5par_tENS9_11use_defaultESF_EEEENSB_INSC_IjSE_SF_SF_EEEEhNS9_4plusIvEEhEEDaPvRmT3_T4_T5_mT6_P12ihipStream_tbENKUlT_T0_E_clISt17integral_constantIbLb1EESZ_EEDaSU_SV_EUlSU_E0_NS1_11comp_targetILNS1_3genE5ELNS1_11target_archE942ELNS1_3gpuE9ELNS1_3repE0EEENS1_30default_config_static_selectorELNS0_4arch9wavefront6targetE0EEEvT1_
                                        ; -- End function
	.section	.AMDGPU.csdata,"",@progbits
; Kernel info:
; codeLenInByte = 0
; NumSgprs: 0
; NumVgprs: 0
; ScratchSize: 0
; MemoryBound: 0
; FloatMode: 240
; IeeeMode: 1
; LDSByteSize: 0 bytes/workgroup (compile time only)
; SGPRBlocks: 0
; VGPRBlocks: 0
; NumSGPRsForWavesPerEU: 1
; NumVGPRsForWavesPerEU: 1
; Occupancy: 16
; WaveLimiterHint : 0
; COMPUTE_PGM_RSRC2:SCRATCH_EN: 0
; COMPUTE_PGM_RSRC2:USER_SGPR: 15
; COMPUTE_PGM_RSRC2:TRAP_HANDLER: 0
; COMPUTE_PGM_RSRC2:TGID_X_EN: 1
; COMPUTE_PGM_RSRC2:TGID_Y_EN: 0
; COMPUTE_PGM_RSRC2:TGID_Z_EN: 0
; COMPUTE_PGM_RSRC2:TIDIG_COMP_CNT: 0
	.section	.text._ZN7rocprim17ROCPRIM_400000_NS6detail17trampoline_kernelINS0_14default_configENS1_20scan_config_selectorIhEEZZNS1_9scan_implILNS1_25lookback_scan_determinismE0ELb0ELb0ES3_N6thrust23THRUST_200600_302600_NS6detail15normal_iteratorINS9_7pointerIhNS9_11hip_rocprim5par_tENS9_11use_defaultESF_EEEENSB_INSC_IjSE_SF_SF_EEEEhNS9_4plusIvEEhEEDaPvRmT3_T4_T5_mT6_P12ihipStream_tbENKUlT_T0_E_clISt17integral_constantIbLb1EESZ_EEDaSU_SV_EUlSU_E0_NS1_11comp_targetILNS1_3genE4ELNS1_11target_archE910ELNS1_3gpuE8ELNS1_3repE0EEENS1_30default_config_static_selectorELNS0_4arch9wavefront6targetE0EEEvT1_,"axG",@progbits,_ZN7rocprim17ROCPRIM_400000_NS6detail17trampoline_kernelINS0_14default_configENS1_20scan_config_selectorIhEEZZNS1_9scan_implILNS1_25lookback_scan_determinismE0ELb0ELb0ES3_N6thrust23THRUST_200600_302600_NS6detail15normal_iteratorINS9_7pointerIhNS9_11hip_rocprim5par_tENS9_11use_defaultESF_EEEENSB_INSC_IjSE_SF_SF_EEEEhNS9_4plusIvEEhEEDaPvRmT3_T4_T5_mT6_P12ihipStream_tbENKUlT_T0_E_clISt17integral_constantIbLb1EESZ_EEDaSU_SV_EUlSU_E0_NS1_11comp_targetILNS1_3genE4ELNS1_11target_archE910ELNS1_3gpuE8ELNS1_3repE0EEENS1_30default_config_static_selectorELNS0_4arch9wavefront6targetE0EEEvT1_,comdat
	.protected	_ZN7rocprim17ROCPRIM_400000_NS6detail17trampoline_kernelINS0_14default_configENS1_20scan_config_selectorIhEEZZNS1_9scan_implILNS1_25lookback_scan_determinismE0ELb0ELb0ES3_N6thrust23THRUST_200600_302600_NS6detail15normal_iteratorINS9_7pointerIhNS9_11hip_rocprim5par_tENS9_11use_defaultESF_EEEENSB_INSC_IjSE_SF_SF_EEEEhNS9_4plusIvEEhEEDaPvRmT3_T4_T5_mT6_P12ihipStream_tbENKUlT_T0_E_clISt17integral_constantIbLb1EESZ_EEDaSU_SV_EUlSU_E0_NS1_11comp_targetILNS1_3genE4ELNS1_11target_archE910ELNS1_3gpuE8ELNS1_3repE0EEENS1_30default_config_static_selectorELNS0_4arch9wavefront6targetE0EEEvT1_ ; -- Begin function _ZN7rocprim17ROCPRIM_400000_NS6detail17trampoline_kernelINS0_14default_configENS1_20scan_config_selectorIhEEZZNS1_9scan_implILNS1_25lookback_scan_determinismE0ELb0ELb0ES3_N6thrust23THRUST_200600_302600_NS6detail15normal_iteratorINS9_7pointerIhNS9_11hip_rocprim5par_tENS9_11use_defaultESF_EEEENSB_INSC_IjSE_SF_SF_EEEEhNS9_4plusIvEEhEEDaPvRmT3_T4_T5_mT6_P12ihipStream_tbENKUlT_T0_E_clISt17integral_constantIbLb1EESZ_EEDaSU_SV_EUlSU_E0_NS1_11comp_targetILNS1_3genE4ELNS1_11target_archE910ELNS1_3gpuE8ELNS1_3repE0EEENS1_30default_config_static_selectorELNS0_4arch9wavefront6targetE0EEEvT1_
	.globl	_ZN7rocprim17ROCPRIM_400000_NS6detail17trampoline_kernelINS0_14default_configENS1_20scan_config_selectorIhEEZZNS1_9scan_implILNS1_25lookback_scan_determinismE0ELb0ELb0ES3_N6thrust23THRUST_200600_302600_NS6detail15normal_iteratorINS9_7pointerIhNS9_11hip_rocprim5par_tENS9_11use_defaultESF_EEEENSB_INSC_IjSE_SF_SF_EEEEhNS9_4plusIvEEhEEDaPvRmT3_T4_T5_mT6_P12ihipStream_tbENKUlT_T0_E_clISt17integral_constantIbLb1EESZ_EEDaSU_SV_EUlSU_E0_NS1_11comp_targetILNS1_3genE4ELNS1_11target_archE910ELNS1_3gpuE8ELNS1_3repE0EEENS1_30default_config_static_selectorELNS0_4arch9wavefront6targetE0EEEvT1_
	.p2align	8
	.type	_ZN7rocprim17ROCPRIM_400000_NS6detail17trampoline_kernelINS0_14default_configENS1_20scan_config_selectorIhEEZZNS1_9scan_implILNS1_25lookback_scan_determinismE0ELb0ELb0ES3_N6thrust23THRUST_200600_302600_NS6detail15normal_iteratorINS9_7pointerIhNS9_11hip_rocprim5par_tENS9_11use_defaultESF_EEEENSB_INSC_IjSE_SF_SF_EEEEhNS9_4plusIvEEhEEDaPvRmT3_T4_T5_mT6_P12ihipStream_tbENKUlT_T0_E_clISt17integral_constantIbLb1EESZ_EEDaSU_SV_EUlSU_E0_NS1_11comp_targetILNS1_3genE4ELNS1_11target_archE910ELNS1_3gpuE8ELNS1_3repE0EEENS1_30default_config_static_selectorELNS0_4arch9wavefront6targetE0EEEvT1_,@function
_ZN7rocprim17ROCPRIM_400000_NS6detail17trampoline_kernelINS0_14default_configENS1_20scan_config_selectorIhEEZZNS1_9scan_implILNS1_25lookback_scan_determinismE0ELb0ELb0ES3_N6thrust23THRUST_200600_302600_NS6detail15normal_iteratorINS9_7pointerIhNS9_11hip_rocprim5par_tENS9_11use_defaultESF_EEEENSB_INSC_IjSE_SF_SF_EEEEhNS9_4plusIvEEhEEDaPvRmT3_T4_T5_mT6_P12ihipStream_tbENKUlT_T0_E_clISt17integral_constantIbLb1EESZ_EEDaSU_SV_EUlSU_E0_NS1_11comp_targetILNS1_3genE4ELNS1_11target_archE910ELNS1_3gpuE8ELNS1_3repE0EEENS1_30default_config_static_selectorELNS0_4arch9wavefront6targetE0EEEvT1_: ; @_ZN7rocprim17ROCPRIM_400000_NS6detail17trampoline_kernelINS0_14default_configENS1_20scan_config_selectorIhEEZZNS1_9scan_implILNS1_25lookback_scan_determinismE0ELb0ELb0ES3_N6thrust23THRUST_200600_302600_NS6detail15normal_iteratorINS9_7pointerIhNS9_11hip_rocprim5par_tENS9_11use_defaultESF_EEEENSB_INSC_IjSE_SF_SF_EEEEhNS9_4plusIvEEhEEDaPvRmT3_T4_T5_mT6_P12ihipStream_tbENKUlT_T0_E_clISt17integral_constantIbLb1EESZ_EEDaSU_SV_EUlSU_E0_NS1_11comp_targetILNS1_3genE4ELNS1_11target_archE910ELNS1_3gpuE8ELNS1_3repE0EEENS1_30default_config_static_selectorELNS0_4arch9wavefront6targetE0EEEvT1_
; %bb.0:
	.section	.rodata,"a",@progbits
	.p2align	6, 0x0
	.amdhsa_kernel _ZN7rocprim17ROCPRIM_400000_NS6detail17trampoline_kernelINS0_14default_configENS1_20scan_config_selectorIhEEZZNS1_9scan_implILNS1_25lookback_scan_determinismE0ELb0ELb0ES3_N6thrust23THRUST_200600_302600_NS6detail15normal_iteratorINS9_7pointerIhNS9_11hip_rocprim5par_tENS9_11use_defaultESF_EEEENSB_INSC_IjSE_SF_SF_EEEEhNS9_4plusIvEEhEEDaPvRmT3_T4_T5_mT6_P12ihipStream_tbENKUlT_T0_E_clISt17integral_constantIbLb1EESZ_EEDaSU_SV_EUlSU_E0_NS1_11comp_targetILNS1_3genE4ELNS1_11target_archE910ELNS1_3gpuE8ELNS1_3repE0EEENS1_30default_config_static_selectorELNS0_4arch9wavefront6targetE0EEEvT1_
		.amdhsa_group_segment_fixed_size 0
		.amdhsa_private_segment_fixed_size 0
		.amdhsa_kernarg_size 32
		.amdhsa_user_sgpr_count 15
		.amdhsa_user_sgpr_dispatch_ptr 0
		.amdhsa_user_sgpr_queue_ptr 0
		.amdhsa_user_sgpr_kernarg_segment_ptr 1
		.amdhsa_user_sgpr_dispatch_id 0
		.amdhsa_user_sgpr_private_segment_size 0
		.amdhsa_wavefront_size32 1
		.amdhsa_uses_dynamic_stack 0
		.amdhsa_enable_private_segment 0
		.amdhsa_system_sgpr_workgroup_id_x 1
		.amdhsa_system_sgpr_workgroup_id_y 0
		.amdhsa_system_sgpr_workgroup_id_z 0
		.amdhsa_system_sgpr_workgroup_info 0
		.amdhsa_system_vgpr_workitem_id 0
		.amdhsa_next_free_vgpr 1
		.amdhsa_next_free_sgpr 1
		.amdhsa_reserve_vcc 0
		.amdhsa_float_round_mode_32 0
		.amdhsa_float_round_mode_16_64 0
		.amdhsa_float_denorm_mode_32 3
		.amdhsa_float_denorm_mode_16_64 3
		.amdhsa_dx10_clamp 1
		.amdhsa_ieee_mode 1
		.amdhsa_fp16_overflow 0
		.amdhsa_workgroup_processor_mode 1
		.amdhsa_memory_ordered 1
		.amdhsa_forward_progress 0
		.amdhsa_shared_vgpr_count 0
		.amdhsa_exception_fp_ieee_invalid_op 0
		.amdhsa_exception_fp_denorm_src 0
		.amdhsa_exception_fp_ieee_div_zero 0
		.amdhsa_exception_fp_ieee_overflow 0
		.amdhsa_exception_fp_ieee_underflow 0
		.amdhsa_exception_fp_ieee_inexact 0
		.amdhsa_exception_int_div_zero 0
	.end_amdhsa_kernel
	.section	.text._ZN7rocprim17ROCPRIM_400000_NS6detail17trampoline_kernelINS0_14default_configENS1_20scan_config_selectorIhEEZZNS1_9scan_implILNS1_25lookback_scan_determinismE0ELb0ELb0ES3_N6thrust23THRUST_200600_302600_NS6detail15normal_iteratorINS9_7pointerIhNS9_11hip_rocprim5par_tENS9_11use_defaultESF_EEEENSB_INSC_IjSE_SF_SF_EEEEhNS9_4plusIvEEhEEDaPvRmT3_T4_T5_mT6_P12ihipStream_tbENKUlT_T0_E_clISt17integral_constantIbLb1EESZ_EEDaSU_SV_EUlSU_E0_NS1_11comp_targetILNS1_3genE4ELNS1_11target_archE910ELNS1_3gpuE8ELNS1_3repE0EEENS1_30default_config_static_selectorELNS0_4arch9wavefront6targetE0EEEvT1_,"axG",@progbits,_ZN7rocprim17ROCPRIM_400000_NS6detail17trampoline_kernelINS0_14default_configENS1_20scan_config_selectorIhEEZZNS1_9scan_implILNS1_25lookback_scan_determinismE0ELb0ELb0ES3_N6thrust23THRUST_200600_302600_NS6detail15normal_iteratorINS9_7pointerIhNS9_11hip_rocprim5par_tENS9_11use_defaultESF_EEEENSB_INSC_IjSE_SF_SF_EEEEhNS9_4plusIvEEhEEDaPvRmT3_T4_T5_mT6_P12ihipStream_tbENKUlT_T0_E_clISt17integral_constantIbLb1EESZ_EEDaSU_SV_EUlSU_E0_NS1_11comp_targetILNS1_3genE4ELNS1_11target_archE910ELNS1_3gpuE8ELNS1_3repE0EEENS1_30default_config_static_selectorELNS0_4arch9wavefront6targetE0EEEvT1_,comdat
.Lfunc_end142:
	.size	_ZN7rocprim17ROCPRIM_400000_NS6detail17trampoline_kernelINS0_14default_configENS1_20scan_config_selectorIhEEZZNS1_9scan_implILNS1_25lookback_scan_determinismE0ELb0ELb0ES3_N6thrust23THRUST_200600_302600_NS6detail15normal_iteratorINS9_7pointerIhNS9_11hip_rocprim5par_tENS9_11use_defaultESF_EEEENSB_INSC_IjSE_SF_SF_EEEEhNS9_4plusIvEEhEEDaPvRmT3_T4_T5_mT6_P12ihipStream_tbENKUlT_T0_E_clISt17integral_constantIbLb1EESZ_EEDaSU_SV_EUlSU_E0_NS1_11comp_targetILNS1_3genE4ELNS1_11target_archE910ELNS1_3gpuE8ELNS1_3repE0EEENS1_30default_config_static_selectorELNS0_4arch9wavefront6targetE0EEEvT1_, .Lfunc_end142-_ZN7rocprim17ROCPRIM_400000_NS6detail17trampoline_kernelINS0_14default_configENS1_20scan_config_selectorIhEEZZNS1_9scan_implILNS1_25lookback_scan_determinismE0ELb0ELb0ES3_N6thrust23THRUST_200600_302600_NS6detail15normal_iteratorINS9_7pointerIhNS9_11hip_rocprim5par_tENS9_11use_defaultESF_EEEENSB_INSC_IjSE_SF_SF_EEEEhNS9_4plusIvEEhEEDaPvRmT3_T4_T5_mT6_P12ihipStream_tbENKUlT_T0_E_clISt17integral_constantIbLb1EESZ_EEDaSU_SV_EUlSU_E0_NS1_11comp_targetILNS1_3genE4ELNS1_11target_archE910ELNS1_3gpuE8ELNS1_3repE0EEENS1_30default_config_static_selectorELNS0_4arch9wavefront6targetE0EEEvT1_
                                        ; -- End function
	.section	.AMDGPU.csdata,"",@progbits
; Kernel info:
; codeLenInByte = 0
; NumSgprs: 0
; NumVgprs: 0
; ScratchSize: 0
; MemoryBound: 0
; FloatMode: 240
; IeeeMode: 1
; LDSByteSize: 0 bytes/workgroup (compile time only)
; SGPRBlocks: 0
; VGPRBlocks: 0
; NumSGPRsForWavesPerEU: 1
; NumVGPRsForWavesPerEU: 1
; Occupancy: 16
; WaveLimiterHint : 0
; COMPUTE_PGM_RSRC2:SCRATCH_EN: 0
; COMPUTE_PGM_RSRC2:USER_SGPR: 15
; COMPUTE_PGM_RSRC2:TRAP_HANDLER: 0
; COMPUTE_PGM_RSRC2:TGID_X_EN: 1
; COMPUTE_PGM_RSRC2:TGID_Y_EN: 0
; COMPUTE_PGM_RSRC2:TGID_Z_EN: 0
; COMPUTE_PGM_RSRC2:TIDIG_COMP_CNT: 0
	.section	.text._ZN7rocprim17ROCPRIM_400000_NS6detail17trampoline_kernelINS0_14default_configENS1_20scan_config_selectorIhEEZZNS1_9scan_implILNS1_25lookback_scan_determinismE0ELb0ELb0ES3_N6thrust23THRUST_200600_302600_NS6detail15normal_iteratorINS9_7pointerIhNS9_11hip_rocprim5par_tENS9_11use_defaultESF_EEEENSB_INSC_IjSE_SF_SF_EEEEhNS9_4plusIvEEhEEDaPvRmT3_T4_T5_mT6_P12ihipStream_tbENKUlT_T0_E_clISt17integral_constantIbLb1EESZ_EEDaSU_SV_EUlSU_E0_NS1_11comp_targetILNS1_3genE3ELNS1_11target_archE908ELNS1_3gpuE7ELNS1_3repE0EEENS1_30default_config_static_selectorELNS0_4arch9wavefront6targetE0EEEvT1_,"axG",@progbits,_ZN7rocprim17ROCPRIM_400000_NS6detail17trampoline_kernelINS0_14default_configENS1_20scan_config_selectorIhEEZZNS1_9scan_implILNS1_25lookback_scan_determinismE0ELb0ELb0ES3_N6thrust23THRUST_200600_302600_NS6detail15normal_iteratorINS9_7pointerIhNS9_11hip_rocprim5par_tENS9_11use_defaultESF_EEEENSB_INSC_IjSE_SF_SF_EEEEhNS9_4plusIvEEhEEDaPvRmT3_T4_T5_mT6_P12ihipStream_tbENKUlT_T0_E_clISt17integral_constantIbLb1EESZ_EEDaSU_SV_EUlSU_E0_NS1_11comp_targetILNS1_3genE3ELNS1_11target_archE908ELNS1_3gpuE7ELNS1_3repE0EEENS1_30default_config_static_selectorELNS0_4arch9wavefront6targetE0EEEvT1_,comdat
	.protected	_ZN7rocprim17ROCPRIM_400000_NS6detail17trampoline_kernelINS0_14default_configENS1_20scan_config_selectorIhEEZZNS1_9scan_implILNS1_25lookback_scan_determinismE0ELb0ELb0ES3_N6thrust23THRUST_200600_302600_NS6detail15normal_iteratorINS9_7pointerIhNS9_11hip_rocprim5par_tENS9_11use_defaultESF_EEEENSB_INSC_IjSE_SF_SF_EEEEhNS9_4plusIvEEhEEDaPvRmT3_T4_T5_mT6_P12ihipStream_tbENKUlT_T0_E_clISt17integral_constantIbLb1EESZ_EEDaSU_SV_EUlSU_E0_NS1_11comp_targetILNS1_3genE3ELNS1_11target_archE908ELNS1_3gpuE7ELNS1_3repE0EEENS1_30default_config_static_selectorELNS0_4arch9wavefront6targetE0EEEvT1_ ; -- Begin function _ZN7rocprim17ROCPRIM_400000_NS6detail17trampoline_kernelINS0_14default_configENS1_20scan_config_selectorIhEEZZNS1_9scan_implILNS1_25lookback_scan_determinismE0ELb0ELb0ES3_N6thrust23THRUST_200600_302600_NS6detail15normal_iteratorINS9_7pointerIhNS9_11hip_rocprim5par_tENS9_11use_defaultESF_EEEENSB_INSC_IjSE_SF_SF_EEEEhNS9_4plusIvEEhEEDaPvRmT3_T4_T5_mT6_P12ihipStream_tbENKUlT_T0_E_clISt17integral_constantIbLb1EESZ_EEDaSU_SV_EUlSU_E0_NS1_11comp_targetILNS1_3genE3ELNS1_11target_archE908ELNS1_3gpuE7ELNS1_3repE0EEENS1_30default_config_static_selectorELNS0_4arch9wavefront6targetE0EEEvT1_
	.globl	_ZN7rocprim17ROCPRIM_400000_NS6detail17trampoline_kernelINS0_14default_configENS1_20scan_config_selectorIhEEZZNS1_9scan_implILNS1_25lookback_scan_determinismE0ELb0ELb0ES3_N6thrust23THRUST_200600_302600_NS6detail15normal_iteratorINS9_7pointerIhNS9_11hip_rocprim5par_tENS9_11use_defaultESF_EEEENSB_INSC_IjSE_SF_SF_EEEEhNS9_4plusIvEEhEEDaPvRmT3_T4_T5_mT6_P12ihipStream_tbENKUlT_T0_E_clISt17integral_constantIbLb1EESZ_EEDaSU_SV_EUlSU_E0_NS1_11comp_targetILNS1_3genE3ELNS1_11target_archE908ELNS1_3gpuE7ELNS1_3repE0EEENS1_30default_config_static_selectorELNS0_4arch9wavefront6targetE0EEEvT1_
	.p2align	8
	.type	_ZN7rocprim17ROCPRIM_400000_NS6detail17trampoline_kernelINS0_14default_configENS1_20scan_config_selectorIhEEZZNS1_9scan_implILNS1_25lookback_scan_determinismE0ELb0ELb0ES3_N6thrust23THRUST_200600_302600_NS6detail15normal_iteratorINS9_7pointerIhNS9_11hip_rocprim5par_tENS9_11use_defaultESF_EEEENSB_INSC_IjSE_SF_SF_EEEEhNS9_4plusIvEEhEEDaPvRmT3_T4_T5_mT6_P12ihipStream_tbENKUlT_T0_E_clISt17integral_constantIbLb1EESZ_EEDaSU_SV_EUlSU_E0_NS1_11comp_targetILNS1_3genE3ELNS1_11target_archE908ELNS1_3gpuE7ELNS1_3repE0EEENS1_30default_config_static_selectorELNS0_4arch9wavefront6targetE0EEEvT1_,@function
_ZN7rocprim17ROCPRIM_400000_NS6detail17trampoline_kernelINS0_14default_configENS1_20scan_config_selectorIhEEZZNS1_9scan_implILNS1_25lookback_scan_determinismE0ELb0ELb0ES3_N6thrust23THRUST_200600_302600_NS6detail15normal_iteratorINS9_7pointerIhNS9_11hip_rocprim5par_tENS9_11use_defaultESF_EEEENSB_INSC_IjSE_SF_SF_EEEEhNS9_4plusIvEEhEEDaPvRmT3_T4_T5_mT6_P12ihipStream_tbENKUlT_T0_E_clISt17integral_constantIbLb1EESZ_EEDaSU_SV_EUlSU_E0_NS1_11comp_targetILNS1_3genE3ELNS1_11target_archE908ELNS1_3gpuE7ELNS1_3repE0EEENS1_30default_config_static_selectorELNS0_4arch9wavefront6targetE0EEEvT1_: ; @_ZN7rocprim17ROCPRIM_400000_NS6detail17trampoline_kernelINS0_14default_configENS1_20scan_config_selectorIhEEZZNS1_9scan_implILNS1_25lookback_scan_determinismE0ELb0ELb0ES3_N6thrust23THRUST_200600_302600_NS6detail15normal_iteratorINS9_7pointerIhNS9_11hip_rocprim5par_tENS9_11use_defaultESF_EEEENSB_INSC_IjSE_SF_SF_EEEEhNS9_4plusIvEEhEEDaPvRmT3_T4_T5_mT6_P12ihipStream_tbENKUlT_T0_E_clISt17integral_constantIbLb1EESZ_EEDaSU_SV_EUlSU_E0_NS1_11comp_targetILNS1_3genE3ELNS1_11target_archE908ELNS1_3gpuE7ELNS1_3repE0EEENS1_30default_config_static_selectorELNS0_4arch9wavefront6targetE0EEEvT1_
; %bb.0:
	.section	.rodata,"a",@progbits
	.p2align	6, 0x0
	.amdhsa_kernel _ZN7rocprim17ROCPRIM_400000_NS6detail17trampoline_kernelINS0_14default_configENS1_20scan_config_selectorIhEEZZNS1_9scan_implILNS1_25lookback_scan_determinismE0ELb0ELb0ES3_N6thrust23THRUST_200600_302600_NS6detail15normal_iteratorINS9_7pointerIhNS9_11hip_rocprim5par_tENS9_11use_defaultESF_EEEENSB_INSC_IjSE_SF_SF_EEEEhNS9_4plusIvEEhEEDaPvRmT3_T4_T5_mT6_P12ihipStream_tbENKUlT_T0_E_clISt17integral_constantIbLb1EESZ_EEDaSU_SV_EUlSU_E0_NS1_11comp_targetILNS1_3genE3ELNS1_11target_archE908ELNS1_3gpuE7ELNS1_3repE0EEENS1_30default_config_static_selectorELNS0_4arch9wavefront6targetE0EEEvT1_
		.amdhsa_group_segment_fixed_size 0
		.amdhsa_private_segment_fixed_size 0
		.amdhsa_kernarg_size 32
		.amdhsa_user_sgpr_count 15
		.amdhsa_user_sgpr_dispatch_ptr 0
		.amdhsa_user_sgpr_queue_ptr 0
		.amdhsa_user_sgpr_kernarg_segment_ptr 1
		.amdhsa_user_sgpr_dispatch_id 0
		.amdhsa_user_sgpr_private_segment_size 0
		.amdhsa_wavefront_size32 1
		.amdhsa_uses_dynamic_stack 0
		.amdhsa_enable_private_segment 0
		.amdhsa_system_sgpr_workgroup_id_x 1
		.amdhsa_system_sgpr_workgroup_id_y 0
		.amdhsa_system_sgpr_workgroup_id_z 0
		.amdhsa_system_sgpr_workgroup_info 0
		.amdhsa_system_vgpr_workitem_id 0
		.amdhsa_next_free_vgpr 1
		.amdhsa_next_free_sgpr 1
		.amdhsa_reserve_vcc 0
		.amdhsa_float_round_mode_32 0
		.amdhsa_float_round_mode_16_64 0
		.amdhsa_float_denorm_mode_32 3
		.amdhsa_float_denorm_mode_16_64 3
		.amdhsa_dx10_clamp 1
		.amdhsa_ieee_mode 1
		.amdhsa_fp16_overflow 0
		.amdhsa_workgroup_processor_mode 1
		.amdhsa_memory_ordered 1
		.amdhsa_forward_progress 0
		.amdhsa_shared_vgpr_count 0
		.amdhsa_exception_fp_ieee_invalid_op 0
		.amdhsa_exception_fp_denorm_src 0
		.amdhsa_exception_fp_ieee_div_zero 0
		.amdhsa_exception_fp_ieee_overflow 0
		.amdhsa_exception_fp_ieee_underflow 0
		.amdhsa_exception_fp_ieee_inexact 0
		.amdhsa_exception_int_div_zero 0
	.end_amdhsa_kernel
	.section	.text._ZN7rocprim17ROCPRIM_400000_NS6detail17trampoline_kernelINS0_14default_configENS1_20scan_config_selectorIhEEZZNS1_9scan_implILNS1_25lookback_scan_determinismE0ELb0ELb0ES3_N6thrust23THRUST_200600_302600_NS6detail15normal_iteratorINS9_7pointerIhNS9_11hip_rocprim5par_tENS9_11use_defaultESF_EEEENSB_INSC_IjSE_SF_SF_EEEEhNS9_4plusIvEEhEEDaPvRmT3_T4_T5_mT6_P12ihipStream_tbENKUlT_T0_E_clISt17integral_constantIbLb1EESZ_EEDaSU_SV_EUlSU_E0_NS1_11comp_targetILNS1_3genE3ELNS1_11target_archE908ELNS1_3gpuE7ELNS1_3repE0EEENS1_30default_config_static_selectorELNS0_4arch9wavefront6targetE0EEEvT1_,"axG",@progbits,_ZN7rocprim17ROCPRIM_400000_NS6detail17trampoline_kernelINS0_14default_configENS1_20scan_config_selectorIhEEZZNS1_9scan_implILNS1_25lookback_scan_determinismE0ELb0ELb0ES3_N6thrust23THRUST_200600_302600_NS6detail15normal_iteratorINS9_7pointerIhNS9_11hip_rocprim5par_tENS9_11use_defaultESF_EEEENSB_INSC_IjSE_SF_SF_EEEEhNS9_4plusIvEEhEEDaPvRmT3_T4_T5_mT6_P12ihipStream_tbENKUlT_T0_E_clISt17integral_constantIbLb1EESZ_EEDaSU_SV_EUlSU_E0_NS1_11comp_targetILNS1_3genE3ELNS1_11target_archE908ELNS1_3gpuE7ELNS1_3repE0EEENS1_30default_config_static_selectorELNS0_4arch9wavefront6targetE0EEEvT1_,comdat
.Lfunc_end143:
	.size	_ZN7rocprim17ROCPRIM_400000_NS6detail17trampoline_kernelINS0_14default_configENS1_20scan_config_selectorIhEEZZNS1_9scan_implILNS1_25lookback_scan_determinismE0ELb0ELb0ES3_N6thrust23THRUST_200600_302600_NS6detail15normal_iteratorINS9_7pointerIhNS9_11hip_rocprim5par_tENS9_11use_defaultESF_EEEENSB_INSC_IjSE_SF_SF_EEEEhNS9_4plusIvEEhEEDaPvRmT3_T4_T5_mT6_P12ihipStream_tbENKUlT_T0_E_clISt17integral_constantIbLb1EESZ_EEDaSU_SV_EUlSU_E0_NS1_11comp_targetILNS1_3genE3ELNS1_11target_archE908ELNS1_3gpuE7ELNS1_3repE0EEENS1_30default_config_static_selectorELNS0_4arch9wavefront6targetE0EEEvT1_, .Lfunc_end143-_ZN7rocprim17ROCPRIM_400000_NS6detail17trampoline_kernelINS0_14default_configENS1_20scan_config_selectorIhEEZZNS1_9scan_implILNS1_25lookback_scan_determinismE0ELb0ELb0ES3_N6thrust23THRUST_200600_302600_NS6detail15normal_iteratorINS9_7pointerIhNS9_11hip_rocprim5par_tENS9_11use_defaultESF_EEEENSB_INSC_IjSE_SF_SF_EEEEhNS9_4plusIvEEhEEDaPvRmT3_T4_T5_mT6_P12ihipStream_tbENKUlT_T0_E_clISt17integral_constantIbLb1EESZ_EEDaSU_SV_EUlSU_E0_NS1_11comp_targetILNS1_3genE3ELNS1_11target_archE908ELNS1_3gpuE7ELNS1_3repE0EEENS1_30default_config_static_selectorELNS0_4arch9wavefront6targetE0EEEvT1_
                                        ; -- End function
	.section	.AMDGPU.csdata,"",@progbits
; Kernel info:
; codeLenInByte = 0
; NumSgprs: 0
; NumVgprs: 0
; ScratchSize: 0
; MemoryBound: 0
; FloatMode: 240
; IeeeMode: 1
; LDSByteSize: 0 bytes/workgroup (compile time only)
; SGPRBlocks: 0
; VGPRBlocks: 0
; NumSGPRsForWavesPerEU: 1
; NumVGPRsForWavesPerEU: 1
; Occupancy: 16
; WaveLimiterHint : 0
; COMPUTE_PGM_RSRC2:SCRATCH_EN: 0
; COMPUTE_PGM_RSRC2:USER_SGPR: 15
; COMPUTE_PGM_RSRC2:TRAP_HANDLER: 0
; COMPUTE_PGM_RSRC2:TGID_X_EN: 1
; COMPUTE_PGM_RSRC2:TGID_Y_EN: 0
; COMPUTE_PGM_RSRC2:TGID_Z_EN: 0
; COMPUTE_PGM_RSRC2:TIDIG_COMP_CNT: 0
	.section	.text._ZN7rocprim17ROCPRIM_400000_NS6detail17trampoline_kernelINS0_14default_configENS1_20scan_config_selectorIhEEZZNS1_9scan_implILNS1_25lookback_scan_determinismE0ELb0ELb0ES3_N6thrust23THRUST_200600_302600_NS6detail15normal_iteratorINS9_7pointerIhNS9_11hip_rocprim5par_tENS9_11use_defaultESF_EEEENSB_INSC_IjSE_SF_SF_EEEEhNS9_4plusIvEEhEEDaPvRmT3_T4_T5_mT6_P12ihipStream_tbENKUlT_T0_E_clISt17integral_constantIbLb1EESZ_EEDaSU_SV_EUlSU_E0_NS1_11comp_targetILNS1_3genE2ELNS1_11target_archE906ELNS1_3gpuE6ELNS1_3repE0EEENS1_30default_config_static_selectorELNS0_4arch9wavefront6targetE0EEEvT1_,"axG",@progbits,_ZN7rocprim17ROCPRIM_400000_NS6detail17trampoline_kernelINS0_14default_configENS1_20scan_config_selectorIhEEZZNS1_9scan_implILNS1_25lookback_scan_determinismE0ELb0ELb0ES3_N6thrust23THRUST_200600_302600_NS6detail15normal_iteratorINS9_7pointerIhNS9_11hip_rocprim5par_tENS9_11use_defaultESF_EEEENSB_INSC_IjSE_SF_SF_EEEEhNS9_4plusIvEEhEEDaPvRmT3_T4_T5_mT6_P12ihipStream_tbENKUlT_T0_E_clISt17integral_constantIbLb1EESZ_EEDaSU_SV_EUlSU_E0_NS1_11comp_targetILNS1_3genE2ELNS1_11target_archE906ELNS1_3gpuE6ELNS1_3repE0EEENS1_30default_config_static_selectorELNS0_4arch9wavefront6targetE0EEEvT1_,comdat
	.protected	_ZN7rocprim17ROCPRIM_400000_NS6detail17trampoline_kernelINS0_14default_configENS1_20scan_config_selectorIhEEZZNS1_9scan_implILNS1_25lookback_scan_determinismE0ELb0ELb0ES3_N6thrust23THRUST_200600_302600_NS6detail15normal_iteratorINS9_7pointerIhNS9_11hip_rocprim5par_tENS9_11use_defaultESF_EEEENSB_INSC_IjSE_SF_SF_EEEEhNS9_4plusIvEEhEEDaPvRmT3_T4_T5_mT6_P12ihipStream_tbENKUlT_T0_E_clISt17integral_constantIbLb1EESZ_EEDaSU_SV_EUlSU_E0_NS1_11comp_targetILNS1_3genE2ELNS1_11target_archE906ELNS1_3gpuE6ELNS1_3repE0EEENS1_30default_config_static_selectorELNS0_4arch9wavefront6targetE0EEEvT1_ ; -- Begin function _ZN7rocprim17ROCPRIM_400000_NS6detail17trampoline_kernelINS0_14default_configENS1_20scan_config_selectorIhEEZZNS1_9scan_implILNS1_25lookback_scan_determinismE0ELb0ELb0ES3_N6thrust23THRUST_200600_302600_NS6detail15normal_iteratorINS9_7pointerIhNS9_11hip_rocprim5par_tENS9_11use_defaultESF_EEEENSB_INSC_IjSE_SF_SF_EEEEhNS9_4plusIvEEhEEDaPvRmT3_T4_T5_mT6_P12ihipStream_tbENKUlT_T0_E_clISt17integral_constantIbLb1EESZ_EEDaSU_SV_EUlSU_E0_NS1_11comp_targetILNS1_3genE2ELNS1_11target_archE906ELNS1_3gpuE6ELNS1_3repE0EEENS1_30default_config_static_selectorELNS0_4arch9wavefront6targetE0EEEvT1_
	.globl	_ZN7rocprim17ROCPRIM_400000_NS6detail17trampoline_kernelINS0_14default_configENS1_20scan_config_selectorIhEEZZNS1_9scan_implILNS1_25lookback_scan_determinismE0ELb0ELb0ES3_N6thrust23THRUST_200600_302600_NS6detail15normal_iteratorINS9_7pointerIhNS9_11hip_rocprim5par_tENS9_11use_defaultESF_EEEENSB_INSC_IjSE_SF_SF_EEEEhNS9_4plusIvEEhEEDaPvRmT3_T4_T5_mT6_P12ihipStream_tbENKUlT_T0_E_clISt17integral_constantIbLb1EESZ_EEDaSU_SV_EUlSU_E0_NS1_11comp_targetILNS1_3genE2ELNS1_11target_archE906ELNS1_3gpuE6ELNS1_3repE0EEENS1_30default_config_static_selectorELNS0_4arch9wavefront6targetE0EEEvT1_
	.p2align	8
	.type	_ZN7rocprim17ROCPRIM_400000_NS6detail17trampoline_kernelINS0_14default_configENS1_20scan_config_selectorIhEEZZNS1_9scan_implILNS1_25lookback_scan_determinismE0ELb0ELb0ES3_N6thrust23THRUST_200600_302600_NS6detail15normal_iteratorINS9_7pointerIhNS9_11hip_rocprim5par_tENS9_11use_defaultESF_EEEENSB_INSC_IjSE_SF_SF_EEEEhNS9_4plusIvEEhEEDaPvRmT3_T4_T5_mT6_P12ihipStream_tbENKUlT_T0_E_clISt17integral_constantIbLb1EESZ_EEDaSU_SV_EUlSU_E0_NS1_11comp_targetILNS1_3genE2ELNS1_11target_archE906ELNS1_3gpuE6ELNS1_3repE0EEENS1_30default_config_static_selectorELNS0_4arch9wavefront6targetE0EEEvT1_,@function
_ZN7rocprim17ROCPRIM_400000_NS6detail17trampoline_kernelINS0_14default_configENS1_20scan_config_selectorIhEEZZNS1_9scan_implILNS1_25lookback_scan_determinismE0ELb0ELb0ES3_N6thrust23THRUST_200600_302600_NS6detail15normal_iteratorINS9_7pointerIhNS9_11hip_rocprim5par_tENS9_11use_defaultESF_EEEENSB_INSC_IjSE_SF_SF_EEEEhNS9_4plusIvEEhEEDaPvRmT3_T4_T5_mT6_P12ihipStream_tbENKUlT_T0_E_clISt17integral_constantIbLb1EESZ_EEDaSU_SV_EUlSU_E0_NS1_11comp_targetILNS1_3genE2ELNS1_11target_archE906ELNS1_3gpuE6ELNS1_3repE0EEENS1_30default_config_static_selectorELNS0_4arch9wavefront6targetE0EEEvT1_: ; @_ZN7rocprim17ROCPRIM_400000_NS6detail17trampoline_kernelINS0_14default_configENS1_20scan_config_selectorIhEEZZNS1_9scan_implILNS1_25lookback_scan_determinismE0ELb0ELb0ES3_N6thrust23THRUST_200600_302600_NS6detail15normal_iteratorINS9_7pointerIhNS9_11hip_rocprim5par_tENS9_11use_defaultESF_EEEENSB_INSC_IjSE_SF_SF_EEEEhNS9_4plusIvEEhEEDaPvRmT3_T4_T5_mT6_P12ihipStream_tbENKUlT_T0_E_clISt17integral_constantIbLb1EESZ_EEDaSU_SV_EUlSU_E0_NS1_11comp_targetILNS1_3genE2ELNS1_11target_archE906ELNS1_3gpuE6ELNS1_3repE0EEENS1_30default_config_static_selectorELNS0_4arch9wavefront6targetE0EEEvT1_
; %bb.0:
	.section	.rodata,"a",@progbits
	.p2align	6, 0x0
	.amdhsa_kernel _ZN7rocprim17ROCPRIM_400000_NS6detail17trampoline_kernelINS0_14default_configENS1_20scan_config_selectorIhEEZZNS1_9scan_implILNS1_25lookback_scan_determinismE0ELb0ELb0ES3_N6thrust23THRUST_200600_302600_NS6detail15normal_iteratorINS9_7pointerIhNS9_11hip_rocprim5par_tENS9_11use_defaultESF_EEEENSB_INSC_IjSE_SF_SF_EEEEhNS9_4plusIvEEhEEDaPvRmT3_T4_T5_mT6_P12ihipStream_tbENKUlT_T0_E_clISt17integral_constantIbLb1EESZ_EEDaSU_SV_EUlSU_E0_NS1_11comp_targetILNS1_3genE2ELNS1_11target_archE906ELNS1_3gpuE6ELNS1_3repE0EEENS1_30default_config_static_selectorELNS0_4arch9wavefront6targetE0EEEvT1_
		.amdhsa_group_segment_fixed_size 0
		.amdhsa_private_segment_fixed_size 0
		.amdhsa_kernarg_size 32
		.amdhsa_user_sgpr_count 15
		.amdhsa_user_sgpr_dispatch_ptr 0
		.amdhsa_user_sgpr_queue_ptr 0
		.amdhsa_user_sgpr_kernarg_segment_ptr 1
		.amdhsa_user_sgpr_dispatch_id 0
		.amdhsa_user_sgpr_private_segment_size 0
		.amdhsa_wavefront_size32 1
		.amdhsa_uses_dynamic_stack 0
		.amdhsa_enable_private_segment 0
		.amdhsa_system_sgpr_workgroup_id_x 1
		.amdhsa_system_sgpr_workgroup_id_y 0
		.amdhsa_system_sgpr_workgroup_id_z 0
		.amdhsa_system_sgpr_workgroup_info 0
		.amdhsa_system_vgpr_workitem_id 0
		.amdhsa_next_free_vgpr 1
		.amdhsa_next_free_sgpr 1
		.amdhsa_reserve_vcc 0
		.amdhsa_float_round_mode_32 0
		.amdhsa_float_round_mode_16_64 0
		.amdhsa_float_denorm_mode_32 3
		.amdhsa_float_denorm_mode_16_64 3
		.amdhsa_dx10_clamp 1
		.amdhsa_ieee_mode 1
		.amdhsa_fp16_overflow 0
		.amdhsa_workgroup_processor_mode 1
		.amdhsa_memory_ordered 1
		.amdhsa_forward_progress 0
		.amdhsa_shared_vgpr_count 0
		.amdhsa_exception_fp_ieee_invalid_op 0
		.amdhsa_exception_fp_denorm_src 0
		.amdhsa_exception_fp_ieee_div_zero 0
		.amdhsa_exception_fp_ieee_overflow 0
		.amdhsa_exception_fp_ieee_underflow 0
		.amdhsa_exception_fp_ieee_inexact 0
		.amdhsa_exception_int_div_zero 0
	.end_amdhsa_kernel
	.section	.text._ZN7rocprim17ROCPRIM_400000_NS6detail17trampoline_kernelINS0_14default_configENS1_20scan_config_selectorIhEEZZNS1_9scan_implILNS1_25lookback_scan_determinismE0ELb0ELb0ES3_N6thrust23THRUST_200600_302600_NS6detail15normal_iteratorINS9_7pointerIhNS9_11hip_rocprim5par_tENS9_11use_defaultESF_EEEENSB_INSC_IjSE_SF_SF_EEEEhNS9_4plusIvEEhEEDaPvRmT3_T4_T5_mT6_P12ihipStream_tbENKUlT_T0_E_clISt17integral_constantIbLb1EESZ_EEDaSU_SV_EUlSU_E0_NS1_11comp_targetILNS1_3genE2ELNS1_11target_archE906ELNS1_3gpuE6ELNS1_3repE0EEENS1_30default_config_static_selectorELNS0_4arch9wavefront6targetE0EEEvT1_,"axG",@progbits,_ZN7rocprim17ROCPRIM_400000_NS6detail17trampoline_kernelINS0_14default_configENS1_20scan_config_selectorIhEEZZNS1_9scan_implILNS1_25lookback_scan_determinismE0ELb0ELb0ES3_N6thrust23THRUST_200600_302600_NS6detail15normal_iteratorINS9_7pointerIhNS9_11hip_rocprim5par_tENS9_11use_defaultESF_EEEENSB_INSC_IjSE_SF_SF_EEEEhNS9_4plusIvEEhEEDaPvRmT3_T4_T5_mT6_P12ihipStream_tbENKUlT_T0_E_clISt17integral_constantIbLb1EESZ_EEDaSU_SV_EUlSU_E0_NS1_11comp_targetILNS1_3genE2ELNS1_11target_archE906ELNS1_3gpuE6ELNS1_3repE0EEENS1_30default_config_static_selectorELNS0_4arch9wavefront6targetE0EEEvT1_,comdat
.Lfunc_end144:
	.size	_ZN7rocprim17ROCPRIM_400000_NS6detail17trampoline_kernelINS0_14default_configENS1_20scan_config_selectorIhEEZZNS1_9scan_implILNS1_25lookback_scan_determinismE0ELb0ELb0ES3_N6thrust23THRUST_200600_302600_NS6detail15normal_iteratorINS9_7pointerIhNS9_11hip_rocprim5par_tENS9_11use_defaultESF_EEEENSB_INSC_IjSE_SF_SF_EEEEhNS9_4plusIvEEhEEDaPvRmT3_T4_T5_mT6_P12ihipStream_tbENKUlT_T0_E_clISt17integral_constantIbLb1EESZ_EEDaSU_SV_EUlSU_E0_NS1_11comp_targetILNS1_3genE2ELNS1_11target_archE906ELNS1_3gpuE6ELNS1_3repE0EEENS1_30default_config_static_selectorELNS0_4arch9wavefront6targetE0EEEvT1_, .Lfunc_end144-_ZN7rocprim17ROCPRIM_400000_NS6detail17trampoline_kernelINS0_14default_configENS1_20scan_config_selectorIhEEZZNS1_9scan_implILNS1_25lookback_scan_determinismE0ELb0ELb0ES3_N6thrust23THRUST_200600_302600_NS6detail15normal_iteratorINS9_7pointerIhNS9_11hip_rocprim5par_tENS9_11use_defaultESF_EEEENSB_INSC_IjSE_SF_SF_EEEEhNS9_4plusIvEEhEEDaPvRmT3_T4_T5_mT6_P12ihipStream_tbENKUlT_T0_E_clISt17integral_constantIbLb1EESZ_EEDaSU_SV_EUlSU_E0_NS1_11comp_targetILNS1_3genE2ELNS1_11target_archE906ELNS1_3gpuE6ELNS1_3repE0EEENS1_30default_config_static_selectorELNS0_4arch9wavefront6targetE0EEEvT1_
                                        ; -- End function
	.section	.AMDGPU.csdata,"",@progbits
; Kernel info:
; codeLenInByte = 0
; NumSgprs: 0
; NumVgprs: 0
; ScratchSize: 0
; MemoryBound: 0
; FloatMode: 240
; IeeeMode: 1
; LDSByteSize: 0 bytes/workgroup (compile time only)
; SGPRBlocks: 0
; VGPRBlocks: 0
; NumSGPRsForWavesPerEU: 1
; NumVGPRsForWavesPerEU: 1
; Occupancy: 16
; WaveLimiterHint : 0
; COMPUTE_PGM_RSRC2:SCRATCH_EN: 0
; COMPUTE_PGM_RSRC2:USER_SGPR: 15
; COMPUTE_PGM_RSRC2:TRAP_HANDLER: 0
; COMPUTE_PGM_RSRC2:TGID_X_EN: 1
; COMPUTE_PGM_RSRC2:TGID_Y_EN: 0
; COMPUTE_PGM_RSRC2:TGID_Z_EN: 0
; COMPUTE_PGM_RSRC2:TIDIG_COMP_CNT: 0
	.section	.text._ZN7rocprim17ROCPRIM_400000_NS6detail17trampoline_kernelINS0_14default_configENS1_20scan_config_selectorIhEEZZNS1_9scan_implILNS1_25lookback_scan_determinismE0ELb0ELb0ES3_N6thrust23THRUST_200600_302600_NS6detail15normal_iteratorINS9_7pointerIhNS9_11hip_rocprim5par_tENS9_11use_defaultESF_EEEENSB_INSC_IjSE_SF_SF_EEEEhNS9_4plusIvEEhEEDaPvRmT3_T4_T5_mT6_P12ihipStream_tbENKUlT_T0_E_clISt17integral_constantIbLb1EESZ_EEDaSU_SV_EUlSU_E0_NS1_11comp_targetILNS1_3genE10ELNS1_11target_archE1201ELNS1_3gpuE5ELNS1_3repE0EEENS1_30default_config_static_selectorELNS0_4arch9wavefront6targetE0EEEvT1_,"axG",@progbits,_ZN7rocprim17ROCPRIM_400000_NS6detail17trampoline_kernelINS0_14default_configENS1_20scan_config_selectorIhEEZZNS1_9scan_implILNS1_25lookback_scan_determinismE0ELb0ELb0ES3_N6thrust23THRUST_200600_302600_NS6detail15normal_iteratorINS9_7pointerIhNS9_11hip_rocprim5par_tENS9_11use_defaultESF_EEEENSB_INSC_IjSE_SF_SF_EEEEhNS9_4plusIvEEhEEDaPvRmT3_T4_T5_mT6_P12ihipStream_tbENKUlT_T0_E_clISt17integral_constantIbLb1EESZ_EEDaSU_SV_EUlSU_E0_NS1_11comp_targetILNS1_3genE10ELNS1_11target_archE1201ELNS1_3gpuE5ELNS1_3repE0EEENS1_30default_config_static_selectorELNS0_4arch9wavefront6targetE0EEEvT1_,comdat
	.protected	_ZN7rocprim17ROCPRIM_400000_NS6detail17trampoline_kernelINS0_14default_configENS1_20scan_config_selectorIhEEZZNS1_9scan_implILNS1_25lookback_scan_determinismE0ELb0ELb0ES3_N6thrust23THRUST_200600_302600_NS6detail15normal_iteratorINS9_7pointerIhNS9_11hip_rocprim5par_tENS9_11use_defaultESF_EEEENSB_INSC_IjSE_SF_SF_EEEEhNS9_4plusIvEEhEEDaPvRmT3_T4_T5_mT6_P12ihipStream_tbENKUlT_T0_E_clISt17integral_constantIbLb1EESZ_EEDaSU_SV_EUlSU_E0_NS1_11comp_targetILNS1_3genE10ELNS1_11target_archE1201ELNS1_3gpuE5ELNS1_3repE0EEENS1_30default_config_static_selectorELNS0_4arch9wavefront6targetE0EEEvT1_ ; -- Begin function _ZN7rocprim17ROCPRIM_400000_NS6detail17trampoline_kernelINS0_14default_configENS1_20scan_config_selectorIhEEZZNS1_9scan_implILNS1_25lookback_scan_determinismE0ELb0ELb0ES3_N6thrust23THRUST_200600_302600_NS6detail15normal_iteratorINS9_7pointerIhNS9_11hip_rocprim5par_tENS9_11use_defaultESF_EEEENSB_INSC_IjSE_SF_SF_EEEEhNS9_4plusIvEEhEEDaPvRmT3_T4_T5_mT6_P12ihipStream_tbENKUlT_T0_E_clISt17integral_constantIbLb1EESZ_EEDaSU_SV_EUlSU_E0_NS1_11comp_targetILNS1_3genE10ELNS1_11target_archE1201ELNS1_3gpuE5ELNS1_3repE0EEENS1_30default_config_static_selectorELNS0_4arch9wavefront6targetE0EEEvT1_
	.globl	_ZN7rocprim17ROCPRIM_400000_NS6detail17trampoline_kernelINS0_14default_configENS1_20scan_config_selectorIhEEZZNS1_9scan_implILNS1_25lookback_scan_determinismE0ELb0ELb0ES3_N6thrust23THRUST_200600_302600_NS6detail15normal_iteratorINS9_7pointerIhNS9_11hip_rocprim5par_tENS9_11use_defaultESF_EEEENSB_INSC_IjSE_SF_SF_EEEEhNS9_4plusIvEEhEEDaPvRmT3_T4_T5_mT6_P12ihipStream_tbENKUlT_T0_E_clISt17integral_constantIbLb1EESZ_EEDaSU_SV_EUlSU_E0_NS1_11comp_targetILNS1_3genE10ELNS1_11target_archE1201ELNS1_3gpuE5ELNS1_3repE0EEENS1_30default_config_static_selectorELNS0_4arch9wavefront6targetE0EEEvT1_
	.p2align	8
	.type	_ZN7rocprim17ROCPRIM_400000_NS6detail17trampoline_kernelINS0_14default_configENS1_20scan_config_selectorIhEEZZNS1_9scan_implILNS1_25lookback_scan_determinismE0ELb0ELb0ES3_N6thrust23THRUST_200600_302600_NS6detail15normal_iteratorINS9_7pointerIhNS9_11hip_rocprim5par_tENS9_11use_defaultESF_EEEENSB_INSC_IjSE_SF_SF_EEEEhNS9_4plusIvEEhEEDaPvRmT3_T4_T5_mT6_P12ihipStream_tbENKUlT_T0_E_clISt17integral_constantIbLb1EESZ_EEDaSU_SV_EUlSU_E0_NS1_11comp_targetILNS1_3genE10ELNS1_11target_archE1201ELNS1_3gpuE5ELNS1_3repE0EEENS1_30default_config_static_selectorELNS0_4arch9wavefront6targetE0EEEvT1_,@function
_ZN7rocprim17ROCPRIM_400000_NS6detail17trampoline_kernelINS0_14default_configENS1_20scan_config_selectorIhEEZZNS1_9scan_implILNS1_25lookback_scan_determinismE0ELb0ELb0ES3_N6thrust23THRUST_200600_302600_NS6detail15normal_iteratorINS9_7pointerIhNS9_11hip_rocprim5par_tENS9_11use_defaultESF_EEEENSB_INSC_IjSE_SF_SF_EEEEhNS9_4plusIvEEhEEDaPvRmT3_T4_T5_mT6_P12ihipStream_tbENKUlT_T0_E_clISt17integral_constantIbLb1EESZ_EEDaSU_SV_EUlSU_E0_NS1_11comp_targetILNS1_3genE10ELNS1_11target_archE1201ELNS1_3gpuE5ELNS1_3repE0EEENS1_30default_config_static_selectorELNS0_4arch9wavefront6targetE0EEEvT1_: ; @_ZN7rocprim17ROCPRIM_400000_NS6detail17trampoline_kernelINS0_14default_configENS1_20scan_config_selectorIhEEZZNS1_9scan_implILNS1_25lookback_scan_determinismE0ELb0ELb0ES3_N6thrust23THRUST_200600_302600_NS6detail15normal_iteratorINS9_7pointerIhNS9_11hip_rocprim5par_tENS9_11use_defaultESF_EEEENSB_INSC_IjSE_SF_SF_EEEEhNS9_4plusIvEEhEEDaPvRmT3_T4_T5_mT6_P12ihipStream_tbENKUlT_T0_E_clISt17integral_constantIbLb1EESZ_EEDaSU_SV_EUlSU_E0_NS1_11comp_targetILNS1_3genE10ELNS1_11target_archE1201ELNS1_3gpuE5ELNS1_3repE0EEENS1_30default_config_static_selectorELNS0_4arch9wavefront6targetE0EEEvT1_
; %bb.0:
	.section	.rodata,"a",@progbits
	.p2align	6, 0x0
	.amdhsa_kernel _ZN7rocprim17ROCPRIM_400000_NS6detail17trampoline_kernelINS0_14default_configENS1_20scan_config_selectorIhEEZZNS1_9scan_implILNS1_25lookback_scan_determinismE0ELb0ELb0ES3_N6thrust23THRUST_200600_302600_NS6detail15normal_iteratorINS9_7pointerIhNS9_11hip_rocprim5par_tENS9_11use_defaultESF_EEEENSB_INSC_IjSE_SF_SF_EEEEhNS9_4plusIvEEhEEDaPvRmT3_T4_T5_mT6_P12ihipStream_tbENKUlT_T0_E_clISt17integral_constantIbLb1EESZ_EEDaSU_SV_EUlSU_E0_NS1_11comp_targetILNS1_3genE10ELNS1_11target_archE1201ELNS1_3gpuE5ELNS1_3repE0EEENS1_30default_config_static_selectorELNS0_4arch9wavefront6targetE0EEEvT1_
		.amdhsa_group_segment_fixed_size 0
		.amdhsa_private_segment_fixed_size 0
		.amdhsa_kernarg_size 32
		.amdhsa_user_sgpr_count 15
		.amdhsa_user_sgpr_dispatch_ptr 0
		.amdhsa_user_sgpr_queue_ptr 0
		.amdhsa_user_sgpr_kernarg_segment_ptr 1
		.amdhsa_user_sgpr_dispatch_id 0
		.amdhsa_user_sgpr_private_segment_size 0
		.amdhsa_wavefront_size32 1
		.amdhsa_uses_dynamic_stack 0
		.amdhsa_enable_private_segment 0
		.amdhsa_system_sgpr_workgroup_id_x 1
		.amdhsa_system_sgpr_workgroup_id_y 0
		.amdhsa_system_sgpr_workgroup_id_z 0
		.amdhsa_system_sgpr_workgroup_info 0
		.amdhsa_system_vgpr_workitem_id 0
		.amdhsa_next_free_vgpr 1
		.amdhsa_next_free_sgpr 1
		.amdhsa_reserve_vcc 0
		.amdhsa_float_round_mode_32 0
		.amdhsa_float_round_mode_16_64 0
		.amdhsa_float_denorm_mode_32 3
		.amdhsa_float_denorm_mode_16_64 3
		.amdhsa_dx10_clamp 1
		.amdhsa_ieee_mode 1
		.amdhsa_fp16_overflow 0
		.amdhsa_workgroup_processor_mode 1
		.amdhsa_memory_ordered 1
		.amdhsa_forward_progress 0
		.amdhsa_shared_vgpr_count 0
		.amdhsa_exception_fp_ieee_invalid_op 0
		.amdhsa_exception_fp_denorm_src 0
		.amdhsa_exception_fp_ieee_div_zero 0
		.amdhsa_exception_fp_ieee_overflow 0
		.amdhsa_exception_fp_ieee_underflow 0
		.amdhsa_exception_fp_ieee_inexact 0
		.amdhsa_exception_int_div_zero 0
	.end_amdhsa_kernel
	.section	.text._ZN7rocprim17ROCPRIM_400000_NS6detail17trampoline_kernelINS0_14default_configENS1_20scan_config_selectorIhEEZZNS1_9scan_implILNS1_25lookback_scan_determinismE0ELb0ELb0ES3_N6thrust23THRUST_200600_302600_NS6detail15normal_iteratorINS9_7pointerIhNS9_11hip_rocprim5par_tENS9_11use_defaultESF_EEEENSB_INSC_IjSE_SF_SF_EEEEhNS9_4plusIvEEhEEDaPvRmT3_T4_T5_mT6_P12ihipStream_tbENKUlT_T0_E_clISt17integral_constantIbLb1EESZ_EEDaSU_SV_EUlSU_E0_NS1_11comp_targetILNS1_3genE10ELNS1_11target_archE1201ELNS1_3gpuE5ELNS1_3repE0EEENS1_30default_config_static_selectorELNS0_4arch9wavefront6targetE0EEEvT1_,"axG",@progbits,_ZN7rocprim17ROCPRIM_400000_NS6detail17trampoline_kernelINS0_14default_configENS1_20scan_config_selectorIhEEZZNS1_9scan_implILNS1_25lookback_scan_determinismE0ELb0ELb0ES3_N6thrust23THRUST_200600_302600_NS6detail15normal_iteratorINS9_7pointerIhNS9_11hip_rocprim5par_tENS9_11use_defaultESF_EEEENSB_INSC_IjSE_SF_SF_EEEEhNS9_4plusIvEEhEEDaPvRmT3_T4_T5_mT6_P12ihipStream_tbENKUlT_T0_E_clISt17integral_constantIbLb1EESZ_EEDaSU_SV_EUlSU_E0_NS1_11comp_targetILNS1_3genE10ELNS1_11target_archE1201ELNS1_3gpuE5ELNS1_3repE0EEENS1_30default_config_static_selectorELNS0_4arch9wavefront6targetE0EEEvT1_,comdat
.Lfunc_end145:
	.size	_ZN7rocprim17ROCPRIM_400000_NS6detail17trampoline_kernelINS0_14default_configENS1_20scan_config_selectorIhEEZZNS1_9scan_implILNS1_25lookback_scan_determinismE0ELb0ELb0ES3_N6thrust23THRUST_200600_302600_NS6detail15normal_iteratorINS9_7pointerIhNS9_11hip_rocprim5par_tENS9_11use_defaultESF_EEEENSB_INSC_IjSE_SF_SF_EEEEhNS9_4plusIvEEhEEDaPvRmT3_T4_T5_mT6_P12ihipStream_tbENKUlT_T0_E_clISt17integral_constantIbLb1EESZ_EEDaSU_SV_EUlSU_E0_NS1_11comp_targetILNS1_3genE10ELNS1_11target_archE1201ELNS1_3gpuE5ELNS1_3repE0EEENS1_30default_config_static_selectorELNS0_4arch9wavefront6targetE0EEEvT1_, .Lfunc_end145-_ZN7rocprim17ROCPRIM_400000_NS6detail17trampoline_kernelINS0_14default_configENS1_20scan_config_selectorIhEEZZNS1_9scan_implILNS1_25lookback_scan_determinismE0ELb0ELb0ES3_N6thrust23THRUST_200600_302600_NS6detail15normal_iteratorINS9_7pointerIhNS9_11hip_rocprim5par_tENS9_11use_defaultESF_EEEENSB_INSC_IjSE_SF_SF_EEEEhNS9_4plusIvEEhEEDaPvRmT3_T4_T5_mT6_P12ihipStream_tbENKUlT_T0_E_clISt17integral_constantIbLb1EESZ_EEDaSU_SV_EUlSU_E0_NS1_11comp_targetILNS1_3genE10ELNS1_11target_archE1201ELNS1_3gpuE5ELNS1_3repE0EEENS1_30default_config_static_selectorELNS0_4arch9wavefront6targetE0EEEvT1_
                                        ; -- End function
	.section	.AMDGPU.csdata,"",@progbits
; Kernel info:
; codeLenInByte = 0
; NumSgprs: 0
; NumVgprs: 0
; ScratchSize: 0
; MemoryBound: 0
; FloatMode: 240
; IeeeMode: 1
; LDSByteSize: 0 bytes/workgroup (compile time only)
; SGPRBlocks: 0
; VGPRBlocks: 0
; NumSGPRsForWavesPerEU: 1
; NumVGPRsForWavesPerEU: 1
; Occupancy: 16
; WaveLimiterHint : 0
; COMPUTE_PGM_RSRC2:SCRATCH_EN: 0
; COMPUTE_PGM_RSRC2:USER_SGPR: 15
; COMPUTE_PGM_RSRC2:TRAP_HANDLER: 0
; COMPUTE_PGM_RSRC2:TGID_X_EN: 1
; COMPUTE_PGM_RSRC2:TGID_Y_EN: 0
; COMPUTE_PGM_RSRC2:TGID_Z_EN: 0
; COMPUTE_PGM_RSRC2:TIDIG_COMP_CNT: 0
	.section	.text._ZN7rocprim17ROCPRIM_400000_NS6detail17trampoline_kernelINS0_14default_configENS1_20scan_config_selectorIhEEZZNS1_9scan_implILNS1_25lookback_scan_determinismE0ELb0ELb0ES3_N6thrust23THRUST_200600_302600_NS6detail15normal_iteratorINS9_7pointerIhNS9_11hip_rocprim5par_tENS9_11use_defaultESF_EEEENSB_INSC_IjSE_SF_SF_EEEEhNS9_4plusIvEEhEEDaPvRmT3_T4_T5_mT6_P12ihipStream_tbENKUlT_T0_E_clISt17integral_constantIbLb1EESZ_EEDaSU_SV_EUlSU_E0_NS1_11comp_targetILNS1_3genE10ELNS1_11target_archE1200ELNS1_3gpuE4ELNS1_3repE0EEENS1_30default_config_static_selectorELNS0_4arch9wavefront6targetE0EEEvT1_,"axG",@progbits,_ZN7rocprim17ROCPRIM_400000_NS6detail17trampoline_kernelINS0_14default_configENS1_20scan_config_selectorIhEEZZNS1_9scan_implILNS1_25lookback_scan_determinismE0ELb0ELb0ES3_N6thrust23THRUST_200600_302600_NS6detail15normal_iteratorINS9_7pointerIhNS9_11hip_rocprim5par_tENS9_11use_defaultESF_EEEENSB_INSC_IjSE_SF_SF_EEEEhNS9_4plusIvEEhEEDaPvRmT3_T4_T5_mT6_P12ihipStream_tbENKUlT_T0_E_clISt17integral_constantIbLb1EESZ_EEDaSU_SV_EUlSU_E0_NS1_11comp_targetILNS1_3genE10ELNS1_11target_archE1200ELNS1_3gpuE4ELNS1_3repE0EEENS1_30default_config_static_selectorELNS0_4arch9wavefront6targetE0EEEvT1_,comdat
	.protected	_ZN7rocprim17ROCPRIM_400000_NS6detail17trampoline_kernelINS0_14default_configENS1_20scan_config_selectorIhEEZZNS1_9scan_implILNS1_25lookback_scan_determinismE0ELb0ELb0ES3_N6thrust23THRUST_200600_302600_NS6detail15normal_iteratorINS9_7pointerIhNS9_11hip_rocprim5par_tENS9_11use_defaultESF_EEEENSB_INSC_IjSE_SF_SF_EEEEhNS9_4plusIvEEhEEDaPvRmT3_T4_T5_mT6_P12ihipStream_tbENKUlT_T0_E_clISt17integral_constantIbLb1EESZ_EEDaSU_SV_EUlSU_E0_NS1_11comp_targetILNS1_3genE10ELNS1_11target_archE1200ELNS1_3gpuE4ELNS1_3repE0EEENS1_30default_config_static_selectorELNS0_4arch9wavefront6targetE0EEEvT1_ ; -- Begin function _ZN7rocprim17ROCPRIM_400000_NS6detail17trampoline_kernelINS0_14default_configENS1_20scan_config_selectorIhEEZZNS1_9scan_implILNS1_25lookback_scan_determinismE0ELb0ELb0ES3_N6thrust23THRUST_200600_302600_NS6detail15normal_iteratorINS9_7pointerIhNS9_11hip_rocprim5par_tENS9_11use_defaultESF_EEEENSB_INSC_IjSE_SF_SF_EEEEhNS9_4plusIvEEhEEDaPvRmT3_T4_T5_mT6_P12ihipStream_tbENKUlT_T0_E_clISt17integral_constantIbLb1EESZ_EEDaSU_SV_EUlSU_E0_NS1_11comp_targetILNS1_3genE10ELNS1_11target_archE1200ELNS1_3gpuE4ELNS1_3repE0EEENS1_30default_config_static_selectorELNS0_4arch9wavefront6targetE0EEEvT1_
	.globl	_ZN7rocprim17ROCPRIM_400000_NS6detail17trampoline_kernelINS0_14default_configENS1_20scan_config_selectorIhEEZZNS1_9scan_implILNS1_25lookback_scan_determinismE0ELb0ELb0ES3_N6thrust23THRUST_200600_302600_NS6detail15normal_iteratorINS9_7pointerIhNS9_11hip_rocprim5par_tENS9_11use_defaultESF_EEEENSB_INSC_IjSE_SF_SF_EEEEhNS9_4plusIvEEhEEDaPvRmT3_T4_T5_mT6_P12ihipStream_tbENKUlT_T0_E_clISt17integral_constantIbLb1EESZ_EEDaSU_SV_EUlSU_E0_NS1_11comp_targetILNS1_3genE10ELNS1_11target_archE1200ELNS1_3gpuE4ELNS1_3repE0EEENS1_30default_config_static_selectorELNS0_4arch9wavefront6targetE0EEEvT1_
	.p2align	8
	.type	_ZN7rocprim17ROCPRIM_400000_NS6detail17trampoline_kernelINS0_14default_configENS1_20scan_config_selectorIhEEZZNS1_9scan_implILNS1_25lookback_scan_determinismE0ELb0ELb0ES3_N6thrust23THRUST_200600_302600_NS6detail15normal_iteratorINS9_7pointerIhNS9_11hip_rocprim5par_tENS9_11use_defaultESF_EEEENSB_INSC_IjSE_SF_SF_EEEEhNS9_4plusIvEEhEEDaPvRmT3_T4_T5_mT6_P12ihipStream_tbENKUlT_T0_E_clISt17integral_constantIbLb1EESZ_EEDaSU_SV_EUlSU_E0_NS1_11comp_targetILNS1_3genE10ELNS1_11target_archE1200ELNS1_3gpuE4ELNS1_3repE0EEENS1_30default_config_static_selectorELNS0_4arch9wavefront6targetE0EEEvT1_,@function
_ZN7rocprim17ROCPRIM_400000_NS6detail17trampoline_kernelINS0_14default_configENS1_20scan_config_selectorIhEEZZNS1_9scan_implILNS1_25lookback_scan_determinismE0ELb0ELb0ES3_N6thrust23THRUST_200600_302600_NS6detail15normal_iteratorINS9_7pointerIhNS9_11hip_rocprim5par_tENS9_11use_defaultESF_EEEENSB_INSC_IjSE_SF_SF_EEEEhNS9_4plusIvEEhEEDaPvRmT3_T4_T5_mT6_P12ihipStream_tbENKUlT_T0_E_clISt17integral_constantIbLb1EESZ_EEDaSU_SV_EUlSU_E0_NS1_11comp_targetILNS1_3genE10ELNS1_11target_archE1200ELNS1_3gpuE4ELNS1_3repE0EEENS1_30default_config_static_selectorELNS0_4arch9wavefront6targetE0EEEvT1_: ; @_ZN7rocprim17ROCPRIM_400000_NS6detail17trampoline_kernelINS0_14default_configENS1_20scan_config_selectorIhEEZZNS1_9scan_implILNS1_25lookback_scan_determinismE0ELb0ELb0ES3_N6thrust23THRUST_200600_302600_NS6detail15normal_iteratorINS9_7pointerIhNS9_11hip_rocprim5par_tENS9_11use_defaultESF_EEEENSB_INSC_IjSE_SF_SF_EEEEhNS9_4plusIvEEhEEDaPvRmT3_T4_T5_mT6_P12ihipStream_tbENKUlT_T0_E_clISt17integral_constantIbLb1EESZ_EEDaSU_SV_EUlSU_E0_NS1_11comp_targetILNS1_3genE10ELNS1_11target_archE1200ELNS1_3gpuE4ELNS1_3repE0EEENS1_30default_config_static_selectorELNS0_4arch9wavefront6targetE0EEEvT1_
; %bb.0:
	.section	.rodata,"a",@progbits
	.p2align	6, 0x0
	.amdhsa_kernel _ZN7rocprim17ROCPRIM_400000_NS6detail17trampoline_kernelINS0_14default_configENS1_20scan_config_selectorIhEEZZNS1_9scan_implILNS1_25lookback_scan_determinismE0ELb0ELb0ES3_N6thrust23THRUST_200600_302600_NS6detail15normal_iteratorINS9_7pointerIhNS9_11hip_rocprim5par_tENS9_11use_defaultESF_EEEENSB_INSC_IjSE_SF_SF_EEEEhNS9_4plusIvEEhEEDaPvRmT3_T4_T5_mT6_P12ihipStream_tbENKUlT_T0_E_clISt17integral_constantIbLb1EESZ_EEDaSU_SV_EUlSU_E0_NS1_11comp_targetILNS1_3genE10ELNS1_11target_archE1200ELNS1_3gpuE4ELNS1_3repE0EEENS1_30default_config_static_selectorELNS0_4arch9wavefront6targetE0EEEvT1_
		.amdhsa_group_segment_fixed_size 0
		.amdhsa_private_segment_fixed_size 0
		.amdhsa_kernarg_size 32
		.amdhsa_user_sgpr_count 15
		.amdhsa_user_sgpr_dispatch_ptr 0
		.amdhsa_user_sgpr_queue_ptr 0
		.amdhsa_user_sgpr_kernarg_segment_ptr 1
		.amdhsa_user_sgpr_dispatch_id 0
		.amdhsa_user_sgpr_private_segment_size 0
		.amdhsa_wavefront_size32 1
		.amdhsa_uses_dynamic_stack 0
		.amdhsa_enable_private_segment 0
		.amdhsa_system_sgpr_workgroup_id_x 1
		.amdhsa_system_sgpr_workgroup_id_y 0
		.amdhsa_system_sgpr_workgroup_id_z 0
		.amdhsa_system_sgpr_workgroup_info 0
		.amdhsa_system_vgpr_workitem_id 0
		.amdhsa_next_free_vgpr 1
		.amdhsa_next_free_sgpr 1
		.amdhsa_reserve_vcc 0
		.amdhsa_float_round_mode_32 0
		.amdhsa_float_round_mode_16_64 0
		.amdhsa_float_denorm_mode_32 3
		.amdhsa_float_denorm_mode_16_64 3
		.amdhsa_dx10_clamp 1
		.amdhsa_ieee_mode 1
		.amdhsa_fp16_overflow 0
		.amdhsa_workgroup_processor_mode 1
		.amdhsa_memory_ordered 1
		.amdhsa_forward_progress 0
		.amdhsa_shared_vgpr_count 0
		.amdhsa_exception_fp_ieee_invalid_op 0
		.amdhsa_exception_fp_denorm_src 0
		.amdhsa_exception_fp_ieee_div_zero 0
		.amdhsa_exception_fp_ieee_overflow 0
		.amdhsa_exception_fp_ieee_underflow 0
		.amdhsa_exception_fp_ieee_inexact 0
		.amdhsa_exception_int_div_zero 0
	.end_amdhsa_kernel
	.section	.text._ZN7rocprim17ROCPRIM_400000_NS6detail17trampoline_kernelINS0_14default_configENS1_20scan_config_selectorIhEEZZNS1_9scan_implILNS1_25lookback_scan_determinismE0ELb0ELb0ES3_N6thrust23THRUST_200600_302600_NS6detail15normal_iteratorINS9_7pointerIhNS9_11hip_rocprim5par_tENS9_11use_defaultESF_EEEENSB_INSC_IjSE_SF_SF_EEEEhNS9_4plusIvEEhEEDaPvRmT3_T4_T5_mT6_P12ihipStream_tbENKUlT_T0_E_clISt17integral_constantIbLb1EESZ_EEDaSU_SV_EUlSU_E0_NS1_11comp_targetILNS1_3genE10ELNS1_11target_archE1200ELNS1_3gpuE4ELNS1_3repE0EEENS1_30default_config_static_selectorELNS0_4arch9wavefront6targetE0EEEvT1_,"axG",@progbits,_ZN7rocprim17ROCPRIM_400000_NS6detail17trampoline_kernelINS0_14default_configENS1_20scan_config_selectorIhEEZZNS1_9scan_implILNS1_25lookback_scan_determinismE0ELb0ELb0ES3_N6thrust23THRUST_200600_302600_NS6detail15normal_iteratorINS9_7pointerIhNS9_11hip_rocprim5par_tENS9_11use_defaultESF_EEEENSB_INSC_IjSE_SF_SF_EEEEhNS9_4plusIvEEhEEDaPvRmT3_T4_T5_mT6_P12ihipStream_tbENKUlT_T0_E_clISt17integral_constantIbLb1EESZ_EEDaSU_SV_EUlSU_E0_NS1_11comp_targetILNS1_3genE10ELNS1_11target_archE1200ELNS1_3gpuE4ELNS1_3repE0EEENS1_30default_config_static_selectorELNS0_4arch9wavefront6targetE0EEEvT1_,comdat
.Lfunc_end146:
	.size	_ZN7rocprim17ROCPRIM_400000_NS6detail17trampoline_kernelINS0_14default_configENS1_20scan_config_selectorIhEEZZNS1_9scan_implILNS1_25lookback_scan_determinismE0ELb0ELb0ES3_N6thrust23THRUST_200600_302600_NS6detail15normal_iteratorINS9_7pointerIhNS9_11hip_rocprim5par_tENS9_11use_defaultESF_EEEENSB_INSC_IjSE_SF_SF_EEEEhNS9_4plusIvEEhEEDaPvRmT3_T4_T5_mT6_P12ihipStream_tbENKUlT_T0_E_clISt17integral_constantIbLb1EESZ_EEDaSU_SV_EUlSU_E0_NS1_11comp_targetILNS1_3genE10ELNS1_11target_archE1200ELNS1_3gpuE4ELNS1_3repE0EEENS1_30default_config_static_selectorELNS0_4arch9wavefront6targetE0EEEvT1_, .Lfunc_end146-_ZN7rocprim17ROCPRIM_400000_NS6detail17trampoline_kernelINS0_14default_configENS1_20scan_config_selectorIhEEZZNS1_9scan_implILNS1_25lookback_scan_determinismE0ELb0ELb0ES3_N6thrust23THRUST_200600_302600_NS6detail15normal_iteratorINS9_7pointerIhNS9_11hip_rocprim5par_tENS9_11use_defaultESF_EEEENSB_INSC_IjSE_SF_SF_EEEEhNS9_4plusIvEEhEEDaPvRmT3_T4_T5_mT6_P12ihipStream_tbENKUlT_T0_E_clISt17integral_constantIbLb1EESZ_EEDaSU_SV_EUlSU_E0_NS1_11comp_targetILNS1_3genE10ELNS1_11target_archE1200ELNS1_3gpuE4ELNS1_3repE0EEENS1_30default_config_static_selectorELNS0_4arch9wavefront6targetE0EEEvT1_
                                        ; -- End function
	.section	.AMDGPU.csdata,"",@progbits
; Kernel info:
; codeLenInByte = 0
; NumSgprs: 0
; NumVgprs: 0
; ScratchSize: 0
; MemoryBound: 0
; FloatMode: 240
; IeeeMode: 1
; LDSByteSize: 0 bytes/workgroup (compile time only)
; SGPRBlocks: 0
; VGPRBlocks: 0
; NumSGPRsForWavesPerEU: 1
; NumVGPRsForWavesPerEU: 1
; Occupancy: 16
; WaveLimiterHint : 0
; COMPUTE_PGM_RSRC2:SCRATCH_EN: 0
; COMPUTE_PGM_RSRC2:USER_SGPR: 15
; COMPUTE_PGM_RSRC2:TRAP_HANDLER: 0
; COMPUTE_PGM_RSRC2:TGID_X_EN: 1
; COMPUTE_PGM_RSRC2:TGID_Y_EN: 0
; COMPUTE_PGM_RSRC2:TGID_Z_EN: 0
; COMPUTE_PGM_RSRC2:TIDIG_COMP_CNT: 0
	.section	.text._ZN7rocprim17ROCPRIM_400000_NS6detail17trampoline_kernelINS0_14default_configENS1_20scan_config_selectorIhEEZZNS1_9scan_implILNS1_25lookback_scan_determinismE0ELb0ELb0ES3_N6thrust23THRUST_200600_302600_NS6detail15normal_iteratorINS9_7pointerIhNS9_11hip_rocprim5par_tENS9_11use_defaultESF_EEEENSB_INSC_IjSE_SF_SF_EEEEhNS9_4plusIvEEhEEDaPvRmT3_T4_T5_mT6_P12ihipStream_tbENKUlT_T0_E_clISt17integral_constantIbLb1EESZ_EEDaSU_SV_EUlSU_E0_NS1_11comp_targetILNS1_3genE9ELNS1_11target_archE1100ELNS1_3gpuE3ELNS1_3repE0EEENS1_30default_config_static_selectorELNS0_4arch9wavefront6targetE0EEEvT1_,"axG",@progbits,_ZN7rocprim17ROCPRIM_400000_NS6detail17trampoline_kernelINS0_14default_configENS1_20scan_config_selectorIhEEZZNS1_9scan_implILNS1_25lookback_scan_determinismE0ELb0ELb0ES3_N6thrust23THRUST_200600_302600_NS6detail15normal_iteratorINS9_7pointerIhNS9_11hip_rocprim5par_tENS9_11use_defaultESF_EEEENSB_INSC_IjSE_SF_SF_EEEEhNS9_4plusIvEEhEEDaPvRmT3_T4_T5_mT6_P12ihipStream_tbENKUlT_T0_E_clISt17integral_constantIbLb1EESZ_EEDaSU_SV_EUlSU_E0_NS1_11comp_targetILNS1_3genE9ELNS1_11target_archE1100ELNS1_3gpuE3ELNS1_3repE0EEENS1_30default_config_static_selectorELNS0_4arch9wavefront6targetE0EEEvT1_,comdat
	.protected	_ZN7rocprim17ROCPRIM_400000_NS6detail17trampoline_kernelINS0_14default_configENS1_20scan_config_selectorIhEEZZNS1_9scan_implILNS1_25lookback_scan_determinismE0ELb0ELb0ES3_N6thrust23THRUST_200600_302600_NS6detail15normal_iteratorINS9_7pointerIhNS9_11hip_rocprim5par_tENS9_11use_defaultESF_EEEENSB_INSC_IjSE_SF_SF_EEEEhNS9_4plusIvEEhEEDaPvRmT3_T4_T5_mT6_P12ihipStream_tbENKUlT_T0_E_clISt17integral_constantIbLb1EESZ_EEDaSU_SV_EUlSU_E0_NS1_11comp_targetILNS1_3genE9ELNS1_11target_archE1100ELNS1_3gpuE3ELNS1_3repE0EEENS1_30default_config_static_selectorELNS0_4arch9wavefront6targetE0EEEvT1_ ; -- Begin function _ZN7rocprim17ROCPRIM_400000_NS6detail17trampoline_kernelINS0_14default_configENS1_20scan_config_selectorIhEEZZNS1_9scan_implILNS1_25lookback_scan_determinismE0ELb0ELb0ES3_N6thrust23THRUST_200600_302600_NS6detail15normal_iteratorINS9_7pointerIhNS9_11hip_rocprim5par_tENS9_11use_defaultESF_EEEENSB_INSC_IjSE_SF_SF_EEEEhNS9_4plusIvEEhEEDaPvRmT3_T4_T5_mT6_P12ihipStream_tbENKUlT_T0_E_clISt17integral_constantIbLb1EESZ_EEDaSU_SV_EUlSU_E0_NS1_11comp_targetILNS1_3genE9ELNS1_11target_archE1100ELNS1_3gpuE3ELNS1_3repE0EEENS1_30default_config_static_selectorELNS0_4arch9wavefront6targetE0EEEvT1_
	.globl	_ZN7rocprim17ROCPRIM_400000_NS6detail17trampoline_kernelINS0_14default_configENS1_20scan_config_selectorIhEEZZNS1_9scan_implILNS1_25lookback_scan_determinismE0ELb0ELb0ES3_N6thrust23THRUST_200600_302600_NS6detail15normal_iteratorINS9_7pointerIhNS9_11hip_rocprim5par_tENS9_11use_defaultESF_EEEENSB_INSC_IjSE_SF_SF_EEEEhNS9_4plusIvEEhEEDaPvRmT3_T4_T5_mT6_P12ihipStream_tbENKUlT_T0_E_clISt17integral_constantIbLb1EESZ_EEDaSU_SV_EUlSU_E0_NS1_11comp_targetILNS1_3genE9ELNS1_11target_archE1100ELNS1_3gpuE3ELNS1_3repE0EEENS1_30default_config_static_selectorELNS0_4arch9wavefront6targetE0EEEvT1_
	.p2align	8
	.type	_ZN7rocprim17ROCPRIM_400000_NS6detail17trampoline_kernelINS0_14default_configENS1_20scan_config_selectorIhEEZZNS1_9scan_implILNS1_25lookback_scan_determinismE0ELb0ELb0ES3_N6thrust23THRUST_200600_302600_NS6detail15normal_iteratorINS9_7pointerIhNS9_11hip_rocprim5par_tENS9_11use_defaultESF_EEEENSB_INSC_IjSE_SF_SF_EEEEhNS9_4plusIvEEhEEDaPvRmT3_T4_T5_mT6_P12ihipStream_tbENKUlT_T0_E_clISt17integral_constantIbLb1EESZ_EEDaSU_SV_EUlSU_E0_NS1_11comp_targetILNS1_3genE9ELNS1_11target_archE1100ELNS1_3gpuE3ELNS1_3repE0EEENS1_30default_config_static_selectorELNS0_4arch9wavefront6targetE0EEEvT1_,@function
_ZN7rocprim17ROCPRIM_400000_NS6detail17trampoline_kernelINS0_14default_configENS1_20scan_config_selectorIhEEZZNS1_9scan_implILNS1_25lookback_scan_determinismE0ELb0ELb0ES3_N6thrust23THRUST_200600_302600_NS6detail15normal_iteratorINS9_7pointerIhNS9_11hip_rocprim5par_tENS9_11use_defaultESF_EEEENSB_INSC_IjSE_SF_SF_EEEEhNS9_4plusIvEEhEEDaPvRmT3_T4_T5_mT6_P12ihipStream_tbENKUlT_T0_E_clISt17integral_constantIbLb1EESZ_EEDaSU_SV_EUlSU_E0_NS1_11comp_targetILNS1_3genE9ELNS1_11target_archE1100ELNS1_3gpuE3ELNS1_3repE0EEENS1_30default_config_static_selectorELNS0_4arch9wavefront6targetE0EEEvT1_: ; @_ZN7rocprim17ROCPRIM_400000_NS6detail17trampoline_kernelINS0_14default_configENS1_20scan_config_selectorIhEEZZNS1_9scan_implILNS1_25lookback_scan_determinismE0ELb0ELb0ES3_N6thrust23THRUST_200600_302600_NS6detail15normal_iteratorINS9_7pointerIhNS9_11hip_rocprim5par_tENS9_11use_defaultESF_EEEENSB_INSC_IjSE_SF_SF_EEEEhNS9_4plusIvEEhEEDaPvRmT3_T4_T5_mT6_P12ihipStream_tbENKUlT_T0_E_clISt17integral_constantIbLb1EESZ_EEDaSU_SV_EUlSU_E0_NS1_11comp_targetILNS1_3genE9ELNS1_11target_archE1100ELNS1_3gpuE3ELNS1_3repE0EEENS1_30default_config_static_selectorELNS0_4arch9wavefront6targetE0EEEvT1_
; %bb.0:
	s_load_b128 s[28:31], s[0:1], 0x0
	v_mov_b32_e32 v1, 0
	s_waitcnt lgkmcnt(0)
	global_load_u8 v1, v1, s[28:29]
	v_cmp_gt_u32_e32 vcc_lo, s30, v0
	s_waitcnt vmcnt(0)
	v_mov_b32_e32 v2, v1
	s_and_saveexec_b32 s2, vcc_lo
	s_cbranch_execz .LBB147_2
; %bb.1:
	global_load_u8 v2, v0, s[28:29]
.LBB147_2:
	s_or_b32 exec_lo, exec_lo, s2
	v_or_b32_e32 v3, 0x100, v0
	s_delay_alu instid0(VALU_DEP_1) | instskip(SKIP_1) | instid1(VALU_DEP_2)
	v_cmp_gt_u32_e64 s2, s30, v3
	v_mov_b32_e32 v3, v1
	s_and_saveexec_b32 s3, s2
	s_cbranch_execz .LBB147_4
; %bb.3:
	global_load_u8 v3, v0, s[28:29] offset:256
.LBB147_4:
	s_or_b32 exec_lo, exec_lo, s3
	v_or_b32_e32 v4, 0x200, v0
	s_delay_alu instid0(VALU_DEP_1) | instskip(SKIP_1) | instid1(VALU_DEP_2)
	v_cmp_gt_u32_e64 s3, s30, v4
	v_mov_b32_e32 v4, v1
	s_and_saveexec_b32 s4, s3
	s_cbranch_execz .LBB147_6
; %bb.5:
	global_load_u8 v4, v0, s[28:29] offset:512
.LBB147_6:
	s_or_b32 exec_lo, exec_lo, s4
	v_or_b32_e32 v5, 0x300, v0
	s_delay_alu instid0(VALU_DEP_1) | instskip(SKIP_1) | instid1(VALU_DEP_2)
	v_cmp_gt_u32_e64 s4, s30, v5
	v_mov_b32_e32 v5, v1
	s_and_saveexec_b32 s5, s4
	s_cbranch_execz .LBB147_8
; %bb.7:
	global_load_u8 v5, v0, s[28:29] offset:768
.LBB147_8:
	s_or_b32 exec_lo, exec_lo, s5
	v_or_b32_e32 v6, 0x400, v0
	s_delay_alu instid0(VALU_DEP_1) | instskip(SKIP_1) | instid1(VALU_DEP_2)
	v_cmp_gt_u32_e64 s5, s30, v6
	v_mov_b32_e32 v6, v1
	s_and_saveexec_b32 s6, s5
	s_cbranch_execz .LBB147_10
; %bb.9:
	global_load_u8 v6, v0, s[28:29] offset:1024
.LBB147_10:
	s_or_b32 exec_lo, exec_lo, s6
	v_or_b32_e32 v7, 0x500, v0
	s_delay_alu instid0(VALU_DEP_1) | instskip(SKIP_1) | instid1(VALU_DEP_2)
	v_cmp_gt_u32_e64 s6, s30, v7
	v_mov_b32_e32 v7, v1
	s_and_saveexec_b32 s7, s6
	s_cbranch_execz .LBB147_12
; %bb.11:
	global_load_u8 v7, v0, s[28:29] offset:1280
.LBB147_12:
	s_or_b32 exec_lo, exec_lo, s7
	v_or_b32_e32 v8, 0x600, v0
	s_delay_alu instid0(VALU_DEP_1) | instskip(SKIP_1) | instid1(VALU_DEP_2)
	v_cmp_gt_u32_e64 s7, s30, v8
	v_mov_b32_e32 v8, v1
	s_and_saveexec_b32 s8, s7
	s_cbranch_execz .LBB147_14
; %bb.13:
	global_load_u8 v8, v0, s[28:29] offset:1536
.LBB147_14:
	s_or_b32 exec_lo, exec_lo, s8
	v_or_b32_e32 v9, 0x700, v0
	s_delay_alu instid0(VALU_DEP_1) | instskip(SKIP_1) | instid1(VALU_DEP_2)
	v_cmp_gt_u32_e64 s8, s30, v9
	v_mov_b32_e32 v9, v1
	s_and_saveexec_b32 s9, s8
	s_cbranch_execz .LBB147_16
; %bb.15:
	global_load_u8 v9, v0, s[28:29] offset:1792
.LBB147_16:
	s_or_b32 exec_lo, exec_lo, s9
	v_or_b32_e32 v10, 0x800, v0
	s_delay_alu instid0(VALU_DEP_1) | instskip(SKIP_1) | instid1(VALU_DEP_2)
	v_cmp_gt_u32_e64 s9, s30, v10
	v_mov_b32_e32 v10, v1
	s_and_saveexec_b32 s10, s9
	s_cbranch_execz .LBB147_18
; %bb.17:
	global_load_u8 v10, v0, s[28:29] offset:2048
.LBB147_18:
	s_or_b32 exec_lo, exec_lo, s10
	v_or_b32_e32 v11, 0x900, v0
	s_delay_alu instid0(VALU_DEP_1) | instskip(SKIP_1) | instid1(VALU_DEP_2)
	v_cmp_gt_u32_e64 s10, s30, v11
	v_mov_b32_e32 v11, v1
	s_and_saveexec_b32 s11, s10
	s_cbranch_execz .LBB147_20
; %bb.19:
	global_load_u8 v11, v0, s[28:29] offset:2304
.LBB147_20:
	s_or_b32 exec_lo, exec_lo, s11
	v_or_b32_e32 v12, 0xa00, v0
	s_delay_alu instid0(VALU_DEP_1) | instskip(SKIP_1) | instid1(VALU_DEP_2)
	v_cmp_gt_u32_e64 s11, s30, v12
	v_mov_b32_e32 v12, v1
	s_and_saveexec_b32 s12, s11
	s_cbranch_execz .LBB147_22
; %bb.21:
	global_load_u8 v12, v0, s[28:29] offset:2560
.LBB147_22:
	s_or_b32 exec_lo, exec_lo, s12
	v_or_b32_e32 v13, 0xb00, v0
	s_delay_alu instid0(VALU_DEP_1) | instskip(SKIP_1) | instid1(VALU_DEP_2)
	v_cmp_gt_u32_e64 s12, s30, v13
	v_mov_b32_e32 v13, v1
	s_and_saveexec_b32 s13, s12
	s_cbranch_execz .LBB147_24
; %bb.23:
	global_load_u8 v13, v0, s[28:29] offset:2816
.LBB147_24:
	s_or_b32 exec_lo, exec_lo, s13
	v_or_b32_e32 v14, 0xc00, v0
	s_delay_alu instid0(VALU_DEP_1) | instskip(SKIP_1) | instid1(VALU_DEP_2)
	v_cmp_gt_u32_e64 s13, s30, v14
	v_mov_b32_e32 v14, v1
	s_and_saveexec_b32 s14, s13
	s_cbranch_execz .LBB147_26
; %bb.25:
	global_load_u8 v14, v0, s[28:29] offset:3072
.LBB147_26:
	s_or_b32 exec_lo, exec_lo, s14
	v_or_b32_e32 v15, 0xd00, v0
	s_delay_alu instid0(VALU_DEP_1) | instskip(SKIP_1) | instid1(VALU_DEP_2)
	v_cmp_gt_u32_e64 s14, s30, v15
	v_mov_b32_e32 v15, v1
	s_and_saveexec_b32 s15, s14
	s_cbranch_execz .LBB147_28
; %bb.27:
	global_load_u8 v15, v0, s[28:29] offset:3328
.LBB147_28:
	s_or_b32 exec_lo, exec_lo, s15
	v_or_b32_e32 v16, 0xe00, v0
	s_delay_alu instid0(VALU_DEP_1) | instskip(SKIP_1) | instid1(VALU_DEP_2)
	v_cmp_gt_u32_e64 s15, s30, v16
	v_mov_b32_e32 v16, v1
	s_and_saveexec_b32 s16, s15
	s_cbranch_execz .LBB147_30
; %bb.29:
	global_load_u8 v16, v0, s[28:29] offset:3584
.LBB147_30:
	s_or_b32 exec_lo, exec_lo, s16
	v_or_b32_e32 v17, 0xf00, v0
	s_delay_alu instid0(VALU_DEP_1) | instskip(SKIP_1) | instid1(VALU_DEP_2)
	v_cmp_gt_u32_e64 s16, s30, v17
	v_mov_b32_e32 v17, v1
	s_and_saveexec_b32 s17, s16
	s_cbranch_execz .LBB147_32
; %bb.31:
	global_load_u8 v17, v0, s[28:29] offset:3840
.LBB147_32:
	s_or_b32 exec_lo, exec_lo, s17
	v_or_b32_e32 v19, 0x1000, v0
	v_mov_b32_e32 v18, v1
	s_delay_alu instid0(VALU_DEP_2) | instskip(NEXT) | instid1(VALU_DEP_1)
	v_cmp_gt_u32_e64 s17, s30, v19
	s_and_saveexec_b32 s18, s17
	s_cbranch_execz .LBB147_34
; %bb.33:
	global_load_u8 v18, v19, s[28:29]
.LBB147_34:
	s_or_b32 exec_lo, exec_lo, s18
	v_or_b32_e32 v20, 0x1100, v0
	v_mov_b32_e32 v19, v1
	s_delay_alu instid0(VALU_DEP_2) | instskip(NEXT) | instid1(VALU_DEP_1)
	v_cmp_gt_u32_e64 s18, s30, v20
	s_and_saveexec_b32 s19, s18
	s_cbranch_execz .LBB147_36
; %bb.35:
	global_load_u8 v19, v20, s[28:29]
.LBB147_36:
	;; [unrolled: 10-line block ×7, first 2 shown]
	s_or_b32 exec_lo, exec_lo, s24
	v_or_b32_e32 v25, 0x1700, v0
	s_delay_alu instid0(VALU_DEP_1) | instskip(NEXT) | instid1(VALU_DEP_1)
	v_cmp_gt_u32_e64 s24, s30, v25
	s_and_saveexec_b32 s25, s24
	s_cbranch_execz .LBB147_48
; %bb.47:
	global_load_u8 v1, v25, s[28:29]
.LBB147_48:
	s_or_b32 exec_lo, exec_lo, s25
	s_waitcnt vmcnt(0)
	ds_store_b8 v0, v2
	ds_store_b8 v0, v3 offset:256
	ds_store_b8 v0, v4 offset:512
	;; [unrolled: 1-line block ×15, first 2 shown]
	v_mad_u32_u24 v5, v0, 23, v0
	ds_store_b8 v0, v18 offset:4096
	ds_store_b8 v0, v19 offset:4352
	;; [unrolled: 1-line block ×8, first 2 shown]
	s_waitcnt lgkmcnt(0)
	s_barrier
	buffer_gl0_inv
	ds_load_2addr_b64 v[1:4], v5 offset1:1
	ds_load_b64 v[5:6], v5 offset:16
	v_mbcnt_lo_u32_b32 v48, -1, 0
	v_or_b32_e32 v52, 31, v0
	s_mov_b32 s26, exec_lo
	s_waitcnt lgkmcnt(0)
	s_barrier
	v_and_b32_e32 v50, 15, v48
	buffer_gl0_inv
	v_cmp_ne_u32_e64 s25, 0, v50
	v_lshrrev_b32_e32 v30, 8, v1
	v_lshrrev_b32_e32 v31, 16, v1
	;; [unrolled: 1-line block ×5, first 2 shown]
	v_add_nc_u16 v9, v30, v1
	v_lshrrev_b32_e32 v35, 24, v2
	v_lshrrev_b32_e32 v36, 8, v3
	v_lshrrev_b32_e32 v37, 16, v3
	v_lshrrev_b32_e32 v38, 24, v3
	v_add_nc_u16 v7, v9, v31
	v_lshrrev_b32_e32 v39, 8, v4
	v_lshrrev_b32_e32 v40, 16, v4
	v_lshrrev_b32_e32 v41, 24, v4
	v_lshrrev_b32_e32 v42, 8, v5
	;; [unrolled: 5-line block ×3, first 2 shown]
	v_add_nc_u16 v14, v8, v2
	v_lshrrev_b32_e32 v47, 24, v6
	s_delay_alu instid0(VALU_DEP_2) | instskip(NEXT) | instid1(VALU_DEP_1)
	v_add_nc_u16 v17, v14, v33
	v_add_nc_u16 v15, v17, v34
	s_delay_alu instid0(VALU_DEP_1) | instskip(NEXT) | instid1(VALU_DEP_1)
	v_add_nc_u16 v16, v15, v35
	v_add_nc_u16 v23, v16, v3
	s_delay_alu instid0(VALU_DEP_1) | instskip(NEXT) | instid1(VALU_DEP_1)
	v_add_nc_u16 v25, v23, v36
	v_add_nc_u16 v22, v25, v37
	s_delay_alu instid0(VALU_DEP_1) | instskip(NEXT) | instid1(VALU_DEP_1)
	v_add_nc_u16 v24, v22, v38
	v_add_nc_u16 v26, v24, v4
	s_delay_alu instid0(VALU_DEP_1) | instskip(NEXT) | instid1(VALU_DEP_1)
	v_add_nc_u16 v28, v26, v39
	v_add_nc_u16 v27, v28, v40
	s_delay_alu instid0(VALU_DEP_1) | instskip(NEXT) | instid1(VALU_DEP_1)
	v_add_nc_u16 v29, v27, v41
	v_add_nc_u16 v10, v29, v5
	s_delay_alu instid0(VALU_DEP_1) | instskip(NEXT) | instid1(VALU_DEP_1)
	v_add_nc_u16 v12, v10, v42
	v_add_nc_u16 v11, v12, v43
	s_delay_alu instid0(VALU_DEP_1) | instskip(NEXT) | instid1(VALU_DEP_1)
	v_add_nc_u16 v13, v11, v44
	v_add_nc_u16 v18, v13, v6
	s_delay_alu instid0(VALU_DEP_1) | instskip(NEXT) | instid1(VALU_DEP_1)
	v_add_nc_u16 v20, v18, v45
	v_add_nc_u16 v19, v20, v46
	s_delay_alu instid0(VALU_DEP_1) | instskip(NEXT) | instid1(VALU_DEP_1)
	v_add_nc_u16 v21, v19, v47
	v_and_b32_e32 v49, 0xff, v21
	s_delay_alu instid0(VALU_DEP_1) | instskip(NEXT) | instid1(VALU_DEP_1)
	v_mov_b32_dpp v49, v49 row_shr:1 row_mask:0xf bank_mask:0xf
	v_cndmask_b32_e64 v49, 0, v49, s25
	v_cmp_lt_u32_e64 s25, 1, v50
	s_delay_alu instid0(VALU_DEP_2) | instskip(NEXT) | instid1(VALU_DEP_1)
	v_add_nc_u16 v49, v49, v21
	v_and_b32_e32 v51, 0xff, v49
	s_delay_alu instid0(VALU_DEP_1) | instskip(NEXT) | instid1(VALU_DEP_1)
	v_mov_b32_dpp v51, v51 row_shr:2 row_mask:0xf bank_mask:0xf
	v_cndmask_b32_e64 v51, 0, v51, s25
	v_cmp_lt_u32_e64 s25, 3, v50
	s_delay_alu instid0(VALU_DEP_2) | instskip(NEXT) | instid1(VALU_DEP_1)
	;; [unrolled: 7-line block ×3, first 2 shown]
	v_add_nc_u16 v49, v49, v51
	v_and_b32_e32 v51, 0xff, v49
	s_delay_alu instid0(VALU_DEP_1) | instskip(NEXT) | instid1(VALU_DEP_1)
	v_mov_b32_dpp v51, v51 row_shr:8 row_mask:0xf bank_mask:0xf
	v_cndmask_b32_e64 v50, 0, v51, s25
	v_and_b32_e32 v51, 16, v48
	s_delay_alu instid0(VALU_DEP_2) | instskip(NEXT) | instid1(VALU_DEP_2)
	v_add_nc_u16 v49, v49, v50
	v_cmp_ne_u32_e64 s25, 0, v51
	s_delay_alu instid0(VALU_DEP_2) | instskip(SKIP_4) | instid1(VALU_DEP_2)
	v_and_b32_e32 v50, 0xff, v49
	ds_swizzle_b32 v50, v50 offset:swizzle(BROADCAST,32,15)
	s_waitcnt lgkmcnt(0)
	v_cndmask_b32_e64 v51, 0, v50, s25
	v_lshrrev_b32_e32 v50, 5, v0
	v_add_nc_u16 v49, v49, v51
	v_cmpx_eq_u32_e64 v52, v0
	s_cbranch_execz .LBB147_50
; %bb.49:
	ds_store_b8 v50, v49
.LBB147_50:
	s_or_b32 exec_lo, exec_lo, s26
	s_delay_alu instid0(SALU_CYCLE_1)
	s_mov_b32 s26, exec_lo
	s_waitcnt lgkmcnt(0)
	s_barrier
	buffer_gl0_inv
	v_cmpx_gt_u32_e32 8, v0
	s_cbranch_execz .LBB147_52
; %bb.51:
	ds_load_u8 v51, v0
	v_and_b32_e32 v53, 7, v48
	s_delay_alu instid0(VALU_DEP_1) | instskip(SKIP_2) | instid1(VALU_DEP_1)
	v_cmp_ne_u32_e64 s25, 0, v53
	s_waitcnt lgkmcnt(0)
	v_and_b32_e32 v52, 0xff, v51
	v_mov_b32_dpp v52, v52 row_shr:1 row_mask:0xf bank_mask:0xf
	s_delay_alu instid0(VALU_DEP_1) | instskip(SKIP_1) | instid1(VALU_DEP_2)
	v_cndmask_b32_e64 v52, 0, v52, s25
	v_cmp_lt_u32_e64 s25, 1, v53
	v_add_nc_u16 v51, v52, v51
	s_delay_alu instid0(VALU_DEP_1) | instskip(NEXT) | instid1(VALU_DEP_1)
	v_and_b32_e32 v52, 0xff, v51
	v_mov_b32_dpp v52, v52 row_shr:2 row_mask:0xf bank_mask:0xf
	s_delay_alu instid0(VALU_DEP_1) | instskip(SKIP_1) | instid1(VALU_DEP_2)
	v_cndmask_b32_e64 v52, 0, v52, s25
	v_cmp_lt_u32_e64 s25, 3, v53
	v_add_nc_u16 v51, v51, v52
	s_delay_alu instid0(VALU_DEP_1) | instskip(NEXT) | instid1(VALU_DEP_1)
	v_and_b32_e32 v52, 0xff, v51
	v_mov_b32_dpp v52, v52 row_shr:4 row_mask:0xf bank_mask:0xf
	s_delay_alu instid0(VALU_DEP_1) | instskip(NEXT) | instid1(VALU_DEP_1)
	v_cndmask_b32_e64 v52, 0, v52, s25
	v_add_nc_u16 v51, v51, v52
	ds_store_b8 v0, v51
.LBB147_52:
	s_or_b32 exec_lo, exec_lo, s26
	s_load_b64 s[26:27], s[0:1], 0x18
	s_mov_b32 s1, exec_lo
	s_waitcnt lgkmcnt(0)
	s_barrier
	buffer_gl0_inv
                                        ; implicit-def: $vgpr51
	v_cmpx_lt_u32_e32 31, v0
	s_cbranch_execz .LBB147_54
; %bb.53:
	v_add_nc_u32_e32 v50, -1, v50
	ds_load_u8 v51, v50
	s_waitcnt lgkmcnt(0)
	v_add_nc_u16 v49, v51, v49
.LBB147_54:
	s_or_b32 exec_lo, exec_lo, s1
	v_add_nc_u32_e32 v50, -1, v48
	s_delay_alu instid0(VALU_DEP_2) | instskip(SKIP_1) | instid1(VALU_DEP_2)
	v_and_b32_e32 v49, 0xff, v49
	s_mov_b32 s1, exec_lo
	v_cmp_gt_i32_e64 s0, 0, v50
	s_delay_alu instid0(VALU_DEP_1) | instskip(NEXT) | instid1(VALU_DEP_1)
	v_cndmask_b32_e64 v50, v50, v48, s0
	v_lshlrev_b32_e32 v50, 2, v50
	ds_bpermute_b32 v50, v50, v49
	v_mul_u32_u24_e32 v49, 23, v0
	v_cmpx_ne_u32_e32 0, v0
	s_cbranch_execz .LBB147_56
; %bb.55:
	v_cmp_eq_u32_e64 s0, 0, v48
	;;#ASMSTART
	;;#ASMEND
	s_waitcnt lgkmcnt(0)
	s_delay_alu instid0(VALU_DEP_1) | instskip(NEXT) | instid1(VALU_DEP_1)
	v_cndmask_b32_e64 v7, v50, v51, s0
	v_add_nc_u16 v1, v7, v1
	s_delay_alu instid0(VALU_DEP_1) | instskip(NEXT) | instid1(VALU_DEP_1)
	v_add_nc_u16 v9, v1, v30
	v_add_nc_u16 v7, v9, v31
	s_delay_alu instid0(VALU_DEP_1) | instskip(NEXT) | instid1(VALU_DEP_1)
	v_add_nc_u16 v8, v7, v32
	;; [unrolled: 3-line block ×11, first 2 shown]
	v_add_nc_u16 v19, v20, v46
	s_delay_alu instid0(VALU_DEP_1)
	v_add_nc_u16 v21, v19, v47
.LBB147_56:
	s_or_b32 exec_lo, exec_lo, s1
	v_lshlrev_b16 v2, 8, v28
	v_and_b32_e32 v3, 0xff, v26
	v_lshlrev_b16 v4, 8, v29
	v_and_b32_e32 v5, 0xff, v27
	;; [unrolled: 2-line block ×3, first 2 shown]
	v_or_b32_e32 v2, v3, v2
	v_lshlrev_b16 v6, 8, v24
	v_or_b32_e32 v3, v5, v4
	v_lshlrev_b16 v4, 8, v25
	v_or_b32_e32 v1, v1, v9
	v_and_b32_e32 v2, 0xffff, v2
	v_and_b32_e32 v5, 0xff, v23
	v_lshlrev_b32_e32 v3, 16, v3
	v_and_b32_e32 v22, 0xff, v22
	v_lshlrev_b16 v17, 8, v17
	v_and_b32_e32 v14, 0xff, v14
	v_and_b32_e32 v15, 0xff, v15
	v_or_b32_e32 v2, v2, v3
	v_lshlrev_b16 v3, 8, v16
	v_and_b32_e32 v9, 0xffff, v1
	v_lshlrev_b16 v1, 8, v8
	v_and_b32_e32 v7, 0xff, v7
	v_or_b32_e32 v4, v5, v4
	v_or_b32_e32 v5, v22, v6
	;; [unrolled: 1-line block ×4, first 2 shown]
	v_lshlrev_b16 v8, 8, v20
	v_and_b32_e32 v14, 0xff, v18
	v_lshlrev_b16 v15, 8, v21
	v_and_b32_e32 v16, 0xff, v19
	;; [unrolled: 2-line block ×4, first 2 shown]
	v_or_b32_e32 v1, v7, v1
	v_or_b32_e32 v7, v14, v8
	;; [unrolled: 1-line block ×5, first 2 shown]
	v_and_b32_e32 v4, 0xffff, v4
	v_lshlrev_b32_e32 v5, 16, v5
	v_and_b32_e32 v6, 0xffff, v6
	v_lshlrev_b32_e32 v3, 16, v3
	v_lshlrev_b32_e32 v12, 16, v1
	v_and_b32_e32 v7, 0xffff, v7
	v_lshlrev_b32_e32 v8, 16, v8
	v_and_b32_e32 v10, 0xffff, v10
	v_lshlrev_b32_e32 v11, 16, v11
	v_add_nc_u32_e32 v26, v0, v49
	v_or_b32_e32 v1, v4, v5
	v_or_b32_e32 v4, v6, v3
	;; [unrolled: 1-line block ×5, first 2 shown]
	s_waitcnt lgkmcnt(0)
	s_barrier
	buffer_gl0_inv
	ds_store_2addr_b64 v26, v[3:4], v[1:2] offset1:1
	ds_store_b64 v26, v[5:6] offset:16
	s_waitcnt lgkmcnt(0)
	s_barrier
	buffer_gl0_inv
	ds_load_u8 v25, v0 offset:256
	ds_load_u8 v24, v0 offset:512
	;; [unrolled: 1-line block ×23, first 2 shown]
	v_lshlrev_b32_e32 v1, 2, v0
	s_delay_alu instid0(VALU_DEP_1) | instskip(NEXT) | instid1(VALU_DEP_1)
	v_add_co_u32 v1, s0, s26, v1
	v_add_co_ci_u32_e64 v2, null, s27, 0, s0
	s_and_saveexec_b32 s0, vcc_lo
	s_cbranch_execnz .LBB147_81
; %bb.57:
	s_or_b32 exec_lo, exec_lo, s0
	s_and_saveexec_b32 s0, s2
	s_cbranch_execnz .LBB147_82
.LBB147_58:
	s_or_b32 exec_lo, exec_lo, s0
	s_and_saveexec_b32 s0, s3
	s_cbranch_execnz .LBB147_83
.LBB147_59:
	s_or_b32 exec_lo, exec_lo, s0
	s_and_saveexec_b32 s0, s4
	s_cbranch_execnz .LBB147_84
.LBB147_60:
	s_or_b32 exec_lo, exec_lo, s0
	s_and_saveexec_b32 s0, s5
	s_cbranch_execnz .LBB147_85
.LBB147_61:
	s_or_b32 exec_lo, exec_lo, s0
	s_and_saveexec_b32 s0, s6
	s_cbranch_execnz .LBB147_86
.LBB147_62:
	s_or_b32 exec_lo, exec_lo, s0
	s_and_saveexec_b32 s0, s7
	s_cbranch_execnz .LBB147_87
.LBB147_63:
	s_or_b32 exec_lo, exec_lo, s0
	s_and_saveexec_b32 s0, s8
	s_cbranch_execnz .LBB147_88
.LBB147_64:
	s_or_b32 exec_lo, exec_lo, s0
	s_and_saveexec_b32 s0, s9
	s_cbranch_execnz .LBB147_89
.LBB147_65:
	s_or_b32 exec_lo, exec_lo, s0
	s_and_saveexec_b32 s0, s10
	s_cbranch_execnz .LBB147_90
.LBB147_66:
	s_or_b32 exec_lo, exec_lo, s0
	s_and_saveexec_b32 s0, s11
	s_cbranch_execnz .LBB147_91
.LBB147_67:
	s_or_b32 exec_lo, exec_lo, s0
	s_and_saveexec_b32 s0, s12
	s_cbranch_execnz .LBB147_92
.LBB147_68:
	s_or_b32 exec_lo, exec_lo, s0
	s_and_saveexec_b32 s0, s13
	s_cbranch_execnz .LBB147_93
.LBB147_69:
	s_or_b32 exec_lo, exec_lo, s0
	s_and_saveexec_b32 s0, s14
	s_cbranch_execnz .LBB147_94
.LBB147_70:
	s_or_b32 exec_lo, exec_lo, s0
	s_and_saveexec_b32 s0, s15
	s_cbranch_execnz .LBB147_95
.LBB147_71:
	s_or_b32 exec_lo, exec_lo, s0
	s_and_saveexec_b32 s0, s16
	s_cbranch_execnz .LBB147_96
.LBB147_72:
	s_or_b32 exec_lo, exec_lo, s0
	s_and_saveexec_b32 s0, s17
	s_cbranch_execnz .LBB147_97
.LBB147_73:
	s_or_b32 exec_lo, exec_lo, s0
	s_and_saveexec_b32 s0, s18
	s_cbranch_execnz .LBB147_98
.LBB147_74:
	s_or_b32 exec_lo, exec_lo, s0
	s_and_saveexec_b32 s0, s19
	s_cbranch_execnz .LBB147_99
.LBB147_75:
	s_or_b32 exec_lo, exec_lo, s0
	s_and_saveexec_b32 s0, s20
	s_cbranch_execnz .LBB147_100
.LBB147_76:
	s_or_b32 exec_lo, exec_lo, s0
	s_and_saveexec_b32 s0, s21
	s_cbranch_execnz .LBB147_101
.LBB147_77:
	s_or_b32 exec_lo, exec_lo, s0
	s_and_saveexec_b32 s0, s22
	s_cbranch_execnz .LBB147_102
.LBB147_78:
	s_or_b32 exec_lo, exec_lo, s0
	s_and_saveexec_b32 s0, s23
	s_cbranch_execnz .LBB147_103
.LBB147_79:
	s_or_b32 exec_lo, exec_lo, s0
	s_and_saveexec_b32 s0, s24
	s_cbranch_execnz .LBB147_104
.LBB147_80:
	s_nop 0
	s_sendmsg sendmsg(MSG_DEALLOC_VGPRS)
	s_endpgm
.LBB147_81:
	ds_load_u8 v0, v0
	s_waitcnt lgkmcnt(0)
	global_store_b32 v[1:2], v0, off
	s_or_b32 exec_lo, exec_lo, s0
	s_and_saveexec_b32 s0, s2
	s_cbranch_execz .LBB147_58
.LBB147_82:
	s_waitcnt lgkmcnt(22)
	v_and_b32_e32 v0, 0xff, v25
	global_store_b32 v[1:2], v0, off offset:1024
	s_or_b32 exec_lo, exec_lo, s0
	s_and_saveexec_b32 s0, s3
	s_cbranch_execz .LBB147_59
.LBB147_83:
	s_waitcnt lgkmcnt(21)
	v_and_b32_e32 v0, 0xff, v24
	global_store_b32 v[1:2], v0, off offset:2048
	s_or_b32 exec_lo, exec_lo, s0
	s_and_saveexec_b32 s0, s4
	s_cbranch_execz .LBB147_60
.LBB147_84:
	s_waitcnt lgkmcnt(20)
	v_and_b32_e32 v0, 0xff, v23
	global_store_b32 v[1:2], v0, off offset:3072
	s_or_b32 exec_lo, exec_lo, s0
	s_and_saveexec_b32 s0, s5
	s_cbranch_execz .LBB147_61
.LBB147_85:
	s_waitcnt lgkmcnt(19)
	v_and_b32_e32 v0, 0xff, v22
	v_add_co_u32 v22, vcc_lo, 0x1000, v1
	v_add_co_ci_u32_e32 v23, vcc_lo, 0, v2, vcc_lo
	global_store_b32 v[22:23], v0, off
	s_or_b32 exec_lo, exec_lo, s0
	s_and_saveexec_b32 s0, s6
	s_cbranch_execz .LBB147_62
.LBB147_86:
	s_waitcnt lgkmcnt(18)
	v_and_b32_e32 v0, 0xff, v21
	v_add_co_u32 v21, vcc_lo, 0x1000, v1
	v_add_co_ci_u32_e32 v22, vcc_lo, 0, v2, vcc_lo
	global_store_b32 v[21:22], v0, off offset:1024
	s_or_b32 exec_lo, exec_lo, s0
	s_and_saveexec_b32 s0, s7
	s_cbranch_execz .LBB147_63
.LBB147_87:
	s_waitcnt lgkmcnt(17)
	v_and_b32_e32 v0, 0xff, v20
	v_add_co_u32 v20, vcc_lo, 0x1000, v1
	v_add_co_ci_u32_e32 v21, vcc_lo, 0, v2, vcc_lo
	global_store_b32 v[20:21], v0, off offset:2048
	s_or_b32 exec_lo, exec_lo, s0
	s_and_saveexec_b32 s0, s8
	s_cbranch_execz .LBB147_64
.LBB147_88:
	s_waitcnt lgkmcnt(16)
	v_and_b32_e32 v0, 0xff, v19
	v_add_co_u32 v19, vcc_lo, 0x1000, v1
	v_add_co_ci_u32_e32 v20, vcc_lo, 0, v2, vcc_lo
	global_store_b32 v[19:20], v0, off offset:3072
	s_or_b32 exec_lo, exec_lo, s0
	s_and_saveexec_b32 s0, s9
	s_cbranch_execz .LBB147_65
.LBB147_89:
	s_waitcnt lgkmcnt(15)
	v_and_b32_e32 v0, 0xff, v18
	v_add_co_u32 v18, vcc_lo, 0x2000, v1
	v_add_co_ci_u32_e32 v19, vcc_lo, 0, v2, vcc_lo
	global_store_b32 v[18:19], v0, off
	s_or_b32 exec_lo, exec_lo, s0
	s_and_saveexec_b32 s0, s10
	s_cbranch_execz .LBB147_66
.LBB147_90:
	s_waitcnt lgkmcnt(14)
	v_and_b32_e32 v0, 0xff, v17
	v_add_co_u32 v17, vcc_lo, 0x2000, v1
	v_add_co_ci_u32_e32 v18, vcc_lo, 0, v2, vcc_lo
	global_store_b32 v[17:18], v0, off offset:1024
	s_or_b32 exec_lo, exec_lo, s0
	s_and_saveexec_b32 s0, s11
	s_cbranch_execz .LBB147_67
.LBB147_91:
	s_waitcnt lgkmcnt(13)
	v_and_b32_e32 v0, 0xff, v16
	v_add_co_u32 v16, vcc_lo, 0x2000, v1
	v_add_co_ci_u32_e32 v17, vcc_lo, 0, v2, vcc_lo
	global_store_b32 v[16:17], v0, off offset:2048
	s_or_b32 exec_lo, exec_lo, s0
	s_and_saveexec_b32 s0, s12
	s_cbranch_execz .LBB147_68
.LBB147_92:
	s_waitcnt lgkmcnt(12)
	v_and_b32_e32 v0, 0xff, v15
	v_add_co_u32 v15, vcc_lo, 0x2000, v1
	v_add_co_ci_u32_e32 v16, vcc_lo, 0, v2, vcc_lo
	global_store_b32 v[15:16], v0, off offset:3072
	s_or_b32 exec_lo, exec_lo, s0
	s_and_saveexec_b32 s0, s13
	s_cbranch_execz .LBB147_69
.LBB147_93:
	s_waitcnt lgkmcnt(11)
	v_and_b32_e32 v0, 0xff, v14
	v_add_co_u32 v14, vcc_lo, 0x3000, v1
	v_add_co_ci_u32_e32 v15, vcc_lo, 0, v2, vcc_lo
	global_store_b32 v[14:15], v0, off
	s_or_b32 exec_lo, exec_lo, s0
	s_and_saveexec_b32 s0, s14
	s_cbranch_execz .LBB147_70
.LBB147_94:
	s_waitcnt lgkmcnt(10)
	v_and_b32_e32 v0, 0xff, v13
	v_add_co_u32 v13, vcc_lo, 0x3000, v1
	v_add_co_ci_u32_e32 v14, vcc_lo, 0, v2, vcc_lo
	global_store_b32 v[13:14], v0, off offset:1024
	s_or_b32 exec_lo, exec_lo, s0
	s_and_saveexec_b32 s0, s15
	s_cbranch_execz .LBB147_71
.LBB147_95:
	s_waitcnt lgkmcnt(9)
	v_and_b32_e32 v0, 0xff, v12
	v_add_co_u32 v12, vcc_lo, 0x3000, v1
	v_add_co_ci_u32_e32 v13, vcc_lo, 0, v2, vcc_lo
	global_store_b32 v[12:13], v0, off offset:2048
	s_or_b32 exec_lo, exec_lo, s0
	s_and_saveexec_b32 s0, s16
	s_cbranch_execz .LBB147_72
.LBB147_96:
	s_waitcnt lgkmcnt(8)
	v_and_b32_e32 v0, 0xff, v11
	v_add_co_u32 v11, vcc_lo, 0x3000, v1
	v_add_co_ci_u32_e32 v12, vcc_lo, 0, v2, vcc_lo
	global_store_b32 v[11:12], v0, off offset:3072
	s_or_b32 exec_lo, exec_lo, s0
	s_and_saveexec_b32 s0, s17
	s_cbranch_execz .LBB147_73
.LBB147_97:
	s_waitcnt lgkmcnt(7)
	v_and_b32_e32 v0, 0xff, v10
	v_add_co_u32 v10, vcc_lo, 0x4000, v1
	v_add_co_ci_u32_e32 v11, vcc_lo, 0, v2, vcc_lo
	global_store_b32 v[10:11], v0, off
	s_or_b32 exec_lo, exec_lo, s0
	s_and_saveexec_b32 s0, s18
	s_cbranch_execz .LBB147_74
.LBB147_98:
	s_waitcnt lgkmcnt(6)
	v_and_b32_e32 v0, 0xff, v9
	v_add_co_u32 v9, vcc_lo, 0x4000, v1
	v_add_co_ci_u32_e32 v10, vcc_lo, 0, v2, vcc_lo
	global_store_b32 v[9:10], v0, off offset:1024
	s_or_b32 exec_lo, exec_lo, s0
	s_and_saveexec_b32 s0, s19
	s_cbranch_execz .LBB147_75
.LBB147_99:
	s_waitcnt lgkmcnt(5)
	v_and_b32_e32 v0, 0xff, v8
	v_add_co_u32 v8, vcc_lo, 0x4000, v1
	v_add_co_ci_u32_e32 v9, vcc_lo, 0, v2, vcc_lo
	global_store_b32 v[8:9], v0, off offset:2048
	s_or_b32 exec_lo, exec_lo, s0
	s_and_saveexec_b32 s0, s20
	s_cbranch_execz .LBB147_76
.LBB147_100:
	s_waitcnt lgkmcnt(4)
	v_and_b32_e32 v0, 0xff, v7
	v_add_co_u32 v7, vcc_lo, 0x4000, v1
	v_add_co_ci_u32_e32 v8, vcc_lo, 0, v2, vcc_lo
	global_store_b32 v[7:8], v0, off offset:3072
	s_or_b32 exec_lo, exec_lo, s0
	s_and_saveexec_b32 s0, s21
	s_cbranch_execz .LBB147_77
.LBB147_101:
	s_waitcnt lgkmcnt(3)
	v_and_b32_e32 v0, 0xff, v6
	v_add_co_u32 v6, vcc_lo, 0x5000, v1
	v_add_co_ci_u32_e32 v7, vcc_lo, 0, v2, vcc_lo
	global_store_b32 v[6:7], v0, off
	s_or_b32 exec_lo, exec_lo, s0
	s_and_saveexec_b32 s0, s22
	s_cbranch_execz .LBB147_78
.LBB147_102:
	s_waitcnt lgkmcnt(2)
	v_and_b32_e32 v0, 0xff, v5
	v_add_co_u32 v5, vcc_lo, 0x5000, v1
	v_add_co_ci_u32_e32 v6, vcc_lo, 0, v2, vcc_lo
	global_store_b32 v[5:6], v0, off offset:1024
	s_or_b32 exec_lo, exec_lo, s0
	s_and_saveexec_b32 s0, s23
	s_cbranch_execz .LBB147_79
.LBB147_103:
	s_waitcnt lgkmcnt(1)
	v_and_b32_e32 v0, 0xff, v4
	v_add_co_u32 v4, vcc_lo, 0x5000, v1
	v_add_co_ci_u32_e32 v5, vcc_lo, 0, v2, vcc_lo
	global_store_b32 v[4:5], v0, off offset:2048
	s_or_b32 exec_lo, exec_lo, s0
	s_and_saveexec_b32 s0, s24
	s_cbranch_execz .LBB147_80
.LBB147_104:
	v_add_co_u32 v0, vcc_lo, 0x5000, v1
	s_waitcnt lgkmcnt(0)
	v_and_b32_e32 v3, 0xff, v3
	v_add_co_ci_u32_e32 v1, vcc_lo, 0, v2, vcc_lo
	global_store_b32 v[0:1], v3, off offset:3072
	s_nop 0
	s_sendmsg sendmsg(MSG_DEALLOC_VGPRS)
	s_endpgm
	.section	.rodata,"a",@progbits
	.p2align	6, 0x0
	.amdhsa_kernel _ZN7rocprim17ROCPRIM_400000_NS6detail17trampoline_kernelINS0_14default_configENS1_20scan_config_selectorIhEEZZNS1_9scan_implILNS1_25lookback_scan_determinismE0ELb0ELb0ES3_N6thrust23THRUST_200600_302600_NS6detail15normal_iteratorINS9_7pointerIhNS9_11hip_rocprim5par_tENS9_11use_defaultESF_EEEENSB_INSC_IjSE_SF_SF_EEEEhNS9_4plusIvEEhEEDaPvRmT3_T4_T5_mT6_P12ihipStream_tbENKUlT_T0_E_clISt17integral_constantIbLb1EESZ_EEDaSU_SV_EUlSU_E0_NS1_11comp_targetILNS1_3genE9ELNS1_11target_archE1100ELNS1_3gpuE3ELNS1_3repE0EEENS1_30default_config_static_selectorELNS0_4arch9wavefront6targetE0EEEvT1_
		.amdhsa_group_segment_fixed_size 6144
		.amdhsa_private_segment_fixed_size 0
		.amdhsa_kernarg_size 32
		.amdhsa_user_sgpr_count 15
		.amdhsa_user_sgpr_dispatch_ptr 0
		.amdhsa_user_sgpr_queue_ptr 0
		.amdhsa_user_sgpr_kernarg_segment_ptr 1
		.amdhsa_user_sgpr_dispatch_id 0
		.amdhsa_user_sgpr_private_segment_size 0
		.amdhsa_wavefront_size32 1
		.amdhsa_uses_dynamic_stack 0
		.amdhsa_enable_private_segment 0
		.amdhsa_system_sgpr_workgroup_id_x 1
		.amdhsa_system_sgpr_workgroup_id_y 0
		.amdhsa_system_sgpr_workgroup_id_z 0
		.amdhsa_system_sgpr_workgroup_info 0
		.amdhsa_system_vgpr_workitem_id 0
		.amdhsa_next_free_vgpr 54
		.amdhsa_next_free_sgpr 32
		.amdhsa_reserve_vcc 1
		.amdhsa_float_round_mode_32 0
		.amdhsa_float_round_mode_16_64 0
		.amdhsa_float_denorm_mode_32 3
		.amdhsa_float_denorm_mode_16_64 3
		.amdhsa_dx10_clamp 1
		.amdhsa_ieee_mode 1
		.amdhsa_fp16_overflow 0
		.amdhsa_workgroup_processor_mode 1
		.amdhsa_memory_ordered 1
		.amdhsa_forward_progress 0
		.amdhsa_shared_vgpr_count 0
		.amdhsa_exception_fp_ieee_invalid_op 0
		.amdhsa_exception_fp_denorm_src 0
		.amdhsa_exception_fp_ieee_div_zero 0
		.amdhsa_exception_fp_ieee_overflow 0
		.amdhsa_exception_fp_ieee_underflow 0
		.amdhsa_exception_fp_ieee_inexact 0
		.amdhsa_exception_int_div_zero 0
	.end_amdhsa_kernel
	.section	.text._ZN7rocprim17ROCPRIM_400000_NS6detail17trampoline_kernelINS0_14default_configENS1_20scan_config_selectorIhEEZZNS1_9scan_implILNS1_25lookback_scan_determinismE0ELb0ELb0ES3_N6thrust23THRUST_200600_302600_NS6detail15normal_iteratorINS9_7pointerIhNS9_11hip_rocprim5par_tENS9_11use_defaultESF_EEEENSB_INSC_IjSE_SF_SF_EEEEhNS9_4plusIvEEhEEDaPvRmT3_T4_T5_mT6_P12ihipStream_tbENKUlT_T0_E_clISt17integral_constantIbLb1EESZ_EEDaSU_SV_EUlSU_E0_NS1_11comp_targetILNS1_3genE9ELNS1_11target_archE1100ELNS1_3gpuE3ELNS1_3repE0EEENS1_30default_config_static_selectorELNS0_4arch9wavefront6targetE0EEEvT1_,"axG",@progbits,_ZN7rocprim17ROCPRIM_400000_NS6detail17trampoline_kernelINS0_14default_configENS1_20scan_config_selectorIhEEZZNS1_9scan_implILNS1_25lookback_scan_determinismE0ELb0ELb0ES3_N6thrust23THRUST_200600_302600_NS6detail15normal_iteratorINS9_7pointerIhNS9_11hip_rocprim5par_tENS9_11use_defaultESF_EEEENSB_INSC_IjSE_SF_SF_EEEEhNS9_4plusIvEEhEEDaPvRmT3_T4_T5_mT6_P12ihipStream_tbENKUlT_T0_E_clISt17integral_constantIbLb1EESZ_EEDaSU_SV_EUlSU_E0_NS1_11comp_targetILNS1_3genE9ELNS1_11target_archE1100ELNS1_3gpuE3ELNS1_3repE0EEENS1_30default_config_static_selectorELNS0_4arch9wavefront6targetE0EEEvT1_,comdat
.Lfunc_end147:
	.size	_ZN7rocprim17ROCPRIM_400000_NS6detail17trampoline_kernelINS0_14default_configENS1_20scan_config_selectorIhEEZZNS1_9scan_implILNS1_25lookback_scan_determinismE0ELb0ELb0ES3_N6thrust23THRUST_200600_302600_NS6detail15normal_iteratorINS9_7pointerIhNS9_11hip_rocprim5par_tENS9_11use_defaultESF_EEEENSB_INSC_IjSE_SF_SF_EEEEhNS9_4plusIvEEhEEDaPvRmT3_T4_T5_mT6_P12ihipStream_tbENKUlT_T0_E_clISt17integral_constantIbLb1EESZ_EEDaSU_SV_EUlSU_E0_NS1_11comp_targetILNS1_3genE9ELNS1_11target_archE1100ELNS1_3gpuE3ELNS1_3repE0EEENS1_30default_config_static_selectorELNS0_4arch9wavefront6targetE0EEEvT1_, .Lfunc_end147-_ZN7rocprim17ROCPRIM_400000_NS6detail17trampoline_kernelINS0_14default_configENS1_20scan_config_selectorIhEEZZNS1_9scan_implILNS1_25lookback_scan_determinismE0ELb0ELb0ES3_N6thrust23THRUST_200600_302600_NS6detail15normal_iteratorINS9_7pointerIhNS9_11hip_rocprim5par_tENS9_11use_defaultESF_EEEENSB_INSC_IjSE_SF_SF_EEEEhNS9_4plusIvEEhEEDaPvRmT3_T4_T5_mT6_P12ihipStream_tbENKUlT_T0_E_clISt17integral_constantIbLb1EESZ_EEDaSU_SV_EUlSU_E0_NS1_11comp_targetILNS1_3genE9ELNS1_11target_archE1100ELNS1_3gpuE3ELNS1_3repE0EEENS1_30default_config_static_selectorELNS0_4arch9wavefront6targetE0EEEvT1_
                                        ; -- End function
	.section	.AMDGPU.csdata,"",@progbits
; Kernel info:
; codeLenInByte = 4484
; NumSgprs: 34
; NumVgprs: 54
; ScratchSize: 0
; MemoryBound: 0
; FloatMode: 240
; IeeeMode: 1
; LDSByteSize: 6144 bytes/workgroup (compile time only)
; SGPRBlocks: 4
; VGPRBlocks: 6
; NumSGPRsForWavesPerEU: 34
; NumVGPRsForWavesPerEU: 54
; Occupancy: 16
; WaveLimiterHint : 0
; COMPUTE_PGM_RSRC2:SCRATCH_EN: 0
; COMPUTE_PGM_RSRC2:USER_SGPR: 15
; COMPUTE_PGM_RSRC2:TRAP_HANDLER: 0
; COMPUTE_PGM_RSRC2:TGID_X_EN: 1
; COMPUTE_PGM_RSRC2:TGID_Y_EN: 0
; COMPUTE_PGM_RSRC2:TGID_Z_EN: 0
; COMPUTE_PGM_RSRC2:TIDIG_COMP_CNT: 0
	.section	.text._ZN7rocprim17ROCPRIM_400000_NS6detail17trampoline_kernelINS0_14default_configENS1_20scan_config_selectorIhEEZZNS1_9scan_implILNS1_25lookback_scan_determinismE0ELb0ELb0ES3_N6thrust23THRUST_200600_302600_NS6detail15normal_iteratorINS9_7pointerIhNS9_11hip_rocprim5par_tENS9_11use_defaultESF_EEEENSB_INSC_IjSE_SF_SF_EEEEhNS9_4plusIvEEhEEDaPvRmT3_T4_T5_mT6_P12ihipStream_tbENKUlT_T0_E_clISt17integral_constantIbLb1EESZ_EEDaSU_SV_EUlSU_E0_NS1_11comp_targetILNS1_3genE8ELNS1_11target_archE1030ELNS1_3gpuE2ELNS1_3repE0EEENS1_30default_config_static_selectorELNS0_4arch9wavefront6targetE0EEEvT1_,"axG",@progbits,_ZN7rocprim17ROCPRIM_400000_NS6detail17trampoline_kernelINS0_14default_configENS1_20scan_config_selectorIhEEZZNS1_9scan_implILNS1_25lookback_scan_determinismE0ELb0ELb0ES3_N6thrust23THRUST_200600_302600_NS6detail15normal_iteratorINS9_7pointerIhNS9_11hip_rocprim5par_tENS9_11use_defaultESF_EEEENSB_INSC_IjSE_SF_SF_EEEEhNS9_4plusIvEEhEEDaPvRmT3_T4_T5_mT6_P12ihipStream_tbENKUlT_T0_E_clISt17integral_constantIbLb1EESZ_EEDaSU_SV_EUlSU_E0_NS1_11comp_targetILNS1_3genE8ELNS1_11target_archE1030ELNS1_3gpuE2ELNS1_3repE0EEENS1_30default_config_static_selectorELNS0_4arch9wavefront6targetE0EEEvT1_,comdat
	.protected	_ZN7rocprim17ROCPRIM_400000_NS6detail17trampoline_kernelINS0_14default_configENS1_20scan_config_selectorIhEEZZNS1_9scan_implILNS1_25lookback_scan_determinismE0ELb0ELb0ES3_N6thrust23THRUST_200600_302600_NS6detail15normal_iteratorINS9_7pointerIhNS9_11hip_rocprim5par_tENS9_11use_defaultESF_EEEENSB_INSC_IjSE_SF_SF_EEEEhNS9_4plusIvEEhEEDaPvRmT3_T4_T5_mT6_P12ihipStream_tbENKUlT_T0_E_clISt17integral_constantIbLb1EESZ_EEDaSU_SV_EUlSU_E0_NS1_11comp_targetILNS1_3genE8ELNS1_11target_archE1030ELNS1_3gpuE2ELNS1_3repE0EEENS1_30default_config_static_selectorELNS0_4arch9wavefront6targetE0EEEvT1_ ; -- Begin function _ZN7rocprim17ROCPRIM_400000_NS6detail17trampoline_kernelINS0_14default_configENS1_20scan_config_selectorIhEEZZNS1_9scan_implILNS1_25lookback_scan_determinismE0ELb0ELb0ES3_N6thrust23THRUST_200600_302600_NS6detail15normal_iteratorINS9_7pointerIhNS9_11hip_rocprim5par_tENS9_11use_defaultESF_EEEENSB_INSC_IjSE_SF_SF_EEEEhNS9_4plusIvEEhEEDaPvRmT3_T4_T5_mT6_P12ihipStream_tbENKUlT_T0_E_clISt17integral_constantIbLb1EESZ_EEDaSU_SV_EUlSU_E0_NS1_11comp_targetILNS1_3genE8ELNS1_11target_archE1030ELNS1_3gpuE2ELNS1_3repE0EEENS1_30default_config_static_selectorELNS0_4arch9wavefront6targetE0EEEvT1_
	.globl	_ZN7rocprim17ROCPRIM_400000_NS6detail17trampoline_kernelINS0_14default_configENS1_20scan_config_selectorIhEEZZNS1_9scan_implILNS1_25lookback_scan_determinismE0ELb0ELb0ES3_N6thrust23THRUST_200600_302600_NS6detail15normal_iteratorINS9_7pointerIhNS9_11hip_rocprim5par_tENS9_11use_defaultESF_EEEENSB_INSC_IjSE_SF_SF_EEEEhNS9_4plusIvEEhEEDaPvRmT3_T4_T5_mT6_P12ihipStream_tbENKUlT_T0_E_clISt17integral_constantIbLb1EESZ_EEDaSU_SV_EUlSU_E0_NS1_11comp_targetILNS1_3genE8ELNS1_11target_archE1030ELNS1_3gpuE2ELNS1_3repE0EEENS1_30default_config_static_selectorELNS0_4arch9wavefront6targetE0EEEvT1_
	.p2align	8
	.type	_ZN7rocprim17ROCPRIM_400000_NS6detail17trampoline_kernelINS0_14default_configENS1_20scan_config_selectorIhEEZZNS1_9scan_implILNS1_25lookback_scan_determinismE0ELb0ELb0ES3_N6thrust23THRUST_200600_302600_NS6detail15normal_iteratorINS9_7pointerIhNS9_11hip_rocprim5par_tENS9_11use_defaultESF_EEEENSB_INSC_IjSE_SF_SF_EEEEhNS9_4plusIvEEhEEDaPvRmT3_T4_T5_mT6_P12ihipStream_tbENKUlT_T0_E_clISt17integral_constantIbLb1EESZ_EEDaSU_SV_EUlSU_E0_NS1_11comp_targetILNS1_3genE8ELNS1_11target_archE1030ELNS1_3gpuE2ELNS1_3repE0EEENS1_30default_config_static_selectorELNS0_4arch9wavefront6targetE0EEEvT1_,@function
_ZN7rocprim17ROCPRIM_400000_NS6detail17trampoline_kernelINS0_14default_configENS1_20scan_config_selectorIhEEZZNS1_9scan_implILNS1_25lookback_scan_determinismE0ELb0ELb0ES3_N6thrust23THRUST_200600_302600_NS6detail15normal_iteratorINS9_7pointerIhNS9_11hip_rocprim5par_tENS9_11use_defaultESF_EEEENSB_INSC_IjSE_SF_SF_EEEEhNS9_4plusIvEEhEEDaPvRmT3_T4_T5_mT6_P12ihipStream_tbENKUlT_T0_E_clISt17integral_constantIbLb1EESZ_EEDaSU_SV_EUlSU_E0_NS1_11comp_targetILNS1_3genE8ELNS1_11target_archE1030ELNS1_3gpuE2ELNS1_3repE0EEENS1_30default_config_static_selectorELNS0_4arch9wavefront6targetE0EEEvT1_: ; @_ZN7rocprim17ROCPRIM_400000_NS6detail17trampoline_kernelINS0_14default_configENS1_20scan_config_selectorIhEEZZNS1_9scan_implILNS1_25lookback_scan_determinismE0ELb0ELb0ES3_N6thrust23THRUST_200600_302600_NS6detail15normal_iteratorINS9_7pointerIhNS9_11hip_rocprim5par_tENS9_11use_defaultESF_EEEENSB_INSC_IjSE_SF_SF_EEEEhNS9_4plusIvEEhEEDaPvRmT3_T4_T5_mT6_P12ihipStream_tbENKUlT_T0_E_clISt17integral_constantIbLb1EESZ_EEDaSU_SV_EUlSU_E0_NS1_11comp_targetILNS1_3genE8ELNS1_11target_archE1030ELNS1_3gpuE2ELNS1_3repE0EEENS1_30default_config_static_selectorELNS0_4arch9wavefront6targetE0EEEvT1_
; %bb.0:
	.section	.rodata,"a",@progbits
	.p2align	6, 0x0
	.amdhsa_kernel _ZN7rocprim17ROCPRIM_400000_NS6detail17trampoline_kernelINS0_14default_configENS1_20scan_config_selectorIhEEZZNS1_9scan_implILNS1_25lookback_scan_determinismE0ELb0ELb0ES3_N6thrust23THRUST_200600_302600_NS6detail15normal_iteratorINS9_7pointerIhNS9_11hip_rocprim5par_tENS9_11use_defaultESF_EEEENSB_INSC_IjSE_SF_SF_EEEEhNS9_4plusIvEEhEEDaPvRmT3_T4_T5_mT6_P12ihipStream_tbENKUlT_T0_E_clISt17integral_constantIbLb1EESZ_EEDaSU_SV_EUlSU_E0_NS1_11comp_targetILNS1_3genE8ELNS1_11target_archE1030ELNS1_3gpuE2ELNS1_3repE0EEENS1_30default_config_static_selectorELNS0_4arch9wavefront6targetE0EEEvT1_
		.amdhsa_group_segment_fixed_size 0
		.amdhsa_private_segment_fixed_size 0
		.amdhsa_kernarg_size 32
		.amdhsa_user_sgpr_count 15
		.amdhsa_user_sgpr_dispatch_ptr 0
		.amdhsa_user_sgpr_queue_ptr 0
		.amdhsa_user_sgpr_kernarg_segment_ptr 1
		.amdhsa_user_sgpr_dispatch_id 0
		.amdhsa_user_sgpr_private_segment_size 0
		.amdhsa_wavefront_size32 1
		.amdhsa_uses_dynamic_stack 0
		.amdhsa_enable_private_segment 0
		.amdhsa_system_sgpr_workgroup_id_x 1
		.amdhsa_system_sgpr_workgroup_id_y 0
		.amdhsa_system_sgpr_workgroup_id_z 0
		.amdhsa_system_sgpr_workgroup_info 0
		.amdhsa_system_vgpr_workitem_id 0
		.amdhsa_next_free_vgpr 1
		.amdhsa_next_free_sgpr 1
		.amdhsa_reserve_vcc 0
		.amdhsa_float_round_mode_32 0
		.amdhsa_float_round_mode_16_64 0
		.amdhsa_float_denorm_mode_32 3
		.amdhsa_float_denorm_mode_16_64 3
		.amdhsa_dx10_clamp 1
		.amdhsa_ieee_mode 1
		.amdhsa_fp16_overflow 0
		.amdhsa_workgroup_processor_mode 1
		.amdhsa_memory_ordered 1
		.amdhsa_forward_progress 0
		.amdhsa_shared_vgpr_count 0
		.amdhsa_exception_fp_ieee_invalid_op 0
		.amdhsa_exception_fp_denorm_src 0
		.amdhsa_exception_fp_ieee_div_zero 0
		.amdhsa_exception_fp_ieee_overflow 0
		.amdhsa_exception_fp_ieee_underflow 0
		.amdhsa_exception_fp_ieee_inexact 0
		.amdhsa_exception_int_div_zero 0
	.end_amdhsa_kernel
	.section	.text._ZN7rocprim17ROCPRIM_400000_NS6detail17trampoline_kernelINS0_14default_configENS1_20scan_config_selectorIhEEZZNS1_9scan_implILNS1_25lookback_scan_determinismE0ELb0ELb0ES3_N6thrust23THRUST_200600_302600_NS6detail15normal_iteratorINS9_7pointerIhNS9_11hip_rocprim5par_tENS9_11use_defaultESF_EEEENSB_INSC_IjSE_SF_SF_EEEEhNS9_4plusIvEEhEEDaPvRmT3_T4_T5_mT6_P12ihipStream_tbENKUlT_T0_E_clISt17integral_constantIbLb1EESZ_EEDaSU_SV_EUlSU_E0_NS1_11comp_targetILNS1_3genE8ELNS1_11target_archE1030ELNS1_3gpuE2ELNS1_3repE0EEENS1_30default_config_static_selectorELNS0_4arch9wavefront6targetE0EEEvT1_,"axG",@progbits,_ZN7rocprim17ROCPRIM_400000_NS6detail17trampoline_kernelINS0_14default_configENS1_20scan_config_selectorIhEEZZNS1_9scan_implILNS1_25lookback_scan_determinismE0ELb0ELb0ES3_N6thrust23THRUST_200600_302600_NS6detail15normal_iteratorINS9_7pointerIhNS9_11hip_rocprim5par_tENS9_11use_defaultESF_EEEENSB_INSC_IjSE_SF_SF_EEEEhNS9_4plusIvEEhEEDaPvRmT3_T4_T5_mT6_P12ihipStream_tbENKUlT_T0_E_clISt17integral_constantIbLb1EESZ_EEDaSU_SV_EUlSU_E0_NS1_11comp_targetILNS1_3genE8ELNS1_11target_archE1030ELNS1_3gpuE2ELNS1_3repE0EEENS1_30default_config_static_selectorELNS0_4arch9wavefront6targetE0EEEvT1_,comdat
.Lfunc_end148:
	.size	_ZN7rocprim17ROCPRIM_400000_NS6detail17trampoline_kernelINS0_14default_configENS1_20scan_config_selectorIhEEZZNS1_9scan_implILNS1_25lookback_scan_determinismE0ELb0ELb0ES3_N6thrust23THRUST_200600_302600_NS6detail15normal_iteratorINS9_7pointerIhNS9_11hip_rocprim5par_tENS9_11use_defaultESF_EEEENSB_INSC_IjSE_SF_SF_EEEEhNS9_4plusIvEEhEEDaPvRmT3_T4_T5_mT6_P12ihipStream_tbENKUlT_T0_E_clISt17integral_constantIbLb1EESZ_EEDaSU_SV_EUlSU_E0_NS1_11comp_targetILNS1_3genE8ELNS1_11target_archE1030ELNS1_3gpuE2ELNS1_3repE0EEENS1_30default_config_static_selectorELNS0_4arch9wavefront6targetE0EEEvT1_, .Lfunc_end148-_ZN7rocprim17ROCPRIM_400000_NS6detail17trampoline_kernelINS0_14default_configENS1_20scan_config_selectorIhEEZZNS1_9scan_implILNS1_25lookback_scan_determinismE0ELb0ELb0ES3_N6thrust23THRUST_200600_302600_NS6detail15normal_iteratorINS9_7pointerIhNS9_11hip_rocprim5par_tENS9_11use_defaultESF_EEEENSB_INSC_IjSE_SF_SF_EEEEhNS9_4plusIvEEhEEDaPvRmT3_T4_T5_mT6_P12ihipStream_tbENKUlT_T0_E_clISt17integral_constantIbLb1EESZ_EEDaSU_SV_EUlSU_E0_NS1_11comp_targetILNS1_3genE8ELNS1_11target_archE1030ELNS1_3gpuE2ELNS1_3repE0EEENS1_30default_config_static_selectorELNS0_4arch9wavefront6targetE0EEEvT1_
                                        ; -- End function
	.section	.AMDGPU.csdata,"",@progbits
; Kernel info:
; codeLenInByte = 0
; NumSgprs: 0
; NumVgprs: 0
; ScratchSize: 0
; MemoryBound: 0
; FloatMode: 240
; IeeeMode: 1
; LDSByteSize: 0 bytes/workgroup (compile time only)
; SGPRBlocks: 0
; VGPRBlocks: 0
; NumSGPRsForWavesPerEU: 1
; NumVGPRsForWavesPerEU: 1
; Occupancy: 16
; WaveLimiterHint : 0
; COMPUTE_PGM_RSRC2:SCRATCH_EN: 0
; COMPUTE_PGM_RSRC2:USER_SGPR: 15
; COMPUTE_PGM_RSRC2:TRAP_HANDLER: 0
; COMPUTE_PGM_RSRC2:TGID_X_EN: 1
; COMPUTE_PGM_RSRC2:TGID_Y_EN: 0
; COMPUTE_PGM_RSRC2:TGID_Z_EN: 0
; COMPUTE_PGM_RSRC2:TIDIG_COMP_CNT: 0
	.section	.text._ZN7rocprim17ROCPRIM_400000_NS6detail31init_lookback_scan_state_kernelINS1_19lookback_scan_stateIhLb1ELb1EEENS1_16block_id_wrapperIjLb0EEEEEvT_jT0_jPNS7_10value_typeE,"axG",@progbits,_ZN7rocprim17ROCPRIM_400000_NS6detail31init_lookback_scan_state_kernelINS1_19lookback_scan_stateIhLb1ELb1EEENS1_16block_id_wrapperIjLb0EEEEEvT_jT0_jPNS7_10value_typeE,comdat
	.protected	_ZN7rocprim17ROCPRIM_400000_NS6detail31init_lookback_scan_state_kernelINS1_19lookback_scan_stateIhLb1ELb1EEENS1_16block_id_wrapperIjLb0EEEEEvT_jT0_jPNS7_10value_typeE ; -- Begin function _ZN7rocprim17ROCPRIM_400000_NS6detail31init_lookback_scan_state_kernelINS1_19lookback_scan_stateIhLb1ELb1EEENS1_16block_id_wrapperIjLb0EEEEEvT_jT0_jPNS7_10value_typeE
	.globl	_ZN7rocprim17ROCPRIM_400000_NS6detail31init_lookback_scan_state_kernelINS1_19lookback_scan_stateIhLb1ELb1EEENS1_16block_id_wrapperIjLb0EEEEEvT_jT0_jPNS7_10value_typeE
	.p2align	8
	.type	_ZN7rocprim17ROCPRIM_400000_NS6detail31init_lookback_scan_state_kernelINS1_19lookback_scan_stateIhLb1ELb1EEENS1_16block_id_wrapperIjLb0EEEEEvT_jT0_jPNS7_10value_typeE,@function
_ZN7rocprim17ROCPRIM_400000_NS6detail31init_lookback_scan_state_kernelINS1_19lookback_scan_stateIhLb1ELb1EEENS1_16block_id_wrapperIjLb0EEEEEvT_jT0_jPNS7_10value_typeE: ; @_ZN7rocprim17ROCPRIM_400000_NS6detail31init_lookback_scan_state_kernelINS1_19lookback_scan_stateIhLb1ELb1EEENS1_16block_id_wrapperIjLb0EEEEEvT_jT0_jPNS7_10value_typeE
; %bb.0:
	s_clause 0x3
	s_load_b32 s7, s[0:1], 0x2c
	s_load_b64 s[4:5], s[0:1], 0x18
	s_load_b64 s[2:3], s[0:1], 0x0
	s_load_b32 s6, s[0:1], 0x8
	s_waitcnt lgkmcnt(0)
	s_and_b32 s7, s7, 0xffff
	s_cmp_eq_u64 s[4:5], 0
	v_mad_u64_u32 v[1:2], null, s15, s7, v[0:1]
	s_cbranch_scc1 .LBB149_8
; %bb.1:
	s_load_b32 s0, s[0:1], 0x10
	s_waitcnt lgkmcnt(0)
	s_cmp_lt_u32 s0, s6
	s_cselect_b32 s1, s0, 0
	s_delay_alu instid0(VALU_DEP_1) | instid1(SALU_CYCLE_1)
	v_cmp_eq_u32_e32 vcc_lo, s1, v1
	s_mov_b32 s1, 0
	s_and_saveexec_b32 s7, vcc_lo
	s_cbranch_execz .LBB149_7
; %bb.2:
	s_add_i32 s0, s0, 32
	v_mov_b32_e32 v0, 0
	s_lshl_b64 s[0:1], s[0:1], 1
	s_mov_b32 s8, 1
	s_add_u32 s0, s2, s0
	s_addc_u32 s1, s3, s1
	global_load_u16 v2, v0, s[0:1] glc
	s_waitcnt vmcnt(0)
	v_cmp_lt_u16_e32 vcc_lo, 0xff, v2
	s_cbranch_vccnz .LBB149_6
.LBB149_3:                              ; =>This Loop Header: Depth=1
                                        ;     Child Loop BB149_4 Depth 2
	s_max_u32 s9, s8, 1
.LBB149_4:                              ;   Parent Loop BB149_3 Depth=1
                                        ; =>  This Inner Loop Header: Depth=2
	s_delay_alu instid0(SALU_CYCLE_1)
	s_add_i32 s9, s9, -1
	s_sleep 1
	s_cmp_eq_u32 s9, 0
	s_cbranch_scc0 .LBB149_4
; %bb.5:                                ;   in Loop: Header=BB149_3 Depth=1
	global_load_u16 v2, v0, s[0:1] glc
	s_cmp_lt_u32 s8, 32
	s_cselect_b32 s9, -1, 0
	s_delay_alu instid0(SALU_CYCLE_1)
	s_cmp_lg_u32 s9, 0
	s_addc_u32 s8, s8, 0
	s_waitcnt vmcnt(0)
	v_cmp_lt_u16_e32 vcc_lo, 0xff, v2
	s_cbranch_vccz .LBB149_3
.LBB149_6:
	v_mov_b32_e32 v0, 0
	global_store_b8 v0, v2, s[4:5]
.LBB149_7:
	s_or_b32 exec_lo, exec_lo, s7
.LBB149_8:
	s_delay_alu instid0(SALU_CYCLE_1) | instskip(NEXT) | instid1(VALU_DEP_1)
	s_mov_b32 s0, exec_lo
	v_cmpx_gt_u32_e64 s6, v1
	s_cbranch_execz .LBB149_10
; %bb.9:
	v_dual_mov_b32 v3, 0 :: v_dual_add_nc_u32 v2, 32, v1
	s_delay_alu instid0(VALU_DEP_1) | instskip(NEXT) | instid1(VALU_DEP_1)
	v_lshlrev_b64 v[4:5], 1, v[2:3]
	v_add_co_u32 v4, vcc_lo, s2, v4
	s_delay_alu instid0(VALU_DEP_2)
	v_add_co_ci_u32_e32 v5, vcc_lo, s3, v5, vcc_lo
	global_store_b16 v[4:5], v3, off
.LBB149_10:
	s_or_b32 exec_lo, exec_lo, s0
	s_delay_alu instid0(SALU_CYCLE_1)
	s_mov_b32 s0, exec_lo
	v_cmpx_gt_u32_e32 32, v1
	s_cbranch_execz .LBB149_12
; %bb.11:
	v_mov_b32_e32 v2, 0
	s_delay_alu instid0(VALU_DEP_1) | instskip(SKIP_1) | instid1(VALU_DEP_2)
	v_lshlrev_b64 v[0:1], 1, v[1:2]
	v_mov_b32_e32 v2, 0xffffff00
	v_add_co_u32 v0, vcc_lo, s2, v0
	s_delay_alu instid0(VALU_DEP_3)
	v_add_co_ci_u32_e32 v1, vcc_lo, s3, v1, vcc_lo
	global_store_b16 v[0:1], v2, off
.LBB149_12:
	s_nop 0
	s_sendmsg sendmsg(MSG_DEALLOC_VGPRS)
	s_endpgm
	.section	.rodata,"a",@progbits
	.p2align	6, 0x0
	.amdhsa_kernel _ZN7rocprim17ROCPRIM_400000_NS6detail31init_lookback_scan_state_kernelINS1_19lookback_scan_stateIhLb1ELb1EEENS1_16block_id_wrapperIjLb0EEEEEvT_jT0_jPNS7_10value_typeE
		.amdhsa_group_segment_fixed_size 0
		.amdhsa_private_segment_fixed_size 0
		.amdhsa_kernarg_size 288
		.amdhsa_user_sgpr_count 15
		.amdhsa_user_sgpr_dispatch_ptr 0
		.amdhsa_user_sgpr_queue_ptr 0
		.amdhsa_user_sgpr_kernarg_segment_ptr 1
		.amdhsa_user_sgpr_dispatch_id 0
		.amdhsa_user_sgpr_private_segment_size 0
		.amdhsa_wavefront_size32 1
		.amdhsa_uses_dynamic_stack 0
		.amdhsa_enable_private_segment 0
		.amdhsa_system_sgpr_workgroup_id_x 1
		.amdhsa_system_sgpr_workgroup_id_y 0
		.amdhsa_system_sgpr_workgroup_id_z 0
		.amdhsa_system_sgpr_workgroup_info 0
		.amdhsa_system_vgpr_workitem_id 0
		.amdhsa_next_free_vgpr 6
		.amdhsa_next_free_sgpr 16
		.amdhsa_reserve_vcc 1
		.amdhsa_float_round_mode_32 0
		.amdhsa_float_round_mode_16_64 0
		.amdhsa_float_denorm_mode_32 3
		.amdhsa_float_denorm_mode_16_64 3
		.amdhsa_dx10_clamp 1
		.amdhsa_ieee_mode 1
		.amdhsa_fp16_overflow 0
		.amdhsa_workgroup_processor_mode 1
		.amdhsa_memory_ordered 1
		.amdhsa_forward_progress 0
		.amdhsa_shared_vgpr_count 0
		.amdhsa_exception_fp_ieee_invalid_op 0
		.amdhsa_exception_fp_denorm_src 0
		.amdhsa_exception_fp_ieee_div_zero 0
		.amdhsa_exception_fp_ieee_overflow 0
		.amdhsa_exception_fp_ieee_underflow 0
		.amdhsa_exception_fp_ieee_inexact 0
		.amdhsa_exception_int_div_zero 0
	.end_amdhsa_kernel
	.section	.text._ZN7rocprim17ROCPRIM_400000_NS6detail31init_lookback_scan_state_kernelINS1_19lookback_scan_stateIhLb1ELb1EEENS1_16block_id_wrapperIjLb0EEEEEvT_jT0_jPNS7_10value_typeE,"axG",@progbits,_ZN7rocprim17ROCPRIM_400000_NS6detail31init_lookback_scan_state_kernelINS1_19lookback_scan_stateIhLb1ELb1EEENS1_16block_id_wrapperIjLb0EEEEEvT_jT0_jPNS7_10value_typeE,comdat
.Lfunc_end149:
	.size	_ZN7rocprim17ROCPRIM_400000_NS6detail31init_lookback_scan_state_kernelINS1_19lookback_scan_stateIhLb1ELb1EEENS1_16block_id_wrapperIjLb0EEEEEvT_jT0_jPNS7_10value_typeE, .Lfunc_end149-_ZN7rocprim17ROCPRIM_400000_NS6detail31init_lookback_scan_state_kernelINS1_19lookback_scan_stateIhLb1ELb1EEENS1_16block_id_wrapperIjLb0EEEEEvT_jT0_jPNS7_10value_typeE
                                        ; -- End function
	.section	.AMDGPU.csdata,"",@progbits
; Kernel info:
; codeLenInByte = 380
; NumSgprs: 18
; NumVgprs: 6
; ScratchSize: 0
; MemoryBound: 0
; FloatMode: 240
; IeeeMode: 1
; LDSByteSize: 0 bytes/workgroup (compile time only)
; SGPRBlocks: 2
; VGPRBlocks: 0
; NumSGPRsForWavesPerEU: 18
; NumVGPRsForWavesPerEU: 6
; Occupancy: 16
; WaveLimiterHint : 0
; COMPUTE_PGM_RSRC2:SCRATCH_EN: 0
; COMPUTE_PGM_RSRC2:USER_SGPR: 15
; COMPUTE_PGM_RSRC2:TRAP_HANDLER: 0
; COMPUTE_PGM_RSRC2:TGID_X_EN: 1
; COMPUTE_PGM_RSRC2:TGID_Y_EN: 0
; COMPUTE_PGM_RSRC2:TGID_Z_EN: 0
; COMPUTE_PGM_RSRC2:TIDIG_COMP_CNT: 0
	.section	.text._ZN7rocprim17ROCPRIM_400000_NS6detail17trampoline_kernelINS0_14default_configENS1_20scan_config_selectorIhEEZZNS1_9scan_implILNS1_25lookback_scan_determinismE0ELb0ELb0ES3_N6thrust23THRUST_200600_302600_NS6detail15normal_iteratorINS9_7pointerIhNS9_11hip_rocprim5par_tENS9_11use_defaultESF_EEEENSB_INSC_IjSE_SF_SF_EEEEhNS9_4plusIvEEhEEDaPvRmT3_T4_T5_mT6_P12ihipStream_tbENKUlT_T0_E_clISt17integral_constantIbLb1EESY_IbLb0EEEEDaSU_SV_EUlSU_E_NS1_11comp_targetILNS1_3genE0ELNS1_11target_archE4294967295ELNS1_3gpuE0ELNS1_3repE0EEENS1_30default_config_static_selectorELNS0_4arch9wavefront6targetE0EEEvT1_,"axG",@progbits,_ZN7rocprim17ROCPRIM_400000_NS6detail17trampoline_kernelINS0_14default_configENS1_20scan_config_selectorIhEEZZNS1_9scan_implILNS1_25lookback_scan_determinismE0ELb0ELb0ES3_N6thrust23THRUST_200600_302600_NS6detail15normal_iteratorINS9_7pointerIhNS9_11hip_rocprim5par_tENS9_11use_defaultESF_EEEENSB_INSC_IjSE_SF_SF_EEEEhNS9_4plusIvEEhEEDaPvRmT3_T4_T5_mT6_P12ihipStream_tbENKUlT_T0_E_clISt17integral_constantIbLb1EESY_IbLb0EEEEDaSU_SV_EUlSU_E_NS1_11comp_targetILNS1_3genE0ELNS1_11target_archE4294967295ELNS1_3gpuE0ELNS1_3repE0EEENS1_30default_config_static_selectorELNS0_4arch9wavefront6targetE0EEEvT1_,comdat
	.protected	_ZN7rocprim17ROCPRIM_400000_NS6detail17trampoline_kernelINS0_14default_configENS1_20scan_config_selectorIhEEZZNS1_9scan_implILNS1_25lookback_scan_determinismE0ELb0ELb0ES3_N6thrust23THRUST_200600_302600_NS6detail15normal_iteratorINS9_7pointerIhNS9_11hip_rocprim5par_tENS9_11use_defaultESF_EEEENSB_INSC_IjSE_SF_SF_EEEEhNS9_4plusIvEEhEEDaPvRmT3_T4_T5_mT6_P12ihipStream_tbENKUlT_T0_E_clISt17integral_constantIbLb1EESY_IbLb0EEEEDaSU_SV_EUlSU_E_NS1_11comp_targetILNS1_3genE0ELNS1_11target_archE4294967295ELNS1_3gpuE0ELNS1_3repE0EEENS1_30default_config_static_selectorELNS0_4arch9wavefront6targetE0EEEvT1_ ; -- Begin function _ZN7rocprim17ROCPRIM_400000_NS6detail17trampoline_kernelINS0_14default_configENS1_20scan_config_selectorIhEEZZNS1_9scan_implILNS1_25lookback_scan_determinismE0ELb0ELb0ES3_N6thrust23THRUST_200600_302600_NS6detail15normal_iteratorINS9_7pointerIhNS9_11hip_rocprim5par_tENS9_11use_defaultESF_EEEENSB_INSC_IjSE_SF_SF_EEEEhNS9_4plusIvEEhEEDaPvRmT3_T4_T5_mT6_P12ihipStream_tbENKUlT_T0_E_clISt17integral_constantIbLb1EESY_IbLb0EEEEDaSU_SV_EUlSU_E_NS1_11comp_targetILNS1_3genE0ELNS1_11target_archE4294967295ELNS1_3gpuE0ELNS1_3repE0EEENS1_30default_config_static_selectorELNS0_4arch9wavefront6targetE0EEEvT1_
	.globl	_ZN7rocprim17ROCPRIM_400000_NS6detail17trampoline_kernelINS0_14default_configENS1_20scan_config_selectorIhEEZZNS1_9scan_implILNS1_25lookback_scan_determinismE0ELb0ELb0ES3_N6thrust23THRUST_200600_302600_NS6detail15normal_iteratorINS9_7pointerIhNS9_11hip_rocprim5par_tENS9_11use_defaultESF_EEEENSB_INSC_IjSE_SF_SF_EEEEhNS9_4plusIvEEhEEDaPvRmT3_T4_T5_mT6_P12ihipStream_tbENKUlT_T0_E_clISt17integral_constantIbLb1EESY_IbLb0EEEEDaSU_SV_EUlSU_E_NS1_11comp_targetILNS1_3genE0ELNS1_11target_archE4294967295ELNS1_3gpuE0ELNS1_3repE0EEENS1_30default_config_static_selectorELNS0_4arch9wavefront6targetE0EEEvT1_
	.p2align	8
	.type	_ZN7rocprim17ROCPRIM_400000_NS6detail17trampoline_kernelINS0_14default_configENS1_20scan_config_selectorIhEEZZNS1_9scan_implILNS1_25lookback_scan_determinismE0ELb0ELb0ES3_N6thrust23THRUST_200600_302600_NS6detail15normal_iteratorINS9_7pointerIhNS9_11hip_rocprim5par_tENS9_11use_defaultESF_EEEENSB_INSC_IjSE_SF_SF_EEEEhNS9_4plusIvEEhEEDaPvRmT3_T4_T5_mT6_P12ihipStream_tbENKUlT_T0_E_clISt17integral_constantIbLb1EESY_IbLb0EEEEDaSU_SV_EUlSU_E_NS1_11comp_targetILNS1_3genE0ELNS1_11target_archE4294967295ELNS1_3gpuE0ELNS1_3repE0EEENS1_30default_config_static_selectorELNS0_4arch9wavefront6targetE0EEEvT1_,@function
_ZN7rocprim17ROCPRIM_400000_NS6detail17trampoline_kernelINS0_14default_configENS1_20scan_config_selectorIhEEZZNS1_9scan_implILNS1_25lookback_scan_determinismE0ELb0ELb0ES3_N6thrust23THRUST_200600_302600_NS6detail15normal_iteratorINS9_7pointerIhNS9_11hip_rocprim5par_tENS9_11use_defaultESF_EEEENSB_INSC_IjSE_SF_SF_EEEEhNS9_4plusIvEEhEEDaPvRmT3_T4_T5_mT6_P12ihipStream_tbENKUlT_T0_E_clISt17integral_constantIbLb1EESY_IbLb0EEEEDaSU_SV_EUlSU_E_NS1_11comp_targetILNS1_3genE0ELNS1_11target_archE4294967295ELNS1_3gpuE0ELNS1_3repE0EEENS1_30default_config_static_selectorELNS0_4arch9wavefront6targetE0EEEvT1_: ; @_ZN7rocprim17ROCPRIM_400000_NS6detail17trampoline_kernelINS0_14default_configENS1_20scan_config_selectorIhEEZZNS1_9scan_implILNS1_25lookback_scan_determinismE0ELb0ELb0ES3_N6thrust23THRUST_200600_302600_NS6detail15normal_iteratorINS9_7pointerIhNS9_11hip_rocprim5par_tENS9_11use_defaultESF_EEEENSB_INSC_IjSE_SF_SF_EEEEhNS9_4plusIvEEhEEDaPvRmT3_T4_T5_mT6_P12ihipStream_tbENKUlT_T0_E_clISt17integral_constantIbLb1EESY_IbLb0EEEEDaSU_SV_EUlSU_E_NS1_11comp_targetILNS1_3genE0ELNS1_11target_archE4294967295ELNS1_3gpuE0ELNS1_3repE0EEENS1_30default_config_static_selectorELNS0_4arch9wavefront6targetE0EEEvT1_
; %bb.0:
	.section	.rodata,"a",@progbits
	.p2align	6, 0x0
	.amdhsa_kernel _ZN7rocprim17ROCPRIM_400000_NS6detail17trampoline_kernelINS0_14default_configENS1_20scan_config_selectorIhEEZZNS1_9scan_implILNS1_25lookback_scan_determinismE0ELb0ELb0ES3_N6thrust23THRUST_200600_302600_NS6detail15normal_iteratorINS9_7pointerIhNS9_11hip_rocprim5par_tENS9_11use_defaultESF_EEEENSB_INSC_IjSE_SF_SF_EEEEhNS9_4plusIvEEhEEDaPvRmT3_T4_T5_mT6_P12ihipStream_tbENKUlT_T0_E_clISt17integral_constantIbLb1EESY_IbLb0EEEEDaSU_SV_EUlSU_E_NS1_11comp_targetILNS1_3genE0ELNS1_11target_archE4294967295ELNS1_3gpuE0ELNS1_3repE0EEENS1_30default_config_static_selectorELNS0_4arch9wavefront6targetE0EEEvT1_
		.amdhsa_group_segment_fixed_size 0
		.amdhsa_private_segment_fixed_size 0
		.amdhsa_kernarg_size 96
		.amdhsa_user_sgpr_count 15
		.amdhsa_user_sgpr_dispatch_ptr 0
		.amdhsa_user_sgpr_queue_ptr 0
		.amdhsa_user_sgpr_kernarg_segment_ptr 1
		.amdhsa_user_sgpr_dispatch_id 0
		.amdhsa_user_sgpr_private_segment_size 0
		.amdhsa_wavefront_size32 1
		.amdhsa_uses_dynamic_stack 0
		.amdhsa_enable_private_segment 0
		.amdhsa_system_sgpr_workgroup_id_x 1
		.amdhsa_system_sgpr_workgroup_id_y 0
		.amdhsa_system_sgpr_workgroup_id_z 0
		.amdhsa_system_sgpr_workgroup_info 0
		.amdhsa_system_vgpr_workitem_id 0
		.amdhsa_next_free_vgpr 1
		.amdhsa_next_free_sgpr 1
		.amdhsa_reserve_vcc 0
		.amdhsa_float_round_mode_32 0
		.amdhsa_float_round_mode_16_64 0
		.amdhsa_float_denorm_mode_32 3
		.amdhsa_float_denorm_mode_16_64 3
		.amdhsa_dx10_clamp 1
		.amdhsa_ieee_mode 1
		.amdhsa_fp16_overflow 0
		.amdhsa_workgroup_processor_mode 1
		.amdhsa_memory_ordered 1
		.amdhsa_forward_progress 0
		.amdhsa_shared_vgpr_count 0
		.amdhsa_exception_fp_ieee_invalid_op 0
		.amdhsa_exception_fp_denorm_src 0
		.amdhsa_exception_fp_ieee_div_zero 0
		.amdhsa_exception_fp_ieee_overflow 0
		.amdhsa_exception_fp_ieee_underflow 0
		.amdhsa_exception_fp_ieee_inexact 0
		.amdhsa_exception_int_div_zero 0
	.end_amdhsa_kernel
	.section	.text._ZN7rocprim17ROCPRIM_400000_NS6detail17trampoline_kernelINS0_14default_configENS1_20scan_config_selectorIhEEZZNS1_9scan_implILNS1_25lookback_scan_determinismE0ELb0ELb0ES3_N6thrust23THRUST_200600_302600_NS6detail15normal_iteratorINS9_7pointerIhNS9_11hip_rocprim5par_tENS9_11use_defaultESF_EEEENSB_INSC_IjSE_SF_SF_EEEEhNS9_4plusIvEEhEEDaPvRmT3_T4_T5_mT6_P12ihipStream_tbENKUlT_T0_E_clISt17integral_constantIbLb1EESY_IbLb0EEEEDaSU_SV_EUlSU_E_NS1_11comp_targetILNS1_3genE0ELNS1_11target_archE4294967295ELNS1_3gpuE0ELNS1_3repE0EEENS1_30default_config_static_selectorELNS0_4arch9wavefront6targetE0EEEvT1_,"axG",@progbits,_ZN7rocprim17ROCPRIM_400000_NS6detail17trampoline_kernelINS0_14default_configENS1_20scan_config_selectorIhEEZZNS1_9scan_implILNS1_25lookback_scan_determinismE0ELb0ELb0ES3_N6thrust23THRUST_200600_302600_NS6detail15normal_iteratorINS9_7pointerIhNS9_11hip_rocprim5par_tENS9_11use_defaultESF_EEEENSB_INSC_IjSE_SF_SF_EEEEhNS9_4plusIvEEhEEDaPvRmT3_T4_T5_mT6_P12ihipStream_tbENKUlT_T0_E_clISt17integral_constantIbLb1EESY_IbLb0EEEEDaSU_SV_EUlSU_E_NS1_11comp_targetILNS1_3genE0ELNS1_11target_archE4294967295ELNS1_3gpuE0ELNS1_3repE0EEENS1_30default_config_static_selectorELNS0_4arch9wavefront6targetE0EEEvT1_,comdat
.Lfunc_end150:
	.size	_ZN7rocprim17ROCPRIM_400000_NS6detail17trampoline_kernelINS0_14default_configENS1_20scan_config_selectorIhEEZZNS1_9scan_implILNS1_25lookback_scan_determinismE0ELb0ELb0ES3_N6thrust23THRUST_200600_302600_NS6detail15normal_iteratorINS9_7pointerIhNS9_11hip_rocprim5par_tENS9_11use_defaultESF_EEEENSB_INSC_IjSE_SF_SF_EEEEhNS9_4plusIvEEhEEDaPvRmT3_T4_T5_mT6_P12ihipStream_tbENKUlT_T0_E_clISt17integral_constantIbLb1EESY_IbLb0EEEEDaSU_SV_EUlSU_E_NS1_11comp_targetILNS1_3genE0ELNS1_11target_archE4294967295ELNS1_3gpuE0ELNS1_3repE0EEENS1_30default_config_static_selectorELNS0_4arch9wavefront6targetE0EEEvT1_, .Lfunc_end150-_ZN7rocprim17ROCPRIM_400000_NS6detail17trampoline_kernelINS0_14default_configENS1_20scan_config_selectorIhEEZZNS1_9scan_implILNS1_25lookback_scan_determinismE0ELb0ELb0ES3_N6thrust23THRUST_200600_302600_NS6detail15normal_iteratorINS9_7pointerIhNS9_11hip_rocprim5par_tENS9_11use_defaultESF_EEEENSB_INSC_IjSE_SF_SF_EEEEhNS9_4plusIvEEhEEDaPvRmT3_T4_T5_mT6_P12ihipStream_tbENKUlT_T0_E_clISt17integral_constantIbLb1EESY_IbLb0EEEEDaSU_SV_EUlSU_E_NS1_11comp_targetILNS1_3genE0ELNS1_11target_archE4294967295ELNS1_3gpuE0ELNS1_3repE0EEENS1_30default_config_static_selectorELNS0_4arch9wavefront6targetE0EEEvT1_
                                        ; -- End function
	.section	.AMDGPU.csdata,"",@progbits
; Kernel info:
; codeLenInByte = 0
; NumSgprs: 0
; NumVgprs: 0
; ScratchSize: 0
; MemoryBound: 0
; FloatMode: 240
; IeeeMode: 1
; LDSByteSize: 0 bytes/workgroup (compile time only)
; SGPRBlocks: 0
; VGPRBlocks: 0
; NumSGPRsForWavesPerEU: 1
; NumVGPRsForWavesPerEU: 1
; Occupancy: 16
; WaveLimiterHint : 0
; COMPUTE_PGM_RSRC2:SCRATCH_EN: 0
; COMPUTE_PGM_RSRC2:USER_SGPR: 15
; COMPUTE_PGM_RSRC2:TRAP_HANDLER: 0
; COMPUTE_PGM_RSRC2:TGID_X_EN: 1
; COMPUTE_PGM_RSRC2:TGID_Y_EN: 0
; COMPUTE_PGM_RSRC2:TGID_Z_EN: 0
; COMPUTE_PGM_RSRC2:TIDIG_COMP_CNT: 0
	.section	.text._ZN7rocprim17ROCPRIM_400000_NS6detail17trampoline_kernelINS0_14default_configENS1_20scan_config_selectorIhEEZZNS1_9scan_implILNS1_25lookback_scan_determinismE0ELb0ELb0ES3_N6thrust23THRUST_200600_302600_NS6detail15normal_iteratorINS9_7pointerIhNS9_11hip_rocprim5par_tENS9_11use_defaultESF_EEEENSB_INSC_IjSE_SF_SF_EEEEhNS9_4plusIvEEhEEDaPvRmT3_T4_T5_mT6_P12ihipStream_tbENKUlT_T0_E_clISt17integral_constantIbLb1EESY_IbLb0EEEEDaSU_SV_EUlSU_E_NS1_11comp_targetILNS1_3genE5ELNS1_11target_archE942ELNS1_3gpuE9ELNS1_3repE0EEENS1_30default_config_static_selectorELNS0_4arch9wavefront6targetE0EEEvT1_,"axG",@progbits,_ZN7rocprim17ROCPRIM_400000_NS6detail17trampoline_kernelINS0_14default_configENS1_20scan_config_selectorIhEEZZNS1_9scan_implILNS1_25lookback_scan_determinismE0ELb0ELb0ES3_N6thrust23THRUST_200600_302600_NS6detail15normal_iteratorINS9_7pointerIhNS9_11hip_rocprim5par_tENS9_11use_defaultESF_EEEENSB_INSC_IjSE_SF_SF_EEEEhNS9_4plusIvEEhEEDaPvRmT3_T4_T5_mT6_P12ihipStream_tbENKUlT_T0_E_clISt17integral_constantIbLb1EESY_IbLb0EEEEDaSU_SV_EUlSU_E_NS1_11comp_targetILNS1_3genE5ELNS1_11target_archE942ELNS1_3gpuE9ELNS1_3repE0EEENS1_30default_config_static_selectorELNS0_4arch9wavefront6targetE0EEEvT1_,comdat
	.protected	_ZN7rocprim17ROCPRIM_400000_NS6detail17trampoline_kernelINS0_14default_configENS1_20scan_config_selectorIhEEZZNS1_9scan_implILNS1_25lookback_scan_determinismE0ELb0ELb0ES3_N6thrust23THRUST_200600_302600_NS6detail15normal_iteratorINS9_7pointerIhNS9_11hip_rocprim5par_tENS9_11use_defaultESF_EEEENSB_INSC_IjSE_SF_SF_EEEEhNS9_4plusIvEEhEEDaPvRmT3_T4_T5_mT6_P12ihipStream_tbENKUlT_T0_E_clISt17integral_constantIbLb1EESY_IbLb0EEEEDaSU_SV_EUlSU_E_NS1_11comp_targetILNS1_3genE5ELNS1_11target_archE942ELNS1_3gpuE9ELNS1_3repE0EEENS1_30default_config_static_selectorELNS0_4arch9wavefront6targetE0EEEvT1_ ; -- Begin function _ZN7rocprim17ROCPRIM_400000_NS6detail17trampoline_kernelINS0_14default_configENS1_20scan_config_selectorIhEEZZNS1_9scan_implILNS1_25lookback_scan_determinismE0ELb0ELb0ES3_N6thrust23THRUST_200600_302600_NS6detail15normal_iteratorINS9_7pointerIhNS9_11hip_rocprim5par_tENS9_11use_defaultESF_EEEENSB_INSC_IjSE_SF_SF_EEEEhNS9_4plusIvEEhEEDaPvRmT3_T4_T5_mT6_P12ihipStream_tbENKUlT_T0_E_clISt17integral_constantIbLb1EESY_IbLb0EEEEDaSU_SV_EUlSU_E_NS1_11comp_targetILNS1_3genE5ELNS1_11target_archE942ELNS1_3gpuE9ELNS1_3repE0EEENS1_30default_config_static_selectorELNS0_4arch9wavefront6targetE0EEEvT1_
	.globl	_ZN7rocprim17ROCPRIM_400000_NS6detail17trampoline_kernelINS0_14default_configENS1_20scan_config_selectorIhEEZZNS1_9scan_implILNS1_25lookback_scan_determinismE0ELb0ELb0ES3_N6thrust23THRUST_200600_302600_NS6detail15normal_iteratorINS9_7pointerIhNS9_11hip_rocprim5par_tENS9_11use_defaultESF_EEEENSB_INSC_IjSE_SF_SF_EEEEhNS9_4plusIvEEhEEDaPvRmT3_T4_T5_mT6_P12ihipStream_tbENKUlT_T0_E_clISt17integral_constantIbLb1EESY_IbLb0EEEEDaSU_SV_EUlSU_E_NS1_11comp_targetILNS1_3genE5ELNS1_11target_archE942ELNS1_3gpuE9ELNS1_3repE0EEENS1_30default_config_static_selectorELNS0_4arch9wavefront6targetE0EEEvT1_
	.p2align	8
	.type	_ZN7rocprim17ROCPRIM_400000_NS6detail17trampoline_kernelINS0_14default_configENS1_20scan_config_selectorIhEEZZNS1_9scan_implILNS1_25lookback_scan_determinismE0ELb0ELb0ES3_N6thrust23THRUST_200600_302600_NS6detail15normal_iteratorINS9_7pointerIhNS9_11hip_rocprim5par_tENS9_11use_defaultESF_EEEENSB_INSC_IjSE_SF_SF_EEEEhNS9_4plusIvEEhEEDaPvRmT3_T4_T5_mT6_P12ihipStream_tbENKUlT_T0_E_clISt17integral_constantIbLb1EESY_IbLb0EEEEDaSU_SV_EUlSU_E_NS1_11comp_targetILNS1_3genE5ELNS1_11target_archE942ELNS1_3gpuE9ELNS1_3repE0EEENS1_30default_config_static_selectorELNS0_4arch9wavefront6targetE0EEEvT1_,@function
_ZN7rocprim17ROCPRIM_400000_NS6detail17trampoline_kernelINS0_14default_configENS1_20scan_config_selectorIhEEZZNS1_9scan_implILNS1_25lookback_scan_determinismE0ELb0ELb0ES3_N6thrust23THRUST_200600_302600_NS6detail15normal_iteratorINS9_7pointerIhNS9_11hip_rocprim5par_tENS9_11use_defaultESF_EEEENSB_INSC_IjSE_SF_SF_EEEEhNS9_4plusIvEEhEEDaPvRmT3_T4_T5_mT6_P12ihipStream_tbENKUlT_T0_E_clISt17integral_constantIbLb1EESY_IbLb0EEEEDaSU_SV_EUlSU_E_NS1_11comp_targetILNS1_3genE5ELNS1_11target_archE942ELNS1_3gpuE9ELNS1_3repE0EEENS1_30default_config_static_selectorELNS0_4arch9wavefront6targetE0EEEvT1_: ; @_ZN7rocprim17ROCPRIM_400000_NS6detail17trampoline_kernelINS0_14default_configENS1_20scan_config_selectorIhEEZZNS1_9scan_implILNS1_25lookback_scan_determinismE0ELb0ELb0ES3_N6thrust23THRUST_200600_302600_NS6detail15normal_iteratorINS9_7pointerIhNS9_11hip_rocprim5par_tENS9_11use_defaultESF_EEEENSB_INSC_IjSE_SF_SF_EEEEhNS9_4plusIvEEhEEDaPvRmT3_T4_T5_mT6_P12ihipStream_tbENKUlT_T0_E_clISt17integral_constantIbLb1EESY_IbLb0EEEEDaSU_SV_EUlSU_E_NS1_11comp_targetILNS1_3genE5ELNS1_11target_archE942ELNS1_3gpuE9ELNS1_3repE0EEENS1_30default_config_static_selectorELNS0_4arch9wavefront6targetE0EEEvT1_
; %bb.0:
	.section	.rodata,"a",@progbits
	.p2align	6, 0x0
	.amdhsa_kernel _ZN7rocprim17ROCPRIM_400000_NS6detail17trampoline_kernelINS0_14default_configENS1_20scan_config_selectorIhEEZZNS1_9scan_implILNS1_25lookback_scan_determinismE0ELb0ELb0ES3_N6thrust23THRUST_200600_302600_NS6detail15normal_iteratorINS9_7pointerIhNS9_11hip_rocprim5par_tENS9_11use_defaultESF_EEEENSB_INSC_IjSE_SF_SF_EEEEhNS9_4plusIvEEhEEDaPvRmT3_T4_T5_mT6_P12ihipStream_tbENKUlT_T0_E_clISt17integral_constantIbLb1EESY_IbLb0EEEEDaSU_SV_EUlSU_E_NS1_11comp_targetILNS1_3genE5ELNS1_11target_archE942ELNS1_3gpuE9ELNS1_3repE0EEENS1_30default_config_static_selectorELNS0_4arch9wavefront6targetE0EEEvT1_
		.amdhsa_group_segment_fixed_size 0
		.amdhsa_private_segment_fixed_size 0
		.amdhsa_kernarg_size 96
		.amdhsa_user_sgpr_count 15
		.amdhsa_user_sgpr_dispatch_ptr 0
		.amdhsa_user_sgpr_queue_ptr 0
		.amdhsa_user_sgpr_kernarg_segment_ptr 1
		.amdhsa_user_sgpr_dispatch_id 0
		.amdhsa_user_sgpr_private_segment_size 0
		.amdhsa_wavefront_size32 1
		.amdhsa_uses_dynamic_stack 0
		.amdhsa_enable_private_segment 0
		.amdhsa_system_sgpr_workgroup_id_x 1
		.amdhsa_system_sgpr_workgroup_id_y 0
		.amdhsa_system_sgpr_workgroup_id_z 0
		.amdhsa_system_sgpr_workgroup_info 0
		.amdhsa_system_vgpr_workitem_id 0
		.amdhsa_next_free_vgpr 1
		.amdhsa_next_free_sgpr 1
		.amdhsa_reserve_vcc 0
		.amdhsa_float_round_mode_32 0
		.amdhsa_float_round_mode_16_64 0
		.amdhsa_float_denorm_mode_32 3
		.amdhsa_float_denorm_mode_16_64 3
		.amdhsa_dx10_clamp 1
		.amdhsa_ieee_mode 1
		.amdhsa_fp16_overflow 0
		.amdhsa_workgroup_processor_mode 1
		.amdhsa_memory_ordered 1
		.amdhsa_forward_progress 0
		.amdhsa_shared_vgpr_count 0
		.amdhsa_exception_fp_ieee_invalid_op 0
		.amdhsa_exception_fp_denorm_src 0
		.amdhsa_exception_fp_ieee_div_zero 0
		.amdhsa_exception_fp_ieee_overflow 0
		.amdhsa_exception_fp_ieee_underflow 0
		.amdhsa_exception_fp_ieee_inexact 0
		.amdhsa_exception_int_div_zero 0
	.end_amdhsa_kernel
	.section	.text._ZN7rocprim17ROCPRIM_400000_NS6detail17trampoline_kernelINS0_14default_configENS1_20scan_config_selectorIhEEZZNS1_9scan_implILNS1_25lookback_scan_determinismE0ELb0ELb0ES3_N6thrust23THRUST_200600_302600_NS6detail15normal_iteratorINS9_7pointerIhNS9_11hip_rocprim5par_tENS9_11use_defaultESF_EEEENSB_INSC_IjSE_SF_SF_EEEEhNS9_4plusIvEEhEEDaPvRmT3_T4_T5_mT6_P12ihipStream_tbENKUlT_T0_E_clISt17integral_constantIbLb1EESY_IbLb0EEEEDaSU_SV_EUlSU_E_NS1_11comp_targetILNS1_3genE5ELNS1_11target_archE942ELNS1_3gpuE9ELNS1_3repE0EEENS1_30default_config_static_selectorELNS0_4arch9wavefront6targetE0EEEvT1_,"axG",@progbits,_ZN7rocprim17ROCPRIM_400000_NS6detail17trampoline_kernelINS0_14default_configENS1_20scan_config_selectorIhEEZZNS1_9scan_implILNS1_25lookback_scan_determinismE0ELb0ELb0ES3_N6thrust23THRUST_200600_302600_NS6detail15normal_iteratorINS9_7pointerIhNS9_11hip_rocprim5par_tENS9_11use_defaultESF_EEEENSB_INSC_IjSE_SF_SF_EEEEhNS9_4plusIvEEhEEDaPvRmT3_T4_T5_mT6_P12ihipStream_tbENKUlT_T0_E_clISt17integral_constantIbLb1EESY_IbLb0EEEEDaSU_SV_EUlSU_E_NS1_11comp_targetILNS1_3genE5ELNS1_11target_archE942ELNS1_3gpuE9ELNS1_3repE0EEENS1_30default_config_static_selectorELNS0_4arch9wavefront6targetE0EEEvT1_,comdat
.Lfunc_end151:
	.size	_ZN7rocprim17ROCPRIM_400000_NS6detail17trampoline_kernelINS0_14default_configENS1_20scan_config_selectorIhEEZZNS1_9scan_implILNS1_25lookback_scan_determinismE0ELb0ELb0ES3_N6thrust23THRUST_200600_302600_NS6detail15normal_iteratorINS9_7pointerIhNS9_11hip_rocprim5par_tENS9_11use_defaultESF_EEEENSB_INSC_IjSE_SF_SF_EEEEhNS9_4plusIvEEhEEDaPvRmT3_T4_T5_mT6_P12ihipStream_tbENKUlT_T0_E_clISt17integral_constantIbLb1EESY_IbLb0EEEEDaSU_SV_EUlSU_E_NS1_11comp_targetILNS1_3genE5ELNS1_11target_archE942ELNS1_3gpuE9ELNS1_3repE0EEENS1_30default_config_static_selectorELNS0_4arch9wavefront6targetE0EEEvT1_, .Lfunc_end151-_ZN7rocprim17ROCPRIM_400000_NS6detail17trampoline_kernelINS0_14default_configENS1_20scan_config_selectorIhEEZZNS1_9scan_implILNS1_25lookback_scan_determinismE0ELb0ELb0ES3_N6thrust23THRUST_200600_302600_NS6detail15normal_iteratorINS9_7pointerIhNS9_11hip_rocprim5par_tENS9_11use_defaultESF_EEEENSB_INSC_IjSE_SF_SF_EEEEhNS9_4plusIvEEhEEDaPvRmT3_T4_T5_mT6_P12ihipStream_tbENKUlT_T0_E_clISt17integral_constantIbLb1EESY_IbLb0EEEEDaSU_SV_EUlSU_E_NS1_11comp_targetILNS1_3genE5ELNS1_11target_archE942ELNS1_3gpuE9ELNS1_3repE0EEENS1_30default_config_static_selectorELNS0_4arch9wavefront6targetE0EEEvT1_
                                        ; -- End function
	.section	.AMDGPU.csdata,"",@progbits
; Kernel info:
; codeLenInByte = 0
; NumSgprs: 0
; NumVgprs: 0
; ScratchSize: 0
; MemoryBound: 0
; FloatMode: 240
; IeeeMode: 1
; LDSByteSize: 0 bytes/workgroup (compile time only)
; SGPRBlocks: 0
; VGPRBlocks: 0
; NumSGPRsForWavesPerEU: 1
; NumVGPRsForWavesPerEU: 1
; Occupancy: 16
; WaveLimiterHint : 0
; COMPUTE_PGM_RSRC2:SCRATCH_EN: 0
; COMPUTE_PGM_RSRC2:USER_SGPR: 15
; COMPUTE_PGM_RSRC2:TRAP_HANDLER: 0
; COMPUTE_PGM_RSRC2:TGID_X_EN: 1
; COMPUTE_PGM_RSRC2:TGID_Y_EN: 0
; COMPUTE_PGM_RSRC2:TGID_Z_EN: 0
; COMPUTE_PGM_RSRC2:TIDIG_COMP_CNT: 0
	.section	.text._ZN7rocprim17ROCPRIM_400000_NS6detail17trampoline_kernelINS0_14default_configENS1_20scan_config_selectorIhEEZZNS1_9scan_implILNS1_25lookback_scan_determinismE0ELb0ELb0ES3_N6thrust23THRUST_200600_302600_NS6detail15normal_iteratorINS9_7pointerIhNS9_11hip_rocprim5par_tENS9_11use_defaultESF_EEEENSB_INSC_IjSE_SF_SF_EEEEhNS9_4plusIvEEhEEDaPvRmT3_T4_T5_mT6_P12ihipStream_tbENKUlT_T0_E_clISt17integral_constantIbLb1EESY_IbLb0EEEEDaSU_SV_EUlSU_E_NS1_11comp_targetILNS1_3genE4ELNS1_11target_archE910ELNS1_3gpuE8ELNS1_3repE0EEENS1_30default_config_static_selectorELNS0_4arch9wavefront6targetE0EEEvT1_,"axG",@progbits,_ZN7rocprim17ROCPRIM_400000_NS6detail17trampoline_kernelINS0_14default_configENS1_20scan_config_selectorIhEEZZNS1_9scan_implILNS1_25lookback_scan_determinismE0ELb0ELb0ES3_N6thrust23THRUST_200600_302600_NS6detail15normal_iteratorINS9_7pointerIhNS9_11hip_rocprim5par_tENS9_11use_defaultESF_EEEENSB_INSC_IjSE_SF_SF_EEEEhNS9_4plusIvEEhEEDaPvRmT3_T4_T5_mT6_P12ihipStream_tbENKUlT_T0_E_clISt17integral_constantIbLb1EESY_IbLb0EEEEDaSU_SV_EUlSU_E_NS1_11comp_targetILNS1_3genE4ELNS1_11target_archE910ELNS1_3gpuE8ELNS1_3repE0EEENS1_30default_config_static_selectorELNS0_4arch9wavefront6targetE0EEEvT1_,comdat
	.protected	_ZN7rocprim17ROCPRIM_400000_NS6detail17trampoline_kernelINS0_14default_configENS1_20scan_config_selectorIhEEZZNS1_9scan_implILNS1_25lookback_scan_determinismE0ELb0ELb0ES3_N6thrust23THRUST_200600_302600_NS6detail15normal_iteratorINS9_7pointerIhNS9_11hip_rocprim5par_tENS9_11use_defaultESF_EEEENSB_INSC_IjSE_SF_SF_EEEEhNS9_4plusIvEEhEEDaPvRmT3_T4_T5_mT6_P12ihipStream_tbENKUlT_T0_E_clISt17integral_constantIbLb1EESY_IbLb0EEEEDaSU_SV_EUlSU_E_NS1_11comp_targetILNS1_3genE4ELNS1_11target_archE910ELNS1_3gpuE8ELNS1_3repE0EEENS1_30default_config_static_selectorELNS0_4arch9wavefront6targetE0EEEvT1_ ; -- Begin function _ZN7rocprim17ROCPRIM_400000_NS6detail17trampoline_kernelINS0_14default_configENS1_20scan_config_selectorIhEEZZNS1_9scan_implILNS1_25lookback_scan_determinismE0ELb0ELb0ES3_N6thrust23THRUST_200600_302600_NS6detail15normal_iteratorINS9_7pointerIhNS9_11hip_rocprim5par_tENS9_11use_defaultESF_EEEENSB_INSC_IjSE_SF_SF_EEEEhNS9_4plusIvEEhEEDaPvRmT3_T4_T5_mT6_P12ihipStream_tbENKUlT_T0_E_clISt17integral_constantIbLb1EESY_IbLb0EEEEDaSU_SV_EUlSU_E_NS1_11comp_targetILNS1_3genE4ELNS1_11target_archE910ELNS1_3gpuE8ELNS1_3repE0EEENS1_30default_config_static_selectorELNS0_4arch9wavefront6targetE0EEEvT1_
	.globl	_ZN7rocprim17ROCPRIM_400000_NS6detail17trampoline_kernelINS0_14default_configENS1_20scan_config_selectorIhEEZZNS1_9scan_implILNS1_25lookback_scan_determinismE0ELb0ELb0ES3_N6thrust23THRUST_200600_302600_NS6detail15normal_iteratorINS9_7pointerIhNS9_11hip_rocprim5par_tENS9_11use_defaultESF_EEEENSB_INSC_IjSE_SF_SF_EEEEhNS9_4plusIvEEhEEDaPvRmT3_T4_T5_mT6_P12ihipStream_tbENKUlT_T0_E_clISt17integral_constantIbLb1EESY_IbLb0EEEEDaSU_SV_EUlSU_E_NS1_11comp_targetILNS1_3genE4ELNS1_11target_archE910ELNS1_3gpuE8ELNS1_3repE0EEENS1_30default_config_static_selectorELNS0_4arch9wavefront6targetE0EEEvT1_
	.p2align	8
	.type	_ZN7rocprim17ROCPRIM_400000_NS6detail17trampoline_kernelINS0_14default_configENS1_20scan_config_selectorIhEEZZNS1_9scan_implILNS1_25lookback_scan_determinismE0ELb0ELb0ES3_N6thrust23THRUST_200600_302600_NS6detail15normal_iteratorINS9_7pointerIhNS9_11hip_rocprim5par_tENS9_11use_defaultESF_EEEENSB_INSC_IjSE_SF_SF_EEEEhNS9_4plusIvEEhEEDaPvRmT3_T4_T5_mT6_P12ihipStream_tbENKUlT_T0_E_clISt17integral_constantIbLb1EESY_IbLb0EEEEDaSU_SV_EUlSU_E_NS1_11comp_targetILNS1_3genE4ELNS1_11target_archE910ELNS1_3gpuE8ELNS1_3repE0EEENS1_30default_config_static_selectorELNS0_4arch9wavefront6targetE0EEEvT1_,@function
_ZN7rocprim17ROCPRIM_400000_NS6detail17trampoline_kernelINS0_14default_configENS1_20scan_config_selectorIhEEZZNS1_9scan_implILNS1_25lookback_scan_determinismE0ELb0ELb0ES3_N6thrust23THRUST_200600_302600_NS6detail15normal_iteratorINS9_7pointerIhNS9_11hip_rocprim5par_tENS9_11use_defaultESF_EEEENSB_INSC_IjSE_SF_SF_EEEEhNS9_4plusIvEEhEEDaPvRmT3_T4_T5_mT6_P12ihipStream_tbENKUlT_T0_E_clISt17integral_constantIbLb1EESY_IbLb0EEEEDaSU_SV_EUlSU_E_NS1_11comp_targetILNS1_3genE4ELNS1_11target_archE910ELNS1_3gpuE8ELNS1_3repE0EEENS1_30default_config_static_selectorELNS0_4arch9wavefront6targetE0EEEvT1_: ; @_ZN7rocprim17ROCPRIM_400000_NS6detail17trampoline_kernelINS0_14default_configENS1_20scan_config_selectorIhEEZZNS1_9scan_implILNS1_25lookback_scan_determinismE0ELb0ELb0ES3_N6thrust23THRUST_200600_302600_NS6detail15normal_iteratorINS9_7pointerIhNS9_11hip_rocprim5par_tENS9_11use_defaultESF_EEEENSB_INSC_IjSE_SF_SF_EEEEhNS9_4plusIvEEhEEDaPvRmT3_T4_T5_mT6_P12ihipStream_tbENKUlT_T0_E_clISt17integral_constantIbLb1EESY_IbLb0EEEEDaSU_SV_EUlSU_E_NS1_11comp_targetILNS1_3genE4ELNS1_11target_archE910ELNS1_3gpuE8ELNS1_3repE0EEENS1_30default_config_static_selectorELNS0_4arch9wavefront6targetE0EEEvT1_
; %bb.0:
	.section	.rodata,"a",@progbits
	.p2align	6, 0x0
	.amdhsa_kernel _ZN7rocprim17ROCPRIM_400000_NS6detail17trampoline_kernelINS0_14default_configENS1_20scan_config_selectorIhEEZZNS1_9scan_implILNS1_25lookback_scan_determinismE0ELb0ELb0ES3_N6thrust23THRUST_200600_302600_NS6detail15normal_iteratorINS9_7pointerIhNS9_11hip_rocprim5par_tENS9_11use_defaultESF_EEEENSB_INSC_IjSE_SF_SF_EEEEhNS9_4plusIvEEhEEDaPvRmT3_T4_T5_mT6_P12ihipStream_tbENKUlT_T0_E_clISt17integral_constantIbLb1EESY_IbLb0EEEEDaSU_SV_EUlSU_E_NS1_11comp_targetILNS1_3genE4ELNS1_11target_archE910ELNS1_3gpuE8ELNS1_3repE0EEENS1_30default_config_static_selectorELNS0_4arch9wavefront6targetE0EEEvT1_
		.amdhsa_group_segment_fixed_size 0
		.amdhsa_private_segment_fixed_size 0
		.amdhsa_kernarg_size 96
		.amdhsa_user_sgpr_count 15
		.amdhsa_user_sgpr_dispatch_ptr 0
		.amdhsa_user_sgpr_queue_ptr 0
		.amdhsa_user_sgpr_kernarg_segment_ptr 1
		.amdhsa_user_sgpr_dispatch_id 0
		.amdhsa_user_sgpr_private_segment_size 0
		.amdhsa_wavefront_size32 1
		.amdhsa_uses_dynamic_stack 0
		.amdhsa_enable_private_segment 0
		.amdhsa_system_sgpr_workgroup_id_x 1
		.amdhsa_system_sgpr_workgroup_id_y 0
		.amdhsa_system_sgpr_workgroup_id_z 0
		.amdhsa_system_sgpr_workgroup_info 0
		.amdhsa_system_vgpr_workitem_id 0
		.amdhsa_next_free_vgpr 1
		.amdhsa_next_free_sgpr 1
		.amdhsa_reserve_vcc 0
		.amdhsa_float_round_mode_32 0
		.amdhsa_float_round_mode_16_64 0
		.amdhsa_float_denorm_mode_32 3
		.amdhsa_float_denorm_mode_16_64 3
		.amdhsa_dx10_clamp 1
		.amdhsa_ieee_mode 1
		.amdhsa_fp16_overflow 0
		.amdhsa_workgroup_processor_mode 1
		.amdhsa_memory_ordered 1
		.amdhsa_forward_progress 0
		.amdhsa_shared_vgpr_count 0
		.amdhsa_exception_fp_ieee_invalid_op 0
		.amdhsa_exception_fp_denorm_src 0
		.amdhsa_exception_fp_ieee_div_zero 0
		.amdhsa_exception_fp_ieee_overflow 0
		.amdhsa_exception_fp_ieee_underflow 0
		.amdhsa_exception_fp_ieee_inexact 0
		.amdhsa_exception_int_div_zero 0
	.end_amdhsa_kernel
	.section	.text._ZN7rocprim17ROCPRIM_400000_NS6detail17trampoline_kernelINS0_14default_configENS1_20scan_config_selectorIhEEZZNS1_9scan_implILNS1_25lookback_scan_determinismE0ELb0ELb0ES3_N6thrust23THRUST_200600_302600_NS6detail15normal_iteratorINS9_7pointerIhNS9_11hip_rocprim5par_tENS9_11use_defaultESF_EEEENSB_INSC_IjSE_SF_SF_EEEEhNS9_4plusIvEEhEEDaPvRmT3_T4_T5_mT6_P12ihipStream_tbENKUlT_T0_E_clISt17integral_constantIbLb1EESY_IbLb0EEEEDaSU_SV_EUlSU_E_NS1_11comp_targetILNS1_3genE4ELNS1_11target_archE910ELNS1_3gpuE8ELNS1_3repE0EEENS1_30default_config_static_selectorELNS0_4arch9wavefront6targetE0EEEvT1_,"axG",@progbits,_ZN7rocprim17ROCPRIM_400000_NS6detail17trampoline_kernelINS0_14default_configENS1_20scan_config_selectorIhEEZZNS1_9scan_implILNS1_25lookback_scan_determinismE0ELb0ELb0ES3_N6thrust23THRUST_200600_302600_NS6detail15normal_iteratorINS9_7pointerIhNS9_11hip_rocprim5par_tENS9_11use_defaultESF_EEEENSB_INSC_IjSE_SF_SF_EEEEhNS9_4plusIvEEhEEDaPvRmT3_T4_T5_mT6_P12ihipStream_tbENKUlT_T0_E_clISt17integral_constantIbLb1EESY_IbLb0EEEEDaSU_SV_EUlSU_E_NS1_11comp_targetILNS1_3genE4ELNS1_11target_archE910ELNS1_3gpuE8ELNS1_3repE0EEENS1_30default_config_static_selectorELNS0_4arch9wavefront6targetE0EEEvT1_,comdat
.Lfunc_end152:
	.size	_ZN7rocprim17ROCPRIM_400000_NS6detail17trampoline_kernelINS0_14default_configENS1_20scan_config_selectorIhEEZZNS1_9scan_implILNS1_25lookback_scan_determinismE0ELb0ELb0ES3_N6thrust23THRUST_200600_302600_NS6detail15normal_iteratorINS9_7pointerIhNS9_11hip_rocprim5par_tENS9_11use_defaultESF_EEEENSB_INSC_IjSE_SF_SF_EEEEhNS9_4plusIvEEhEEDaPvRmT3_T4_T5_mT6_P12ihipStream_tbENKUlT_T0_E_clISt17integral_constantIbLb1EESY_IbLb0EEEEDaSU_SV_EUlSU_E_NS1_11comp_targetILNS1_3genE4ELNS1_11target_archE910ELNS1_3gpuE8ELNS1_3repE0EEENS1_30default_config_static_selectorELNS0_4arch9wavefront6targetE0EEEvT1_, .Lfunc_end152-_ZN7rocprim17ROCPRIM_400000_NS6detail17trampoline_kernelINS0_14default_configENS1_20scan_config_selectorIhEEZZNS1_9scan_implILNS1_25lookback_scan_determinismE0ELb0ELb0ES3_N6thrust23THRUST_200600_302600_NS6detail15normal_iteratorINS9_7pointerIhNS9_11hip_rocprim5par_tENS9_11use_defaultESF_EEEENSB_INSC_IjSE_SF_SF_EEEEhNS9_4plusIvEEhEEDaPvRmT3_T4_T5_mT6_P12ihipStream_tbENKUlT_T0_E_clISt17integral_constantIbLb1EESY_IbLb0EEEEDaSU_SV_EUlSU_E_NS1_11comp_targetILNS1_3genE4ELNS1_11target_archE910ELNS1_3gpuE8ELNS1_3repE0EEENS1_30default_config_static_selectorELNS0_4arch9wavefront6targetE0EEEvT1_
                                        ; -- End function
	.section	.AMDGPU.csdata,"",@progbits
; Kernel info:
; codeLenInByte = 0
; NumSgprs: 0
; NumVgprs: 0
; ScratchSize: 0
; MemoryBound: 0
; FloatMode: 240
; IeeeMode: 1
; LDSByteSize: 0 bytes/workgroup (compile time only)
; SGPRBlocks: 0
; VGPRBlocks: 0
; NumSGPRsForWavesPerEU: 1
; NumVGPRsForWavesPerEU: 1
; Occupancy: 16
; WaveLimiterHint : 0
; COMPUTE_PGM_RSRC2:SCRATCH_EN: 0
; COMPUTE_PGM_RSRC2:USER_SGPR: 15
; COMPUTE_PGM_RSRC2:TRAP_HANDLER: 0
; COMPUTE_PGM_RSRC2:TGID_X_EN: 1
; COMPUTE_PGM_RSRC2:TGID_Y_EN: 0
; COMPUTE_PGM_RSRC2:TGID_Z_EN: 0
; COMPUTE_PGM_RSRC2:TIDIG_COMP_CNT: 0
	.section	.text._ZN7rocprim17ROCPRIM_400000_NS6detail17trampoline_kernelINS0_14default_configENS1_20scan_config_selectorIhEEZZNS1_9scan_implILNS1_25lookback_scan_determinismE0ELb0ELb0ES3_N6thrust23THRUST_200600_302600_NS6detail15normal_iteratorINS9_7pointerIhNS9_11hip_rocprim5par_tENS9_11use_defaultESF_EEEENSB_INSC_IjSE_SF_SF_EEEEhNS9_4plusIvEEhEEDaPvRmT3_T4_T5_mT6_P12ihipStream_tbENKUlT_T0_E_clISt17integral_constantIbLb1EESY_IbLb0EEEEDaSU_SV_EUlSU_E_NS1_11comp_targetILNS1_3genE3ELNS1_11target_archE908ELNS1_3gpuE7ELNS1_3repE0EEENS1_30default_config_static_selectorELNS0_4arch9wavefront6targetE0EEEvT1_,"axG",@progbits,_ZN7rocprim17ROCPRIM_400000_NS6detail17trampoline_kernelINS0_14default_configENS1_20scan_config_selectorIhEEZZNS1_9scan_implILNS1_25lookback_scan_determinismE0ELb0ELb0ES3_N6thrust23THRUST_200600_302600_NS6detail15normal_iteratorINS9_7pointerIhNS9_11hip_rocprim5par_tENS9_11use_defaultESF_EEEENSB_INSC_IjSE_SF_SF_EEEEhNS9_4plusIvEEhEEDaPvRmT3_T4_T5_mT6_P12ihipStream_tbENKUlT_T0_E_clISt17integral_constantIbLb1EESY_IbLb0EEEEDaSU_SV_EUlSU_E_NS1_11comp_targetILNS1_3genE3ELNS1_11target_archE908ELNS1_3gpuE7ELNS1_3repE0EEENS1_30default_config_static_selectorELNS0_4arch9wavefront6targetE0EEEvT1_,comdat
	.protected	_ZN7rocprim17ROCPRIM_400000_NS6detail17trampoline_kernelINS0_14default_configENS1_20scan_config_selectorIhEEZZNS1_9scan_implILNS1_25lookback_scan_determinismE0ELb0ELb0ES3_N6thrust23THRUST_200600_302600_NS6detail15normal_iteratorINS9_7pointerIhNS9_11hip_rocprim5par_tENS9_11use_defaultESF_EEEENSB_INSC_IjSE_SF_SF_EEEEhNS9_4plusIvEEhEEDaPvRmT3_T4_T5_mT6_P12ihipStream_tbENKUlT_T0_E_clISt17integral_constantIbLb1EESY_IbLb0EEEEDaSU_SV_EUlSU_E_NS1_11comp_targetILNS1_3genE3ELNS1_11target_archE908ELNS1_3gpuE7ELNS1_3repE0EEENS1_30default_config_static_selectorELNS0_4arch9wavefront6targetE0EEEvT1_ ; -- Begin function _ZN7rocprim17ROCPRIM_400000_NS6detail17trampoline_kernelINS0_14default_configENS1_20scan_config_selectorIhEEZZNS1_9scan_implILNS1_25lookback_scan_determinismE0ELb0ELb0ES3_N6thrust23THRUST_200600_302600_NS6detail15normal_iteratorINS9_7pointerIhNS9_11hip_rocprim5par_tENS9_11use_defaultESF_EEEENSB_INSC_IjSE_SF_SF_EEEEhNS9_4plusIvEEhEEDaPvRmT3_T4_T5_mT6_P12ihipStream_tbENKUlT_T0_E_clISt17integral_constantIbLb1EESY_IbLb0EEEEDaSU_SV_EUlSU_E_NS1_11comp_targetILNS1_3genE3ELNS1_11target_archE908ELNS1_3gpuE7ELNS1_3repE0EEENS1_30default_config_static_selectorELNS0_4arch9wavefront6targetE0EEEvT1_
	.globl	_ZN7rocprim17ROCPRIM_400000_NS6detail17trampoline_kernelINS0_14default_configENS1_20scan_config_selectorIhEEZZNS1_9scan_implILNS1_25lookback_scan_determinismE0ELb0ELb0ES3_N6thrust23THRUST_200600_302600_NS6detail15normal_iteratorINS9_7pointerIhNS9_11hip_rocprim5par_tENS9_11use_defaultESF_EEEENSB_INSC_IjSE_SF_SF_EEEEhNS9_4plusIvEEhEEDaPvRmT3_T4_T5_mT6_P12ihipStream_tbENKUlT_T0_E_clISt17integral_constantIbLb1EESY_IbLb0EEEEDaSU_SV_EUlSU_E_NS1_11comp_targetILNS1_3genE3ELNS1_11target_archE908ELNS1_3gpuE7ELNS1_3repE0EEENS1_30default_config_static_selectorELNS0_4arch9wavefront6targetE0EEEvT1_
	.p2align	8
	.type	_ZN7rocprim17ROCPRIM_400000_NS6detail17trampoline_kernelINS0_14default_configENS1_20scan_config_selectorIhEEZZNS1_9scan_implILNS1_25lookback_scan_determinismE0ELb0ELb0ES3_N6thrust23THRUST_200600_302600_NS6detail15normal_iteratorINS9_7pointerIhNS9_11hip_rocprim5par_tENS9_11use_defaultESF_EEEENSB_INSC_IjSE_SF_SF_EEEEhNS9_4plusIvEEhEEDaPvRmT3_T4_T5_mT6_P12ihipStream_tbENKUlT_T0_E_clISt17integral_constantIbLb1EESY_IbLb0EEEEDaSU_SV_EUlSU_E_NS1_11comp_targetILNS1_3genE3ELNS1_11target_archE908ELNS1_3gpuE7ELNS1_3repE0EEENS1_30default_config_static_selectorELNS0_4arch9wavefront6targetE0EEEvT1_,@function
_ZN7rocprim17ROCPRIM_400000_NS6detail17trampoline_kernelINS0_14default_configENS1_20scan_config_selectorIhEEZZNS1_9scan_implILNS1_25lookback_scan_determinismE0ELb0ELb0ES3_N6thrust23THRUST_200600_302600_NS6detail15normal_iteratorINS9_7pointerIhNS9_11hip_rocprim5par_tENS9_11use_defaultESF_EEEENSB_INSC_IjSE_SF_SF_EEEEhNS9_4plusIvEEhEEDaPvRmT3_T4_T5_mT6_P12ihipStream_tbENKUlT_T0_E_clISt17integral_constantIbLb1EESY_IbLb0EEEEDaSU_SV_EUlSU_E_NS1_11comp_targetILNS1_3genE3ELNS1_11target_archE908ELNS1_3gpuE7ELNS1_3repE0EEENS1_30default_config_static_selectorELNS0_4arch9wavefront6targetE0EEEvT1_: ; @_ZN7rocprim17ROCPRIM_400000_NS6detail17trampoline_kernelINS0_14default_configENS1_20scan_config_selectorIhEEZZNS1_9scan_implILNS1_25lookback_scan_determinismE0ELb0ELb0ES3_N6thrust23THRUST_200600_302600_NS6detail15normal_iteratorINS9_7pointerIhNS9_11hip_rocprim5par_tENS9_11use_defaultESF_EEEENSB_INSC_IjSE_SF_SF_EEEEhNS9_4plusIvEEhEEDaPvRmT3_T4_T5_mT6_P12ihipStream_tbENKUlT_T0_E_clISt17integral_constantIbLb1EESY_IbLb0EEEEDaSU_SV_EUlSU_E_NS1_11comp_targetILNS1_3genE3ELNS1_11target_archE908ELNS1_3gpuE7ELNS1_3repE0EEENS1_30default_config_static_selectorELNS0_4arch9wavefront6targetE0EEEvT1_
; %bb.0:
	.section	.rodata,"a",@progbits
	.p2align	6, 0x0
	.amdhsa_kernel _ZN7rocprim17ROCPRIM_400000_NS6detail17trampoline_kernelINS0_14default_configENS1_20scan_config_selectorIhEEZZNS1_9scan_implILNS1_25lookback_scan_determinismE0ELb0ELb0ES3_N6thrust23THRUST_200600_302600_NS6detail15normal_iteratorINS9_7pointerIhNS9_11hip_rocprim5par_tENS9_11use_defaultESF_EEEENSB_INSC_IjSE_SF_SF_EEEEhNS9_4plusIvEEhEEDaPvRmT3_T4_T5_mT6_P12ihipStream_tbENKUlT_T0_E_clISt17integral_constantIbLb1EESY_IbLb0EEEEDaSU_SV_EUlSU_E_NS1_11comp_targetILNS1_3genE3ELNS1_11target_archE908ELNS1_3gpuE7ELNS1_3repE0EEENS1_30default_config_static_selectorELNS0_4arch9wavefront6targetE0EEEvT1_
		.amdhsa_group_segment_fixed_size 0
		.amdhsa_private_segment_fixed_size 0
		.amdhsa_kernarg_size 96
		.amdhsa_user_sgpr_count 15
		.amdhsa_user_sgpr_dispatch_ptr 0
		.amdhsa_user_sgpr_queue_ptr 0
		.amdhsa_user_sgpr_kernarg_segment_ptr 1
		.amdhsa_user_sgpr_dispatch_id 0
		.amdhsa_user_sgpr_private_segment_size 0
		.amdhsa_wavefront_size32 1
		.amdhsa_uses_dynamic_stack 0
		.amdhsa_enable_private_segment 0
		.amdhsa_system_sgpr_workgroup_id_x 1
		.amdhsa_system_sgpr_workgroup_id_y 0
		.amdhsa_system_sgpr_workgroup_id_z 0
		.amdhsa_system_sgpr_workgroup_info 0
		.amdhsa_system_vgpr_workitem_id 0
		.amdhsa_next_free_vgpr 1
		.amdhsa_next_free_sgpr 1
		.amdhsa_reserve_vcc 0
		.amdhsa_float_round_mode_32 0
		.amdhsa_float_round_mode_16_64 0
		.amdhsa_float_denorm_mode_32 3
		.amdhsa_float_denorm_mode_16_64 3
		.amdhsa_dx10_clamp 1
		.amdhsa_ieee_mode 1
		.amdhsa_fp16_overflow 0
		.amdhsa_workgroup_processor_mode 1
		.amdhsa_memory_ordered 1
		.amdhsa_forward_progress 0
		.amdhsa_shared_vgpr_count 0
		.amdhsa_exception_fp_ieee_invalid_op 0
		.amdhsa_exception_fp_denorm_src 0
		.amdhsa_exception_fp_ieee_div_zero 0
		.amdhsa_exception_fp_ieee_overflow 0
		.amdhsa_exception_fp_ieee_underflow 0
		.amdhsa_exception_fp_ieee_inexact 0
		.amdhsa_exception_int_div_zero 0
	.end_amdhsa_kernel
	.section	.text._ZN7rocprim17ROCPRIM_400000_NS6detail17trampoline_kernelINS0_14default_configENS1_20scan_config_selectorIhEEZZNS1_9scan_implILNS1_25lookback_scan_determinismE0ELb0ELb0ES3_N6thrust23THRUST_200600_302600_NS6detail15normal_iteratorINS9_7pointerIhNS9_11hip_rocprim5par_tENS9_11use_defaultESF_EEEENSB_INSC_IjSE_SF_SF_EEEEhNS9_4plusIvEEhEEDaPvRmT3_T4_T5_mT6_P12ihipStream_tbENKUlT_T0_E_clISt17integral_constantIbLb1EESY_IbLb0EEEEDaSU_SV_EUlSU_E_NS1_11comp_targetILNS1_3genE3ELNS1_11target_archE908ELNS1_3gpuE7ELNS1_3repE0EEENS1_30default_config_static_selectorELNS0_4arch9wavefront6targetE0EEEvT1_,"axG",@progbits,_ZN7rocprim17ROCPRIM_400000_NS6detail17trampoline_kernelINS0_14default_configENS1_20scan_config_selectorIhEEZZNS1_9scan_implILNS1_25lookback_scan_determinismE0ELb0ELb0ES3_N6thrust23THRUST_200600_302600_NS6detail15normal_iteratorINS9_7pointerIhNS9_11hip_rocprim5par_tENS9_11use_defaultESF_EEEENSB_INSC_IjSE_SF_SF_EEEEhNS9_4plusIvEEhEEDaPvRmT3_T4_T5_mT6_P12ihipStream_tbENKUlT_T0_E_clISt17integral_constantIbLb1EESY_IbLb0EEEEDaSU_SV_EUlSU_E_NS1_11comp_targetILNS1_3genE3ELNS1_11target_archE908ELNS1_3gpuE7ELNS1_3repE0EEENS1_30default_config_static_selectorELNS0_4arch9wavefront6targetE0EEEvT1_,comdat
.Lfunc_end153:
	.size	_ZN7rocprim17ROCPRIM_400000_NS6detail17trampoline_kernelINS0_14default_configENS1_20scan_config_selectorIhEEZZNS1_9scan_implILNS1_25lookback_scan_determinismE0ELb0ELb0ES3_N6thrust23THRUST_200600_302600_NS6detail15normal_iteratorINS9_7pointerIhNS9_11hip_rocprim5par_tENS9_11use_defaultESF_EEEENSB_INSC_IjSE_SF_SF_EEEEhNS9_4plusIvEEhEEDaPvRmT3_T4_T5_mT6_P12ihipStream_tbENKUlT_T0_E_clISt17integral_constantIbLb1EESY_IbLb0EEEEDaSU_SV_EUlSU_E_NS1_11comp_targetILNS1_3genE3ELNS1_11target_archE908ELNS1_3gpuE7ELNS1_3repE0EEENS1_30default_config_static_selectorELNS0_4arch9wavefront6targetE0EEEvT1_, .Lfunc_end153-_ZN7rocprim17ROCPRIM_400000_NS6detail17trampoline_kernelINS0_14default_configENS1_20scan_config_selectorIhEEZZNS1_9scan_implILNS1_25lookback_scan_determinismE0ELb0ELb0ES3_N6thrust23THRUST_200600_302600_NS6detail15normal_iteratorINS9_7pointerIhNS9_11hip_rocprim5par_tENS9_11use_defaultESF_EEEENSB_INSC_IjSE_SF_SF_EEEEhNS9_4plusIvEEhEEDaPvRmT3_T4_T5_mT6_P12ihipStream_tbENKUlT_T0_E_clISt17integral_constantIbLb1EESY_IbLb0EEEEDaSU_SV_EUlSU_E_NS1_11comp_targetILNS1_3genE3ELNS1_11target_archE908ELNS1_3gpuE7ELNS1_3repE0EEENS1_30default_config_static_selectorELNS0_4arch9wavefront6targetE0EEEvT1_
                                        ; -- End function
	.section	.AMDGPU.csdata,"",@progbits
; Kernel info:
; codeLenInByte = 0
; NumSgprs: 0
; NumVgprs: 0
; ScratchSize: 0
; MemoryBound: 0
; FloatMode: 240
; IeeeMode: 1
; LDSByteSize: 0 bytes/workgroup (compile time only)
; SGPRBlocks: 0
; VGPRBlocks: 0
; NumSGPRsForWavesPerEU: 1
; NumVGPRsForWavesPerEU: 1
; Occupancy: 16
; WaveLimiterHint : 0
; COMPUTE_PGM_RSRC2:SCRATCH_EN: 0
; COMPUTE_PGM_RSRC2:USER_SGPR: 15
; COMPUTE_PGM_RSRC2:TRAP_HANDLER: 0
; COMPUTE_PGM_RSRC2:TGID_X_EN: 1
; COMPUTE_PGM_RSRC2:TGID_Y_EN: 0
; COMPUTE_PGM_RSRC2:TGID_Z_EN: 0
; COMPUTE_PGM_RSRC2:TIDIG_COMP_CNT: 0
	.section	.text._ZN7rocprim17ROCPRIM_400000_NS6detail17trampoline_kernelINS0_14default_configENS1_20scan_config_selectorIhEEZZNS1_9scan_implILNS1_25lookback_scan_determinismE0ELb0ELb0ES3_N6thrust23THRUST_200600_302600_NS6detail15normal_iteratorINS9_7pointerIhNS9_11hip_rocprim5par_tENS9_11use_defaultESF_EEEENSB_INSC_IjSE_SF_SF_EEEEhNS9_4plusIvEEhEEDaPvRmT3_T4_T5_mT6_P12ihipStream_tbENKUlT_T0_E_clISt17integral_constantIbLb1EESY_IbLb0EEEEDaSU_SV_EUlSU_E_NS1_11comp_targetILNS1_3genE2ELNS1_11target_archE906ELNS1_3gpuE6ELNS1_3repE0EEENS1_30default_config_static_selectorELNS0_4arch9wavefront6targetE0EEEvT1_,"axG",@progbits,_ZN7rocprim17ROCPRIM_400000_NS6detail17trampoline_kernelINS0_14default_configENS1_20scan_config_selectorIhEEZZNS1_9scan_implILNS1_25lookback_scan_determinismE0ELb0ELb0ES3_N6thrust23THRUST_200600_302600_NS6detail15normal_iteratorINS9_7pointerIhNS9_11hip_rocprim5par_tENS9_11use_defaultESF_EEEENSB_INSC_IjSE_SF_SF_EEEEhNS9_4plusIvEEhEEDaPvRmT3_T4_T5_mT6_P12ihipStream_tbENKUlT_T0_E_clISt17integral_constantIbLb1EESY_IbLb0EEEEDaSU_SV_EUlSU_E_NS1_11comp_targetILNS1_3genE2ELNS1_11target_archE906ELNS1_3gpuE6ELNS1_3repE0EEENS1_30default_config_static_selectorELNS0_4arch9wavefront6targetE0EEEvT1_,comdat
	.protected	_ZN7rocprim17ROCPRIM_400000_NS6detail17trampoline_kernelINS0_14default_configENS1_20scan_config_selectorIhEEZZNS1_9scan_implILNS1_25lookback_scan_determinismE0ELb0ELb0ES3_N6thrust23THRUST_200600_302600_NS6detail15normal_iteratorINS9_7pointerIhNS9_11hip_rocprim5par_tENS9_11use_defaultESF_EEEENSB_INSC_IjSE_SF_SF_EEEEhNS9_4plusIvEEhEEDaPvRmT3_T4_T5_mT6_P12ihipStream_tbENKUlT_T0_E_clISt17integral_constantIbLb1EESY_IbLb0EEEEDaSU_SV_EUlSU_E_NS1_11comp_targetILNS1_3genE2ELNS1_11target_archE906ELNS1_3gpuE6ELNS1_3repE0EEENS1_30default_config_static_selectorELNS0_4arch9wavefront6targetE0EEEvT1_ ; -- Begin function _ZN7rocprim17ROCPRIM_400000_NS6detail17trampoline_kernelINS0_14default_configENS1_20scan_config_selectorIhEEZZNS1_9scan_implILNS1_25lookback_scan_determinismE0ELb0ELb0ES3_N6thrust23THRUST_200600_302600_NS6detail15normal_iteratorINS9_7pointerIhNS9_11hip_rocprim5par_tENS9_11use_defaultESF_EEEENSB_INSC_IjSE_SF_SF_EEEEhNS9_4plusIvEEhEEDaPvRmT3_T4_T5_mT6_P12ihipStream_tbENKUlT_T0_E_clISt17integral_constantIbLb1EESY_IbLb0EEEEDaSU_SV_EUlSU_E_NS1_11comp_targetILNS1_3genE2ELNS1_11target_archE906ELNS1_3gpuE6ELNS1_3repE0EEENS1_30default_config_static_selectorELNS0_4arch9wavefront6targetE0EEEvT1_
	.globl	_ZN7rocprim17ROCPRIM_400000_NS6detail17trampoline_kernelINS0_14default_configENS1_20scan_config_selectorIhEEZZNS1_9scan_implILNS1_25lookback_scan_determinismE0ELb0ELb0ES3_N6thrust23THRUST_200600_302600_NS6detail15normal_iteratorINS9_7pointerIhNS9_11hip_rocprim5par_tENS9_11use_defaultESF_EEEENSB_INSC_IjSE_SF_SF_EEEEhNS9_4plusIvEEhEEDaPvRmT3_T4_T5_mT6_P12ihipStream_tbENKUlT_T0_E_clISt17integral_constantIbLb1EESY_IbLb0EEEEDaSU_SV_EUlSU_E_NS1_11comp_targetILNS1_3genE2ELNS1_11target_archE906ELNS1_3gpuE6ELNS1_3repE0EEENS1_30default_config_static_selectorELNS0_4arch9wavefront6targetE0EEEvT1_
	.p2align	8
	.type	_ZN7rocprim17ROCPRIM_400000_NS6detail17trampoline_kernelINS0_14default_configENS1_20scan_config_selectorIhEEZZNS1_9scan_implILNS1_25lookback_scan_determinismE0ELb0ELb0ES3_N6thrust23THRUST_200600_302600_NS6detail15normal_iteratorINS9_7pointerIhNS9_11hip_rocprim5par_tENS9_11use_defaultESF_EEEENSB_INSC_IjSE_SF_SF_EEEEhNS9_4plusIvEEhEEDaPvRmT3_T4_T5_mT6_P12ihipStream_tbENKUlT_T0_E_clISt17integral_constantIbLb1EESY_IbLb0EEEEDaSU_SV_EUlSU_E_NS1_11comp_targetILNS1_3genE2ELNS1_11target_archE906ELNS1_3gpuE6ELNS1_3repE0EEENS1_30default_config_static_selectorELNS0_4arch9wavefront6targetE0EEEvT1_,@function
_ZN7rocprim17ROCPRIM_400000_NS6detail17trampoline_kernelINS0_14default_configENS1_20scan_config_selectorIhEEZZNS1_9scan_implILNS1_25lookback_scan_determinismE0ELb0ELb0ES3_N6thrust23THRUST_200600_302600_NS6detail15normal_iteratorINS9_7pointerIhNS9_11hip_rocprim5par_tENS9_11use_defaultESF_EEEENSB_INSC_IjSE_SF_SF_EEEEhNS9_4plusIvEEhEEDaPvRmT3_T4_T5_mT6_P12ihipStream_tbENKUlT_T0_E_clISt17integral_constantIbLb1EESY_IbLb0EEEEDaSU_SV_EUlSU_E_NS1_11comp_targetILNS1_3genE2ELNS1_11target_archE906ELNS1_3gpuE6ELNS1_3repE0EEENS1_30default_config_static_selectorELNS0_4arch9wavefront6targetE0EEEvT1_: ; @_ZN7rocprim17ROCPRIM_400000_NS6detail17trampoline_kernelINS0_14default_configENS1_20scan_config_selectorIhEEZZNS1_9scan_implILNS1_25lookback_scan_determinismE0ELb0ELb0ES3_N6thrust23THRUST_200600_302600_NS6detail15normal_iteratorINS9_7pointerIhNS9_11hip_rocprim5par_tENS9_11use_defaultESF_EEEENSB_INSC_IjSE_SF_SF_EEEEhNS9_4plusIvEEhEEDaPvRmT3_T4_T5_mT6_P12ihipStream_tbENKUlT_T0_E_clISt17integral_constantIbLb1EESY_IbLb0EEEEDaSU_SV_EUlSU_E_NS1_11comp_targetILNS1_3genE2ELNS1_11target_archE906ELNS1_3gpuE6ELNS1_3repE0EEENS1_30default_config_static_selectorELNS0_4arch9wavefront6targetE0EEEvT1_
; %bb.0:
	.section	.rodata,"a",@progbits
	.p2align	6, 0x0
	.amdhsa_kernel _ZN7rocprim17ROCPRIM_400000_NS6detail17trampoline_kernelINS0_14default_configENS1_20scan_config_selectorIhEEZZNS1_9scan_implILNS1_25lookback_scan_determinismE0ELb0ELb0ES3_N6thrust23THRUST_200600_302600_NS6detail15normal_iteratorINS9_7pointerIhNS9_11hip_rocprim5par_tENS9_11use_defaultESF_EEEENSB_INSC_IjSE_SF_SF_EEEEhNS9_4plusIvEEhEEDaPvRmT3_T4_T5_mT6_P12ihipStream_tbENKUlT_T0_E_clISt17integral_constantIbLb1EESY_IbLb0EEEEDaSU_SV_EUlSU_E_NS1_11comp_targetILNS1_3genE2ELNS1_11target_archE906ELNS1_3gpuE6ELNS1_3repE0EEENS1_30default_config_static_selectorELNS0_4arch9wavefront6targetE0EEEvT1_
		.amdhsa_group_segment_fixed_size 0
		.amdhsa_private_segment_fixed_size 0
		.amdhsa_kernarg_size 96
		.amdhsa_user_sgpr_count 15
		.amdhsa_user_sgpr_dispatch_ptr 0
		.amdhsa_user_sgpr_queue_ptr 0
		.amdhsa_user_sgpr_kernarg_segment_ptr 1
		.amdhsa_user_sgpr_dispatch_id 0
		.amdhsa_user_sgpr_private_segment_size 0
		.amdhsa_wavefront_size32 1
		.amdhsa_uses_dynamic_stack 0
		.amdhsa_enable_private_segment 0
		.amdhsa_system_sgpr_workgroup_id_x 1
		.amdhsa_system_sgpr_workgroup_id_y 0
		.amdhsa_system_sgpr_workgroup_id_z 0
		.amdhsa_system_sgpr_workgroup_info 0
		.amdhsa_system_vgpr_workitem_id 0
		.amdhsa_next_free_vgpr 1
		.amdhsa_next_free_sgpr 1
		.amdhsa_reserve_vcc 0
		.amdhsa_float_round_mode_32 0
		.amdhsa_float_round_mode_16_64 0
		.amdhsa_float_denorm_mode_32 3
		.amdhsa_float_denorm_mode_16_64 3
		.amdhsa_dx10_clamp 1
		.amdhsa_ieee_mode 1
		.amdhsa_fp16_overflow 0
		.amdhsa_workgroup_processor_mode 1
		.amdhsa_memory_ordered 1
		.amdhsa_forward_progress 0
		.amdhsa_shared_vgpr_count 0
		.amdhsa_exception_fp_ieee_invalid_op 0
		.amdhsa_exception_fp_denorm_src 0
		.amdhsa_exception_fp_ieee_div_zero 0
		.amdhsa_exception_fp_ieee_overflow 0
		.amdhsa_exception_fp_ieee_underflow 0
		.amdhsa_exception_fp_ieee_inexact 0
		.amdhsa_exception_int_div_zero 0
	.end_amdhsa_kernel
	.section	.text._ZN7rocprim17ROCPRIM_400000_NS6detail17trampoline_kernelINS0_14default_configENS1_20scan_config_selectorIhEEZZNS1_9scan_implILNS1_25lookback_scan_determinismE0ELb0ELb0ES3_N6thrust23THRUST_200600_302600_NS6detail15normal_iteratorINS9_7pointerIhNS9_11hip_rocprim5par_tENS9_11use_defaultESF_EEEENSB_INSC_IjSE_SF_SF_EEEEhNS9_4plusIvEEhEEDaPvRmT3_T4_T5_mT6_P12ihipStream_tbENKUlT_T0_E_clISt17integral_constantIbLb1EESY_IbLb0EEEEDaSU_SV_EUlSU_E_NS1_11comp_targetILNS1_3genE2ELNS1_11target_archE906ELNS1_3gpuE6ELNS1_3repE0EEENS1_30default_config_static_selectorELNS0_4arch9wavefront6targetE0EEEvT1_,"axG",@progbits,_ZN7rocprim17ROCPRIM_400000_NS6detail17trampoline_kernelINS0_14default_configENS1_20scan_config_selectorIhEEZZNS1_9scan_implILNS1_25lookback_scan_determinismE0ELb0ELb0ES3_N6thrust23THRUST_200600_302600_NS6detail15normal_iteratorINS9_7pointerIhNS9_11hip_rocprim5par_tENS9_11use_defaultESF_EEEENSB_INSC_IjSE_SF_SF_EEEEhNS9_4plusIvEEhEEDaPvRmT3_T4_T5_mT6_P12ihipStream_tbENKUlT_T0_E_clISt17integral_constantIbLb1EESY_IbLb0EEEEDaSU_SV_EUlSU_E_NS1_11comp_targetILNS1_3genE2ELNS1_11target_archE906ELNS1_3gpuE6ELNS1_3repE0EEENS1_30default_config_static_selectorELNS0_4arch9wavefront6targetE0EEEvT1_,comdat
.Lfunc_end154:
	.size	_ZN7rocprim17ROCPRIM_400000_NS6detail17trampoline_kernelINS0_14default_configENS1_20scan_config_selectorIhEEZZNS1_9scan_implILNS1_25lookback_scan_determinismE0ELb0ELb0ES3_N6thrust23THRUST_200600_302600_NS6detail15normal_iteratorINS9_7pointerIhNS9_11hip_rocprim5par_tENS9_11use_defaultESF_EEEENSB_INSC_IjSE_SF_SF_EEEEhNS9_4plusIvEEhEEDaPvRmT3_T4_T5_mT6_P12ihipStream_tbENKUlT_T0_E_clISt17integral_constantIbLb1EESY_IbLb0EEEEDaSU_SV_EUlSU_E_NS1_11comp_targetILNS1_3genE2ELNS1_11target_archE906ELNS1_3gpuE6ELNS1_3repE0EEENS1_30default_config_static_selectorELNS0_4arch9wavefront6targetE0EEEvT1_, .Lfunc_end154-_ZN7rocprim17ROCPRIM_400000_NS6detail17trampoline_kernelINS0_14default_configENS1_20scan_config_selectorIhEEZZNS1_9scan_implILNS1_25lookback_scan_determinismE0ELb0ELb0ES3_N6thrust23THRUST_200600_302600_NS6detail15normal_iteratorINS9_7pointerIhNS9_11hip_rocprim5par_tENS9_11use_defaultESF_EEEENSB_INSC_IjSE_SF_SF_EEEEhNS9_4plusIvEEhEEDaPvRmT3_T4_T5_mT6_P12ihipStream_tbENKUlT_T0_E_clISt17integral_constantIbLb1EESY_IbLb0EEEEDaSU_SV_EUlSU_E_NS1_11comp_targetILNS1_3genE2ELNS1_11target_archE906ELNS1_3gpuE6ELNS1_3repE0EEENS1_30default_config_static_selectorELNS0_4arch9wavefront6targetE0EEEvT1_
                                        ; -- End function
	.section	.AMDGPU.csdata,"",@progbits
; Kernel info:
; codeLenInByte = 0
; NumSgprs: 0
; NumVgprs: 0
; ScratchSize: 0
; MemoryBound: 0
; FloatMode: 240
; IeeeMode: 1
; LDSByteSize: 0 bytes/workgroup (compile time only)
; SGPRBlocks: 0
; VGPRBlocks: 0
; NumSGPRsForWavesPerEU: 1
; NumVGPRsForWavesPerEU: 1
; Occupancy: 16
; WaveLimiterHint : 0
; COMPUTE_PGM_RSRC2:SCRATCH_EN: 0
; COMPUTE_PGM_RSRC2:USER_SGPR: 15
; COMPUTE_PGM_RSRC2:TRAP_HANDLER: 0
; COMPUTE_PGM_RSRC2:TGID_X_EN: 1
; COMPUTE_PGM_RSRC2:TGID_Y_EN: 0
; COMPUTE_PGM_RSRC2:TGID_Z_EN: 0
; COMPUTE_PGM_RSRC2:TIDIG_COMP_CNT: 0
	.section	.text._ZN7rocprim17ROCPRIM_400000_NS6detail17trampoline_kernelINS0_14default_configENS1_20scan_config_selectorIhEEZZNS1_9scan_implILNS1_25lookback_scan_determinismE0ELb0ELb0ES3_N6thrust23THRUST_200600_302600_NS6detail15normal_iteratorINS9_7pointerIhNS9_11hip_rocprim5par_tENS9_11use_defaultESF_EEEENSB_INSC_IjSE_SF_SF_EEEEhNS9_4plusIvEEhEEDaPvRmT3_T4_T5_mT6_P12ihipStream_tbENKUlT_T0_E_clISt17integral_constantIbLb1EESY_IbLb0EEEEDaSU_SV_EUlSU_E_NS1_11comp_targetILNS1_3genE10ELNS1_11target_archE1201ELNS1_3gpuE5ELNS1_3repE0EEENS1_30default_config_static_selectorELNS0_4arch9wavefront6targetE0EEEvT1_,"axG",@progbits,_ZN7rocprim17ROCPRIM_400000_NS6detail17trampoline_kernelINS0_14default_configENS1_20scan_config_selectorIhEEZZNS1_9scan_implILNS1_25lookback_scan_determinismE0ELb0ELb0ES3_N6thrust23THRUST_200600_302600_NS6detail15normal_iteratorINS9_7pointerIhNS9_11hip_rocprim5par_tENS9_11use_defaultESF_EEEENSB_INSC_IjSE_SF_SF_EEEEhNS9_4plusIvEEhEEDaPvRmT3_T4_T5_mT6_P12ihipStream_tbENKUlT_T0_E_clISt17integral_constantIbLb1EESY_IbLb0EEEEDaSU_SV_EUlSU_E_NS1_11comp_targetILNS1_3genE10ELNS1_11target_archE1201ELNS1_3gpuE5ELNS1_3repE0EEENS1_30default_config_static_selectorELNS0_4arch9wavefront6targetE0EEEvT1_,comdat
	.protected	_ZN7rocprim17ROCPRIM_400000_NS6detail17trampoline_kernelINS0_14default_configENS1_20scan_config_selectorIhEEZZNS1_9scan_implILNS1_25lookback_scan_determinismE0ELb0ELb0ES3_N6thrust23THRUST_200600_302600_NS6detail15normal_iteratorINS9_7pointerIhNS9_11hip_rocprim5par_tENS9_11use_defaultESF_EEEENSB_INSC_IjSE_SF_SF_EEEEhNS9_4plusIvEEhEEDaPvRmT3_T4_T5_mT6_P12ihipStream_tbENKUlT_T0_E_clISt17integral_constantIbLb1EESY_IbLb0EEEEDaSU_SV_EUlSU_E_NS1_11comp_targetILNS1_3genE10ELNS1_11target_archE1201ELNS1_3gpuE5ELNS1_3repE0EEENS1_30default_config_static_selectorELNS0_4arch9wavefront6targetE0EEEvT1_ ; -- Begin function _ZN7rocprim17ROCPRIM_400000_NS6detail17trampoline_kernelINS0_14default_configENS1_20scan_config_selectorIhEEZZNS1_9scan_implILNS1_25lookback_scan_determinismE0ELb0ELb0ES3_N6thrust23THRUST_200600_302600_NS6detail15normal_iteratorINS9_7pointerIhNS9_11hip_rocprim5par_tENS9_11use_defaultESF_EEEENSB_INSC_IjSE_SF_SF_EEEEhNS9_4plusIvEEhEEDaPvRmT3_T4_T5_mT6_P12ihipStream_tbENKUlT_T0_E_clISt17integral_constantIbLb1EESY_IbLb0EEEEDaSU_SV_EUlSU_E_NS1_11comp_targetILNS1_3genE10ELNS1_11target_archE1201ELNS1_3gpuE5ELNS1_3repE0EEENS1_30default_config_static_selectorELNS0_4arch9wavefront6targetE0EEEvT1_
	.globl	_ZN7rocprim17ROCPRIM_400000_NS6detail17trampoline_kernelINS0_14default_configENS1_20scan_config_selectorIhEEZZNS1_9scan_implILNS1_25lookback_scan_determinismE0ELb0ELb0ES3_N6thrust23THRUST_200600_302600_NS6detail15normal_iteratorINS9_7pointerIhNS9_11hip_rocprim5par_tENS9_11use_defaultESF_EEEENSB_INSC_IjSE_SF_SF_EEEEhNS9_4plusIvEEhEEDaPvRmT3_T4_T5_mT6_P12ihipStream_tbENKUlT_T0_E_clISt17integral_constantIbLb1EESY_IbLb0EEEEDaSU_SV_EUlSU_E_NS1_11comp_targetILNS1_3genE10ELNS1_11target_archE1201ELNS1_3gpuE5ELNS1_3repE0EEENS1_30default_config_static_selectorELNS0_4arch9wavefront6targetE0EEEvT1_
	.p2align	8
	.type	_ZN7rocprim17ROCPRIM_400000_NS6detail17trampoline_kernelINS0_14default_configENS1_20scan_config_selectorIhEEZZNS1_9scan_implILNS1_25lookback_scan_determinismE0ELb0ELb0ES3_N6thrust23THRUST_200600_302600_NS6detail15normal_iteratorINS9_7pointerIhNS9_11hip_rocprim5par_tENS9_11use_defaultESF_EEEENSB_INSC_IjSE_SF_SF_EEEEhNS9_4plusIvEEhEEDaPvRmT3_T4_T5_mT6_P12ihipStream_tbENKUlT_T0_E_clISt17integral_constantIbLb1EESY_IbLb0EEEEDaSU_SV_EUlSU_E_NS1_11comp_targetILNS1_3genE10ELNS1_11target_archE1201ELNS1_3gpuE5ELNS1_3repE0EEENS1_30default_config_static_selectorELNS0_4arch9wavefront6targetE0EEEvT1_,@function
_ZN7rocprim17ROCPRIM_400000_NS6detail17trampoline_kernelINS0_14default_configENS1_20scan_config_selectorIhEEZZNS1_9scan_implILNS1_25lookback_scan_determinismE0ELb0ELb0ES3_N6thrust23THRUST_200600_302600_NS6detail15normal_iteratorINS9_7pointerIhNS9_11hip_rocprim5par_tENS9_11use_defaultESF_EEEENSB_INSC_IjSE_SF_SF_EEEEhNS9_4plusIvEEhEEDaPvRmT3_T4_T5_mT6_P12ihipStream_tbENKUlT_T0_E_clISt17integral_constantIbLb1EESY_IbLb0EEEEDaSU_SV_EUlSU_E_NS1_11comp_targetILNS1_3genE10ELNS1_11target_archE1201ELNS1_3gpuE5ELNS1_3repE0EEENS1_30default_config_static_selectorELNS0_4arch9wavefront6targetE0EEEvT1_: ; @_ZN7rocprim17ROCPRIM_400000_NS6detail17trampoline_kernelINS0_14default_configENS1_20scan_config_selectorIhEEZZNS1_9scan_implILNS1_25lookback_scan_determinismE0ELb0ELb0ES3_N6thrust23THRUST_200600_302600_NS6detail15normal_iteratorINS9_7pointerIhNS9_11hip_rocprim5par_tENS9_11use_defaultESF_EEEENSB_INSC_IjSE_SF_SF_EEEEhNS9_4plusIvEEhEEDaPvRmT3_T4_T5_mT6_P12ihipStream_tbENKUlT_T0_E_clISt17integral_constantIbLb1EESY_IbLb0EEEEDaSU_SV_EUlSU_E_NS1_11comp_targetILNS1_3genE10ELNS1_11target_archE1201ELNS1_3gpuE5ELNS1_3repE0EEENS1_30default_config_static_selectorELNS0_4arch9wavefront6targetE0EEEvT1_
; %bb.0:
	.section	.rodata,"a",@progbits
	.p2align	6, 0x0
	.amdhsa_kernel _ZN7rocprim17ROCPRIM_400000_NS6detail17trampoline_kernelINS0_14default_configENS1_20scan_config_selectorIhEEZZNS1_9scan_implILNS1_25lookback_scan_determinismE0ELb0ELb0ES3_N6thrust23THRUST_200600_302600_NS6detail15normal_iteratorINS9_7pointerIhNS9_11hip_rocprim5par_tENS9_11use_defaultESF_EEEENSB_INSC_IjSE_SF_SF_EEEEhNS9_4plusIvEEhEEDaPvRmT3_T4_T5_mT6_P12ihipStream_tbENKUlT_T0_E_clISt17integral_constantIbLb1EESY_IbLb0EEEEDaSU_SV_EUlSU_E_NS1_11comp_targetILNS1_3genE10ELNS1_11target_archE1201ELNS1_3gpuE5ELNS1_3repE0EEENS1_30default_config_static_selectorELNS0_4arch9wavefront6targetE0EEEvT1_
		.amdhsa_group_segment_fixed_size 0
		.amdhsa_private_segment_fixed_size 0
		.amdhsa_kernarg_size 96
		.amdhsa_user_sgpr_count 15
		.amdhsa_user_sgpr_dispatch_ptr 0
		.amdhsa_user_sgpr_queue_ptr 0
		.amdhsa_user_sgpr_kernarg_segment_ptr 1
		.amdhsa_user_sgpr_dispatch_id 0
		.amdhsa_user_sgpr_private_segment_size 0
		.amdhsa_wavefront_size32 1
		.amdhsa_uses_dynamic_stack 0
		.amdhsa_enable_private_segment 0
		.amdhsa_system_sgpr_workgroup_id_x 1
		.amdhsa_system_sgpr_workgroup_id_y 0
		.amdhsa_system_sgpr_workgroup_id_z 0
		.amdhsa_system_sgpr_workgroup_info 0
		.amdhsa_system_vgpr_workitem_id 0
		.amdhsa_next_free_vgpr 1
		.amdhsa_next_free_sgpr 1
		.amdhsa_reserve_vcc 0
		.amdhsa_float_round_mode_32 0
		.amdhsa_float_round_mode_16_64 0
		.amdhsa_float_denorm_mode_32 3
		.amdhsa_float_denorm_mode_16_64 3
		.amdhsa_dx10_clamp 1
		.amdhsa_ieee_mode 1
		.amdhsa_fp16_overflow 0
		.amdhsa_workgroup_processor_mode 1
		.amdhsa_memory_ordered 1
		.amdhsa_forward_progress 0
		.amdhsa_shared_vgpr_count 0
		.amdhsa_exception_fp_ieee_invalid_op 0
		.amdhsa_exception_fp_denorm_src 0
		.amdhsa_exception_fp_ieee_div_zero 0
		.amdhsa_exception_fp_ieee_overflow 0
		.amdhsa_exception_fp_ieee_underflow 0
		.amdhsa_exception_fp_ieee_inexact 0
		.amdhsa_exception_int_div_zero 0
	.end_amdhsa_kernel
	.section	.text._ZN7rocprim17ROCPRIM_400000_NS6detail17trampoline_kernelINS0_14default_configENS1_20scan_config_selectorIhEEZZNS1_9scan_implILNS1_25lookback_scan_determinismE0ELb0ELb0ES3_N6thrust23THRUST_200600_302600_NS6detail15normal_iteratorINS9_7pointerIhNS9_11hip_rocprim5par_tENS9_11use_defaultESF_EEEENSB_INSC_IjSE_SF_SF_EEEEhNS9_4plusIvEEhEEDaPvRmT3_T4_T5_mT6_P12ihipStream_tbENKUlT_T0_E_clISt17integral_constantIbLb1EESY_IbLb0EEEEDaSU_SV_EUlSU_E_NS1_11comp_targetILNS1_3genE10ELNS1_11target_archE1201ELNS1_3gpuE5ELNS1_3repE0EEENS1_30default_config_static_selectorELNS0_4arch9wavefront6targetE0EEEvT1_,"axG",@progbits,_ZN7rocprim17ROCPRIM_400000_NS6detail17trampoline_kernelINS0_14default_configENS1_20scan_config_selectorIhEEZZNS1_9scan_implILNS1_25lookback_scan_determinismE0ELb0ELb0ES3_N6thrust23THRUST_200600_302600_NS6detail15normal_iteratorINS9_7pointerIhNS9_11hip_rocprim5par_tENS9_11use_defaultESF_EEEENSB_INSC_IjSE_SF_SF_EEEEhNS9_4plusIvEEhEEDaPvRmT3_T4_T5_mT6_P12ihipStream_tbENKUlT_T0_E_clISt17integral_constantIbLb1EESY_IbLb0EEEEDaSU_SV_EUlSU_E_NS1_11comp_targetILNS1_3genE10ELNS1_11target_archE1201ELNS1_3gpuE5ELNS1_3repE0EEENS1_30default_config_static_selectorELNS0_4arch9wavefront6targetE0EEEvT1_,comdat
.Lfunc_end155:
	.size	_ZN7rocprim17ROCPRIM_400000_NS6detail17trampoline_kernelINS0_14default_configENS1_20scan_config_selectorIhEEZZNS1_9scan_implILNS1_25lookback_scan_determinismE0ELb0ELb0ES3_N6thrust23THRUST_200600_302600_NS6detail15normal_iteratorINS9_7pointerIhNS9_11hip_rocprim5par_tENS9_11use_defaultESF_EEEENSB_INSC_IjSE_SF_SF_EEEEhNS9_4plusIvEEhEEDaPvRmT3_T4_T5_mT6_P12ihipStream_tbENKUlT_T0_E_clISt17integral_constantIbLb1EESY_IbLb0EEEEDaSU_SV_EUlSU_E_NS1_11comp_targetILNS1_3genE10ELNS1_11target_archE1201ELNS1_3gpuE5ELNS1_3repE0EEENS1_30default_config_static_selectorELNS0_4arch9wavefront6targetE0EEEvT1_, .Lfunc_end155-_ZN7rocprim17ROCPRIM_400000_NS6detail17trampoline_kernelINS0_14default_configENS1_20scan_config_selectorIhEEZZNS1_9scan_implILNS1_25lookback_scan_determinismE0ELb0ELb0ES3_N6thrust23THRUST_200600_302600_NS6detail15normal_iteratorINS9_7pointerIhNS9_11hip_rocprim5par_tENS9_11use_defaultESF_EEEENSB_INSC_IjSE_SF_SF_EEEEhNS9_4plusIvEEhEEDaPvRmT3_T4_T5_mT6_P12ihipStream_tbENKUlT_T0_E_clISt17integral_constantIbLb1EESY_IbLb0EEEEDaSU_SV_EUlSU_E_NS1_11comp_targetILNS1_3genE10ELNS1_11target_archE1201ELNS1_3gpuE5ELNS1_3repE0EEENS1_30default_config_static_selectorELNS0_4arch9wavefront6targetE0EEEvT1_
                                        ; -- End function
	.section	.AMDGPU.csdata,"",@progbits
; Kernel info:
; codeLenInByte = 0
; NumSgprs: 0
; NumVgprs: 0
; ScratchSize: 0
; MemoryBound: 0
; FloatMode: 240
; IeeeMode: 1
; LDSByteSize: 0 bytes/workgroup (compile time only)
; SGPRBlocks: 0
; VGPRBlocks: 0
; NumSGPRsForWavesPerEU: 1
; NumVGPRsForWavesPerEU: 1
; Occupancy: 16
; WaveLimiterHint : 0
; COMPUTE_PGM_RSRC2:SCRATCH_EN: 0
; COMPUTE_PGM_RSRC2:USER_SGPR: 15
; COMPUTE_PGM_RSRC2:TRAP_HANDLER: 0
; COMPUTE_PGM_RSRC2:TGID_X_EN: 1
; COMPUTE_PGM_RSRC2:TGID_Y_EN: 0
; COMPUTE_PGM_RSRC2:TGID_Z_EN: 0
; COMPUTE_PGM_RSRC2:TIDIG_COMP_CNT: 0
	.section	.text._ZN7rocprim17ROCPRIM_400000_NS6detail17trampoline_kernelINS0_14default_configENS1_20scan_config_selectorIhEEZZNS1_9scan_implILNS1_25lookback_scan_determinismE0ELb0ELb0ES3_N6thrust23THRUST_200600_302600_NS6detail15normal_iteratorINS9_7pointerIhNS9_11hip_rocprim5par_tENS9_11use_defaultESF_EEEENSB_INSC_IjSE_SF_SF_EEEEhNS9_4plusIvEEhEEDaPvRmT3_T4_T5_mT6_P12ihipStream_tbENKUlT_T0_E_clISt17integral_constantIbLb1EESY_IbLb0EEEEDaSU_SV_EUlSU_E_NS1_11comp_targetILNS1_3genE10ELNS1_11target_archE1200ELNS1_3gpuE4ELNS1_3repE0EEENS1_30default_config_static_selectorELNS0_4arch9wavefront6targetE0EEEvT1_,"axG",@progbits,_ZN7rocprim17ROCPRIM_400000_NS6detail17trampoline_kernelINS0_14default_configENS1_20scan_config_selectorIhEEZZNS1_9scan_implILNS1_25lookback_scan_determinismE0ELb0ELb0ES3_N6thrust23THRUST_200600_302600_NS6detail15normal_iteratorINS9_7pointerIhNS9_11hip_rocprim5par_tENS9_11use_defaultESF_EEEENSB_INSC_IjSE_SF_SF_EEEEhNS9_4plusIvEEhEEDaPvRmT3_T4_T5_mT6_P12ihipStream_tbENKUlT_T0_E_clISt17integral_constantIbLb1EESY_IbLb0EEEEDaSU_SV_EUlSU_E_NS1_11comp_targetILNS1_3genE10ELNS1_11target_archE1200ELNS1_3gpuE4ELNS1_3repE0EEENS1_30default_config_static_selectorELNS0_4arch9wavefront6targetE0EEEvT1_,comdat
	.protected	_ZN7rocprim17ROCPRIM_400000_NS6detail17trampoline_kernelINS0_14default_configENS1_20scan_config_selectorIhEEZZNS1_9scan_implILNS1_25lookback_scan_determinismE0ELb0ELb0ES3_N6thrust23THRUST_200600_302600_NS6detail15normal_iteratorINS9_7pointerIhNS9_11hip_rocprim5par_tENS9_11use_defaultESF_EEEENSB_INSC_IjSE_SF_SF_EEEEhNS9_4plusIvEEhEEDaPvRmT3_T4_T5_mT6_P12ihipStream_tbENKUlT_T0_E_clISt17integral_constantIbLb1EESY_IbLb0EEEEDaSU_SV_EUlSU_E_NS1_11comp_targetILNS1_3genE10ELNS1_11target_archE1200ELNS1_3gpuE4ELNS1_3repE0EEENS1_30default_config_static_selectorELNS0_4arch9wavefront6targetE0EEEvT1_ ; -- Begin function _ZN7rocprim17ROCPRIM_400000_NS6detail17trampoline_kernelINS0_14default_configENS1_20scan_config_selectorIhEEZZNS1_9scan_implILNS1_25lookback_scan_determinismE0ELb0ELb0ES3_N6thrust23THRUST_200600_302600_NS6detail15normal_iteratorINS9_7pointerIhNS9_11hip_rocprim5par_tENS9_11use_defaultESF_EEEENSB_INSC_IjSE_SF_SF_EEEEhNS9_4plusIvEEhEEDaPvRmT3_T4_T5_mT6_P12ihipStream_tbENKUlT_T0_E_clISt17integral_constantIbLb1EESY_IbLb0EEEEDaSU_SV_EUlSU_E_NS1_11comp_targetILNS1_3genE10ELNS1_11target_archE1200ELNS1_3gpuE4ELNS1_3repE0EEENS1_30default_config_static_selectorELNS0_4arch9wavefront6targetE0EEEvT1_
	.globl	_ZN7rocprim17ROCPRIM_400000_NS6detail17trampoline_kernelINS0_14default_configENS1_20scan_config_selectorIhEEZZNS1_9scan_implILNS1_25lookback_scan_determinismE0ELb0ELb0ES3_N6thrust23THRUST_200600_302600_NS6detail15normal_iteratorINS9_7pointerIhNS9_11hip_rocprim5par_tENS9_11use_defaultESF_EEEENSB_INSC_IjSE_SF_SF_EEEEhNS9_4plusIvEEhEEDaPvRmT3_T4_T5_mT6_P12ihipStream_tbENKUlT_T0_E_clISt17integral_constantIbLb1EESY_IbLb0EEEEDaSU_SV_EUlSU_E_NS1_11comp_targetILNS1_3genE10ELNS1_11target_archE1200ELNS1_3gpuE4ELNS1_3repE0EEENS1_30default_config_static_selectorELNS0_4arch9wavefront6targetE0EEEvT1_
	.p2align	8
	.type	_ZN7rocprim17ROCPRIM_400000_NS6detail17trampoline_kernelINS0_14default_configENS1_20scan_config_selectorIhEEZZNS1_9scan_implILNS1_25lookback_scan_determinismE0ELb0ELb0ES3_N6thrust23THRUST_200600_302600_NS6detail15normal_iteratorINS9_7pointerIhNS9_11hip_rocprim5par_tENS9_11use_defaultESF_EEEENSB_INSC_IjSE_SF_SF_EEEEhNS9_4plusIvEEhEEDaPvRmT3_T4_T5_mT6_P12ihipStream_tbENKUlT_T0_E_clISt17integral_constantIbLb1EESY_IbLb0EEEEDaSU_SV_EUlSU_E_NS1_11comp_targetILNS1_3genE10ELNS1_11target_archE1200ELNS1_3gpuE4ELNS1_3repE0EEENS1_30default_config_static_selectorELNS0_4arch9wavefront6targetE0EEEvT1_,@function
_ZN7rocprim17ROCPRIM_400000_NS6detail17trampoline_kernelINS0_14default_configENS1_20scan_config_selectorIhEEZZNS1_9scan_implILNS1_25lookback_scan_determinismE0ELb0ELb0ES3_N6thrust23THRUST_200600_302600_NS6detail15normal_iteratorINS9_7pointerIhNS9_11hip_rocprim5par_tENS9_11use_defaultESF_EEEENSB_INSC_IjSE_SF_SF_EEEEhNS9_4plusIvEEhEEDaPvRmT3_T4_T5_mT6_P12ihipStream_tbENKUlT_T0_E_clISt17integral_constantIbLb1EESY_IbLb0EEEEDaSU_SV_EUlSU_E_NS1_11comp_targetILNS1_3genE10ELNS1_11target_archE1200ELNS1_3gpuE4ELNS1_3repE0EEENS1_30default_config_static_selectorELNS0_4arch9wavefront6targetE0EEEvT1_: ; @_ZN7rocprim17ROCPRIM_400000_NS6detail17trampoline_kernelINS0_14default_configENS1_20scan_config_selectorIhEEZZNS1_9scan_implILNS1_25lookback_scan_determinismE0ELb0ELb0ES3_N6thrust23THRUST_200600_302600_NS6detail15normal_iteratorINS9_7pointerIhNS9_11hip_rocprim5par_tENS9_11use_defaultESF_EEEENSB_INSC_IjSE_SF_SF_EEEEhNS9_4plusIvEEhEEDaPvRmT3_T4_T5_mT6_P12ihipStream_tbENKUlT_T0_E_clISt17integral_constantIbLb1EESY_IbLb0EEEEDaSU_SV_EUlSU_E_NS1_11comp_targetILNS1_3genE10ELNS1_11target_archE1200ELNS1_3gpuE4ELNS1_3repE0EEENS1_30default_config_static_selectorELNS0_4arch9wavefront6targetE0EEEvT1_
; %bb.0:
	.section	.rodata,"a",@progbits
	.p2align	6, 0x0
	.amdhsa_kernel _ZN7rocprim17ROCPRIM_400000_NS6detail17trampoline_kernelINS0_14default_configENS1_20scan_config_selectorIhEEZZNS1_9scan_implILNS1_25lookback_scan_determinismE0ELb0ELb0ES3_N6thrust23THRUST_200600_302600_NS6detail15normal_iteratorINS9_7pointerIhNS9_11hip_rocprim5par_tENS9_11use_defaultESF_EEEENSB_INSC_IjSE_SF_SF_EEEEhNS9_4plusIvEEhEEDaPvRmT3_T4_T5_mT6_P12ihipStream_tbENKUlT_T0_E_clISt17integral_constantIbLb1EESY_IbLb0EEEEDaSU_SV_EUlSU_E_NS1_11comp_targetILNS1_3genE10ELNS1_11target_archE1200ELNS1_3gpuE4ELNS1_3repE0EEENS1_30default_config_static_selectorELNS0_4arch9wavefront6targetE0EEEvT1_
		.amdhsa_group_segment_fixed_size 0
		.amdhsa_private_segment_fixed_size 0
		.amdhsa_kernarg_size 96
		.amdhsa_user_sgpr_count 15
		.amdhsa_user_sgpr_dispatch_ptr 0
		.amdhsa_user_sgpr_queue_ptr 0
		.amdhsa_user_sgpr_kernarg_segment_ptr 1
		.amdhsa_user_sgpr_dispatch_id 0
		.amdhsa_user_sgpr_private_segment_size 0
		.amdhsa_wavefront_size32 1
		.amdhsa_uses_dynamic_stack 0
		.amdhsa_enable_private_segment 0
		.amdhsa_system_sgpr_workgroup_id_x 1
		.amdhsa_system_sgpr_workgroup_id_y 0
		.amdhsa_system_sgpr_workgroup_id_z 0
		.amdhsa_system_sgpr_workgroup_info 0
		.amdhsa_system_vgpr_workitem_id 0
		.amdhsa_next_free_vgpr 1
		.amdhsa_next_free_sgpr 1
		.amdhsa_reserve_vcc 0
		.amdhsa_float_round_mode_32 0
		.amdhsa_float_round_mode_16_64 0
		.amdhsa_float_denorm_mode_32 3
		.amdhsa_float_denorm_mode_16_64 3
		.amdhsa_dx10_clamp 1
		.amdhsa_ieee_mode 1
		.amdhsa_fp16_overflow 0
		.amdhsa_workgroup_processor_mode 1
		.amdhsa_memory_ordered 1
		.amdhsa_forward_progress 0
		.amdhsa_shared_vgpr_count 0
		.amdhsa_exception_fp_ieee_invalid_op 0
		.amdhsa_exception_fp_denorm_src 0
		.amdhsa_exception_fp_ieee_div_zero 0
		.amdhsa_exception_fp_ieee_overflow 0
		.amdhsa_exception_fp_ieee_underflow 0
		.amdhsa_exception_fp_ieee_inexact 0
		.amdhsa_exception_int_div_zero 0
	.end_amdhsa_kernel
	.section	.text._ZN7rocprim17ROCPRIM_400000_NS6detail17trampoline_kernelINS0_14default_configENS1_20scan_config_selectorIhEEZZNS1_9scan_implILNS1_25lookback_scan_determinismE0ELb0ELb0ES3_N6thrust23THRUST_200600_302600_NS6detail15normal_iteratorINS9_7pointerIhNS9_11hip_rocprim5par_tENS9_11use_defaultESF_EEEENSB_INSC_IjSE_SF_SF_EEEEhNS9_4plusIvEEhEEDaPvRmT3_T4_T5_mT6_P12ihipStream_tbENKUlT_T0_E_clISt17integral_constantIbLb1EESY_IbLb0EEEEDaSU_SV_EUlSU_E_NS1_11comp_targetILNS1_3genE10ELNS1_11target_archE1200ELNS1_3gpuE4ELNS1_3repE0EEENS1_30default_config_static_selectorELNS0_4arch9wavefront6targetE0EEEvT1_,"axG",@progbits,_ZN7rocprim17ROCPRIM_400000_NS6detail17trampoline_kernelINS0_14default_configENS1_20scan_config_selectorIhEEZZNS1_9scan_implILNS1_25lookback_scan_determinismE0ELb0ELb0ES3_N6thrust23THRUST_200600_302600_NS6detail15normal_iteratorINS9_7pointerIhNS9_11hip_rocprim5par_tENS9_11use_defaultESF_EEEENSB_INSC_IjSE_SF_SF_EEEEhNS9_4plusIvEEhEEDaPvRmT3_T4_T5_mT6_P12ihipStream_tbENKUlT_T0_E_clISt17integral_constantIbLb1EESY_IbLb0EEEEDaSU_SV_EUlSU_E_NS1_11comp_targetILNS1_3genE10ELNS1_11target_archE1200ELNS1_3gpuE4ELNS1_3repE0EEENS1_30default_config_static_selectorELNS0_4arch9wavefront6targetE0EEEvT1_,comdat
.Lfunc_end156:
	.size	_ZN7rocprim17ROCPRIM_400000_NS6detail17trampoline_kernelINS0_14default_configENS1_20scan_config_selectorIhEEZZNS1_9scan_implILNS1_25lookback_scan_determinismE0ELb0ELb0ES3_N6thrust23THRUST_200600_302600_NS6detail15normal_iteratorINS9_7pointerIhNS9_11hip_rocprim5par_tENS9_11use_defaultESF_EEEENSB_INSC_IjSE_SF_SF_EEEEhNS9_4plusIvEEhEEDaPvRmT3_T4_T5_mT6_P12ihipStream_tbENKUlT_T0_E_clISt17integral_constantIbLb1EESY_IbLb0EEEEDaSU_SV_EUlSU_E_NS1_11comp_targetILNS1_3genE10ELNS1_11target_archE1200ELNS1_3gpuE4ELNS1_3repE0EEENS1_30default_config_static_selectorELNS0_4arch9wavefront6targetE0EEEvT1_, .Lfunc_end156-_ZN7rocprim17ROCPRIM_400000_NS6detail17trampoline_kernelINS0_14default_configENS1_20scan_config_selectorIhEEZZNS1_9scan_implILNS1_25lookback_scan_determinismE0ELb0ELb0ES3_N6thrust23THRUST_200600_302600_NS6detail15normal_iteratorINS9_7pointerIhNS9_11hip_rocprim5par_tENS9_11use_defaultESF_EEEENSB_INSC_IjSE_SF_SF_EEEEhNS9_4plusIvEEhEEDaPvRmT3_T4_T5_mT6_P12ihipStream_tbENKUlT_T0_E_clISt17integral_constantIbLb1EESY_IbLb0EEEEDaSU_SV_EUlSU_E_NS1_11comp_targetILNS1_3genE10ELNS1_11target_archE1200ELNS1_3gpuE4ELNS1_3repE0EEENS1_30default_config_static_selectorELNS0_4arch9wavefront6targetE0EEEvT1_
                                        ; -- End function
	.section	.AMDGPU.csdata,"",@progbits
; Kernel info:
; codeLenInByte = 0
; NumSgprs: 0
; NumVgprs: 0
; ScratchSize: 0
; MemoryBound: 0
; FloatMode: 240
; IeeeMode: 1
; LDSByteSize: 0 bytes/workgroup (compile time only)
; SGPRBlocks: 0
; VGPRBlocks: 0
; NumSGPRsForWavesPerEU: 1
; NumVGPRsForWavesPerEU: 1
; Occupancy: 16
; WaveLimiterHint : 0
; COMPUTE_PGM_RSRC2:SCRATCH_EN: 0
; COMPUTE_PGM_RSRC2:USER_SGPR: 15
; COMPUTE_PGM_RSRC2:TRAP_HANDLER: 0
; COMPUTE_PGM_RSRC2:TGID_X_EN: 1
; COMPUTE_PGM_RSRC2:TGID_Y_EN: 0
; COMPUTE_PGM_RSRC2:TGID_Z_EN: 0
; COMPUTE_PGM_RSRC2:TIDIG_COMP_CNT: 0
	.section	.text._ZN7rocprim17ROCPRIM_400000_NS6detail17trampoline_kernelINS0_14default_configENS1_20scan_config_selectorIhEEZZNS1_9scan_implILNS1_25lookback_scan_determinismE0ELb0ELb0ES3_N6thrust23THRUST_200600_302600_NS6detail15normal_iteratorINS9_7pointerIhNS9_11hip_rocprim5par_tENS9_11use_defaultESF_EEEENSB_INSC_IjSE_SF_SF_EEEEhNS9_4plusIvEEhEEDaPvRmT3_T4_T5_mT6_P12ihipStream_tbENKUlT_T0_E_clISt17integral_constantIbLb1EESY_IbLb0EEEEDaSU_SV_EUlSU_E_NS1_11comp_targetILNS1_3genE9ELNS1_11target_archE1100ELNS1_3gpuE3ELNS1_3repE0EEENS1_30default_config_static_selectorELNS0_4arch9wavefront6targetE0EEEvT1_,"axG",@progbits,_ZN7rocprim17ROCPRIM_400000_NS6detail17trampoline_kernelINS0_14default_configENS1_20scan_config_selectorIhEEZZNS1_9scan_implILNS1_25lookback_scan_determinismE0ELb0ELb0ES3_N6thrust23THRUST_200600_302600_NS6detail15normal_iteratorINS9_7pointerIhNS9_11hip_rocprim5par_tENS9_11use_defaultESF_EEEENSB_INSC_IjSE_SF_SF_EEEEhNS9_4plusIvEEhEEDaPvRmT3_T4_T5_mT6_P12ihipStream_tbENKUlT_T0_E_clISt17integral_constantIbLb1EESY_IbLb0EEEEDaSU_SV_EUlSU_E_NS1_11comp_targetILNS1_3genE9ELNS1_11target_archE1100ELNS1_3gpuE3ELNS1_3repE0EEENS1_30default_config_static_selectorELNS0_4arch9wavefront6targetE0EEEvT1_,comdat
	.protected	_ZN7rocprim17ROCPRIM_400000_NS6detail17trampoline_kernelINS0_14default_configENS1_20scan_config_selectorIhEEZZNS1_9scan_implILNS1_25lookback_scan_determinismE0ELb0ELb0ES3_N6thrust23THRUST_200600_302600_NS6detail15normal_iteratorINS9_7pointerIhNS9_11hip_rocprim5par_tENS9_11use_defaultESF_EEEENSB_INSC_IjSE_SF_SF_EEEEhNS9_4plusIvEEhEEDaPvRmT3_T4_T5_mT6_P12ihipStream_tbENKUlT_T0_E_clISt17integral_constantIbLb1EESY_IbLb0EEEEDaSU_SV_EUlSU_E_NS1_11comp_targetILNS1_3genE9ELNS1_11target_archE1100ELNS1_3gpuE3ELNS1_3repE0EEENS1_30default_config_static_selectorELNS0_4arch9wavefront6targetE0EEEvT1_ ; -- Begin function _ZN7rocprim17ROCPRIM_400000_NS6detail17trampoline_kernelINS0_14default_configENS1_20scan_config_selectorIhEEZZNS1_9scan_implILNS1_25lookback_scan_determinismE0ELb0ELb0ES3_N6thrust23THRUST_200600_302600_NS6detail15normal_iteratorINS9_7pointerIhNS9_11hip_rocprim5par_tENS9_11use_defaultESF_EEEENSB_INSC_IjSE_SF_SF_EEEEhNS9_4plusIvEEhEEDaPvRmT3_T4_T5_mT6_P12ihipStream_tbENKUlT_T0_E_clISt17integral_constantIbLb1EESY_IbLb0EEEEDaSU_SV_EUlSU_E_NS1_11comp_targetILNS1_3genE9ELNS1_11target_archE1100ELNS1_3gpuE3ELNS1_3repE0EEENS1_30default_config_static_selectorELNS0_4arch9wavefront6targetE0EEEvT1_
	.globl	_ZN7rocprim17ROCPRIM_400000_NS6detail17trampoline_kernelINS0_14default_configENS1_20scan_config_selectorIhEEZZNS1_9scan_implILNS1_25lookback_scan_determinismE0ELb0ELb0ES3_N6thrust23THRUST_200600_302600_NS6detail15normal_iteratorINS9_7pointerIhNS9_11hip_rocprim5par_tENS9_11use_defaultESF_EEEENSB_INSC_IjSE_SF_SF_EEEEhNS9_4plusIvEEhEEDaPvRmT3_T4_T5_mT6_P12ihipStream_tbENKUlT_T0_E_clISt17integral_constantIbLb1EESY_IbLb0EEEEDaSU_SV_EUlSU_E_NS1_11comp_targetILNS1_3genE9ELNS1_11target_archE1100ELNS1_3gpuE3ELNS1_3repE0EEENS1_30default_config_static_selectorELNS0_4arch9wavefront6targetE0EEEvT1_
	.p2align	8
	.type	_ZN7rocprim17ROCPRIM_400000_NS6detail17trampoline_kernelINS0_14default_configENS1_20scan_config_selectorIhEEZZNS1_9scan_implILNS1_25lookback_scan_determinismE0ELb0ELb0ES3_N6thrust23THRUST_200600_302600_NS6detail15normal_iteratorINS9_7pointerIhNS9_11hip_rocprim5par_tENS9_11use_defaultESF_EEEENSB_INSC_IjSE_SF_SF_EEEEhNS9_4plusIvEEhEEDaPvRmT3_T4_T5_mT6_P12ihipStream_tbENKUlT_T0_E_clISt17integral_constantIbLb1EESY_IbLb0EEEEDaSU_SV_EUlSU_E_NS1_11comp_targetILNS1_3genE9ELNS1_11target_archE1100ELNS1_3gpuE3ELNS1_3repE0EEENS1_30default_config_static_selectorELNS0_4arch9wavefront6targetE0EEEvT1_,@function
_ZN7rocprim17ROCPRIM_400000_NS6detail17trampoline_kernelINS0_14default_configENS1_20scan_config_selectorIhEEZZNS1_9scan_implILNS1_25lookback_scan_determinismE0ELb0ELb0ES3_N6thrust23THRUST_200600_302600_NS6detail15normal_iteratorINS9_7pointerIhNS9_11hip_rocprim5par_tENS9_11use_defaultESF_EEEENSB_INSC_IjSE_SF_SF_EEEEhNS9_4plusIvEEhEEDaPvRmT3_T4_T5_mT6_P12ihipStream_tbENKUlT_T0_E_clISt17integral_constantIbLb1EESY_IbLb0EEEEDaSU_SV_EUlSU_E_NS1_11comp_targetILNS1_3genE9ELNS1_11target_archE1100ELNS1_3gpuE3ELNS1_3repE0EEENS1_30default_config_static_selectorELNS0_4arch9wavefront6targetE0EEEvT1_: ; @_ZN7rocprim17ROCPRIM_400000_NS6detail17trampoline_kernelINS0_14default_configENS1_20scan_config_selectorIhEEZZNS1_9scan_implILNS1_25lookback_scan_determinismE0ELb0ELb0ES3_N6thrust23THRUST_200600_302600_NS6detail15normal_iteratorINS9_7pointerIhNS9_11hip_rocprim5par_tENS9_11use_defaultESF_EEEENSB_INSC_IjSE_SF_SF_EEEEhNS9_4plusIvEEhEEDaPvRmT3_T4_T5_mT6_P12ihipStream_tbENKUlT_T0_E_clISt17integral_constantIbLb1EESY_IbLb0EEEEDaSU_SV_EUlSU_E_NS1_11comp_targetILNS1_3genE9ELNS1_11target_archE1100ELNS1_3gpuE3ELNS1_3repE0EEENS1_30default_config_static_selectorELNS0_4arch9wavefront6targetE0EEEvT1_
; %bb.0:
	s_clause 0x1
	s_load_b256 s[16:23], s[0:1], 0x0
	s_load_b32 s2, s[0:1], 0x30
	s_mul_i32 s12, s15, 0x1800
	s_mov_b32 s3, -1
	s_mov_b32 s13, 0
	s_waitcnt lgkmcnt(0)
	s_add_u32 s4, s16, s18
	s_addc_u32 s5, s17, s19
	s_add_i32 s2, s2, -1
	s_delay_alu instid0(SALU_CYCLE_1) | instskip(NEXT) | instid1(SALU_CYCLE_1)
	s_mul_i32 s6, s2, 0x1800
	s_sub_u32 s14, s22, s6
	s_subb_u32 s22, s23, 0
	s_cmp_lg_u32 s15, s2
	s_cselect_b32 s23, -1, 0
	s_add_u32 s4, s4, s12
	s_addc_u32 s5, s5, 0
	s_and_b32 vcc_lo, exec_lo, s23
	s_cbranch_vccz .LBB157_2
; %bb.1:
	v_add_co_u32 v1, s2, s4, v0
	s_delay_alu instid0(VALU_DEP_1) | instskip(SKIP_1) | instid1(VALU_DEP_2)
	v_add_co_ci_u32_e64 v2, null, s5, 0, s2
	s_mov_b32 s3, s13
	v_add_co_u32 v3, vcc_lo, 0x1000, v1
	s_clause 0x7
	flat_load_u8 v5, v[1:2]
	flat_load_u8 v6, v[1:2] offset:256
	flat_load_u8 v7, v[1:2] offset:512
	;; [unrolled: 1-line block ×7, first 2 shown]
	v_add_co_ci_u32_e32 v4, vcc_lo, 0, v2, vcc_lo
	s_clause 0xf
	flat_load_u8 v13, v[1:2] offset:2048
	flat_load_u8 v14, v[1:2] offset:2304
	;; [unrolled: 1-line block ×8, first 2 shown]
	flat_load_u8 v2, v[3:4]
	flat_load_u8 v20, v[3:4] offset:256
	flat_load_u8 v21, v[3:4] offset:512
	;; [unrolled: 1-line block ×7, first 2 shown]
	s_waitcnt vmcnt(23) lgkmcnt(23)
	ds_store_b8 v0, v5
	s_waitcnt vmcnt(22) lgkmcnt(23)
	ds_store_b8 v0, v6 offset:256
	s_waitcnt vmcnt(21) lgkmcnt(23)
	ds_store_b8 v0, v7 offset:512
	;; [unrolled: 2-line block ×23, first 2 shown]
	s_waitcnt lgkmcnt(0)
	s_barrier
.LBB157_2:
	s_load_b64 s[16:17], s[0:1], 0x28
	v_cmp_gt_u32_e64 s2, s14, v0
	s_and_not1_b32 vcc_lo, exec_lo, s3
	s_cbranch_vccnz .LBB157_52
; %bb.3:
	v_dual_mov_b32 v1, s4 :: v_dual_mov_b32 v2, s5
	flat_load_u8 v1, v[1:2]
	s_waitcnt vmcnt(0) lgkmcnt(0)
	v_mov_b32_e32 v2, v1
	s_and_saveexec_b32 s3, s2
	s_cbranch_execz .LBB157_5
; %bb.4:
	v_add_co_u32 v2, s2, s4, v0
	s_delay_alu instid0(VALU_DEP_1)
	v_add_co_ci_u32_e64 v3, null, s5, 0, s2
	flat_load_u8 v2, v[2:3]
.LBB157_5:
	s_or_b32 exec_lo, exec_lo, s3
	v_or_b32_e32 v3, 0x100, v0
	s_delay_alu instid0(VALU_DEP_1)
	v_cmp_gt_u32_e32 vcc_lo, s14, v3
	v_mov_b32_e32 v3, v1
	s_and_saveexec_b32 s2, vcc_lo
	s_cbranch_execz .LBB157_7
; %bb.6:
	v_add_co_u32 v3, s3, s4, v0
	s_delay_alu instid0(VALU_DEP_1)
	v_add_co_ci_u32_e64 v4, null, s5, 0, s3
	flat_load_u8 v3, v[3:4] offset:256
.LBB157_7:
	s_or_b32 exec_lo, exec_lo, s2
	v_or_b32_e32 v4, 0x200, v0
	s_delay_alu instid0(VALU_DEP_1)
	v_cmp_gt_u32_e32 vcc_lo, s14, v4
	v_mov_b32_e32 v4, v1
	s_and_saveexec_b32 s2, vcc_lo
	s_cbranch_execz .LBB157_9
; %bb.8:
	v_add_co_u32 v4, s3, s4, v0
	s_delay_alu instid0(VALU_DEP_1)
	v_add_co_ci_u32_e64 v5, null, s5, 0, s3
	flat_load_u8 v4, v[4:5] offset:512
.LBB157_9:
	;; [unrolled: 13-line block ×15, first 2 shown]
	s_or_b32 exec_lo, exec_lo, s2
	v_or_b32_e32 v19, 0x1000, v0
	v_mov_b32_e32 v18, v1
	s_mov_b32 s2, exec_lo
	s_delay_alu instid0(VALU_DEP_2)
	v_cmpx_gt_u32_e64 s14, v19
	s_cbranch_execz .LBB157_37
; %bb.36:
	v_add_co_u32 v18, s3, s4, v19
	s_delay_alu instid0(VALU_DEP_1)
	v_add_co_ci_u32_e64 v19, null, s5, 0, s3
	flat_load_u8 v18, v[18:19]
.LBB157_37:
	s_or_b32 exec_lo, exec_lo, s2
	v_or_b32_e32 v20, 0x1100, v0
	v_mov_b32_e32 v19, v1
	s_mov_b32 s2, exec_lo
	s_delay_alu instid0(VALU_DEP_2)
	v_cmpx_gt_u32_e64 s14, v20
	s_cbranch_execz .LBB157_39
; %bb.38:
	v_add_co_u32 v19, s3, s4, v20
	s_delay_alu instid0(VALU_DEP_1)
	v_add_co_ci_u32_e64 v20, null, s5, 0, s3
	flat_load_u8 v19, v[19:20]
.LBB157_39:
	;; [unrolled: 13-line block ×7, first 2 shown]
	s_or_b32 exec_lo, exec_lo, s2
	v_or_b32_e32 v25, 0x1700, v0
	s_mov_b32 s2, exec_lo
	s_delay_alu instid0(VALU_DEP_1)
	v_cmpx_gt_u32_e64 s14, v25
	s_cbranch_execz .LBB157_51
; %bb.50:
	v_add_co_u32 v25, s3, s4, v25
	s_delay_alu instid0(VALU_DEP_1)
	v_add_co_ci_u32_e64 v26, null, s5, 0, s3
	flat_load_u8 v1, v[25:26]
.LBB157_51:
	s_or_b32 exec_lo, exec_lo, s2
	s_waitcnt vmcnt(0) lgkmcnt(0)
	ds_store_b8 v0, v2
	ds_store_b8 v0, v3 offset:256
	ds_store_b8 v0, v4 offset:512
	;; [unrolled: 1-line block ×23, first 2 shown]
	s_waitcnt lgkmcnt(0)
	s_barrier
.LBB157_52:
	v_mul_u32_u24_e32 v11, 24, v0
	s_waitcnt lgkmcnt(0)
	buffer_gl0_inv
	v_mbcnt_lo_u32_b32 v30, -1, 0
	v_lshrrev_b32_e32 v31, 5, v0
	v_or_b32_e32 v32, 31, v0
	ds_load_2addr_b64 v[1:4], v11 offset1:1
	ds_load_b64 v[5:6], v11 offset:16
	s_cmp_lg_u32 s15, 0
	s_waitcnt lgkmcnt(0)
	s_barrier
	buffer_gl0_inv
	v_lshrrev_b32_e32 v27, 8, v1
	v_lshrrev_b32_e32 v28, 16, v1
	;; [unrolled: 1-line block ×18, first 2 shown]
	s_cbranch_scc0 .LBB157_82
; %bb.53:
	v_add_nc_u16 v7, v27, v1
	s_mov_b32 s2, exec_lo
	s_delay_alu instid0(VALU_DEP_1) | instskip(NEXT) | instid1(VALU_DEP_1)
	v_add_nc_u16 v7, v7, v28
	v_add_nc_u16 v7, v7, v29
	s_delay_alu instid0(VALU_DEP_1) | instskip(NEXT) | instid1(VALU_DEP_1)
	v_add_nc_u16 v7, v7, v2
	v_add_nc_u16 v7, v7, v24
	;; [unrolled: 3-line block ×11, first 2 shown]
	s_delay_alu instid0(VALU_DEP_1) | instskip(NEXT) | instid1(VALU_DEP_1)
	v_and_b32_e32 v8, 0xff, v7
	v_mov_b32_dpp v8, v8 row_shr:1 row_mask:0xf bank_mask:0xf
	v_and_b32_e32 v9, 15, v30
	s_delay_alu instid0(VALU_DEP_1) | instskip(NEXT) | instid1(VALU_DEP_3)
	v_cmp_ne_u32_e32 vcc_lo, 0, v9
	v_cndmask_b32_e32 v8, 0, v8, vcc_lo
	v_cmp_lt_u32_e32 vcc_lo, 1, v9
	s_delay_alu instid0(VALU_DEP_2) | instskip(NEXT) | instid1(VALU_DEP_1)
	v_add_nc_u16 v7, v8, v7
	v_and_b32_e32 v8, 0xff, v7
	s_delay_alu instid0(VALU_DEP_1) | instskip(NEXT) | instid1(VALU_DEP_1)
	v_mov_b32_dpp v8, v8 row_shr:2 row_mask:0xf bank_mask:0xf
	v_cndmask_b32_e32 v8, 0, v8, vcc_lo
	v_cmp_lt_u32_e32 vcc_lo, 3, v9
	s_delay_alu instid0(VALU_DEP_2) | instskip(NEXT) | instid1(VALU_DEP_1)
	v_add_nc_u16 v7, v7, v8
	v_and_b32_e32 v8, 0xff, v7
	s_delay_alu instid0(VALU_DEP_1) | instskip(NEXT) | instid1(VALU_DEP_1)
	v_mov_b32_dpp v8, v8 row_shr:4 row_mask:0xf bank_mask:0xf
	v_cndmask_b32_e32 v8, 0, v8, vcc_lo
	v_cmp_lt_u32_e32 vcc_lo, 7, v9
	v_and_b32_e32 v9, 16, v30
	s_delay_alu instid0(VALU_DEP_3) | instskip(NEXT) | instid1(VALU_DEP_1)
	v_add_nc_u16 v7, v7, v8
	v_and_b32_e32 v8, 0xff, v7
	s_delay_alu instid0(VALU_DEP_1) | instskip(NEXT) | instid1(VALU_DEP_1)
	v_mov_b32_dpp v8, v8 row_shr:8 row_mask:0xf bank_mask:0xf
	v_cndmask_b32_e32 v8, 0, v8, vcc_lo
	v_cmp_ne_u32_e32 vcc_lo, 0, v9
	s_delay_alu instid0(VALU_DEP_2) | instskip(NEXT) | instid1(VALU_DEP_1)
	v_add_nc_u16 v7, v7, v8
	v_and_b32_e32 v8, 0xff, v7
	ds_swizzle_b32 v8, v8 offset:swizzle(BROADCAST,32,15)
	s_waitcnt lgkmcnt(0)
	v_cndmask_b32_e32 v8, 0, v8, vcc_lo
	s_delay_alu instid0(VALU_DEP_1)
	v_add_nc_u16 v7, v7, v8
	v_cmpx_eq_u32_e64 v32, v0
	s_cbranch_execz .LBB157_55
; %bb.54:
	ds_store_b8 v31, v7
.LBB157_55:
	s_or_b32 exec_lo, exec_lo, s2
	s_delay_alu instid0(SALU_CYCLE_1)
	s_mov_b32 s2, exec_lo
	s_waitcnt lgkmcnt(0)
	s_barrier
	buffer_gl0_inv
	v_cmpx_gt_u32_e32 8, v0
	s_cbranch_execz .LBB157_57
; %bb.56:
	ds_load_u8 v8, v0
	s_waitcnt lgkmcnt(0)
	v_and_b32_e32 v9, 0xff, v8
	s_delay_alu instid0(VALU_DEP_1) | instskip(SKIP_1) | instid1(VALU_DEP_1)
	v_mov_b32_dpp v9, v9 row_shr:1 row_mask:0xf bank_mask:0xf
	v_and_b32_e32 v10, 7, v30
	v_cmp_ne_u32_e32 vcc_lo, 0, v10
	s_delay_alu instid0(VALU_DEP_3) | instskip(SKIP_1) | instid1(VALU_DEP_2)
	v_cndmask_b32_e32 v9, 0, v9, vcc_lo
	v_cmp_lt_u32_e32 vcc_lo, 1, v10
	v_add_nc_u16 v8, v9, v8
	s_delay_alu instid0(VALU_DEP_1) | instskip(NEXT) | instid1(VALU_DEP_1)
	v_and_b32_e32 v9, 0xff, v8
	v_mov_b32_dpp v9, v9 row_shr:2 row_mask:0xf bank_mask:0xf
	s_delay_alu instid0(VALU_DEP_1) | instskip(SKIP_1) | instid1(VALU_DEP_2)
	v_cndmask_b32_e32 v9, 0, v9, vcc_lo
	v_cmp_lt_u32_e32 vcc_lo, 3, v10
	v_add_nc_u16 v8, v8, v9
	s_delay_alu instid0(VALU_DEP_1) | instskip(NEXT) | instid1(VALU_DEP_1)
	v_and_b32_e32 v9, 0xff, v8
	v_mov_b32_dpp v9, v9 row_shr:4 row_mask:0xf bank_mask:0xf
	s_delay_alu instid0(VALU_DEP_1) | instskip(NEXT) | instid1(VALU_DEP_1)
	v_cndmask_b32_e32 v9, 0, v9, vcc_lo
	v_add_nc_u16 v8, v8, v9
	ds_store_b8 v0, v8
.LBB157_57:
	s_or_b32 exec_lo, exec_lo, s2
	v_cmp_gt_u32_e32 vcc_lo, 32, v0
	s_mov_b32 s3, exec_lo
	s_waitcnt lgkmcnt(0)
	s_barrier
	buffer_gl0_inv
                                        ; implicit-def: $vgpr33
	v_cmpx_lt_u32_e32 31, v0
	s_cbranch_execz .LBB157_59
; %bb.58:
	v_add_nc_u32_e32 v8, -1, v31
	ds_load_u8 v33, v8
	s_waitcnt lgkmcnt(0)
	v_add_nc_u16 v7, v33, v7
.LBB157_59:
	s_or_b32 exec_lo, exec_lo, s3
	v_add_nc_u32_e32 v8, -1, v30
	s_delay_alu instid0(VALU_DEP_2) | instskip(NEXT) | instid1(VALU_DEP_2)
	v_and_b32_e32 v7, 0xff, v7
	v_cmp_gt_i32_e64 s2, 0, v8
	s_delay_alu instid0(VALU_DEP_1) | instskip(SKIP_1) | instid1(VALU_DEP_2)
	v_cndmask_b32_e64 v8, v8, v30, s2
	v_cmp_eq_u32_e64 s2, 0, v30
	v_lshlrev_b32_e32 v8, 2, v8
	ds_bpermute_b32 v34, v8, v7
	s_and_saveexec_b32 s4, vcc_lo
	s_cbranch_execz .LBB157_81
; %bb.60:
	v_mov_b32_e32 v9, 0
	ds_load_u8 v35, v9 offset:7
	s_and_saveexec_b32 s3, s2
	s_cbranch_execz .LBB157_62
; %bb.61:
	s_waitcnt lgkmcnt(0)
	v_and_b32_e32 v7, 0xff, v35
	s_add_i32 s6, s15, 32
	s_mov_b32 s7, 0
	s_delay_alu instid0(SALU_CYCLE_1) | instskip(NEXT) | instid1(VALU_DEP_1)
	s_lshl_b64 s[6:7], s[6:7], 1
	v_or_b32_e32 v7, 0x100, v7
	s_add_u32 s6, s16, s6
	s_addc_u32 s7, s17, s7
	global_store_b16 v9, v7, s[6:7]
.LBB157_62:
	s_or_b32 exec_lo, exec_lo, s3
	v_xad_u32 v7, v30, -1, s15
	s_mov_b32 s6, 1
	s_mov_b32 s5, 0
	s_mov_b32 s3, exec_lo
	s_delay_alu instid0(VALU_DEP_1) | instskip(NEXT) | instid1(VALU_DEP_1)
	v_add_nc_u32_e32 v8, 32, v7
	v_lshlrev_b64 v[8:9], 1, v[8:9]
	s_delay_alu instid0(VALU_DEP_1) | instskip(NEXT) | instid1(VALU_DEP_2)
	v_add_co_u32 v8, vcc_lo, s16, v8
	v_add_co_ci_u32_e32 v9, vcc_lo, s17, v9, vcc_lo
	global_load_u16 v10, v[8:9], off glc
	s_waitcnt vmcnt(0)
	v_lshrrev_b16 v38, 8, v10
	s_delay_alu instid0(VALU_DEP_1)
	v_cmpx_eq_u16_e32 0, v38
	s_cbranch_execz .LBB157_67
	.p2align	6
.LBB157_63:                             ; =>This Loop Header: Depth=1
                                        ;     Child Loop BB157_64 Depth 2
	s_max_u32 s7, s6, 1
.LBB157_64:                             ;   Parent Loop BB157_63 Depth=1
                                        ; =>  This Inner Loop Header: Depth=2
	s_delay_alu instid0(SALU_CYCLE_1)
	s_add_i32 s7, s7, -1
	s_sleep 1
	s_cmp_eq_u32 s7, 0
	s_cbranch_scc0 .LBB157_64
; %bb.65:                               ;   in Loop: Header=BB157_63 Depth=1
	global_load_u16 v10, v[8:9], off glc
	s_cmp_lt_u32 s6, 32
	s_cselect_b32 s7, -1, 0
	s_delay_alu instid0(SALU_CYCLE_1) | instskip(SKIP_3) | instid1(VALU_DEP_1)
	s_cmp_lg_u32 s7, 0
	s_addc_u32 s6, s6, 0
	s_waitcnt vmcnt(0)
	v_lshrrev_b16 v38, 8, v10
	v_cmp_ne_u16_e32 vcc_lo, 0, v38
	s_or_b32 s5, vcc_lo, s5
	s_delay_alu instid0(SALU_CYCLE_1)
	s_and_not1_b32 exec_lo, exec_lo, s5
	s_cbranch_execnz .LBB157_63
; %bb.66:
	s_or_b32 exec_lo, exec_lo, s5
.LBB157_67:
	s_delay_alu instid0(SALU_CYCLE_1)
	s_or_b32 exec_lo, exec_lo, s3
	v_cmp_ne_u32_e32 vcc_lo, 31, v30
	v_lshlrev_b32_e64 v37, v30, -1
	v_cmp_gt_u32_e64 s3, 30, v30
	v_add_co_ci_u32_e32 v8, vcc_lo, 0, v30, vcc_lo
	v_cmp_eq_u16_e32 vcc_lo, 2, v38
	s_delay_alu instid0(VALU_DEP_3) | instskip(SKIP_1) | instid1(VALU_DEP_4)
	v_cndmask_b32_e64 v39, 0, 1, s3
	v_cmp_gt_u32_e64 s3, 28, v30
	v_lshlrev_b32_e32 v36, 2, v8
	v_and_or_b32 v40, vcc_lo, v37, 0x80000000
	s_delay_alu instid0(VALU_DEP_4) | instskip(NEXT) | instid1(VALU_DEP_4)
	v_lshlrev_b32_e32 v39, 1, v39
	v_cndmask_b32_e64 v41, 0, 1, s3
	s_delay_alu instid0(VALU_DEP_3) | instskip(NEXT) | instid1(VALU_DEP_3)
	v_ctz_i32_b32_e32 v44, v40
	v_add_lshl_u32 v39, v39, v30, 2
	s_delay_alu instid0(VALU_DEP_3) | instskip(NEXT) | instid1(VALU_DEP_3)
	v_lshlrev_b32_e32 v41, 2, v41
	v_cmp_lt_u32_e32 vcc_lo, v30, v44
	v_and_b32_e32 v9, 0xff, v10
	s_delay_alu instid0(VALU_DEP_3) | instskip(SKIP_3) | instid1(VALU_DEP_1)
	v_add_lshl_u32 v41, v41, v30, 2
	ds_bpermute_b32 v8, v36, v9
	s_waitcnt lgkmcnt(0)
	v_add_nc_u16 v8, v10, v8
	v_and_b32_e32 v40, 0xff, v8
	v_cndmask_b32_e32 v8, v10, v8, vcc_lo
	s_delay_alu instid0(VALU_DEP_2) | instskip(SKIP_4) | instid1(VALU_DEP_2)
	v_cndmask_b32_e32 v9, v9, v40, vcc_lo
	ds_bpermute_b32 v40, v39, v9
	s_waitcnt lgkmcnt(0)
	v_add_nc_u16 v42, v8, v40
	v_add_nc_u32_e32 v40, 2, v30
	v_and_b32_e32 v43, 0xff, v42
	s_delay_alu instid0(VALU_DEP_2) | instskip(NEXT) | instid1(VALU_DEP_1)
	v_cmp_gt_u32_e64 s3, v40, v44
	v_cndmask_b32_e64 v9, v43, v9, s3
	v_cndmask_b32_e64 v8, v42, v8, s3
	v_cmp_gt_u32_e64 s3, 24, v30
	ds_bpermute_b32 v43, v41, v9
	v_cndmask_b32_e64 v42, 0, 1, s3
	s_waitcnt lgkmcnt(0)
	v_add_nc_u16 v45, v8, v43
	s_delay_alu instid0(VALU_DEP_2) | instskip(SKIP_1) | instid1(VALU_DEP_3)
	v_lshlrev_b32_e32 v43, 3, v42
	v_add_nc_u32_e32 v42, 4, v30
	v_and_b32_e32 v46, 0xff, v45
	s_delay_alu instid0(VALU_DEP_3) | instskip(NEXT) | instid1(VALU_DEP_3)
	v_add_lshl_u32 v43, v43, v30, 2
	v_cmp_gt_u32_e64 s3, v42, v44
	s_delay_alu instid0(VALU_DEP_1)
	v_cndmask_b32_e64 v9, v46, v9, s3
	v_cndmask_b32_e64 v8, v45, v8, s3
	v_cmp_gt_u32_e64 s3, 16, v30
	ds_bpermute_b32 v46, v43, v9
	v_cndmask_b32_e64 v45, 0, 1, s3
	s_waitcnt lgkmcnt(0)
	v_add_nc_u16 v48, v8, v46
	s_delay_alu instid0(VALU_DEP_2) | instskip(SKIP_1) | instid1(VALU_DEP_3)
	v_lshlrev_b32_e32 v46, 4, v45
	v_add_nc_u32_e32 v45, 8, v30
	v_and_b32_e32 v47, 0xff, v48
	s_delay_alu instid0(VALU_DEP_3) | instskip(NEXT) | instid1(VALU_DEP_3)
	v_add_lshl_u32 v46, v46, v30, 2
	v_cmp_gt_u32_e64 s3, v45, v44
	s_delay_alu instid0(VALU_DEP_1)
	v_cndmask_b32_e64 v9, v47, v9, s3
	v_add_nc_u32_e32 v47, 16, v30
	v_cndmask_b32_e64 v8, v48, v8, s3
	ds_bpermute_b32 v9, v46, v9
	v_cmp_le_u32_e64 s3, v47, v44
	s_waitcnt lgkmcnt(0)
	s_delay_alu instid0(VALU_DEP_1) | instskip(NEXT) | instid1(VALU_DEP_1)
	v_cndmask_b32_e64 v9, 0, v9, s3
	v_add_nc_u16 v8, v8, v9
	s_delay_alu instid0(VALU_DEP_1)
	v_dual_cndmask_b32 v9, v10, v8 :: v_dual_mov_b32 v8, 0
	s_branch .LBB157_69
.LBB157_68:                             ;   in Loop: Header=BB157_69 Depth=1
	s_or_b32 exec_lo, exec_lo, s3
	v_cmp_eq_u16_e32 vcc_lo, 2, v38
	v_subrev_nc_u32_e32 v7, 32, v7
	v_and_or_b32 v49, vcc_lo, v37, 0x80000000
	s_delay_alu instid0(VALU_DEP_1) | instskip(NEXT) | instid1(VALU_DEP_1)
	v_ctz_i32_b32_e32 v49, v49
	v_cmp_lt_u32_e32 vcc_lo, v30, v49
	v_and_b32_e32 v9, 0xff, v48
	v_cmp_gt_u32_e64 s3, v40, v49
	ds_bpermute_b32 v10, v36, v9
	s_waitcnt lgkmcnt(0)
	v_add_nc_u16 v10, v48, v10
	s_delay_alu instid0(VALU_DEP_1) | instskip(SKIP_1) | instid1(VALU_DEP_2)
	v_and_b32_e32 v50, 0xff, v10
	v_cndmask_b32_e32 v10, v48, v10, vcc_lo
	v_cndmask_b32_e32 v9, v9, v50, vcc_lo
	ds_bpermute_b32 v50, v39, v9
	s_waitcnt lgkmcnt(0)
	v_add_nc_u16 v50, v10, v50
	s_delay_alu instid0(VALU_DEP_1) | instskip(SKIP_1) | instid1(VALU_DEP_2)
	v_and_b32_e32 v51, 0xff, v50
	v_cndmask_b32_e64 v10, v50, v10, s3
	v_cndmask_b32_e64 v9, v51, v9, s3
	v_cmp_gt_u32_e64 s3, v42, v49
	ds_bpermute_b32 v51, v41, v9
	s_waitcnt lgkmcnt(0)
	v_add_nc_u16 v50, v10, v51
	s_delay_alu instid0(VALU_DEP_1) | instskip(SKIP_1) | instid1(VALU_DEP_2)
	v_and_b32_e32 v51, 0xff, v50
	v_cndmask_b32_e64 v10, v50, v10, s3
	v_cndmask_b32_e64 v9, v51, v9, s3
	v_cmp_gt_u32_e64 s3, v45, v49
	ds_bpermute_b32 v51, v43, v9
	s_waitcnt lgkmcnt(0)
	v_add_nc_u16 v50, v10, v51
	s_delay_alu instid0(VALU_DEP_1) | instskip(SKIP_1) | instid1(VALU_DEP_2)
	v_and_b32_e32 v51, 0xff, v50
	v_cndmask_b32_e64 v10, v50, v10, s3
	v_cndmask_b32_e64 v9, v51, v9, s3
	v_cmp_le_u32_e64 s3, v47, v49
	ds_bpermute_b32 v9, v46, v9
	s_waitcnt lgkmcnt(0)
	v_cndmask_b32_e64 v9, 0, v9, s3
	s_delay_alu instid0(VALU_DEP_1) | instskip(NEXT) | instid1(VALU_DEP_1)
	v_add_nc_u16 v9, v10, v9
	v_cndmask_b32_e32 v9, v48, v9, vcc_lo
	s_delay_alu instid0(VALU_DEP_1)
	v_add_nc_u16 v9, v9, v44
.LBB157_69:                             ; =>This Loop Header: Depth=1
                                        ;     Child Loop BB157_72 Depth 2
                                        ;       Child Loop BB157_73 Depth 3
	v_and_b32_e32 v10, 0xff, v38
	s_delay_alu instid0(VALU_DEP_2) | instskip(NEXT) | instid1(VALU_DEP_2)
	v_mov_b32_e32 v44, v9
	v_cmp_ne_u16_e32 vcc_lo, 2, v10
	v_cndmask_b32_e64 v10, 0, 1, vcc_lo
	;;#ASMSTART
	;;#ASMEND
	s_delay_alu instid0(VALU_DEP_1)
	v_cmp_ne_u32_e32 vcc_lo, 0, v10
	s_cmp_lg_u32 vcc_lo, exec_lo
	s_cbranch_scc1 .LBB157_76
; %bb.70:                               ;   in Loop: Header=BB157_69 Depth=1
	v_lshlrev_b64 v[9:10], 1, v[7:8]
	s_mov_b32 s3, exec_lo
	s_delay_alu instid0(VALU_DEP_1) | instskip(NEXT) | instid1(VALU_DEP_2)
	v_add_co_u32 v9, vcc_lo, s16, v9
	v_add_co_ci_u32_e32 v10, vcc_lo, s17, v10, vcc_lo
	global_load_u16 v48, v[9:10], off glc
	s_waitcnt vmcnt(0)
	v_lshrrev_b16 v38, 8, v48
	s_delay_alu instid0(VALU_DEP_1)
	v_cmpx_eq_u16_e32 0, v38
	s_cbranch_execz .LBB157_68
; %bb.71:                               ;   in Loop: Header=BB157_69 Depth=1
	s_mov_b32 s6, 1
	s_mov_b32 s5, 0
	.p2align	6
.LBB157_72:                             ;   Parent Loop BB157_69 Depth=1
                                        ; =>  This Loop Header: Depth=2
                                        ;       Child Loop BB157_73 Depth 3
	s_max_u32 s7, s6, 1
.LBB157_73:                             ;   Parent Loop BB157_69 Depth=1
                                        ;     Parent Loop BB157_72 Depth=2
                                        ; =>    This Inner Loop Header: Depth=3
	s_delay_alu instid0(SALU_CYCLE_1)
	s_add_i32 s7, s7, -1
	s_sleep 1
	s_cmp_eq_u32 s7, 0
	s_cbranch_scc0 .LBB157_73
; %bb.74:                               ;   in Loop: Header=BB157_72 Depth=2
	global_load_u16 v48, v[9:10], off glc
	s_cmp_lt_u32 s6, 32
	s_cselect_b32 s7, -1, 0
	s_delay_alu instid0(SALU_CYCLE_1) | instskip(SKIP_3) | instid1(VALU_DEP_1)
	s_cmp_lg_u32 s7, 0
	s_addc_u32 s6, s6, 0
	s_waitcnt vmcnt(0)
	v_lshrrev_b16 v38, 8, v48
	v_cmp_ne_u16_e32 vcc_lo, 0, v38
	s_or_b32 s5, vcc_lo, s5
	s_delay_alu instid0(SALU_CYCLE_1)
	s_and_not1_b32 exec_lo, exec_lo, s5
	s_cbranch_execnz .LBB157_72
; %bb.75:                               ;   in Loop: Header=BB157_69 Depth=1
	s_or_b32 exec_lo, exec_lo, s5
	s_branch .LBB157_68
.LBB157_76:                             ;   in Loop: Header=BB157_69 Depth=1
                                        ; implicit-def: $vgpr9
                                        ; implicit-def: $vgpr38
	s_cbranch_execz .LBB157_69
; %bb.77:
	s_and_saveexec_b32 s3, s2
	s_cbranch_execz .LBB157_79
; %bb.78:
	v_add_nc_u16 v7, v44, v35
	s_add_i32 s6, s15, 32
	s_mov_b32 s7, 0
	v_mov_b32_e32 v8, 0
	s_lshl_b64 s[6:7], s[6:7], 1
	v_and_b32_e32 v7, 0xff, v7
	s_add_u32 s6, s16, s6
	s_addc_u32 s7, s17, s7
	s_delay_alu instid0(VALU_DEP_1)
	v_or_b32_e32 v7, 0x200, v7
	global_store_b16 v8, v7, s[6:7]
.LBB157_79:
	s_or_b32 exec_lo, exec_lo, s3
	v_cmp_eq_u32_e32 vcc_lo, 0, v0
	s_and_b32 exec_lo, exec_lo, vcc_lo
	s_cbranch_execz .LBB157_81
; %bb.80:
	v_mov_b32_e32 v7, 0
	ds_store_b8 v7, v44 offset:7
.LBB157_81:
	s_or_b32 exec_lo, exec_lo, s4
	s_waitcnt lgkmcnt(0)
	v_cndmask_b32_e64 v8, v34, v33, s2
	v_cmp_ne_u32_e32 vcc_lo, 0, v0
	v_mov_b32_e32 v7, 0
	s_waitcnt_vscnt null, 0x0
	s_barrier
	buffer_gl0_inv
	v_cndmask_b32_e32 v8, 0, v8, vcc_lo
	ds_load_u8 v7, v7 offset:7
	v_add_nc_u16 v8, v8, v1
	s_waitcnt lgkmcnt(0)
	s_delay_alu instid0(VALU_DEP_1) | instskip(NEXT) | instid1(VALU_DEP_1)
	v_add_nc_u16 v7, v8, v7
	v_add_nc_u16 v8, v7, v27
	s_delay_alu instid0(VALU_DEP_1) | instskip(NEXT) | instid1(VALU_DEP_1)
	v_add_nc_u16 v9, v8, v28
	v_add_nc_u16 v10, v9, v29
	;; [unrolled: 3-line block ×12, first 2 shown]
	s_load_b256 s[4:11], s[0:1], 0x38
	s_branch .LBB157_96
.LBB157_82:
                                        ; implicit-def: $vgpr7
                                        ; implicit-def: $vgpr8
                                        ; implicit-def: $vgpr9
                                        ; implicit-def: $vgpr10
                                        ; implicit-def: $vgpr33
                                        ; implicit-def: $vgpr34
                                        ; implicit-def: $vgpr35
                                        ; implicit-def: $vgpr36
                                        ; implicit-def: $vgpr37
                                        ; implicit-def: $vgpr38
                                        ; implicit-def: $vgpr39
                                        ; implicit-def: $vgpr40
                                        ; implicit-def: $vgpr42
                                        ; implicit-def: $vgpr45
                                        ; implicit-def: $vgpr46
                                        ; implicit-def: $vgpr48
                                        ; implicit-def: $vgpr41
                                        ; implicit-def: $vgpr43
                                        ; implicit-def: $vgpr44
                                        ; implicit-def: $vgpr47
                                        ; implicit-def: $vgpr49
                                        ; implicit-def: $vgpr50
                                        ; implicit-def: $vgpr51
                                        ; implicit-def: $vgpr52
	s_load_b256 s[4:11], s[0:1], 0x38
	s_cbranch_execz .LBB157_96
; %bb.83:
	v_cmp_eq_u32_e64 s0, 0, v0
	s_waitcnt lgkmcnt(0)
	s_cmp_lg_u64 s[8:9], 0
	v_cmp_ne_u32_e32 vcc_lo, 0, v0
	v_mov_b32_e32 v7, v1
	s_cselect_b32 s1, -1, 0
	s_delay_alu instid0(SALU_CYCLE_1) | instskip(NEXT) | instid1(SALU_CYCLE_1)
	s_and_b32 s1, s0, s1
	s_and_saveexec_b32 s0, s1
	s_cbranch_execz .LBB157_85
; %bb.84:
	v_mov_b32_e32 v7, 0
	global_load_u8 v7, v7, s[4:5]
	s_waitcnt vmcnt(0)
	v_add_nc_u16 v7, v7, v1
.LBB157_85:
	s_or_b32 exec_lo, exec_lo, s0
	s_delay_alu instid0(VALU_DEP_1) | instskip(SKIP_2) | instid1(VALU_DEP_2)
	v_add_nc_u16 v8, v7, v27
	v_and_b32_e32 v53, 15, v30
	s_mov_b32 s1, exec_lo
	v_add_nc_u16 v9, v8, v28
	s_delay_alu instid0(VALU_DEP_2) | instskip(NEXT) | instid1(VALU_DEP_2)
	v_cmp_ne_u32_e64 s0, 0, v53
	v_add_nc_u16 v10, v9, v29
	s_delay_alu instid0(VALU_DEP_1) | instskip(NEXT) | instid1(VALU_DEP_1)
	v_add_nc_u16 v33, v10, v2
	v_add_nc_u16 v34, v33, v24
	s_delay_alu instid0(VALU_DEP_1) | instskip(NEXT) | instid1(VALU_DEP_1)
	v_add_nc_u16 v35, v34, v25
	;; [unrolled: 3-line block ×10, first 2 shown]
	v_add_nc_u16 v52, v51, v14
	s_delay_alu instid0(VALU_DEP_1) | instskip(NEXT) | instid1(VALU_DEP_1)
	v_and_b32_e32 v1, 0xff, v52
	v_mov_b32_dpp v1, v1 row_shr:1 row_mask:0xf bank_mask:0xf
	s_delay_alu instid0(VALU_DEP_1) | instskip(SKIP_1) | instid1(VALU_DEP_2)
	v_cndmask_b32_e64 v1, 0, v1, s0
	v_cmp_lt_u32_e64 s0, 1, v53
	v_add_nc_u16 v1, v52, v1
	s_delay_alu instid0(VALU_DEP_1) | instskip(NEXT) | instid1(VALU_DEP_1)
	v_and_b32_e32 v54, 0xff, v1
	v_mov_b32_dpp v54, v54 row_shr:2 row_mask:0xf bank_mask:0xf
	s_delay_alu instid0(VALU_DEP_1) | instskip(SKIP_1) | instid1(VALU_DEP_2)
	v_cndmask_b32_e64 v54, 0, v54, s0
	v_cmp_lt_u32_e64 s0, 3, v53
	;; [unrolled: 7-line block ×3, first 2 shown]
	v_add_nc_u16 v1, v1, v54
	s_delay_alu instid0(VALU_DEP_1) | instskip(NEXT) | instid1(VALU_DEP_1)
	v_and_b32_e32 v54, 0xff, v1
	v_mov_b32_dpp v54, v54 row_shr:8 row_mask:0xf bank_mask:0xf
	s_delay_alu instid0(VALU_DEP_1) | instskip(SKIP_1) | instid1(VALU_DEP_2)
	v_cndmask_b32_e64 v53, 0, v54, s0
	v_and_b32_e32 v54, 16, v30
	v_add_nc_u16 v1, v1, v53
	s_delay_alu instid0(VALU_DEP_2) | instskip(NEXT) | instid1(VALU_DEP_2)
	v_cmp_ne_u32_e64 s0, 0, v54
	v_and_b32_e32 v53, 0xff, v1
	ds_swizzle_b32 v53, v53 offset:swizzle(BROADCAST,32,15)
	s_waitcnt lgkmcnt(0)
	v_cndmask_b32_e64 v53, 0, v53, s0
	s_delay_alu instid0(VALU_DEP_1)
	v_add_nc_u16 v1, v1, v53
	v_cmpx_eq_u32_e64 v32, v0
	s_cbranch_execz .LBB157_87
; %bb.86:
	ds_store_b8 v31, v1
.LBB157_87:
	s_or_b32 exec_lo, exec_lo, s1
	s_delay_alu instid0(SALU_CYCLE_1)
	s_mov_b32 s1, exec_lo
	s_waitcnt lgkmcnt(0)
	s_barrier
	buffer_gl0_inv
	v_cmpx_gt_u32_e32 8, v0
	s_cbranch_execz .LBB157_89
; %bb.88:
	ds_load_u8 v32, v0
	v_and_b32_e32 v54, 7, v30
	s_delay_alu instid0(VALU_DEP_1) | instskip(SKIP_2) | instid1(VALU_DEP_1)
	v_cmp_ne_u32_e64 s0, 0, v54
	s_waitcnt lgkmcnt(0)
	v_and_b32_e32 v53, 0xff, v32
	v_mov_b32_dpp v53, v53 row_shr:1 row_mask:0xf bank_mask:0xf
	s_delay_alu instid0(VALU_DEP_1) | instskip(SKIP_1) | instid1(VALU_DEP_2)
	v_cndmask_b32_e64 v53, 0, v53, s0
	v_cmp_lt_u32_e64 s0, 1, v54
	v_add_nc_u16 v32, v53, v32
	s_delay_alu instid0(VALU_DEP_1) | instskip(NEXT) | instid1(VALU_DEP_1)
	v_and_b32_e32 v53, 0xff, v32
	v_mov_b32_dpp v53, v53 row_shr:2 row_mask:0xf bank_mask:0xf
	s_delay_alu instid0(VALU_DEP_1) | instskip(SKIP_1) | instid1(VALU_DEP_2)
	v_cndmask_b32_e64 v53, 0, v53, s0
	v_cmp_lt_u32_e64 s0, 3, v54
	v_add_nc_u16 v32, v32, v53
	s_delay_alu instid0(VALU_DEP_1) | instskip(NEXT) | instid1(VALU_DEP_1)
	v_and_b32_e32 v53, 0xff, v32
	v_mov_b32_dpp v53, v53 row_shr:4 row_mask:0xf bank_mask:0xf
	s_delay_alu instid0(VALU_DEP_1) | instskip(NEXT) | instid1(VALU_DEP_1)
	v_cndmask_b32_e64 v53, 0, v53, s0
	v_add_nc_u16 v32, v32, v53
	ds_store_b8 v0, v32
.LBB157_89:
	s_or_b32 exec_lo, exec_lo, s1
	s_delay_alu instid0(SALU_CYCLE_1)
	s_mov_b32 s1, exec_lo
	s_waitcnt lgkmcnt(0)
	s_barrier
	buffer_gl0_inv
                                        ; implicit-def: $vgpr32
	v_cmpx_lt_u32_e32 31, v0
	s_cbranch_execz .LBB157_91
; %bb.90:
	v_add_nc_u32_e32 v31, -1, v31
	ds_load_u8 v32, v31
	s_waitcnt lgkmcnt(0)
	v_add_nc_u16 v1, v32, v1
.LBB157_91:
	s_or_b32 exec_lo, exec_lo, s1
	v_add_nc_u32_e32 v31, -1, v30
	s_delay_alu instid0(VALU_DEP_2) | instskip(NEXT) | instid1(VALU_DEP_2)
	v_and_b32_e32 v1, 0xff, v1
	v_cmp_gt_i32_e64 s0, 0, v31
	s_delay_alu instid0(VALU_DEP_1) | instskip(NEXT) | instid1(VALU_DEP_1)
	v_cndmask_b32_e64 v31, v31, v30, s0
	v_lshlrev_b32_e32 v31, 2, v31
	ds_bpermute_b32 v1, v31, v1
	s_and_saveexec_b32 s0, vcc_lo
	s_cbranch_execz .LBB157_93
; %bb.92:
	v_cmp_eq_u32_e32 vcc_lo, 0, v30
	;;#ASMSTART
	;;#ASMEND
	s_waitcnt lgkmcnt(0)
	v_cndmask_b32_e32 v1, v1, v32, vcc_lo
	s_delay_alu instid0(VALU_DEP_1) | instskip(NEXT) | instid1(VALU_DEP_1)
	v_add_nc_u16 v7, v1, v7
	v_add_nc_u16 v8, v7, v27
	s_delay_alu instid0(VALU_DEP_1) | instskip(NEXT) | instid1(VALU_DEP_1)
	v_add_nc_u16 v9, v8, v28
	v_add_nc_u16 v10, v9, v29
	;; [unrolled: 3-line block ×12, first 2 shown]
.LBB157_93:
	s_or_b32 exec_lo, exec_lo, s0
	s_delay_alu instid0(SALU_CYCLE_1)
	s_mov_b32 s0, exec_lo
	v_cmpx_eq_u32_e32 0xff, v0
	s_cbranch_execz .LBB157_95
; %bb.94:
	s_waitcnt lgkmcnt(0)
	v_dual_mov_b32 v2, 0 :: v_dual_and_b32 v1, 0xff, v52
	s_delay_alu instid0(VALU_DEP_1)
	v_or_b32_e32 v1, 0x200, v1
	global_store_b16 v2, v1, s[16:17] offset:64
.LBB157_95:
	s_or_b32 exec_lo, exec_lo, s0
.LBB157_96:
	s_lshl_b64 s[0:1], s[18:19], 2
	v_lshlrev_b16 v21, 8, v45
	s_add_u32 s2, s20, s0
	s_addc_u32 s3, s21, s1
	s_lshl_b64 s[0:1], s[12:13], 2
	v_and_b32_e32 v25, 0xff, v42
	v_lshlrev_b16 v22, 8, v48
	v_and_b32_e32 v26, 0xff, v46
	v_lshlrev_b16 v19, 8, v38
	v_and_b32_e32 v23, 0xff, v37
	v_lshlrev_b16 v20, 8, v40
	v_and_b32_e32 v24, 0xff, v39
	v_lshlrev_b16 v14, 8, v34
	v_and_b32_e32 v17, 0xff, v33
	v_lshlrev_b16 v15, 8, v36
	v_and_b32_e32 v18, 0xff, v35
	v_lshlrev_b16 v13, 8, v8
	v_and_b32_e32 v16, 0xff, v7
	v_lshlrev_b16 v10, 8, v10
	v_and_b32_e32 v12, 0xff, v9
	v_lshlrev_b16 v4, 8, v50
	v_and_b32_e32 v8, 0xff, v49
	v_lshlrev_b16 v5, 8, v52
	v_and_b32_e32 v9, 0xff, v51
	s_waitcnt lgkmcnt(0)
	v_lshlrev_b16 v1, 8, v43
	v_and_b32_e32 v6, 0xff, v41
	v_lshlrev_b16 v3, 8, v47
	v_and_b32_e32 v7, 0xff, v44
	v_lshlrev_b32_e32 v2, 2, v0
	s_add_u32 s0, s2, s0
	s_addc_u32 s1, s3, s1
	s_and_b32 vcc_lo, exec_lo, s23
	s_mov_b32 s2, -1
	s_waitcnt_vscnt null, 0x0
	s_barrier
	buffer_gl0_inv
	s_cbranch_vccz .LBB157_98
; %bb.97:
	v_or_b32_e32 v27, v25, v21
	v_or_b32_e32 v28, v26, v22
	;; [unrolled: 1-line block ×5, first 2 shown]
	v_and_b32_e32 v27, 0xffff, v27
	v_lshlrev_b32_e32 v28, 16, v28
	v_or_b32_e32 v33, v16, v13
	v_or_b32_e32 v29, v23, v19
	;; [unrolled: 1-line block ×5, first 2 shown]
	v_lshlrev_b32_e32 v27, 16, v30
	v_and_b32_e32 v30, 0xffff, v31
	v_lshlrev_b32_e32 v31, 16, v32
	v_and_b32_e32 v32, 0xffff, v33
	v_or_b32_e32 v33, v12, v10
	v_or_b32_e32 v36, v6, v1
	;; [unrolled: 1-line block ×3, first 2 shown]
	v_and_b32_e32 v29, 0xffff, v29
	v_and_b32_e32 v34, 0xffff, v34
	v_lshlrev_b32_e32 v33, 16, v33
	v_lshlrev_b32_e32 v35, 16, v35
	v_and_b32_e32 v36, 0xffff, v36
	v_lshlrev_b32_e32 v37, 16, v37
	v_or_b32_e32 v27, v29, v27
	v_or_b32_e32 v30, v30, v31
	;; [unrolled: 1-line block ×5, first 2 shown]
	ds_store_2addr_b64 v11, v[29:30], v[27:28] offset1:1
	ds_store_b64 v11, v[31:32] offset:16
	v_add_co_u32 v27, s2, s0, v2
	s_waitcnt lgkmcnt(0)
	s_barrier
	buffer_gl0_inv
	ds_load_u8 v31, v0
	ds_load_u8 v32, v0 offset:256
	ds_load_u8 v33, v0 offset:512
	;; [unrolled: 1-line block ×23, first 2 shown]
	v_add_co_ci_u32_e64 v28, null, s1, 0, s2
	v_add_co_u32 v29, vcc_lo, 0x1000, v27
	s_mov_b32 s2, 0
	s_delay_alu instid0(VALU_DEP_2)
	v_add_co_ci_u32_e32 v30, vcc_lo, 0, v28, vcc_lo
	s_waitcnt lgkmcnt(23)
	flat_store_b32 v[27:28], v31
	s_waitcnt lgkmcnt(23)
	flat_store_b32 v[27:28], v32 offset:1024
	s_waitcnt lgkmcnt(23)
	flat_store_b32 v[27:28], v33 offset:2048
	;; [unrolled: 2-line block ×3, first 2 shown]
	s_waitcnt lgkmcnt(23)
	flat_store_b32 v[29:30], v35
	s_waitcnt lgkmcnt(23)
	flat_store_b32 v[29:30], v36 offset:1024
	s_waitcnt lgkmcnt(23)
	flat_store_b32 v[29:30], v37 offset:2048
	;; [unrolled: 2-line block ×3, first 2 shown]
	v_add_co_u32 v29, vcc_lo, 0x2000, v27
	v_add_co_ci_u32_e32 v30, vcc_lo, 0, v28, vcc_lo
	v_add_co_u32 v31, vcc_lo, 0x3000, v27
	v_add_co_ci_u32_e32 v32, vcc_lo, 0, v28, vcc_lo
	s_waitcnt lgkmcnt(23)
	flat_store_b32 v[29:30], v39
	s_waitcnt lgkmcnt(23)
	flat_store_b32 v[29:30], v40 offset:1024
	s_waitcnt lgkmcnt(23)
	flat_store_b32 v[29:30], v41 offset:2048
	;; [unrolled: 2-line block ×3, first 2 shown]
	s_waitcnt lgkmcnt(23)
	flat_store_b32 v[31:32], v43
	s_waitcnt lgkmcnt(23)
	flat_store_b32 v[31:32], v44 offset:1024
	s_waitcnt lgkmcnt(23)
	flat_store_b32 v[31:32], v45 offset:2048
	;; [unrolled: 2-line block ×3, first 2 shown]
	v_add_co_u32 v29, vcc_lo, 0x4000, v27
	v_add_co_ci_u32_e32 v30, vcc_lo, 0, v28, vcc_lo
	v_add_co_u32 v27, vcc_lo, 0x5000, v27
	v_add_co_ci_u32_e32 v28, vcc_lo, 0, v28, vcc_lo
	s_waitcnt lgkmcnt(23)
	flat_store_b32 v[29:30], v47
	s_waitcnt lgkmcnt(23)
	flat_store_b32 v[29:30], v48 offset:1024
	s_waitcnt lgkmcnt(23)
	flat_store_b32 v[29:30], v49 offset:2048
	;; [unrolled: 2-line block ×3, first 2 shown]
	s_waitcnt lgkmcnt(23)
	flat_store_b32 v[27:28], v51
	s_waitcnt lgkmcnt(23)
	flat_store_b32 v[27:28], v52 offset:1024
	s_waitcnt lgkmcnt(23)
	flat_store_b32 v[27:28], v53 offset:2048
	;; [unrolled: 2-line block ×3, first 2 shown]
.LBB157_98:
	s_and_not1_b32 vcc_lo, exec_lo, s2
	s_cbranch_vccnz .LBB157_155
; %bb.99:
	v_or_b32_e32 v21, v25, v21
	v_or_b32_e32 v22, v26, v22
	;; [unrolled: 1-line block ×12, first 2 shown]
	v_and_b32_e32 v21, 0xffff, v21
	v_lshlrev_b32_e32 v22, 16, v22
	v_and_b32_e32 v17, 0xffff, v19
	v_lshlrev_b32_e32 v18, 16, v20
	;; [unrolled: 2-line block ×6, first 2 shown]
	v_or_b32_e32 v12, v17, v18
	v_or_b32_e32 v4, v14, v15
	;; [unrolled: 1-line block ×5, first 2 shown]
	v_mov_b32_e32 v1, 0
	v_or_b32_e32 v13, v21, v22
	ds_store_2addr_b64 v11, v[3:4], v[12:13] offset1:1
	ds_store_b64 v11, v[5:6] offset:16
	s_waitcnt lgkmcnt(0)
	s_waitcnt_vscnt null, 0x0
	s_barrier
	buffer_gl0_inv
	ds_load_u8 v5, v0
	ds_load_u8 v4, v0 offset:256
	ds_load_u8 v7, v0 offset:512
	;; [unrolled: 1-line block ×23, first 2 shown]
	v_add_co_u32 v2, s0, s0, v2
	s_delay_alu instid0(VALU_DEP_1)
	v_add_co_ci_u32_e64 v3, null, s1, 0, s0
	s_mov_b32 s0, exec_lo
	v_cmpx_gt_u32_e64 s14, v0
	s_cbranch_execz .LBB157_101
; %bb.100:
	s_waitcnt lgkmcnt(23)
	v_and_b32_e32 v29, 0xff, v5
	flat_store_b32 v[2:3], v29
.LBB157_101:
	s_or_b32 exec_lo, exec_lo, s0
	v_or_b32_e32 v29, 0x100, v0
	s_mov_b32 s0, exec_lo
	s_delay_alu instid0(VALU_DEP_1)
	v_cmpx_gt_u32_e64 s14, v29
	s_cbranch_execz .LBB157_103
; %bb.102:
	s_waitcnt lgkmcnt(22)
	v_and_b32_e32 v29, 0xff, v4
	flat_store_b32 v[2:3], v29 offset:1024
.LBB157_103:
	s_or_b32 exec_lo, exec_lo, s0
	v_or_b32_e32 v29, 0x200, v0
	s_mov_b32 s0, exec_lo
	s_delay_alu instid0(VALU_DEP_1)
	v_cmpx_gt_u32_e64 s14, v29
	s_cbranch_execz .LBB157_105
; %bb.104:
	s_waitcnt lgkmcnt(21)
	v_and_b32_e32 v29, 0xff, v7
	flat_store_b32 v[2:3], v29 offset:2048
.LBB157_105:
	;; [unrolled: 11-line block ×3, first 2 shown]
	s_or_b32 exec_lo, exec_lo, s0
	v_or_b32_e32 v29, 0x400, v0
	s_mov_b32 s0, exec_lo
	s_delay_alu instid0(VALU_DEP_1)
	v_cmpx_gt_u32_e64 s14, v29
	s_cbranch_execz .LBB157_109
; %bb.108:
	v_add_co_u32 v29, vcc_lo, 0x1000, v2
	s_waitcnt lgkmcnt(19)
	v_and_b32_e32 v31, 0xff, v6
	v_add_co_ci_u32_e32 v30, vcc_lo, 0, v3, vcc_lo
	flat_store_b32 v[29:30], v31
.LBB157_109:
	s_or_b32 exec_lo, exec_lo, s0
	v_or_b32_e32 v29, 0x500, v0
	s_mov_b32 s0, exec_lo
	s_delay_alu instid0(VALU_DEP_1)
	v_cmpx_gt_u32_e64 s14, v29
	s_cbranch_execz .LBB157_111
; %bb.110:
	v_add_co_u32 v29, vcc_lo, 0x1000, v2
	s_waitcnt lgkmcnt(18)
	v_and_b32_e32 v31, 0xff, v9
	v_add_co_ci_u32_e32 v30, vcc_lo, 0, v3, vcc_lo
	flat_store_b32 v[29:30], v31 offset:1024
.LBB157_111:
	s_or_b32 exec_lo, exec_lo, s0
	v_or_b32_e32 v29, 0x600, v0
	s_mov_b32 s0, exec_lo
	s_delay_alu instid0(VALU_DEP_1)
	v_cmpx_gt_u32_e64 s14, v29
	s_cbranch_execz .LBB157_113
; %bb.112:
	v_add_co_u32 v29, vcc_lo, 0x1000, v2
	s_waitcnt lgkmcnt(17)
	v_and_b32_e32 v31, 0xff, v18
	v_add_co_ci_u32_e32 v30, vcc_lo, 0, v3, vcc_lo
	flat_store_b32 v[29:30], v31 offset:2048
.LBB157_113:
	s_or_b32 exec_lo, exec_lo, s0
	v_or_b32_e32 v29, 0x700, v0
	s_mov_b32 s0, exec_lo
	s_delay_alu instid0(VALU_DEP_1)
	v_cmpx_gt_u32_e64 s14, v29
	s_cbranch_execz .LBB157_115
; %bb.114:
	v_add_co_u32 v29, vcc_lo, 0x1000, v2
	s_waitcnt lgkmcnt(16)
	v_and_b32_e32 v31, 0xff, v15
	v_add_co_ci_u32_e32 v30, vcc_lo, 0, v3, vcc_lo
	flat_store_b32 v[29:30], v31 offset:3072
.LBB157_115:
	s_or_b32 exec_lo, exec_lo, s0
	v_or_b32_e32 v29, 0x800, v0
	s_mov_b32 s0, exec_lo
	s_delay_alu instid0(VALU_DEP_1)
	v_cmpx_gt_u32_e64 s14, v29
	s_cbranch_execz .LBB157_117
; %bb.116:
	v_add_co_u32 v29, vcc_lo, 0x2000, v2
	s_waitcnt lgkmcnt(15)
	v_and_b32_e32 v31, 0xff, v17
	v_add_co_ci_u32_e32 v30, vcc_lo, 0, v3, vcc_lo
	flat_store_b32 v[29:30], v31
.LBB157_117:
	s_or_b32 exec_lo, exec_lo, s0
	v_or_b32_e32 v29, 0x900, v0
	s_mov_b32 s0, exec_lo
	s_delay_alu instid0(VALU_DEP_1)
	v_cmpx_gt_u32_e64 s14, v29
	s_cbranch_execz .LBB157_119
; %bb.118:
	v_add_co_u32 v29, vcc_lo, 0x2000, v2
	s_waitcnt lgkmcnt(14)
	v_and_b32_e32 v31, 0xff, v24
	v_add_co_ci_u32_e32 v30, vcc_lo, 0, v3, vcc_lo
	flat_store_b32 v[29:30], v31 offset:1024
.LBB157_119:
	s_or_b32 exec_lo, exec_lo, s0
	v_or_b32_e32 v29, 0xa00, v0
	s_mov_b32 s0, exec_lo
	s_delay_alu instid0(VALU_DEP_1)
	v_cmpx_gt_u32_e64 s14, v29
	s_cbranch_execz .LBB157_121
; %bb.120:
	v_add_co_u32 v29, vcc_lo, 0x2000, v2
	s_waitcnt lgkmcnt(13)
	v_and_b32_e32 v31, 0xff, v21
	v_add_co_ci_u32_e32 v30, vcc_lo, 0, v3, vcc_lo
	flat_store_b32 v[29:30], v31 offset:2048
.LBB157_121:
	s_or_b32 exec_lo, exec_lo, s0
	v_or_b32_e32 v29, 0xb00, v0
	s_mov_b32 s0, exec_lo
	s_delay_alu instid0(VALU_DEP_1)
	v_cmpx_gt_u32_e64 s14, v29
	s_cbranch_execz .LBB157_123
; %bb.122:
	v_add_co_u32 v29, vcc_lo, 0x2000, v2
	s_waitcnt lgkmcnt(12)
	v_and_b32_e32 v31, 0xff, v20
	v_add_co_ci_u32_e32 v30, vcc_lo, 0, v3, vcc_lo
	flat_store_b32 v[29:30], v31 offset:3072
.LBB157_123:
	;; [unrolled: 52-line block ×5, first 2 shown]
	s_or_b32 exec_lo, exec_lo, s0
	v_cmp_lt_u64_e64 s0, s[10:11], 2
	s_delay_alu instid0(VALU_DEP_1)
	s_and_b32 vcc_lo, exec_lo, s0
	s_cbranch_vccnz .LBB157_155
; %bb.148:
	s_add_u32 s0, s14, -1
	s_addc_u32 s1, s22, -1
	s_add_u32 s2, 0, 0xaaaa0000
	s_addc_u32 s3, 0, 42
	s_mul_hi_u32 s5, s2, 0xffffffe8
	s_add_i32 s3, s3, 0xaaaaa80
	s_sub_i32 s5, s5, s2
	s_mul_i32 s8, s3, 0xffffffe8
	s_mul_i32 s4, s2, 0xffffffe8
	s_add_i32 s5, s5, s8
	s_mul_hi_u32 s9, s3, s4
	s_mul_i32 s8, s3, s4
	s_mul_i32 s10, s2, s5
	s_mul_hi_u32 s4, s2, s4
	s_mul_hi_u32 s11, s2, s5
	s_add_u32 s4, s4, s10
	s_addc_u32 s10, 0, s11
	s_mul_hi_u32 s11, s3, s5
	s_add_u32 s4, s4, s8
	s_addc_u32 s4, s10, s9
	s_mul_i32 s5, s3, s5
	s_addc_u32 s8, s11, 0
	s_add_u32 s4, s4, s5
	s_delay_alu instid0(SALU_CYCLE_1) | instskip(SKIP_2) | instid1(VALU_DEP_1)
	v_add_co_u32 v2, s2, s2, s4
	s_addc_u32 s4, 0, s8
	s_cmp_lg_u32 s2, 0
	v_readfirstlane_b32 s2, v2
	s_addc_u32 s3, s3, s4
	s_delay_alu instid0(SALU_CYCLE_1) | instskip(SKIP_1) | instid1(VALU_DEP_1)
	s_mul_i32 s4, s0, s3
	s_mul_hi_u32 s8, s0, s3
	s_mul_hi_u32 s5, s0, s2
	s_mul_i32 s9, s1, s2
	s_add_u32 s4, s5, s4
	s_addc_u32 s5, 0, s8
	s_mul_hi_u32 s2, s1, s2
	s_mul_hi_u32 s8, s1, s3
	s_add_u32 s4, s4, s9
	s_addc_u32 s2, s5, s2
	s_mul_i32 s3, s1, s3
	s_addc_u32 s4, s8, 0
	s_add_u32 s2, s2, s3
	s_addc_u32 s3, 0, s4
	s_mul_i32 s5, s2, 24
	s_add_u32 s4, s2, 1
	v_sub_co_u32 v2, s5, s0, s5
	s_addc_u32 s8, s3, 0
	s_mul_i32 s10, s3, 24
	s_mul_hi_u32 s12, s2, 24
	s_delay_alu instid0(VALU_DEP_1)
	v_sub_co_u32 v3, s11, v2, 24
	s_add_u32 s9, s2, 2
	s_addc_u32 s13, s3, 0
	s_add_i32 s12, s12, s10
	s_cmp_lg_u32 s5, 0
	v_readfirstlane_b32 s5, v3
	s_subb_u32 s10, s1, s12
	s_cmp_lg_u32 s11, 0
	s_subb_u32 s11, s10, 0
	s_delay_alu instid0(VALU_DEP_1) | instskip(SKIP_4) | instid1(SALU_CYCLE_1)
	s_cmp_gt_u32 s5, 23
	s_cselect_b32 s5, -1, 0
	s_cmp_eq_u32 s11, 0
	v_readfirstlane_b32 s11, v2
	s_cselect_b32 s5, s5, -1
	s_cmp_lg_u32 s5, 0
	s_cselect_b32 s4, s9, s4
	s_cselect_b32 s5, s13, s8
	s_cmp_gt_u32 s11, 23
	s_cselect_b32 s8, -1, 0
	s_cmp_eq_u32 s10, 0
	s_cselect_b32 s8, s8, -1
	s_delay_alu instid0(SALU_CYCLE_1) | instskip(SKIP_2) | instid1(SALU_CYCLE_1)
	s_cmp_lg_u32 s8, 0
	s_cselect_b32 s3, s5, s3
	s_cselect_b32 s2, s4, s2
	v_cmp_eq_u64_e32 vcc_lo, s[2:3], v[0:1]
	s_and_saveexec_b32 s2, vcc_lo
	s_cbranch_execz .LBB157_155
; %bb.149:
	v_mul_hi_u32_u24_e32 v1, 24, v0
	v_sub_co_u32 v0, vcc_lo, s0, v11
	s_mov_b32 s0, 0
	s_mov_b32 s4, 0
	s_delay_alu instid0(VALU_DEP_2) | instskip(SKIP_3) | instid1(VALU_DEP_1)
	v_sub_co_ci_u32_e32 v1, vcc_lo, s1, v1, vcc_lo
	s_mov_b32 s3, 0
	s_mov_b32 s2, 0
	s_mov_b32 s1, exec_lo
	v_cmpx_lt_i64_e32 11, v[0:1]
	s_xor_b32 s1, exec_lo, s1
	s_cbranch_execnz .LBB157_156
; %bb.150:
	s_and_not1_saveexec_b32 s1, s1
	s_cbranch_execnz .LBB157_201
.LBB157_151:
	s_or_b32 exec_lo, exec_lo, s1
	s_and_saveexec_b32 s1, s4
	s_cbranch_execnz .LBB157_218
.LBB157_152:
	s_or_b32 exec_lo, exec_lo, s1
	s_and_saveexec_b32 s1, s3
	s_cbranch_execnz .LBB157_219
.LBB157_153:
	s_or_b32 exec_lo, exec_lo, s1
	s_and_saveexec_b32 s1, s2
	s_delay_alu instid0(SALU_CYCLE_1)
	s_xor_b32 s1, exec_lo, s1
	s_cbranch_execnz .LBB157_220
.LBB157_154:
	s_or_b32 exec_lo, exec_lo, s1
	s_delay_alu instid0(SALU_CYCLE_1)
	s_and_b32 exec_lo, exec_lo, s0
	s_cbranch_execnz .LBB157_221
.LBB157_155:
	s_endpgm
.LBB157_156:
	s_mov_b32 s5, exec_lo
	v_cmpx_lt_i64_e32 17, v[0:1]
	s_xor_b32 s5, exec_lo, s5
	s_cbranch_execz .LBB157_178
; %bb.157:
	s_mov_b32 s8, exec_lo
                                        ; implicit-def: $vgpr10
	v_cmpx_lt_i64_e32 20, v[0:1]
	s_xor_b32 s8, exec_lo, s8
	s_cbranch_execz .LBB157_167
; %bb.158:
	s_mov_b32 s9, 0
	s_mov_b32 s2, exec_lo
                                        ; implicit-def: $vgpr10
	v_cmpx_lt_i64_e32 21, v[0:1]
	s_xor_b32 s2, exec_lo, s2
	s_cbranch_execz .LBB157_164
; %bb.159:
	s_mov_b32 s9, exec_lo
	v_cmpx_lt_i64_e32 22, v[0:1]
	s_xor_b32 s9, exec_lo, s9
	s_cbranch_execz .LBB157_161
; %bb.160:
	v_mov_b32_e32 v2, 0
                                        ; implicit-def: $vgpr27
	s_waitcnt lgkmcnt(0)
	global_store_b8 v2, v28, s[6:7]
.LBB157_161:
	s_or_saveexec_b32 s9, s9
	s_mov_b32 s10, 0
	s_xor_b32 exec_lo, exec_lo, s9
; %bb.162:
	s_delay_alu instid0(SALU_CYCLE_1)
	s_mov_b32 s10, exec_lo
; %bb.163:
	s_or_b32 exec_lo, exec_lo, s9
	s_waitcnt lgkmcnt(1)
	v_mov_b32_e32 v10, v27
	s_and_b32 s9, s10, exec_lo
                                        ; implicit-def: $vgpr12
.LBB157_164:
	s_and_not1_saveexec_b32 s2, s2
; %bb.165:
	s_mov_b32 s3, exec_lo
                                        ; implicit-def: $vgpr10
; %bb.166:
	s_or_b32 exec_lo, exec_lo, s2
	s_delay_alu instid0(SALU_CYCLE_1)
	s_and_b32 s2, s9, exec_lo
	s_and_b32 s3, s3, exec_lo
                                        ; implicit-def: $vgpr25
                                        ; implicit-def: $vgpr13
                                        ; implicit-def: $vgpr22
.LBB157_167:
	s_and_not1_saveexec_b32 s8, s8
	s_cbranch_execz .LBB157_177
; %bb.168:
	s_mov_b32 s9, 0
	s_mov_b32 s4, exec_lo
	v_cmpx_lt_i64_e32 18, v[0:1]
	s_xor_b32 s4, exec_lo, s4
	s_cbranch_execz .LBB157_174
; %bb.169:
	s_mov_b32 s10, exec_lo
	v_cmpx_lt_i64_e32 19, v[0:1]
	s_xor_b32 s10, exec_lo, s10
; %bb.170:
	s_mov_b32 s9, exec_lo
                                        ; implicit-def: $vgpr22
; %bb.171:
	s_and_not1_saveexec_b32 s10, s10
	s_cbranch_execz .LBB157_173
; %bb.172:
	v_mov_b32_e32 v2, 0
                                        ; implicit-def: $vgpr13
	s_waitcnt lgkmcnt(4)
	global_store_b8 v2, v22, s[6:7]
.LBB157_173:
	s_or_b32 exec_lo, exec_lo, s10
	s_delay_alu instid0(SALU_CYCLE_1)
	s_and_b32 s9, s9, exec_lo
                                        ; implicit-def: $vgpr25
.LBB157_174:
	s_and_not1_saveexec_b32 s4, s4
	s_cbranch_execz .LBB157_176
; %bb.175:
	v_mov_b32_e32 v2, 0
                                        ; implicit-def: $vgpr13
	s_waitcnt lgkmcnt(5)
	global_store_b8 v2, v25, s[6:7]
.LBB157_176:
	s_or_b32 exec_lo, exec_lo, s4
	s_delay_alu instid0(SALU_CYCLE_1)
	s_and_b32 s4, s9, exec_lo
                                        ; implicit-def: $vgpr10
                                        ; implicit-def: $vgpr12
.LBB157_177:
	s_or_b32 exec_lo, exec_lo, s8
	s_delay_alu instid0(SALU_CYCLE_1)
	s_and_b32 s2, s2, exec_lo
	s_and_b32 s3, s3, exec_lo
	;; [unrolled: 1-line block ×3, first 2 shown]
                                        ; implicit-def: $vgpr19
                                        ; implicit-def: $vgpr14
                                        ; implicit-def: $vgpr16
                                        ; implicit-def: $vgpr23
                                        ; implicit-def: $vgpr26
.LBB157_178:
	s_and_not1_saveexec_b32 s5, s5
	s_cbranch_execz .LBB157_200
; %bb.179:
	s_mov_b32 s8, s2
	s_mov_b32 s9, exec_lo
	v_cmpx_lt_i64_e32 14, v[0:1]
	s_xor_b32 s9, exec_lo, s9
	s_cbranch_execz .LBB157_189
; %bb.180:
	s_mov_b32 s8, exec_lo
	v_cmpx_lt_i64_e32 15, v[0:1]
	s_xor_b32 s8, exec_lo, s8
	s_cbranch_execz .LBB157_186
; %bb.181:
	;; [unrolled: 5-line block ×3, first 2 shown]
	v_mov_b32_e32 v2, 0
                                        ; implicit-def: $vgpr23
	s_waitcnt lgkmcnt(6)
	global_store_b8 v2, v26, s[6:7]
.LBB157_183:
	s_and_not1_saveexec_b32 s10, s10
	s_cbranch_execz .LBB157_185
; %bb.184:
	v_mov_b32_e32 v2, 0
	s_waitcnt lgkmcnt(7)
	global_store_b8 v2, v23, s[6:7]
.LBB157_185:
	s_or_b32 exec_lo, exec_lo, s10
                                        ; implicit-def: $vgpr10
.LBB157_186:
	s_or_saveexec_b32 s8, s8
	s_mov_b32 s10, s2
	s_xor_b32 exec_lo, exec_lo, s8
; %bb.187:
	s_delay_alu instid0(SALU_CYCLE_1)
	s_or_b32 s10, s2, exec_lo
; %bb.188:
	s_or_b32 exec_lo, exec_lo, s8
	s_delay_alu instid0(SALU_CYCLE_1) | instskip(SKIP_1) | instid1(SALU_CYCLE_1)
	s_and_not1_b32 s8, s2, exec_lo
	s_and_b32 s10, s10, exec_lo
                                        ; implicit-def: $vgpr19
                                        ; implicit-def: $vgpr14
                                        ; implicit-def: $vgpr16
	s_or_b32 s8, s8, s10
.LBB157_189:
	s_or_saveexec_b32 s9, s9
	s_mov_b32 s10, s3
                                        ; implicit-def: $vgpr12
	s_xor_b32 exec_lo, exec_lo, s9
	s_cbranch_execz .LBB157_199
; %bb.190:
	s_mov_b32 s11, s3
	s_mov_b32 s12, s8
	s_mov_b32 s10, exec_lo
                                        ; implicit-def: $vgpr10
                                        ; implicit-def: $vgpr12
	v_cmpx_lt_i64_e32 12, v[0:1]
	s_xor_b32 s10, exec_lo, s10
	s_cbranch_execz .LBB157_196
; %bb.191:
	s_mov_b32 s11, s8
	s_mov_b32 s12, exec_lo
	v_cmpx_lt_i64_e32 13, v[0:1]
	s_xor_b32 s12, exec_lo, s12
; %bb.192:
	s_or_b32 s11, s8, exec_lo
                                        ; implicit-def: $vgpr14
; %bb.193:
	s_or_saveexec_b32 s13, s12
	s_mov_b32 s12, s3
	s_xor_b32 exec_lo, exec_lo, s13
; %bb.194:
	s_delay_alu instid0(SALU_CYCLE_1)
	s_or_b32 s12, s3, exec_lo
                                        ; implicit-def: $vgpr16
; %bb.195:
	s_or_b32 exec_lo, exec_lo, s13
	s_waitcnt lgkmcnt(8)
	v_mov_b32_e32 v10, v16
	s_waitcnt lgkmcnt(2)
	v_mov_b32_e32 v12, v14
	s_and_not1_b32 s13, s8, exec_lo
	s_and_b32 s11, s11, exec_lo
	s_and_not1_b32 s14, s3, exec_lo
	s_and_b32 s15, s12, exec_lo
	s_or_b32 s12, s13, s11
	s_or_b32 s11, s14, s15
                                        ; implicit-def: $vgpr19
.LBB157_196:
	s_and_not1_saveexec_b32 s10, s10
	s_cbranch_execz .LBB157_198
; %bb.197:
	s_waitcnt lgkmcnt(2)
	v_mov_b32_e32 v12, v19
	s_or_b32 s11, s11, exec_lo
                                        ; implicit-def: $vgpr10
.LBB157_198:
	s_or_b32 exec_lo, exec_lo, s10
	s_delay_alu instid0(SALU_CYCLE_1)
	s_and_not1_b32 s8, s8, exec_lo
	s_and_b32 s10, s12, exec_lo
	s_and_not1_b32 s12, s3, exec_lo
	s_and_b32 s11, s11, exec_lo
	s_or_b32 s8, s8, s10
	s_or_b32 s10, s12, s11
.LBB157_199:
	s_or_b32 exec_lo, exec_lo, s9
	s_delay_alu instid0(SALU_CYCLE_1)
	s_and_not1_b32 s2, s2, exec_lo
	s_and_b32 s8, s8, exec_lo
	s_and_not1_b32 s3, s3, exec_lo
	s_and_b32 s9, s10, exec_lo
	s_or_b32 s2, s2, s8
	s_or_b32 s3, s3, s9
                                        ; implicit-def: $vgpr13
.LBB157_200:
	s_or_b32 exec_lo, exec_lo, s5
	s_delay_alu instid0(SALU_CYCLE_1)
	s_and_b32 s2, s2, exec_lo
	s_and_b32 s3, s3, exec_lo
	;; [unrolled: 1-line block ×3, first 2 shown]
                                        ; implicit-def: $vgpr18
                                        ; implicit-def: $vgpr15
                                        ; implicit-def: $vgpr17
                                        ; implicit-def: $vgpr24
                                        ; implicit-def: $vgpr21
                                        ; implicit-def: $vgpr20
	s_and_not1_saveexec_b32 s1, s1
	s_cbranch_execz .LBB157_151
.LBB157_201:
	s_mov_b32 s8, -1
	s_mov_b32 s5, s4
	s_mov_b32 s10, s3
	;; [unrolled: 1-line block ×3, first 2 shown]
	s_mov_b32 s0, exec_lo
                                        ; implicit-def: $vgpr10
                                        ; implicit-def: $vgpr12
                                        ; implicit-def: $vgpr13
	v_cmpx_lt_i64_e32 5, v[0:1]
	s_cbranch_execz .LBB157_217
; %bb.202:
	s_mov_b32 s5, s4
	s_mov_b32 s8, exec_lo
                                        ; implicit-def: $vgpr13
	v_cmpx_lt_i64_e32 8, v[0:1]
	s_xor_b32 s8, exec_lo, s8
	s_cbranch_execz .LBB157_212
; %bb.203:
	s_mov_b32 s5, exec_lo
	v_cmpx_lt_i64_e32 9, v[0:1]
	s_xor_b32 s5, exec_lo, s5
	s_cbranch_execz .LBB157_209
; %bb.204:
	s_mov_b32 s9, exec_lo
	v_cmpx_lt_i64_e32 10, v[0:1]
	s_xor_b32 s9, exec_lo, s9
; %bb.205:
                                        ; implicit-def: $vgpr21
; %bb.206:
	s_delay_alu instid0(SALU_CYCLE_1)
	s_and_not1_saveexec_b32 s9, s9
	s_cbranch_execz .LBB157_208
; %bb.207:
	s_waitcnt lgkmcnt(12)
	v_mov_b32_e32 v20, v21
.LBB157_208:
	s_or_b32 exec_lo, exec_lo, s9
                                        ; implicit-def: $vgpr24
.LBB157_209:
	s_and_not1_saveexec_b32 s5, s5
	s_cbranch_execz .LBB157_211
; %bb.210:
	s_waitcnt lgkmcnt(12)
	v_mov_b32_e32 v20, v24
.LBB157_211:
	s_or_b32 exec_lo, exec_lo, s5
	s_waitcnt lgkmcnt(3)
	s_delay_alu instid0(VALU_DEP_1)
	v_mov_b32_e32 v13, v20
	s_or_b32 s5, s4, exec_lo
                                        ; implicit-def: $vgpr18
                                        ; implicit-def: $vgpr15
                                        ; implicit-def: $vgpr17
.LBB157_212:
	s_or_saveexec_b32 s8, s8
	s_mov_b32 s11, s3
	s_mov_b32 s10, s2
                                        ; implicit-def: $vgpr10
                                        ; implicit-def: $vgpr12
	s_xor_b32 exec_lo, exec_lo, s8
	s_cbranch_execz .LBB157_216
; %bb.213:
	s_mov_b32 s10, -1
	s_mov_b32 s9, s5
	s_mov_b32 s11, s3
	s_mov_b32 s12, exec_lo
	v_cmpx_lt_i64_e32 6, v[0:1]
; %bb.214:
	v_cmp_lt_i64_e32 vcc_lo, 7, v[0:1]
	s_and_not1_b32 s9, s5, exec_lo
	s_xor_b32 s10, exec_lo, -1
	s_or_b32 s11, s3, exec_lo
                                        ; implicit-def: $vgpr18
	s_and_b32 s13, vcc_lo, exec_lo
	s_delay_alu instid0(SALU_CYCLE_1)
	s_or_b32 s9, s9, s13
; %bb.215:
	s_or_b32 exec_lo, exec_lo, s12
	s_delay_alu instid0(SALU_CYCLE_1)
	s_and_not1_b32 s12, s2, exec_lo
	s_and_b32 s10, s10, exec_lo
	s_waitcnt lgkmcnt(3)
	v_dual_mov_b32 v10, v18 :: v_dual_mov_b32 v13, v17
	s_waitcnt lgkmcnt(2)
	v_mov_b32_e32 v12, v15
	s_or_b32 s10, s12, s10
	s_and_not1_b32 s12, s3, exec_lo
	s_and_b32 s11, s11, exec_lo
	s_and_not1_b32 s5, s5, exec_lo
	s_and_b32 s9, s9, exec_lo
	s_or_b32 s11, s12, s11
	s_or_b32 s5, s5, s9
.LBB157_216:
	s_or_b32 exec_lo, exec_lo, s8
	s_delay_alu instid0(SALU_CYCLE_1)
	s_and_not1_b32 s9, s2, exec_lo
	s_and_b32 s10, s10, exec_lo
	s_and_b32 s11, s11, exec_lo
	s_or_b32 s9, s9, s10
	s_and_not1_b32 s10, s3, exec_lo
	s_and_not1_b32 s12, s4, exec_lo
	s_and_b32 s5, s5, exec_lo
	s_xor_b32 s8, exec_lo, -1
	s_or_b32 s10, s10, s11
	s_or_b32 s5, s12, s5
.LBB157_217:
	s_or_b32 exec_lo, exec_lo, s0
	s_delay_alu instid0(SALU_CYCLE_1)
	s_and_not1_b32 s2, s2, exec_lo
	s_and_b32 s9, s9, exec_lo
	s_and_b32 s0, s8, exec_lo
	s_and_not1_b32 s3, s3, exec_lo
	s_and_b32 s8, s10, exec_lo
	s_and_not1_b32 s4, s4, exec_lo
	s_and_b32 s5, s5, exec_lo
	s_or_b32 s2, s2, s9
	s_or_b32 s3, s3, s8
	s_or_b32 s4, s4, s5
	s_or_b32 exec_lo, exec_lo, s1
	s_and_saveexec_b32 s1, s4
	s_cbranch_execz .LBB157_152
.LBB157_218:
	v_mov_b32_e32 v2, 0
	s_and_not1_b32 s3, s3, exec_lo
                                        ; implicit-def: $vgpr10
                                        ; implicit-def: $vgpr12
	s_waitcnt lgkmcnt(3)
	global_store_b8 v2, v13, s[6:7]
	s_or_b32 exec_lo, exec_lo, s1
	s_and_saveexec_b32 s1, s3
	s_cbranch_execz .LBB157_153
.LBB157_219:
	v_mov_b32_e32 v2, 0
                                        ; implicit-def: $vgpr10
	s_waitcnt lgkmcnt(2)
	global_store_b8 v2, v12, s[6:7]
	s_or_b32 exec_lo, exec_lo, s1
	s_and_saveexec_b32 s1, s2
	s_delay_alu instid0(SALU_CYCLE_1)
	s_xor_b32 s1, exec_lo, s1
	s_cbranch_execz .LBB157_154
.LBB157_220:
	v_mov_b32_e32 v2, 0
	s_waitcnt lgkmcnt(8)
	global_store_b8 v2, v10, s[6:7]
	s_or_b32 exec_lo, exec_lo, s1
	s_delay_alu instid0(SALU_CYCLE_1)
	s_and_b32 exec_lo, exec_lo, s0
	s_cbranch_execz .LBB157_155
.LBB157_221:
	s_mov_b32 s0, exec_lo
	v_cmpx_lt_i64_e32 2, v[0:1]
	s_xor_b32 s0, exec_lo, s0
	s_cbranch_execz .LBB157_231
; %bb.222:
	s_mov_b32 s1, exec_lo
	v_cmpx_lt_i64_e32 3, v[0:1]
	s_xor_b32 s1, exec_lo, s1
	s_cbranch_execz .LBB157_228
; %bb.223:
	;; [unrolled: 5-line block ×3, first 2 shown]
	v_mov_b32_e32 v0, 0
                                        ; implicit-def: $vgpr6
	s_waitcnt lgkmcnt(18)
	global_store_b8 v0, v9, s[6:7]
.LBB157_225:
	s_and_not1_saveexec_b32 s2, s2
	s_cbranch_execz .LBB157_227
; %bb.226:
	v_mov_b32_e32 v0, 0
	s_waitcnt lgkmcnt(19)
	global_store_b8 v0, v6, s[6:7]
.LBB157_227:
	s_or_b32 exec_lo, exec_lo, s2
                                        ; implicit-def: $vgpr8
.LBB157_228:
	s_and_not1_saveexec_b32 s1, s1
	s_cbranch_execz .LBB157_230
; %bb.229:
	v_mov_b32_e32 v0, 0
	s_waitcnt lgkmcnt(20)
	global_store_b8 v0, v8, s[6:7]
.LBB157_230:
	s_or_b32 exec_lo, exec_lo, s1
                                        ; implicit-def: $vgpr0_vgpr1
                                        ; implicit-def: $vgpr7
                                        ; implicit-def: $vgpr4
                                        ; implicit-def: $vgpr5
.LBB157_231:
	s_and_not1_saveexec_b32 s0, s0
	s_cbranch_execz .LBB157_155
; %bb.232:
	s_mov_b32 s0, exec_lo
	v_cmpx_lt_i64_e32 1, v[0:1]
	s_xor_b32 s0, exec_lo, s0
	s_cbranch_execz .LBB157_234
; %bb.233:
	v_mov_b32_e32 v0, 0
                                        ; implicit-def: $vgpr4
                                        ; implicit-def: $vgpr5
	s_waitcnt lgkmcnt(21)
	global_store_b8 v0, v7, s[6:7]
                                        ; implicit-def: $vgpr0_vgpr1
.LBB157_234:
	s_and_not1_saveexec_b32 s0, s0
	s_cbranch_execz .LBB157_155
; %bb.235:
	s_mov_b32 s0, exec_lo
	v_cmpx_ne_u64_e32 1, v[0:1]
	s_xor_b32 s0, exec_lo, s0
	s_cbranch_execz .LBB157_237
; %bb.236:
	v_mov_b32_e32 v0, 0
                                        ; implicit-def: $vgpr4
	s_waitcnt lgkmcnt(23)
	global_store_b8 v0, v5, s[6:7]
.LBB157_237:
	s_and_not1_saveexec_b32 s0, s0
	s_cbranch_execz .LBB157_155
; %bb.238:
	v_mov_b32_e32 v0, 0
	s_waitcnt lgkmcnt(22)
	global_store_b8 v0, v4, s[6:7]
	s_endpgm
	.section	.rodata,"a",@progbits
	.p2align	6, 0x0
	.amdhsa_kernel _ZN7rocprim17ROCPRIM_400000_NS6detail17trampoline_kernelINS0_14default_configENS1_20scan_config_selectorIhEEZZNS1_9scan_implILNS1_25lookback_scan_determinismE0ELb0ELb0ES3_N6thrust23THRUST_200600_302600_NS6detail15normal_iteratorINS9_7pointerIhNS9_11hip_rocprim5par_tENS9_11use_defaultESF_EEEENSB_INSC_IjSE_SF_SF_EEEEhNS9_4plusIvEEhEEDaPvRmT3_T4_T5_mT6_P12ihipStream_tbENKUlT_T0_E_clISt17integral_constantIbLb1EESY_IbLb0EEEEDaSU_SV_EUlSU_E_NS1_11comp_targetILNS1_3genE9ELNS1_11target_archE1100ELNS1_3gpuE3ELNS1_3repE0EEENS1_30default_config_static_selectorELNS0_4arch9wavefront6targetE0EEEvT1_
		.amdhsa_group_segment_fixed_size 6144
		.amdhsa_private_segment_fixed_size 0
		.amdhsa_kernarg_size 96
		.amdhsa_user_sgpr_count 15
		.amdhsa_user_sgpr_dispatch_ptr 0
		.amdhsa_user_sgpr_queue_ptr 0
		.amdhsa_user_sgpr_kernarg_segment_ptr 1
		.amdhsa_user_sgpr_dispatch_id 0
		.amdhsa_user_sgpr_private_segment_size 0
		.amdhsa_wavefront_size32 1
		.amdhsa_uses_dynamic_stack 0
		.amdhsa_enable_private_segment 0
		.amdhsa_system_sgpr_workgroup_id_x 1
		.amdhsa_system_sgpr_workgroup_id_y 0
		.amdhsa_system_sgpr_workgroup_id_z 0
		.amdhsa_system_sgpr_workgroup_info 0
		.amdhsa_system_vgpr_workitem_id 0
		.amdhsa_next_free_vgpr 55
		.amdhsa_next_free_sgpr 24
		.amdhsa_reserve_vcc 1
		.amdhsa_float_round_mode_32 0
		.amdhsa_float_round_mode_16_64 0
		.amdhsa_float_denorm_mode_32 3
		.amdhsa_float_denorm_mode_16_64 3
		.amdhsa_dx10_clamp 1
		.amdhsa_ieee_mode 1
		.amdhsa_fp16_overflow 0
		.amdhsa_workgroup_processor_mode 1
		.amdhsa_memory_ordered 1
		.amdhsa_forward_progress 0
		.amdhsa_shared_vgpr_count 0
		.amdhsa_exception_fp_ieee_invalid_op 0
		.amdhsa_exception_fp_denorm_src 0
		.amdhsa_exception_fp_ieee_div_zero 0
		.amdhsa_exception_fp_ieee_overflow 0
		.amdhsa_exception_fp_ieee_underflow 0
		.amdhsa_exception_fp_ieee_inexact 0
		.amdhsa_exception_int_div_zero 0
	.end_amdhsa_kernel
	.section	.text._ZN7rocprim17ROCPRIM_400000_NS6detail17trampoline_kernelINS0_14default_configENS1_20scan_config_selectorIhEEZZNS1_9scan_implILNS1_25lookback_scan_determinismE0ELb0ELb0ES3_N6thrust23THRUST_200600_302600_NS6detail15normal_iteratorINS9_7pointerIhNS9_11hip_rocprim5par_tENS9_11use_defaultESF_EEEENSB_INSC_IjSE_SF_SF_EEEEhNS9_4plusIvEEhEEDaPvRmT3_T4_T5_mT6_P12ihipStream_tbENKUlT_T0_E_clISt17integral_constantIbLb1EESY_IbLb0EEEEDaSU_SV_EUlSU_E_NS1_11comp_targetILNS1_3genE9ELNS1_11target_archE1100ELNS1_3gpuE3ELNS1_3repE0EEENS1_30default_config_static_selectorELNS0_4arch9wavefront6targetE0EEEvT1_,"axG",@progbits,_ZN7rocprim17ROCPRIM_400000_NS6detail17trampoline_kernelINS0_14default_configENS1_20scan_config_selectorIhEEZZNS1_9scan_implILNS1_25lookback_scan_determinismE0ELb0ELb0ES3_N6thrust23THRUST_200600_302600_NS6detail15normal_iteratorINS9_7pointerIhNS9_11hip_rocprim5par_tENS9_11use_defaultESF_EEEENSB_INSC_IjSE_SF_SF_EEEEhNS9_4plusIvEEhEEDaPvRmT3_T4_T5_mT6_P12ihipStream_tbENKUlT_T0_E_clISt17integral_constantIbLb1EESY_IbLb0EEEEDaSU_SV_EUlSU_E_NS1_11comp_targetILNS1_3genE9ELNS1_11target_archE1100ELNS1_3gpuE3ELNS1_3repE0EEENS1_30default_config_static_selectorELNS0_4arch9wavefront6targetE0EEEvT1_,comdat
.Lfunc_end157:
	.size	_ZN7rocprim17ROCPRIM_400000_NS6detail17trampoline_kernelINS0_14default_configENS1_20scan_config_selectorIhEEZZNS1_9scan_implILNS1_25lookback_scan_determinismE0ELb0ELb0ES3_N6thrust23THRUST_200600_302600_NS6detail15normal_iteratorINS9_7pointerIhNS9_11hip_rocprim5par_tENS9_11use_defaultESF_EEEENSB_INSC_IjSE_SF_SF_EEEEhNS9_4plusIvEEhEEDaPvRmT3_T4_T5_mT6_P12ihipStream_tbENKUlT_T0_E_clISt17integral_constantIbLb1EESY_IbLb0EEEEDaSU_SV_EUlSU_E_NS1_11comp_targetILNS1_3genE9ELNS1_11target_archE1100ELNS1_3gpuE3ELNS1_3repE0EEENS1_30default_config_static_selectorELNS0_4arch9wavefront6targetE0EEEvT1_, .Lfunc_end157-_ZN7rocprim17ROCPRIM_400000_NS6detail17trampoline_kernelINS0_14default_configENS1_20scan_config_selectorIhEEZZNS1_9scan_implILNS1_25lookback_scan_determinismE0ELb0ELb0ES3_N6thrust23THRUST_200600_302600_NS6detail15normal_iteratorINS9_7pointerIhNS9_11hip_rocprim5par_tENS9_11use_defaultESF_EEEENSB_INSC_IjSE_SF_SF_EEEEhNS9_4plusIvEEhEEDaPvRmT3_T4_T5_mT6_P12ihipStream_tbENKUlT_T0_E_clISt17integral_constantIbLb1EESY_IbLb0EEEEDaSU_SV_EUlSU_E_NS1_11comp_targetILNS1_3genE9ELNS1_11target_archE1100ELNS1_3gpuE3ELNS1_3repE0EEENS1_30default_config_static_selectorELNS0_4arch9wavefront6targetE0EEEvT1_
                                        ; -- End function
	.section	.AMDGPU.csdata,"",@progbits
; Kernel info:
; codeLenInByte = 10976
; NumSgprs: 26
; NumVgprs: 55
; ScratchSize: 0
; MemoryBound: 0
; FloatMode: 240
; IeeeMode: 1
; LDSByteSize: 6144 bytes/workgroup (compile time only)
; SGPRBlocks: 3
; VGPRBlocks: 6
; NumSGPRsForWavesPerEU: 26
; NumVGPRsForWavesPerEU: 55
; Occupancy: 16
; WaveLimiterHint : 1
; COMPUTE_PGM_RSRC2:SCRATCH_EN: 0
; COMPUTE_PGM_RSRC2:USER_SGPR: 15
; COMPUTE_PGM_RSRC2:TRAP_HANDLER: 0
; COMPUTE_PGM_RSRC2:TGID_X_EN: 1
; COMPUTE_PGM_RSRC2:TGID_Y_EN: 0
; COMPUTE_PGM_RSRC2:TGID_Z_EN: 0
; COMPUTE_PGM_RSRC2:TIDIG_COMP_CNT: 0
	.section	.text._ZN7rocprim17ROCPRIM_400000_NS6detail17trampoline_kernelINS0_14default_configENS1_20scan_config_selectorIhEEZZNS1_9scan_implILNS1_25lookback_scan_determinismE0ELb0ELb0ES3_N6thrust23THRUST_200600_302600_NS6detail15normal_iteratorINS9_7pointerIhNS9_11hip_rocprim5par_tENS9_11use_defaultESF_EEEENSB_INSC_IjSE_SF_SF_EEEEhNS9_4plusIvEEhEEDaPvRmT3_T4_T5_mT6_P12ihipStream_tbENKUlT_T0_E_clISt17integral_constantIbLb1EESY_IbLb0EEEEDaSU_SV_EUlSU_E_NS1_11comp_targetILNS1_3genE8ELNS1_11target_archE1030ELNS1_3gpuE2ELNS1_3repE0EEENS1_30default_config_static_selectorELNS0_4arch9wavefront6targetE0EEEvT1_,"axG",@progbits,_ZN7rocprim17ROCPRIM_400000_NS6detail17trampoline_kernelINS0_14default_configENS1_20scan_config_selectorIhEEZZNS1_9scan_implILNS1_25lookback_scan_determinismE0ELb0ELb0ES3_N6thrust23THRUST_200600_302600_NS6detail15normal_iteratorINS9_7pointerIhNS9_11hip_rocprim5par_tENS9_11use_defaultESF_EEEENSB_INSC_IjSE_SF_SF_EEEEhNS9_4plusIvEEhEEDaPvRmT3_T4_T5_mT6_P12ihipStream_tbENKUlT_T0_E_clISt17integral_constantIbLb1EESY_IbLb0EEEEDaSU_SV_EUlSU_E_NS1_11comp_targetILNS1_3genE8ELNS1_11target_archE1030ELNS1_3gpuE2ELNS1_3repE0EEENS1_30default_config_static_selectorELNS0_4arch9wavefront6targetE0EEEvT1_,comdat
	.protected	_ZN7rocprim17ROCPRIM_400000_NS6detail17trampoline_kernelINS0_14default_configENS1_20scan_config_selectorIhEEZZNS1_9scan_implILNS1_25lookback_scan_determinismE0ELb0ELb0ES3_N6thrust23THRUST_200600_302600_NS6detail15normal_iteratorINS9_7pointerIhNS9_11hip_rocprim5par_tENS9_11use_defaultESF_EEEENSB_INSC_IjSE_SF_SF_EEEEhNS9_4plusIvEEhEEDaPvRmT3_T4_T5_mT6_P12ihipStream_tbENKUlT_T0_E_clISt17integral_constantIbLb1EESY_IbLb0EEEEDaSU_SV_EUlSU_E_NS1_11comp_targetILNS1_3genE8ELNS1_11target_archE1030ELNS1_3gpuE2ELNS1_3repE0EEENS1_30default_config_static_selectorELNS0_4arch9wavefront6targetE0EEEvT1_ ; -- Begin function _ZN7rocprim17ROCPRIM_400000_NS6detail17trampoline_kernelINS0_14default_configENS1_20scan_config_selectorIhEEZZNS1_9scan_implILNS1_25lookback_scan_determinismE0ELb0ELb0ES3_N6thrust23THRUST_200600_302600_NS6detail15normal_iteratorINS9_7pointerIhNS9_11hip_rocprim5par_tENS9_11use_defaultESF_EEEENSB_INSC_IjSE_SF_SF_EEEEhNS9_4plusIvEEhEEDaPvRmT3_T4_T5_mT6_P12ihipStream_tbENKUlT_T0_E_clISt17integral_constantIbLb1EESY_IbLb0EEEEDaSU_SV_EUlSU_E_NS1_11comp_targetILNS1_3genE8ELNS1_11target_archE1030ELNS1_3gpuE2ELNS1_3repE0EEENS1_30default_config_static_selectorELNS0_4arch9wavefront6targetE0EEEvT1_
	.globl	_ZN7rocprim17ROCPRIM_400000_NS6detail17trampoline_kernelINS0_14default_configENS1_20scan_config_selectorIhEEZZNS1_9scan_implILNS1_25lookback_scan_determinismE0ELb0ELb0ES3_N6thrust23THRUST_200600_302600_NS6detail15normal_iteratorINS9_7pointerIhNS9_11hip_rocprim5par_tENS9_11use_defaultESF_EEEENSB_INSC_IjSE_SF_SF_EEEEhNS9_4plusIvEEhEEDaPvRmT3_T4_T5_mT6_P12ihipStream_tbENKUlT_T0_E_clISt17integral_constantIbLb1EESY_IbLb0EEEEDaSU_SV_EUlSU_E_NS1_11comp_targetILNS1_3genE8ELNS1_11target_archE1030ELNS1_3gpuE2ELNS1_3repE0EEENS1_30default_config_static_selectorELNS0_4arch9wavefront6targetE0EEEvT1_
	.p2align	8
	.type	_ZN7rocprim17ROCPRIM_400000_NS6detail17trampoline_kernelINS0_14default_configENS1_20scan_config_selectorIhEEZZNS1_9scan_implILNS1_25lookback_scan_determinismE0ELb0ELb0ES3_N6thrust23THRUST_200600_302600_NS6detail15normal_iteratorINS9_7pointerIhNS9_11hip_rocprim5par_tENS9_11use_defaultESF_EEEENSB_INSC_IjSE_SF_SF_EEEEhNS9_4plusIvEEhEEDaPvRmT3_T4_T5_mT6_P12ihipStream_tbENKUlT_T0_E_clISt17integral_constantIbLb1EESY_IbLb0EEEEDaSU_SV_EUlSU_E_NS1_11comp_targetILNS1_3genE8ELNS1_11target_archE1030ELNS1_3gpuE2ELNS1_3repE0EEENS1_30default_config_static_selectorELNS0_4arch9wavefront6targetE0EEEvT1_,@function
_ZN7rocprim17ROCPRIM_400000_NS6detail17trampoline_kernelINS0_14default_configENS1_20scan_config_selectorIhEEZZNS1_9scan_implILNS1_25lookback_scan_determinismE0ELb0ELb0ES3_N6thrust23THRUST_200600_302600_NS6detail15normal_iteratorINS9_7pointerIhNS9_11hip_rocprim5par_tENS9_11use_defaultESF_EEEENSB_INSC_IjSE_SF_SF_EEEEhNS9_4plusIvEEhEEDaPvRmT3_T4_T5_mT6_P12ihipStream_tbENKUlT_T0_E_clISt17integral_constantIbLb1EESY_IbLb0EEEEDaSU_SV_EUlSU_E_NS1_11comp_targetILNS1_3genE8ELNS1_11target_archE1030ELNS1_3gpuE2ELNS1_3repE0EEENS1_30default_config_static_selectorELNS0_4arch9wavefront6targetE0EEEvT1_: ; @_ZN7rocprim17ROCPRIM_400000_NS6detail17trampoline_kernelINS0_14default_configENS1_20scan_config_selectorIhEEZZNS1_9scan_implILNS1_25lookback_scan_determinismE0ELb0ELb0ES3_N6thrust23THRUST_200600_302600_NS6detail15normal_iteratorINS9_7pointerIhNS9_11hip_rocprim5par_tENS9_11use_defaultESF_EEEENSB_INSC_IjSE_SF_SF_EEEEhNS9_4plusIvEEhEEDaPvRmT3_T4_T5_mT6_P12ihipStream_tbENKUlT_T0_E_clISt17integral_constantIbLb1EESY_IbLb0EEEEDaSU_SV_EUlSU_E_NS1_11comp_targetILNS1_3genE8ELNS1_11target_archE1030ELNS1_3gpuE2ELNS1_3repE0EEENS1_30default_config_static_selectorELNS0_4arch9wavefront6targetE0EEEvT1_
; %bb.0:
	.section	.rodata,"a",@progbits
	.p2align	6, 0x0
	.amdhsa_kernel _ZN7rocprim17ROCPRIM_400000_NS6detail17trampoline_kernelINS0_14default_configENS1_20scan_config_selectorIhEEZZNS1_9scan_implILNS1_25lookback_scan_determinismE0ELb0ELb0ES3_N6thrust23THRUST_200600_302600_NS6detail15normal_iteratorINS9_7pointerIhNS9_11hip_rocprim5par_tENS9_11use_defaultESF_EEEENSB_INSC_IjSE_SF_SF_EEEEhNS9_4plusIvEEhEEDaPvRmT3_T4_T5_mT6_P12ihipStream_tbENKUlT_T0_E_clISt17integral_constantIbLb1EESY_IbLb0EEEEDaSU_SV_EUlSU_E_NS1_11comp_targetILNS1_3genE8ELNS1_11target_archE1030ELNS1_3gpuE2ELNS1_3repE0EEENS1_30default_config_static_selectorELNS0_4arch9wavefront6targetE0EEEvT1_
		.amdhsa_group_segment_fixed_size 0
		.amdhsa_private_segment_fixed_size 0
		.amdhsa_kernarg_size 96
		.amdhsa_user_sgpr_count 15
		.amdhsa_user_sgpr_dispatch_ptr 0
		.amdhsa_user_sgpr_queue_ptr 0
		.amdhsa_user_sgpr_kernarg_segment_ptr 1
		.amdhsa_user_sgpr_dispatch_id 0
		.amdhsa_user_sgpr_private_segment_size 0
		.amdhsa_wavefront_size32 1
		.amdhsa_uses_dynamic_stack 0
		.amdhsa_enable_private_segment 0
		.amdhsa_system_sgpr_workgroup_id_x 1
		.amdhsa_system_sgpr_workgroup_id_y 0
		.amdhsa_system_sgpr_workgroup_id_z 0
		.amdhsa_system_sgpr_workgroup_info 0
		.amdhsa_system_vgpr_workitem_id 0
		.amdhsa_next_free_vgpr 1
		.amdhsa_next_free_sgpr 1
		.amdhsa_reserve_vcc 0
		.amdhsa_float_round_mode_32 0
		.amdhsa_float_round_mode_16_64 0
		.amdhsa_float_denorm_mode_32 3
		.amdhsa_float_denorm_mode_16_64 3
		.amdhsa_dx10_clamp 1
		.amdhsa_ieee_mode 1
		.amdhsa_fp16_overflow 0
		.amdhsa_workgroup_processor_mode 1
		.amdhsa_memory_ordered 1
		.amdhsa_forward_progress 0
		.amdhsa_shared_vgpr_count 0
		.amdhsa_exception_fp_ieee_invalid_op 0
		.amdhsa_exception_fp_denorm_src 0
		.amdhsa_exception_fp_ieee_div_zero 0
		.amdhsa_exception_fp_ieee_overflow 0
		.amdhsa_exception_fp_ieee_underflow 0
		.amdhsa_exception_fp_ieee_inexact 0
		.amdhsa_exception_int_div_zero 0
	.end_amdhsa_kernel
	.section	.text._ZN7rocprim17ROCPRIM_400000_NS6detail17trampoline_kernelINS0_14default_configENS1_20scan_config_selectorIhEEZZNS1_9scan_implILNS1_25lookback_scan_determinismE0ELb0ELb0ES3_N6thrust23THRUST_200600_302600_NS6detail15normal_iteratorINS9_7pointerIhNS9_11hip_rocprim5par_tENS9_11use_defaultESF_EEEENSB_INSC_IjSE_SF_SF_EEEEhNS9_4plusIvEEhEEDaPvRmT3_T4_T5_mT6_P12ihipStream_tbENKUlT_T0_E_clISt17integral_constantIbLb1EESY_IbLb0EEEEDaSU_SV_EUlSU_E_NS1_11comp_targetILNS1_3genE8ELNS1_11target_archE1030ELNS1_3gpuE2ELNS1_3repE0EEENS1_30default_config_static_selectorELNS0_4arch9wavefront6targetE0EEEvT1_,"axG",@progbits,_ZN7rocprim17ROCPRIM_400000_NS6detail17trampoline_kernelINS0_14default_configENS1_20scan_config_selectorIhEEZZNS1_9scan_implILNS1_25lookback_scan_determinismE0ELb0ELb0ES3_N6thrust23THRUST_200600_302600_NS6detail15normal_iteratorINS9_7pointerIhNS9_11hip_rocprim5par_tENS9_11use_defaultESF_EEEENSB_INSC_IjSE_SF_SF_EEEEhNS9_4plusIvEEhEEDaPvRmT3_T4_T5_mT6_P12ihipStream_tbENKUlT_T0_E_clISt17integral_constantIbLb1EESY_IbLb0EEEEDaSU_SV_EUlSU_E_NS1_11comp_targetILNS1_3genE8ELNS1_11target_archE1030ELNS1_3gpuE2ELNS1_3repE0EEENS1_30default_config_static_selectorELNS0_4arch9wavefront6targetE0EEEvT1_,comdat
.Lfunc_end158:
	.size	_ZN7rocprim17ROCPRIM_400000_NS6detail17trampoline_kernelINS0_14default_configENS1_20scan_config_selectorIhEEZZNS1_9scan_implILNS1_25lookback_scan_determinismE0ELb0ELb0ES3_N6thrust23THRUST_200600_302600_NS6detail15normal_iteratorINS9_7pointerIhNS9_11hip_rocprim5par_tENS9_11use_defaultESF_EEEENSB_INSC_IjSE_SF_SF_EEEEhNS9_4plusIvEEhEEDaPvRmT3_T4_T5_mT6_P12ihipStream_tbENKUlT_T0_E_clISt17integral_constantIbLb1EESY_IbLb0EEEEDaSU_SV_EUlSU_E_NS1_11comp_targetILNS1_3genE8ELNS1_11target_archE1030ELNS1_3gpuE2ELNS1_3repE0EEENS1_30default_config_static_selectorELNS0_4arch9wavefront6targetE0EEEvT1_, .Lfunc_end158-_ZN7rocprim17ROCPRIM_400000_NS6detail17trampoline_kernelINS0_14default_configENS1_20scan_config_selectorIhEEZZNS1_9scan_implILNS1_25lookback_scan_determinismE0ELb0ELb0ES3_N6thrust23THRUST_200600_302600_NS6detail15normal_iteratorINS9_7pointerIhNS9_11hip_rocprim5par_tENS9_11use_defaultESF_EEEENSB_INSC_IjSE_SF_SF_EEEEhNS9_4plusIvEEhEEDaPvRmT3_T4_T5_mT6_P12ihipStream_tbENKUlT_T0_E_clISt17integral_constantIbLb1EESY_IbLb0EEEEDaSU_SV_EUlSU_E_NS1_11comp_targetILNS1_3genE8ELNS1_11target_archE1030ELNS1_3gpuE2ELNS1_3repE0EEENS1_30default_config_static_selectorELNS0_4arch9wavefront6targetE0EEEvT1_
                                        ; -- End function
	.section	.AMDGPU.csdata,"",@progbits
; Kernel info:
; codeLenInByte = 0
; NumSgprs: 0
; NumVgprs: 0
; ScratchSize: 0
; MemoryBound: 0
; FloatMode: 240
; IeeeMode: 1
; LDSByteSize: 0 bytes/workgroup (compile time only)
; SGPRBlocks: 0
; VGPRBlocks: 0
; NumSGPRsForWavesPerEU: 1
; NumVGPRsForWavesPerEU: 1
; Occupancy: 16
; WaveLimiterHint : 0
; COMPUTE_PGM_RSRC2:SCRATCH_EN: 0
; COMPUTE_PGM_RSRC2:USER_SGPR: 15
; COMPUTE_PGM_RSRC2:TRAP_HANDLER: 0
; COMPUTE_PGM_RSRC2:TGID_X_EN: 1
; COMPUTE_PGM_RSRC2:TGID_Y_EN: 0
; COMPUTE_PGM_RSRC2:TGID_Z_EN: 0
; COMPUTE_PGM_RSRC2:TIDIG_COMP_CNT: 0
	.section	.text._ZN7rocprim17ROCPRIM_400000_NS6detail17trampoline_kernelINS0_14default_configENS1_20scan_config_selectorIhEEZZNS1_9scan_implILNS1_25lookback_scan_determinismE0ELb0ELb0ES3_N6thrust23THRUST_200600_302600_NS6detail15normal_iteratorINS9_7pointerIhNS9_11hip_rocprim5par_tENS9_11use_defaultESF_EEEENSB_INSC_IjSE_SF_SF_EEEEhNS9_4plusIvEEhEEDaPvRmT3_T4_T5_mT6_P12ihipStream_tbENKUlT_T0_E_clISt17integral_constantIbLb1EESY_IbLb0EEEEDaSU_SV_EUlSU_E0_NS1_11comp_targetILNS1_3genE0ELNS1_11target_archE4294967295ELNS1_3gpuE0ELNS1_3repE0EEENS1_30default_config_static_selectorELNS0_4arch9wavefront6targetE0EEEvT1_,"axG",@progbits,_ZN7rocprim17ROCPRIM_400000_NS6detail17trampoline_kernelINS0_14default_configENS1_20scan_config_selectorIhEEZZNS1_9scan_implILNS1_25lookback_scan_determinismE0ELb0ELb0ES3_N6thrust23THRUST_200600_302600_NS6detail15normal_iteratorINS9_7pointerIhNS9_11hip_rocprim5par_tENS9_11use_defaultESF_EEEENSB_INSC_IjSE_SF_SF_EEEEhNS9_4plusIvEEhEEDaPvRmT3_T4_T5_mT6_P12ihipStream_tbENKUlT_T0_E_clISt17integral_constantIbLb1EESY_IbLb0EEEEDaSU_SV_EUlSU_E0_NS1_11comp_targetILNS1_3genE0ELNS1_11target_archE4294967295ELNS1_3gpuE0ELNS1_3repE0EEENS1_30default_config_static_selectorELNS0_4arch9wavefront6targetE0EEEvT1_,comdat
	.protected	_ZN7rocprim17ROCPRIM_400000_NS6detail17trampoline_kernelINS0_14default_configENS1_20scan_config_selectorIhEEZZNS1_9scan_implILNS1_25lookback_scan_determinismE0ELb0ELb0ES3_N6thrust23THRUST_200600_302600_NS6detail15normal_iteratorINS9_7pointerIhNS9_11hip_rocprim5par_tENS9_11use_defaultESF_EEEENSB_INSC_IjSE_SF_SF_EEEEhNS9_4plusIvEEhEEDaPvRmT3_T4_T5_mT6_P12ihipStream_tbENKUlT_T0_E_clISt17integral_constantIbLb1EESY_IbLb0EEEEDaSU_SV_EUlSU_E0_NS1_11comp_targetILNS1_3genE0ELNS1_11target_archE4294967295ELNS1_3gpuE0ELNS1_3repE0EEENS1_30default_config_static_selectorELNS0_4arch9wavefront6targetE0EEEvT1_ ; -- Begin function _ZN7rocprim17ROCPRIM_400000_NS6detail17trampoline_kernelINS0_14default_configENS1_20scan_config_selectorIhEEZZNS1_9scan_implILNS1_25lookback_scan_determinismE0ELb0ELb0ES3_N6thrust23THRUST_200600_302600_NS6detail15normal_iteratorINS9_7pointerIhNS9_11hip_rocprim5par_tENS9_11use_defaultESF_EEEENSB_INSC_IjSE_SF_SF_EEEEhNS9_4plusIvEEhEEDaPvRmT3_T4_T5_mT6_P12ihipStream_tbENKUlT_T0_E_clISt17integral_constantIbLb1EESY_IbLb0EEEEDaSU_SV_EUlSU_E0_NS1_11comp_targetILNS1_3genE0ELNS1_11target_archE4294967295ELNS1_3gpuE0ELNS1_3repE0EEENS1_30default_config_static_selectorELNS0_4arch9wavefront6targetE0EEEvT1_
	.globl	_ZN7rocprim17ROCPRIM_400000_NS6detail17trampoline_kernelINS0_14default_configENS1_20scan_config_selectorIhEEZZNS1_9scan_implILNS1_25lookback_scan_determinismE0ELb0ELb0ES3_N6thrust23THRUST_200600_302600_NS6detail15normal_iteratorINS9_7pointerIhNS9_11hip_rocprim5par_tENS9_11use_defaultESF_EEEENSB_INSC_IjSE_SF_SF_EEEEhNS9_4plusIvEEhEEDaPvRmT3_T4_T5_mT6_P12ihipStream_tbENKUlT_T0_E_clISt17integral_constantIbLb1EESY_IbLb0EEEEDaSU_SV_EUlSU_E0_NS1_11comp_targetILNS1_3genE0ELNS1_11target_archE4294967295ELNS1_3gpuE0ELNS1_3repE0EEENS1_30default_config_static_selectorELNS0_4arch9wavefront6targetE0EEEvT1_
	.p2align	8
	.type	_ZN7rocprim17ROCPRIM_400000_NS6detail17trampoline_kernelINS0_14default_configENS1_20scan_config_selectorIhEEZZNS1_9scan_implILNS1_25lookback_scan_determinismE0ELb0ELb0ES3_N6thrust23THRUST_200600_302600_NS6detail15normal_iteratorINS9_7pointerIhNS9_11hip_rocprim5par_tENS9_11use_defaultESF_EEEENSB_INSC_IjSE_SF_SF_EEEEhNS9_4plusIvEEhEEDaPvRmT3_T4_T5_mT6_P12ihipStream_tbENKUlT_T0_E_clISt17integral_constantIbLb1EESY_IbLb0EEEEDaSU_SV_EUlSU_E0_NS1_11comp_targetILNS1_3genE0ELNS1_11target_archE4294967295ELNS1_3gpuE0ELNS1_3repE0EEENS1_30default_config_static_selectorELNS0_4arch9wavefront6targetE0EEEvT1_,@function
_ZN7rocprim17ROCPRIM_400000_NS6detail17trampoline_kernelINS0_14default_configENS1_20scan_config_selectorIhEEZZNS1_9scan_implILNS1_25lookback_scan_determinismE0ELb0ELb0ES3_N6thrust23THRUST_200600_302600_NS6detail15normal_iteratorINS9_7pointerIhNS9_11hip_rocprim5par_tENS9_11use_defaultESF_EEEENSB_INSC_IjSE_SF_SF_EEEEhNS9_4plusIvEEhEEDaPvRmT3_T4_T5_mT6_P12ihipStream_tbENKUlT_T0_E_clISt17integral_constantIbLb1EESY_IbLb0EEEEDaSU_SV_EUlSU_E0_NS1_11comp_targetILNS1_3genE0ELNS1_11target_archE4294967295ELNS1_3gpuE0ELNS1_3repE0EEENS1_30default_config_static_selectorELNS0_4arch9wavefront6targetE0EEEvT1_: ; @_ZN7rocprim17ROCPRIM_400000_NS6detail17trampoline_kernelINS0_14default_configENS1_20scan_config_selectorIhEEZZNS1_9scan_implILNS1_25lookback_scan_determinismE0ELb0ELb0ES3_N6thrust23THRUST_200600_302600_NS6detail15normal_iteratorINS9_7pointerIhNS9_11hip_rocprim5par_tENS9_11use_defaultESF_EEEENSB_INSC_IjSE_SF_SF_EEEEhNS9_4plusIvEEhEEDaPvRmT3_T4_T5_mT6_P12ihipStream_tbENKUlT_T0_E_clISt17integral_constantIbLb1EESY_IbLb0EEEEDaSU_SV_EUlSU_E0_NS1_11comp_targetILNS1_3genE0ELNS1_11target_archE4294967295ELNS1_3gpuE0ELNS1_3repE0EEENS1_30default_config_static_selectorELNS0_4arch9wavefront6targetE0EEEvT1_
; %bb.0:
	.section	.rodata,"a",@progbits
	.p2align	6, 0x0
	.amdhsa_kernel _ZN7rocprim17ROCPRIM_400000_NS6detail17trampoline_kernelINS0_14default_configENS1_20scan_config_selectorIhEEZZNS1_9scan_implILNS1_25lookback_scan_determinismE0ELb0ELb0ES3_N6thrust23THRUST_200600_302600_NS6detail15normal_iteratorINS9_7pointerIhNS9_11hip_rocprim5par_tENS9_11use_defaultESF_EEEENSB_INSC_IjSE_SF_SF_EEEEhNS9_4plusIvEEhEEDaPvRmT3_T4_T5_mT6_P12ihipStream_tbENKUlT_T0_E_clISt17integral_constantIbLb1EESY_IbLb0EEEEDaSU_SV_EUlSU_E0_NS1_11comp_targetILNS1_3genE0ELNS1_11target_archE4294967295ELNS1_3gpuE0ELNS1_3repE0EEENS1_30default_config_static_selectorELNS0_4arch9wavefront6targetE0EEEvT1_
		.amdhsa_group_segment_fixed_size 0
		.amdhsa_private_segment_fixed_size 0
		.amdhsa_kernarg_size 32
		.amdhsa_user_sgpr_count 15
		.amdhsa_user_sgpr_dispatch_ptr 0
		.amdhsa_user_sgpr_queue_ptr 0
		.amdhsa_user_sgpr_kernarg_segment_ptr 1
		.amdhsa_user_sgpr_dispatch_id 0
		.amdhsa_user_sgpr_private_segment_size 0
		.amdhsa_wavefront_size32 1
		.amdhsa_uses_dynamic_stack 0
		.amdhsa_enable_private_segment 0
		.amdhsa_system_sgpr_workgroup_id_x 1
		.amdhsa_system_sgpr_workgroup_id_y 0
		.amdhsa_system_sgpr_workgroup_id_z 0
		.amdhsa_system_sgpr_workgroup_info 0
		.amdhsa_system_vgpr_workitem_id 0
		.amdhsa_next_free_vgpr 1
		.amdhsa_next_free_sgpr 1
		.amdhsa_reserve_vcc 0
		.amdhsa_float_round_mode_32 0
		.amdhsa_float_round_mode_16_64 0
		.amdhsa_float_denorm_mode_32 3
		.amdhsa_float_denorm_mode_16_64 3
		.amdhsa_dx10_clamp 1
		.amdhsa_ieee_mode 1
		.amdhsa_fp16_overflow 0
		.amdhsa_workgroup_processor_mode 1
		.amdhsa_memory_ordered 1
		.amdhsa_forward_progress 0
		.amdhsa_shared_vgpr_count 0
		.amdhsa_exception_fp_ieee_invalid_op 0
		.amdhsa_exception_fp_denorm_src 0
		.amdhsa_exception_fp_ieee_div_zero 0
		.amdhsa_exception_fp_ieee_overflow 0
		.amdhsa_exception_fp_ieee_underflow 0
		.amdhsa_exception_fp_ieee_inexact 0
		.amdhsa_exception_int_div_zero 0
	.end_amdhsa_kernel
	.section	.text._ZN7rocprim17ROCPRIM_400000_NS6detail17trampoline_kernelINS0_14default_configENS1_20scan_config_selectorIhEEZZNS1_9scan_implILNS1_25lookback_scan_determinismE0ELb0ELb0ES3_N6thrust23THRUST_200600_302600_NS6detail15normal_iteratorINS9_7pointerIhNS9_11hip_rocprim5par_tENS9_11use_defaultESF_EEEENSB_INSC_IjSE_SF_SF_EEEEhNS9_4plusIvEEhEEDaPvRmT3_T4_T5_mT6_P12ihipStream_tbENKUlT_T0_E_clISt17integral_constantIbLb1EESY_IbLb0EEEEDaSU_SV_EUlSU_E0_NS1_11comp_targetILNS1_3genE0ELNS1_11target_archE4294967295ELNS1_3gpuE0ELNS1_3repE0EEENS1_30default_config_static_selectorELNS0_4arch9wavefront6targetE0EEEvT1_,"axG",@progbits,_ZN7rocprim17ROCPRIM_400000_NS6detail17trampoline_kernelINS0_14default_configENS1_20scan_config_selectorIhEEZZNS1_9scan_implILNS1_25lookback_scan_determinismE0ELb0ELb0ES3_N6thrust23THRUST_200600_302600_NS6detail15normal_iteratorINS9_7pointerIhNS9_11hip_rocprim5par_tENS9_11use_defaultESF_EEEENSB_INSC_IjSE_SF_SF_EEEEhNS9_4plusIvEEhEEDaPvRmT3_T4_T5_mT6_P12ihipStream_tbENKUlT_T0_E_clISt17integral_constantIbLb1EESY_IbLb0EEEEDaSU_SV_EUlSU_E0_NS1_11comp_targetILNS1_3genE0ELNS1_11target_archE4294967295ELNS1_3gpuE0ELNS1_3repE0EEENS1_30default_config_static_selectorELNS0_4arch9wavefront6targetE0EEEvT1_,comdat
.Lfunc_end159:
	.size	_ZN7rocprim17ROCPRIM_400000_NS6detail17trampoline_kernelINS0_14default_configENS1_20scan_config_selectorIhEEZZNS1_9scan_implILNS1_25lookback_scan_determinismE0ELb0ELb0ES3_N6thrust23THRUST_200600_302600_NS6detail15normal_iteratorINS9_7pointerIhNS9_11hip_rocprim5par_tENS9_11use_defaultESF_EEEENSB_INSC_IjSE_SF_SF_EEEEhNS9_4plusIvEEhEEDaPvRmT3_T4_T5_mT6_P12ihipStream_tbENKUlT_T0_E_clISt17integral_constantIbLb1EESY_IbLb0EEEEDaSU_SV_EUlSU_E0_NS1_11comp_targetILNS1_3genE0ELNS1_11target_archE4294967295ELNS1_3gpuE0ELNS1_3repE0EEENS1_30default_config_static_selectorELNS0_4arch9wavefront6targetE0EEEvT1_, .Lfunc_end159-_ZN7rocprim17ROCPRIM_400000_NS6detail17trampoline_kernelINS0_14default_configENS1_20scan_config_selectorIhEEZZNS1_9scan_implILNS1_25lookback_scan_determinismE0ELb0ELb0ES3_N6thrust23THRUST_200600_302600_NS6detail15normal_iteratorINS9_7pointerIhNS9_11hip_rocprim5par_tENS9_11use_defaultESF_EEEENSB_INSC_IjSE_SF_SF_EEEEhNS9_4plusIvEEhEEDaPvRmT3_T4_T5_mT6_P12ihipStream_tbENKUlT_T0_E_clISt17integral_constantIbLb1EESY_IbLb0EEEEDaSU_SV_EUlSU_E0_NS1_11comp_targetILNS1_3genE0ELNS1_11target_archE4294967295ELNS1_3gpuE0ELNS1_3repE0EEENS1_30default_config_static_selectorELNS0_4arch9wavefront6targetE0EEEvT1_
                                        ; -- End function
	.section	.AMDGPU.csdata,"",@progbits
; Kernel info:
; codeLenInByte = 0
; NumSgprs: 0
; NumVgprs: 0
; ScratchSize: 0
; MemoryBound: 0
; FloatMode: 240
; IeeeMode: 1
; LDSByteSize: 0 bytes/workgroup (compile time only)
; SGPRBlocks: 0
; VGPRBlocks: 0
; NumSGPRsForWavesPerEU: 1
; NumVGPRsForWavesPerEU: 1
; Occupancy: 16
; WaveLimiterHint : 0
; COMPUTE_PGM_RSRC2:SCRATCH_EN: 0
; COMPUTE_PGM_RSRC2:USER_SGPR: 15
; COMPUTE_PGM_RSRC2:TRAP_HANDLER: 0
; COMPUTE_PGM_RSRC2:TGID_X_EN: 1
; COMPUTE_PGM_RSRC2:TGID_Y_EN: 0
; COMPUTE_PGM_RSRC2:TGID_Z_EN: 0
; COMPUTE_PGM_RSRC2:TIDIG_COMP_CNT: 0
	.section	.text._ZN7rocprim17ROCPRIM_400000_NS6detail17trampoline_kernelINS0_14default_configENS1_20scan_config_selectorIhEEZZNS1_9scan_implILNS1_25lookback_scan_determinismE0ELb0ELb0ES3_N6thrust23THRUST_200600_302600_NS6detail15normal_iteratorINS9_7pointerIhNS9_11hip_rocprim5par_tENS9_11use_defaultESF_EEEENSB_INSC_IjSE_SF_SF_EEEEhNS9_4plusIvEEhEEDaPvRmT3_T4_T5_mT6_P12ihipStream_tbENKUlT_T0_E_clISt17integral_constantIbLb1EESY_IbLb0EEEEDaSU_SV_EUlSU_E0_NS1_11comp_targetILNS1_3genE5ELNS1_11target_archE942ELNS1_3gpuE9ELNS1_3repE0EEENS1_30default_config_static_selectorELNS0_4arch9wavefront6targetE0EEEvT1_,"axG",@progbits,_ZN7rocprim17ROCPRIM_400000_NS6detail17trampoline_kernelINS0_14default_configENS1_20scan_config_selectorIhEEZZNS1_9scan_implILNS1_25lookback_scan_determinismE0ELb0ELb0ES3_N6thrust23THRUST_200600_302600_NS6detail15normal_iteratorINS9_7pointerIhNS9_11hip_rocprim5par_tENS9_11use_defaultESF_EEEENSB_INSC_IjSE_SF_SF_EEEEhNS9_4plusIvEEhEEDaPvRmT3_T4_T5_mT6_P12ihipStream_tbENKUlT_T0_E_clISt17integral_constantIbLb1EESY_IbLb0EEEEDaSU_SV_EUlSU_E0_NS1_11comp_targetILNS1_3genE5ELNS1_11target_archE942ELNS1_3gpuE9ELNS1_3repE0EEENS1_30default_config_static_selectorELNS0_4arch9wavefront6targetE0EEEvT1_,comdat
	.protected	_ZN7rocprim17ROCPRIM_400000_NS6detail17trampoline_kernelINS0_14default_configENS1_20scan_config_selectorIhEEZZNS1_9scan_implILNS1_25lookback_scan_determinismE0ELb0ELb0ES3_N6thrust23THRUST_200600_302600_NS6detail15normal_iteratorINS9_7pointerIhNS9_11hip_rocprim5par_tENS9_11use_defaultESF_EEEENSB_INSC_IjSE_SF_SF_EEEEhNS9_4plusIvEEhEEDaPvRmT3_T4_T5_mT6_P12ihipStream_tbENKUlT_T0_E_clISt17integral_constantIbLb1EESY_IbLb0EEEEDaSU_SV_EUlSU_E0_NS1_11comp_targetILNS1_3genE5ELNS1_11target_archE942ELNS1_3gpuE9ELNS1_3repE0EEENS1_30default_config_static_selectorELNS0_4arch9wavefront6targetE0EEEvT1_ ; -- Begin function _ZN7rocprim17ROCPRIM_400000_NS6detail17trampoline_kernelINS0_14default_configENS1_20scan_config_selectorIhEEZZNS1_9scan_implILNS1_25lookback_scan_determinismE0ELb0ELb0ES3_N6thrust23THRUST_200600_302600_NS6detail15normal_iteratorINS9_7pointerIhNS9_11hip_rocprim5par_tENS9_11use_defaultESF_EEEENSB_INSC_IjSE_SF_SF_EEEEhNS9_4plusIvEEhEEDaPvRmT3_T4_T5_mT6_P12ihipStream_tbENKUlT_T0_E_clISt17integral_constantIbLb1EESY_IbLb0EEEEDaSU_SV_EUlSU_E0_NS1_11comp_targetILNS1_3genE5ELNS1_11target_archE942ELNS1_3gpuE9ELNS1_3repE0EEENS1_30default_config_static_selectorELNS0_4arch9wavefront6targetE0EEEvT1_
	.globl	_ZN7rocprim17ROCPRIM_400000_NS6detail17trampoline_kernelINS0_14default_configENS1_20scan_config_selectorIhEEZZNS1_9scan_implILNS1_25lookback_scan_determinismE0ELb0ELb0ES3_N6thrust23THRUST_200600_302600_NS6detail15normal_iteratorINS9_7pointerIhNS9_11hip_rocprim5par_tENS9_11use_defaultESF_EEEENSB_INSC_IjSE_SF_SF_EEEEhNS9_4plusIvEEhEEDaPvRmT3_T4_T5_mT6_P12ihipStream_tbENKUlT_T0_E_clISt17integral_constantIbLb1EESY_IbLb0EEEEDaSU_SV_EUlSU_E0_NS1_11comp_targetILNS1_3genE5ELNS1_11target_archE942ELNS1_3gpuE9ELNS1_3repE0EEENS1_30default_config_static_selectorELNS0_4arch9wavefront6targetE0EEEvT1_
	.p2align	8
	.type	_ZN7rocprim17ROCPRIM_400000_NS6detail17trampoline_kernelINS0_14default_configENS1_20scan_config_selectorIhEEZZNS1_9scan_implILNS1_25lookback_scan_determinismE0ELb0ELb0ES3_N6thrust23THRUST_200600_302600_NS6detail15normal_iteratorINS9_7pointerIhNS9_11hip_rocprim5par_tENS9_11use_defaultESF_EEEENSB_INSC_IjSE_SF_SF_EEEEhNS9_4plusIvEEhEEDaPvRmT3_T4_T5_mT6_P12ihipStream_tbENKUlT_T0_E_clISt17integral_constantIbLb1EESY_IbLb0EEEEDaSU_SV_EUlSU_E0_NS1_11comp_targetILNS1_3genE5ELNS1_11target_archE942ELNS1_3gpuE9ELNS1_3repE0EEENS1_30default_config_static_selectorELNS0_4arch9wavefront6targetE0EEEvT1_,@function
_ZN7rocprim17ROCPRIM_400000_NS6detail17trampoline_kernelINS0_14default_configENS1_20scan_config_selectorIhEEZZNS1_9scan_implILNS1_25lookback_scan_determinismE0ELb0ELb0ES3_N6thrust23THRUST_200600_302600_NS6detail15normal_iteratorINS9_7pointerIhNS9_11hip_rocprim5par_tENS9_11use_defaultESF_EEEENSB_INSC_IjSE_SF_SF_EEEEhNS9_4plusIvEEhEEDaPvRmT3_T4_T5_mT6_P12ihipStream_tbENKUlT_T0_E_clISt17integral_constantIbLb1EESY_IbLb0EEEEDaSU_SV_EUlSU_E0_NS1_11comp_targetILNS1_3genE5ELNS1_11target_archE942ELNS1_3gpuE9ELNS1_3repE0EEENS1_30default_config_static_selectorELNS0_4arch9wavefront6targetE0EEEvT1_: ; @_ZN7rocprim17ROCPRIM_400000_NS6detail17trampoline_kernelINS0_14default_configENS1_20scan_config_selectorIhEEZZNS1_9scan_implILNS1_25lookback_scan_determinismE0ELb0ELb0ES3_N6thrust23THRUST_200600_302600_NS6detail15normal_iteratorINS9_7pointerIhNS9_11hip_rocprim5par_tENS9_11use_defaultESF_EEEENSB_INSC_IjSE_SF_SF_EEEEhNS9_4plusIvEEhEEDaPvRmT3_T4_T5_mT6_P12ihipStream_tbENKUlT_T0_E_clISt17integral_constantIbLb1EESY_IbLb0EEEEDaSU_SV_EUlSU_E0_NS1_11comp_targetILNS1_3genE5ELNS1_11target_archE942ELNS1_3gpuE9ELNS1_3repE0EEENS1_30default_config_static_selectorELNS0_4arch9wavefront6targetE0EEEvT1_
; %bb.0:
	.section	.rodata,"a",@progbits
	.p2align	6, 0x0
	.amdhsa_kernel _ZN7rocprim17ROCPRIM_400000_NS6detail17trampoline_kernelINS0_14default_configENS1_20scan_config_selectorIhEEZZNS1_9scan_implILNS1_25lookback_scan_determinismE0ELb0ELb0ES3_N6thrust23THRUST_200600_302600_NS6detail15normal_iteratorINS9_7pointerIhNS9_11hip_rocprim5par_tENS9_11use_defaultESF_EEEENSB_INSC_IjSE_SF_SF_EEEEhNS9_4plusIvEEhEEDaPvRmT3_T4_T5_mT6_P12ihipStream_tbENKUlT_T0_E_clISt17integral_constantIbLb1EESY_IbLb0EEEEDaSU_SV_EUlSU_E0_NS1_11comp_targetILNS1_3genE5ELNS1_11target_archE942ELNS1_3gpuE9ELNS1_3repE0EEENS1_30default_config_static_selectorELNS0_4arch9wavefront6targetE0EEEvT1_
		.amdhsa_group_segment_fixed_size 0
		.amdhsa_private_segment_fixed_size 0
		.amdhsa_kernarg_size 32
		.amdhsa_user_sgpr_count 15
		.amdhsa_user_sgpr_dispatch_ptr 0
		.amdhsa_user_sgpr_queue_ptr 0
		.amdhsa_user_sgpr_kernarg_segment_ptr 1
		.amdhsa_user_sgpr_dispatch_id 0
		.amdhsa_user_sgpr_private_segment_size 0
		.amdhsa_wavefront_size32 1
		.amdhsa_uses_dynamic_stack 0
		.amdhsa_enable_private_segment 0
		.amdhsa_system_sgpr_workgroup_id_x 1
		.amdhsa_system_sgpr_workgroup_id_y 0
		.amdhsa_system_sgpr_workgroup_id_z 0
		.amdhsa_system_sgpr_workgroup_info 0
		.amdhsa_system_vgpr_workitem_id 0
		.amdhsa_next_free_vgpr 1
		.amdhsa_next_free_sgpr 1
		.amdhsa_reserve_vcc 0
		.amdhsa_float_round_mode_32 0
		.amdhsa_float_round_mode_16_64 0
		.amdhsa_float_denorm_mode_32 3
		.amdhsa_float_denorm_mode_16_64 3
		.amdhsa_dx10_clamp 1
		.amdhsa_ieee_mode 1
		.amdhsa_fp16_overflow 0
		.amdhsa_workgroup_processor_mode 1
		.amdhsa_memory_ordered 1
		.amdhsa_forward_progress 0
		.amdhsa_shared_vgpr_count 0
		.amdhsa_exception_fp_ieee_invalid_op 0
		.amdhsa_exception_fp_denorm_src 0
		.amdhsa_exception_fp_ieee_div_zero 0
		.amdhsa_exception_fp_ieee_overflow 0
		.amdhsa_exception_fp_ieee_underflow 0
		.amdhsa_exception_fp_ieee_inexact 0
		.amdhsa_exception_int_div_zero 0
	.end_amdhsa_kernel
	.section	.text._ZN7rocprim17ROCPRIM_400000_NS6detail17trampoline_kernelINS0_14default_configENS1_20scan_config_selectorIhEEZZNS1_9scan_implILNS1_25lookback_scan_determinismE0ELb0ELb0ES3_N6thrust23THRUST_200600_302600_NS6detail15normal_iteratorINS9_7pointerIhNS9_11hip_rocprim5par_tENS9_11use_defaultESF_EEEENSB_INSC_IjSE_SF_SF_EEEEhNS9_4plusIvEEhEEDaPvRmT3_T4_T5_mT6_P12ihipStream_tbENKUlT_T0_E_clISt17integral_constantIbLb1EESY_IbLb0EEEEDaSU_SV_EUlSU_E0_NS1_11comp_targetILNS1_3genE5ELNS1_11target_archE942ELNS1_3gpuE9ELNS1_3repE0EEENS1_30default_config_static_selectorELNS0_4arch9wavefront6targetE0EEEvT1_,"axG",@progbits,_ZN7rocprim17ROCPRIM_400000_NS6detail17trampoline_kernelINS0_14default_configENS1_20scan_config_selectorIhEEZZNS1_9scan_implILNS1_25lookback_scan_determinismE0ELb0ELb0ES3_N6thrust23THRUST_200600_302600_NS6detail15normal_iteratorINS9_7pointerIhNS9_11hip_rocprim5par_tENS9_11use_defaultESF_EEEENSB_INSC_IjSE_SF_SF_EEEEhNS9_4plusIvEEhEEDaPvRmT3_T4_T5_mT6_P12ihipStream_tbENKUlT_T0_E_clISt17integral_constantIbLb1EESY_IbLb0EEEEDaSU_SV_EUlSU_E0_NS1_11comp_targetILNS1_3genE5ELNS1_11target_archE942ELNS1_3gpuE9ELNS1_3repE0EEENS1_30default_config_static_selectorELNS0_4arch9wavefront6targetE0EEEvT1_,comdat
.Lfunc_end160:
	.size	_ZN7rocprim17ROCPRIM_400000_NS6detail17trampoline_kernelINS0_14default_configENS1_20scan_config_selectorIhEEZZNS1_9scan_implILNS1_25lookback_scan_determinismE0ELb0ELb0ES3_N6thrust23THRUST_200600_302600_NS6detail15normal_iteratorINS9_7pointerIhNS9_11hip_rocprim5par_tENS9_11use_defaultESF_EEEENSB_INSC_IjSE_SF_SF_EEEEhNS9_4plusIvEEhEEDaPvRmT3_T4_T5_mT6_P12ihipStream_tbENKUlT_T0_E_clISt17integral_constantIbLb1EESY_IbLb0EEEEDaSU_SV_EUlSU_E0_NS1_11comp_targetILNS1_3genE5ELNS1_11target_archE942ELNS1_3gpuE9ELNS1_3repE0EEENS1_30default_config_static_selectorELNS0_4arch9wavefront6targetE0EEEvT1_, .Lfunc_end160-_ZN7rocprim17ROCPRIM_400000_NS6detail17trampoline_kernelINS0_14default_configENS1_20scan_config_selectorIhEEZZNS1_9scan_implILNS1_25lookback_scan_determinismE0ELb0ELb0ES3_N6thrust23THRUST_200600_302600_NS6detail15normal_iteratorINS9_7pointerIhNS9_11hip_rocprim5par_tENS9_11use_defaultESF_EEEENSB_INSC_IjSE_SF_SF_EEEEhNS9_4plusIvEEhEEDaPvRmT3_T4_T5_mT6_P12ihipStream_tbENKUlT_T0_E_clISt17integral_constantIbLb1EESY_IbLb0EEEEDaSU_SV_EUlSU_E0_NS1_11comp_targetILNS1_3genE5ELNS1_11target_archE942ELNS1_3gpuE9ELNS1_3repE0EEENS1_30default_config_static_selectorELNS0_4arch9wavefront6targetE0EEEvT1_
                                        ; -- End function
	.section	.AMDGPU.csdata,"",@progbits
; Kernel info:
; codeLenInByte = 0
; NumSgprs: 0
; NumVgprs: 0
; ScratchSize: 0
; MemoryBound: 0
; FloatMode: 240
; IeeeMode: 1
; LDSByteSize: 0 bytes/workgroup (compile time only)
; SGPRBlocks: 0
; VGPRBlocks: 0
; NumSGPRsForWavesPerEU: 1
; NumVGPRsForWavesPerEU: 1
; Occupancy: 16
; WaveLimiterHint : 0
; COMPUTE_PGM_RSRC2:SCRATCH_EN: 0
; COMPUTE_PGM_RSRC2:USER_SGPR: 15
; COMPUTE_PGM_RSRC2:TRAP_HANDLER: 0
; COMPUTE_PGM_RSRC2:TGID_X_EN: 1
; COMPUTE_PGM_RSRC2:TGID_Y_EN: 0
; COMPUTE_PGM_RSRC2:TGID_Z_EN: 0
; COMPUTE_PGM_RSRC2:TIDIG_COMP_CNT: 0
	.section	.text._ZN7rocprim17ROCPRIM_400000_NS6detail17trampoline_kernelINS0_14default_configENS1_20scan_config_selectorIhEEZZNS1_9scan_implILNS1_25lookback_scan_determinismE0ELb0ELb0ES3_N6thrust23THRUST_200600_302600_NS6detail15normal_iteratorINS9_7pointerIhNS9_11hip_rocprim5par_tENS9_11use_defaultESF_EEEENSB_INSC_IjSE_SF_SF_EEEEhNS9_4plusIvEEhEEDaPvRmT3_T4_T5_mT6_P12ihipStream_tbENKUlT_T0_E_clISt17integral_constantIbLb1EESY_IbLb0EEEEDaSU_SV_EUlSU_E0_NS1_11comp_targetILNS1_3genE4ELNS1_11target_archE910ELNS1_3gpuE8ELNS1_3repE0EEENS1_30default_config_static_selectorELNS0_4arch9wavefront6targetE0EEEvT1_,"axG",@progbits,_ZN7rocprim17ROCPRIM_400000_NS6detail17trampoline_kernelINS0_14default_configENS1_20scan_config_selectorIhEEZZNS1_9scan_implILNS1_25lookback_scan_determinismE0ELb0ELb0ES3_N6thrust23THRUST_200600_302600_NS6detail15normal_iteratorINS9_7pointerIhNS9_11hip_rocprim5par_tENS9_11use_defaultESF_EEEENSB_INSC_IjSE_SF_SF_EEEEhNS9_4plusIvEEhEEDaPvRmT3_T4_T5_mT6_P12ihipStream_tbENKUlT_T0_E_clISt17integral_constantIbLb1EESY_IbLb0EEEEDaSU_SV_EUlSU_E0_NS1_11comp_targetILNS1_3genE4ELNS1_11target_archE910ELNS1_3gpuE8ELNS1_3repE0EEENS1_30default_config_static_selectorELNS0_4arch9wavefront6targetE0EEEvT1_,comdat
	.protected	_ZN7rocprim17ROCPRIM_400000_NS6detail17trampoline_kernelINS0_14default_configENS1_20scan_config_selectorIhEEZZNS1_9scan_implILNS1_25lookback_scan_determinismE0ELb0ELb0ES3_N6thrust23THRUST_200600_302600_NS6detail15normal_iteratorINS9_7pointerIhNS9_11hip_rocprim5par_tENS9_11use_defaultESF_EEEENSB_INSC_IjSE_SF_SF_EEEEhNS9_4plusIvEEhEEDaPvRmT3_T4_T5_mT6_P12ihipStream_tbENKUlT_T0_E_clISt17integral_constantIbLb1EESY_IbLb0EEEEDaSU_SV_EUlSU_E0_NS1_11comp_targetILNS1_3genE4ELNS1_11target_archE910ELNS1_3gpuE8ELNS1_3repE0EEENS1_30default_config_static_selectorELNS0_4arch9wavefront6targetE0EEEvT1_ ; -- Begin function _ZN7rocprim17ROCPRIM_400000_NS6detail17trampoline_kernelINS0_14default_configENS1_20scan_config_selectorIhEEZZNS1_9scan_implILNS1_25lookback_scan_determinismE0ELb0ELb0ES3_N6thrust23THRUST_200600_302600_NS6detail15normal_iteratorINS9_7pointerIhNS9_11hip_rocprim5par_tENS9_11use_defaultESF_EEEENSB_INSC_IjSE_SF_SF_EEEEhNS9_4plusIvEEhEEDaPvRmT3_T4_T5_mT6_P12ihipStream_tbENKUlT_T0_E_clISt17integral_constantIbLb1EESY_IbLb0EEEEDaSU_SV_EUlSU_E0_NS1_11comp_targetILNS1_3genE4ELNS1_11target_archE910ELNS1_3gpuE8ELNS1_3repE0EEENS1_30default_config_static_selectorELNS0_4arch9wavefront6targetE0EEEvT1_
	.globl	_ZN7rocprim17ROCPRIM_400000_NS6detail17trampoline_kernelINS0_14default_configENS1_20scan_config_selectorIhEEZZNS1_9scan_implILNS1_25lookback_scan_determinismE0ELb0ELb0ES3_N6thrust23THRUST_200600_302600_NS6detail15normal_iteratorINS9_7pointerIhNS9_11hip_rocprim5par_tENS9_11use_defaultESF_EEEENSB_INSC_IjSE_SF_SF_EEEEhNS9_4plusIvEEhEEDaPvRmT3_T4_T5_mT6_P12ihipStream_tbENKUlT_T0_E_clISt17integral_constantIbLb1EESY_IbLb0EEEEDaSU_SV_EUlSU_E0_NS1_11comp_targetILNS1_3genE4ELNS1_11target_archE910ELNS1_3gpuE8ELNS1_3repE0EEENS1_30default_config_static_selectorELNS0_4arch9wavefront6targetE0EEEvT1_
	.p2align	8
	.type	_ZN7rocprim17ROCPRIM_400000_NS6detail17trampoline_kernelINS0_14default_configENS1_20scan_config_selectorIhEEZZNS1_9scan_implILNS1_25lookback_scan_determinismE0ELb0ELb0ES3_N6thrust23THRUST_200600_302600_NS6detail15normal_iteratorINS9_7pointerIhNS9_11hip_rocprim5par_tENS9_11use_defaultESF_EEEENSB_INSC_IjSE_SF_SF_EEEEhNS9_4plusIvEEhEEDaPvRmT3_T4_T5_mT6_P12ihipStream_tbENKUlT_T0_E_clISt17integral_constantIbLb1EESY_IbLb0EEEEDaSU_SV_EUlSU_E0_NS1_11comp_targetILNS1_3genE4ELNS1_11target_archE910ELNS1_3gpuE8ELNS1_3repE0EEENS1_30default_config_static_selectorELNS0_4arch9wavefront6targetE0EEEvT1_,@function
_ZN7rocprim17ROCPRIM_400000_NS6detail17trampoline_kernelINS0_14default_configENS1_20scan_config_selectorIhEEZZNS1_9scan_implILNS1_25lookback_scan_determinismE0ELb0ELb0ES3_N6thrust23THRUST_200600_302600_NS6detail15normal_iteratorINS9_7pointerIhNS9_11hip_rocprim5par_tENS9_11use_defaultESF_EEEENSB_INSC_IjSE_SF_SF_EEEEhNS9_4plusIvEEhEEDaPvRmT3_T4_T5_mT6_P12ihipStream_tbENKUlT_T0_E_clISt17integral_constantIbLb1EESY_IbLb0EEEEDaSU_SV_EUlSU_E0_NS1_11comp_targetILNS1_3genE4ELNS1_11target_archE910ELNS1_3gpuE8ELNS1_3repE0EEENS1_30default_config_static_selectorELNS0_4arch9wavefront6targetE0EEEvT1_: ; @_ZN7rocprim17ROCPRIM_400000_NS6detail17trampoline_kernelINS0_14default_configENS1_20scan_config_selectorIhEEZZNS1_9scan_implILNS1_25lookback_scan_determinismE0ELb0ELb0ES3_N6thrust23THRUST_200600_302600_NS6detail15normal_iteratorINS9_7pointerIhNS9_11hip_rocprim5par_tENS9_11use_defaultESF_EEEENSB_INSC_IjSE_SF_SF_EEEEhNS9_4plusIvEEhEEDaPvRmT3_T4_T5_mT6_P12ihipStream_tbENKUlT_T0_E_clISt17integral_constantIbLb1EESY_IbLb0EEEEDaSU_SV_EUlSU_E0_NS1_11comp_targetILNS1_3genE4ELNS1_11target_archE910ELNS1_3gpuE8ELNS1_3repE0EEENS1_30default_config_static_selectorELNS0_4arch9wavefront6targetE0EEEvT1_
; %bb.0:
	.section	.rodata,"a",@progbits
	.p2align	6, 0x0
	.amdhsa_kernel _ZN7rocprim17ROCPRIM_400000_NS6detail17trampoline_kernelINS0_14default_configENS1_20scan_config_selectorIhEEZZNS1_9scan_implILNS1_25lookback_scan_determinismE0ELb0ELb0ES3_N6thrust23THRUST_200600_302600_NS6detail15normal_iteratorINS9_7pointerIhNS9_11hip_rocprim5par_tENS9_11use_defaultESF_EEEENSB_INSC_IjSE_SF_SF_EEEEhNS9_4plusIvEEhEEDaPvRmT3_T4_T5_mT6_P12ihipStream_tbENKUlT_T0_E_clISt17integral_constantIbLb1EESY_IbLb0EEEEDaSU_SV_EUlSU_E0_NS1_11comp_targetILNS1_3genE4ELNS1_11target_archE910ELNS1_3gpuE8ELNS1_3repE0EEENS1_30default_config_static_selectorELNS0_4arch9wavefront6targetE0EEEvT1_
		.amdhsa_group_segment_fixed_size 0
		.amdhsa_private_segment_fixed_size 0
		.amdhsa_kernarg_size 32
		.amdhsa_user_sgpr_count 15
		.amdhsa_user_sgpr_dispatch_ptr 0
		.amdhsa_user_sgpr_queue_ptr 0
		.amdhsa_user_sgpr_kernarg_segment_ptr 1
		.amdhsa_user_sgpr_dispatch_id 0
		.amdhsa_user_sgpr_private_segment_size 0
		.amdhsa_wavefront_size32 1
		.amdhsa_uses_dynamic_stack 0
		.amdhsa_enable_private_segment 0
		.amdhsa_system_sgpr_workgroup_id_x 1
		.amdhsa_system_sgpr_workgroup_id_y 0
		.amdhsa_system_sgpr_workgroup_id_z 0
		.amdhsa_system_sgpr_workgroup_info 0
		.amdhsa_system_vgpr_workitem_id 0
		.amdhsa_next_free_vgpr 1
		.amdhsa_next_free_sgpr 1
		.amdhsa_reserve_vcc 0
		.amdhsa_float_round_mode_32 0
		.amdhsa_float_round_mode_16_64 0
		.amdhsa_float_denorm_mode_32 3
		.amdhsa_float_denorm_mode_16_64 3
		.amdhsa_dx10_clamp 1
		.amdhsa_ieee_mode 1
		.amdhsa_fp16_overflow 0
		.amdhsa_workgroup_processor_mode 1
		.amdhsa_memory_ordered 1
		.amdhsa_forward_progress 0
		.amdhsa_shared_vgpr_count 0
		.amdhsa_exception_fp_ieee_invalid_op 0
		.amdhsa_exception_fp_denorm_src 0
		.amdhsa_exception_fp_ieee_div_zero 0
		.amdhsa_exception_fp_ieee_overflow 0
		.amdhsa_exception_fp_ieee_underflow 0
		.amdhsa_exception_fp_ieee_inexact 0
		.amdhsa_exception_int_div_zero 0
	.end_amdhsa_kernel
	.section	.text._ZN7rocprim17ROCPRIM_400000_NS6detail17trampoline_kernelINS0_14default_configENS1_20scan_config_selectorIhEEZZNS1_9scan_implILNS1_25lookback_scan_determinismE0ELb0ELb0ES3_N6thrust23THRUST_200600_302600_NS6detail15normal_iteratorINS9_7pointerIhNS9_11hip_rocprim5par_tENS9_11use_defaultESF_EEEENSB_INSC_IjSE_SF_SF_EEEEhNS9_4plusIvEEhEEDaPvRmT3_T4_T5_mT6_P12ihipStream_tbENKUlT_T0_E_clISt17integral_constantIbLb1EESY_IbLb0EEEEDaSU_SV_EUlSU_E0_NS1_11comp_targetILNS1_3genE4ELNS1_11target_archE910ELNS1_3gpuE8ELNS1_3repE0EEENS1_30default_config_static_selectorELNS0_4arch9wavefront6targetE0EEEvT1_,"axG",@progbits,_ZN7rocprim17ROCPRIM_400000_NS6detail17trampoline_kernelINS0_14default_configENS1_20scan_config_selectorIhEEZZNS1_9scan_implILNS1_25lookback_scan_determinismE0ELb0ELb0ES3_N6thrust23THRUST_200600_302600_NS6detail15normal_iteratorINS9_7pointerIhNS9_11hip_rocprim5par_tENS9_11use_defaultESF_EEEENSB_INSC_IjSE_SF_SF_EEEEhNS9_4plusIvEEhEEDaPvRmT3_T4_T5_mT6_P12ihipStream_tbENKUlT_T0_E_clISt17integral_constantIbLb1EESY_IbLb0EEEEDaSU_SV_EUlSU_E0_NS1_11comp_targetILNS1_3genE4ELNS1_11target_archE910ELNS1_3gpuE8ELNS1_3repE0EEENS1_30default_config_static_selectorELNS0_4arch9wavefront6targetE0EEEvT1_,comdat
.Lfunc_end161:
	.size	_ZN7rocprim17ROCPRIM_400000_NS6detail17trampoline_kernelINS0_14default_configENS1_20scan_config_selectorIhEEZZNS1_9scan_implILNS1_25lookback_scan_determinismE0ELb0ELb0ES3_N6thrust23THRUST_200600_302600_NS6detail15normal_iteratorINS9_7pointerIhNS9_11hip_rocprim5par_tENS9_11use_defaultESF_EEEENSB_INSC_IjSE_SF_SF_EEEEhNS9_4plusIvEEhEEDaPvRmT3_T4_T5_mT6_P12ihipStream_tbENKUlT_T0_E_clISt17integral_constantIbLb1EESY_IbLb0EEEEDaSU_SV_EUlSU_E0_NS1_11comp_targetILNS1_3genE4ELNS1_11target_archE910ELNS1_3gpuE8ELNS1_3repE0EEENS1_30default_config_static_selectorELNS0_4arch9wavefront6targetE0EEEvT1_, .Lfunc_end161-_ZN7rocprim17ROCPRIM_400000_NS6detail17trampoline_kernelINS0_14default_configENS1_20scan_config_selectorIhEEZZNS1_9scan_implILNS1_25lookback_scan_determinismE0ELb0ELb0ES3_N6thrust23THRUST_200600_302600_NS6detail15normal_iteratorINS9_7pointerIhNS9_11hip_rocprim5par_tENS9_11use_defaultESF_EEEENSB_INSC_IjSE_SF_SF_EEEEhNS9_4plusIvEEhEEDaPvRmT3_T4_T5_mT6_P12ihipStream_tbENKUlT_T0_E_clISt17integral_constantIbLb1EESY_IbLb0EEEEDaSU_SV_EUlSU_E0_NS1_11comp_targetILNS1_3genE4ELNS1_11target_archE910ELNS1_3gpuE8ELNS1_3repE0EEENS1_30default_config_static_selectorELNS0_4arch9wavefront6targetE0EEEvT1_
                                        ; -- End function
	.section	.AMDGPU.csdata,"",@progbits
; Kernel info:
; codeLenInByte = 0
; NumSgprs: 0
; NumVgprs: 0
; ScratchSize: 0
; MemoryBound: 0
; FloatMode: 240
; IeeeMode: 1
; LDSByteSize: 0 bytes/workgroup (compile time only)
; SGPRBlocks: 0
; VGPRBlocks: 0
; NumSGPRsForWavesPerEU: 1
; NumVGPRsForWavesPerEU: 1
; Occupancy: 16
; WaveLimiterHint : 0
; COMPUTE_PGM_RSRC2:SCRATCH_EN: 0
; COMPUTE_PGM_RSRC2:USER_SGPR: 15
; COMPUTE_PGM_RSRC2:TRAP_HANDLER: 0
; COMPUTE_PGM_RSRC2:TGID_X_EN: 1
; COMPUTE_PGM_RSRC2:TGID_Y_EN: 0
; COMPUTE_PGM_RSRC2:TGID_Z_EN: 0
; COMPUTE_PGM_RSRC2:TIDIG_COMP_CNT: 0
	.section	.text._ZN7rocprim17ROCPRIM_400000_NS6detail17trampoline_kernelINS0_14default_configENS1_20scan_config_selectorIhEEZZNS1_9scan_implILNS1_25lookback_scan_determinismE0ELb0ELb0ES3_N6thrust23THRUST_200600_302600_NS6detail15normal_iteratorINS9_7pointerIhNS9_11hip_rocprim5par_tENS9_11use_defaultESF_EEEENSB_INSC_IjSE_SF_SF_EEEEhNS9_4plusIvEEhEEDaPvRmT3_T4_T5_mT6_P12ihipStream_tbENKUlT_T0_E_clISt17integral_constantIbLb1EESY_IbLb0EEEEDaSU_SV_EUlSU_E0_NS1_11comp_targetILNS1_3genE3ELNS1_11target_archE908ELNS1_3gpuE7ELNS1_3repE0EEENS1_30default_config_static_selectorELNS0_4arch9wavefront6targetE0EEEvT1_,"axG",@progbits,_ZN7rocprim17ROCPRIM_400000_NS6detail17trampoline_kernelINS0_14default_configENS1_20scan_config_selectorIhEEZZNS1_9scan_implILNS1_25lookback_scan_determinismE0ELb0ELb0ES3_N6thrust23THRUST_200600_302600_NS6detail15normal_iteratorINS9_7pointerIhNS9_11hip_rocprim5par_tENS9_11use_defaultESF_EEEENSB_INSC_IjSE_SF_SF_EEEEhNS9_4plusIvEEhEEDaPvRmT3_T4_T5_mT6_P12ihipStream_tbENKUlT_T0_E_clISt17integral_constantIbLb1EESY_IbLb0EEEEDaSU_SV_EUlSU_E0_NS1_11comp_targetILNS1_3genE3ELNS1_11target_archE908ELNS1_3gpuE7ELNS1_3repE0EEENS1_30default_config_static_selectorELNS0_4arch9wavefront6targetE0EEEvT1_,comdat
	.protected	_ZN7rocprim17ROCPRIM_400000_NS6detail17trampoline_kernelINS0_14default_configENS1_20scan_config_selectorIhEEZZNS1_9scan_implILNS1_25lookback_scan_determinismE0ELb0ELb0ES3_N6thrust23THRUST_200600_302600_NS6detail15normal_iteratorINS9_7pointerIhNS9_11hip_rocprim5par_tENS9_11use_defaultESF_EEEENSB_INSC_IjSE_SF_SF_EEEEhNS9_4plusIvEEhEEDaPvRmT3_T4_T5_mT6_P12ihipStream_tbENKUlT_T0_E_clISt17integral_constantIbLb1EESY_IbLb0EEEEDaSU_SV_EUlSU_E0_NS1_11comp_targetILNS1_3genE3ELNS1_11target_archE908ELNS1_3gpuE7ELNS1_3repE0EEENS1_30default_config_static_selectorELNS0_4arch9wavefront6targetE0EEEvT1_ ; -- Begin function _ZN7rocprim17ROCPRIM_400000_NS6detail17trampoline_kernelINS0_14default_configENS1_20scan_config_selectorIhEEZZNS1_9scan_implILNS1_25lookback_scan_determinismE0ELb0ELb0ES3_N6thrust23THRUST_200600_302600_NS6detail15normal_iteratorINS9_7pointerIhNS9_11hip_rocprim5par_tENS9_11use_defaultESF_EEEENSB_INSC_IjSE_SF_SF_EEEEhNS9_4plusIvEEhEEDaPvRmT3_T4_T5_mT6_P12ihipStream_tbENKUlT_T0_E_clISt17integral_constantIbLb1EESY_IbLb0EEEEDaSU_SV_EUlSU_E0_NS1_11comp_targetILNS1_3genE3ELNS1_11target_archE908ELNS1_3gpuE7ELNS1_3repE0EEENS1_30default_config_static_selectorELNS0_4arch9wavefront6targetE0EEEvT1_
	.globl	_ZN7rocprim17ROCPRIM_400000_NS6detail17trampoline_kernelINS0_14default_configENS1_20scan_config_selectorIhEEZZNS1_9scan_implILNS1_25lookback_scan_determinismE0ELb0ELb0ES3_N6thrust23THRUST_200600_302600_NS6detail15normal_iteratorINS9_7pointerIhNS9_11hip_rocprim5par_tENS9_11use_defaultESF_EEEENSB_INSC_IjSE_SF_SF_EEEEhNS9_4plusIvEEhEEDaPvRmT3_T4_T5_mT6_P12ihipStream_tbENKUlT_T0_E_clISt17integral_constantIbLb1EESY_IbLb0EEEEDaSU_SV_EUlSU_E0_NS1_11comp_targetILNS1_3genE3ELNS1_11target_archE908ELNS1_3gpuE7ELNS1_3repE0EEENS1_30default_config_static_selectorELNS0_4arch9wavefront6targetE0EEEvT1_
	.p2align	8
	.type	_ZN7rocprim17ROCPRIM_400000_NS6detail17trampoline_kernelINS0_14default_configENS1_20scan_config_selectorIhEEZZNS1_9scan_implILNS1_25lookback_scan_determinismE0ELb0ELb0ES3_N6thrust23THRUST_200600_302600_NS6detail15normal_iteratorINS9_7pointerIhNS9_11hip_rocprim5par_tENS9_11use_defaultESF_EEEENSB_INSC_IjSE_SF_SF_EEEEhNS9_4plusIvEEhEEDaPvRmT3_T4_T5_mT6_P12ihipStream_tbENKUlT_T0_E_clISt17integral_constantIbLb1EESY_IbLb0EEEEDaSU_SV_EUlSU_E0_NS1_11comp_targetILNS1_3genE3ELNS1_11target_archE908ELNS1_3gpuE7ELNS1_3repE0EEENS1_30default_config_static_selectorELNS0_4arch9wavefront6targetE0EEEvT1_,@function
_ZN7rocprim17ROCPRIM_400000_NS6detail17trampoline_kernelINS0_14default_configENS1_20scan_config_selectorIhEEZZNS1_9scan_implILNS1_25lookback_scan_determinismE0ELb0ELb0ES3_N6thrust23THRUST_200600_302600_NS6detail15normal_iteratorINS9_7pointerIhNS9_11hip_rocprim5par_tENS9_11use_defaultESF_EEEENSB_INSC_IjSE_SF_SF_EEEEhNS9_4plusIvEEhEEDaPvRmT3_T4_T5_mT6_P12ihipStream_tbENKUlT_T0_E_clISt17integral_constantIbLb1EESY_IbLb0EEEEDaSU_SV_EUlSU_E0_NS1_11comp_targetILNS1_3genE3ELNS1_11target_archE908ELNS1_3gpuE7ELNS1_3repE0EEENS1_30default_config_static_selectorELNS0_4arch9wavefront6targetE0EEEvT1_: ; @_ZN7rocprim17ROCPRIM_400000_NS6detail17trampoline_kernelINS0_14default_configENS1_20scan_config_selectorIhEEZZNS1_9scan_implILNS1_25lookback_scan_determinismE0ELb0ELb0ES3_N6thrust23THRUST_200600_302600_NS6detail15normal_iteratorINS9_7pointerIhNS9_11hip_rocprim5par_tENS9_11use_defaultESF_EEEENSB_INSC_IjSE_SF_SF_EEEEhNS9_4plusIvEEhEEDaPvRmT3_T4_T5_mT6_P12ihipStream_tbENKUlT_T0_E_clISt17integral_constantIbLb1EESY_IbLb0EEEEDaSU_SV_EUlSU_E0_NS1_11comp_targetILNS1_3genE3ELNS1_11target_archE908ELNS1_3gpuE7ELNS1_3repE0EEENS1_30default_config_static_selectorELNS0_4arch9wavefront6targetE0EEEvT1_
; %bb.0:
	.section	.rodata,"a",@progbits
	.p2align	6, 0x0
	.amdhsa_kernel _ZN7rocprim17ROCPRIM_400000_NS6detail17trampoline_kernelINS0_14default_configENS1_20scan_config_selectorIhEEZZNS1_9scan_implILNS1_25lookback_scan_determinismE0ELb0ELb0ES3_N6thrust23THRUST_200600_302600_NS6detail15normal_iteratorINS9_7pointerIhNS9_11hip_rocprim5par_tENS9_11use_defaultESF_EEEENSB_INSC_IjSE_SF_SF_EEEEhNS9_4plusIvEEhEEDaPvRmT3_T4_T5_mT6_P12ihipStream_tbENKUlT_T0_E_clISt17integral_constantIbLb1EESY_IbLb0EEEEDaSU_SV_EUlSU_E0_NS1_11comp_targetILNS1_3genE3ELNS1_11target_archE908ELNS1_3gpuE7ELNS1_3repE0EEENS1_30default_config_static_selectorELNS0_4arch9wavefront6targetE0EEEvT1_
		.amdhsa_group_segment_fixed_size 0
		.amdhsa_private_segment_fixed_size 0
		.amdhsa_kernarg_size 32
		.amdhsa_user_sgpr_count 15
		.amdhsa_user_sgpr_dispatch_ptr 0
		.amdhsa_user_sgpr_queue_ptr 0
		.amdhsa_user_sgpr_kernarg_segment_ptr 1
		.amdhsa_user_sgpr_dispatch_id 0
		.amdhsa_user_sgpr_private_segment_size 0
		.amdhsa_wavefront_size32 1
		.amdhsa_uses_dynamic_stack 0
		.amdhsa_enable_private_segment 0
		.amdhsa_system_sgpr_workgroup_id_x 1
		.amdhsa_system_sgpr_workgroup_id_y 0
		.amdhsa_system_sgpr_workgroup_id_z 0
		.amdhsa_system_sgpr_workgroup_info 0
		.amdhsa_system_vgpr_workitem_id 0
		.amdhsa_next_free_vgpr 1
		.amdhsa_next_free_sgpr 1
		.amdhsa_reserve_vcc 0
		.amdhsa_float_round_mode_32 0
		.amdhsa_float_round_mode_16_64 0
		.amdhsa_float_denorm_mode_32 3
		.amdhsa_float_denorm_mode_16_64 3
		.amdhsa_dx10_clamp 1
		.amdhsa_ieee_mode 1
		.amdhsa_fp16_overflow 0
		.amdhsa_workgroup_processor_mode 1
		.amdhsa_memory_ordered 1
		.amdhsa_forward_progress 0
		.amdhsa_shared_vgpr_count 0
		.amdhsa_exception_fp_ieee_invalid_op 0
		.amdhsa_exception_fp_denorm_src 0
		.amdhsa_exception_fp_ieee_div_zero 0
		.amdhsa_exception_fp_ieee_overflow 0
		.amdhsa_exception_fp_ieee_underflow 0
		.amdhsa_exception_fp_ieee_inexact 0
		.amdhsa_exception_int_div_zero 0
	.end_amdhsa_kernel
	.section	.text._ZN7rocprim17ROCPRIM_400000_NS6detail17trampoline_kernelINS0_14default_configENS1_20scan_config_selectorIhEEZZNS1_9scan_implILNS1_25lookback_scan_determinismE0ELb0ELb0ES3_N6thrust23THRUST_200600_302600_NS6detail15normal_iteratorINS9_7pointerIhNS9_11hip_rocprim5par_tENS9_11use_defaultESF_EEEENSB_INSC_IjSE_SF_SF_EEEEhNS9_4plusIvEEhEEDaPvRmT3_T4_T5_mT6_P12ihipStream_tbENKUlT_T0_E_clISt17integral_constantIbLb1EESY_IbLb0EEEEDaSU_SV_EUlSU_E0_NS1_11comp_targetILNS1_3genE3ELNS1_11target_archE908ELNS1_3gpuE7ELNS1_3repE0EEENS1_30default_config_static_selectorELNS0_4arch9wavefront6targetE0EEEvT1_,"axG",@progbits,_ZN7rocprim17ROCPRIM_400000_NS6detail17trampoline_kernelINS0_14default_configENS1_20scan_config_selectorIhEEZZNS1_9scan_implILNS1_25lookback_scan_determinismE0ELb0ELb0ES3_N6thrust23THRUST_200600_302600_NS6detail15normal_iteratorINS9_7pointerIhNS9_11hip_rocprim5par_tENS9_11use_defaultESF_EEEENSB_INSC_IjSE_SF_SF_EEEEhNS9_4plusIvEEhEEDaPvRmT3_T4_T5_mT6_P12ihipStream_tbENKUlT_T0_E_clISt17integral_constantIbLb1EESY_IbLb0EEEEDaSU_SV_EUlSU_E0_NS1_11comp_targetILNS1_3genE3ELNS1_11target_archE908ELNS1_3gpuE7ELNS1_3repE0EEENS1_30default_config_static_selectorELNS0_4arch9wavefront6targetE0EEEvT1_,comdat
.Lfunc_end162:
	.size	_ZN7rocprim17ROCPRIM_400000_NS6detail17trampoline_kernelINS0_14default_configENS1_20scan_config_selectorIhEEZZNS1_9scan_implILNS1_25lookback_scan_determinismE0ELb0ELb0ES3_N6thrust23THRUST_200600_302600_NS6detail15normal_iteratorINS9_7pointerIhNS9_11hip_rocprim5par_tENS9_11use_defaultESF_EEEENSB_INSC_IjSE_SF_SF_EEEEhNS9_4plusIvEEhEEDaPvRmT3_T4_T5_mT6_P12ihipStream_tbENKUlT_T0_E_clISt17integral_constantIbLb1EESY_IbLb0EEEEDaSU_SV_EUlSU_E0_NS1_11comp_targetILNS1_3genE3ELNS1_11target_archE908ELNS1_3gpuE7ELNS1_3repE0EEENS1_30default_config_static_selectorELNS0_4arch9wavefront6targetE0EEEvT1_, .Lfunc_end162-_ZN7rocprim17ROCPRIM_400000_NS6detail17trampoline_kernelINS0_14default_configENS1_20scan_config_selectorIhEEZZNS1_9scan_implILNS1_25lookback_scan_determinismE0ELb0ELb0ES3_N6thrust23THRUST_200600_302600_NS6detail15normal_iteratorINS9_7pointerIhNS9_11hip_rocprim5par_tENS9_11use_defaultESF_EEEENSB_INSC_IjSE_SF_SF_EEEEhNS9_4plusIvEEhEEDaPvRmT3_T4_T5_mT6_P12ihipStream_tbENKUlT_T0_E_clISt17integral_constantIbLb1EESY_IbLb0EEEEDaSU_SV_EUlSU_E0_NS1_11comp_targetILNS1_3genE3ELNS1_11target_archE908ELNS1_3gpuE7ELNS1_3repE0EEENS1_30default_config_static_selectorELNS0_4arch9wavefront6targetE0EEEvT1_
                                        ; -- End function
	.section	.AMDGPU.csdata,"",@progbits
; Kernel info:
; codeLenInByte = 0
; NumSgprs: 0
; NumVgprs: 0
; ScratchSize: 0
; MemoryBound: 0
; FloatMode: 240
; IeeeMode: 1
; LDSByteSize: 0 bytes/workgroup (compile time only)
; SGPRBlocks: 0
; VGPRBlocks: 0
; NumSGPRsForWavesPerEU: 1
; NumVGPRsForWavesPerEU: 1
; Occupancy: 16
; WaveLimiterHint : 0
; COMPUTE_PGM_RSRC2:SCRATCH_EN: 0
; COMPUTE_PGM_RSRC2:USER_SGPR: 15
; COMPUTE_PGM_RSRC2:TRAP_HANDLER: 0
; COMPUTE_PGM_RSRC2:TGID_X_EN: 1
; COMPUTE_PGM_RSRC2:TGID_Y_EN: 0
; COMPUTE_PGM_RSRC2:TGID_Z_EN: 0
; COMPUTE_PGM_RSRC2:TIDIG_COMP_CNT: 0
	.section	.text._ZN7rocprim17ROCPRIM_400000_NS6detail17trampoline_kernelINS0_14default_configENS1_20scan_config_selectorIhEEZZNS1_9scan_implILNS1_25lookback_scan_determinismE0ELb0ELb0ES3_N6thrust23THRUST_200600_302600_NS6detail15normal_iteratorINS9_7pointerIhNS9_11hip_rocprim5par_tENS9_11use_defaultESF_EEEENSB_INSC_IjSE_SF_SF_EEEEhNS9_4plusIvEEhEEDaPvRmT3_T4_T5_mT6_P12ihipStream_tbENKUlT_T0_E_clISt17integral_constantIbLb1EESY_IbLb0EEEEDaSU_SV_EUlSU_E0_NS1_11comp_targetILNS1_3genE2ELNS1_11target_archE906ELNS1_3gpuE6ELNS1_3repE0EEENS1_30default_config_static_selectorELNS0_4arch9wavefront6targetE0EEEvT1_,"axG",@progbits,_ZN7rocprim17ROCPRIM_400000_NS6detail17trampoline_kernelINS0_14default_configENS1_20scan_config_selectorIhEEZZNS1_9scan_implILNS1_25lookback_scan_determinismE0ELb0ELb0ES3_N6thrust23THRUST_200600_302600_NS6detail15normal_iteratorINS9_7pointerIhNS9_11hip_rocprim5par_tENS9_11use_defaultESF_EEEENSB_INSC_IjSE_SF_SF_EEEEhNS9_4plusIvEEhEEDaPvRmT3_T4_T5_mT6_P12ihipStream_tbENKUlT_T0_E_clISt17integral_constantIbLb1EESY_IbLb0EEEEDaSU_SV_EUlSU_E0_NS1_11comp_targetILNS1_3genE2ELNS1_11target_archE906ELNS1_3gpuE6ELNS1_3repE0EEENS1_30default_config_static_selectorELNS0_4arch9wavefront6targetE0EEEvT1_,comdat
	.protected	_ZN7rocprim17ROCPRIM_400000_NS6detail17trampoline_kernelINS0_14default_configENS1_20scan_config_selectorIhEEZZNS1_9scan_implILNS1_25lookback_scan_determinismE0ELb0ELb0ES3_N6thrust23THRUST_200600_302600_NS6detail15normal_iteratorINS9_7pointerIhNS9_11hip_rocprim5par_tENS9_11use_defaultESF_EEEENSB_INSC_IjSE_SF_SF_EEEEhNS9_4plusIvEEhEEDaPvRmT3_T4_T5_mT6_P12ihipStream_tbENKUlT_T0_E_clISt17integral_constantIbLb1EESY_IbLb0EEEEDaSU_SV_EUlSU_E0_NS1_11comp_targetILNS1_3genE2ELNS1_11target_archE906ELNS1_3gpuE6ELNS1_3repE0EEENS1_30default_config_static_selectorELNS0_4arch9wavefront6targetE0EEEvT1_ ; -- Begin function _ZN7rocprim17ROCPRIM_400000_NS6detail17trampoline_kernelINS0_14default_configENS1_20scan_config_selectorIhEEZZNS1_9scan_implILNS1_25lookback_scan_determinismE0ELb0ELb0ES3_N6thrust23THRUST_200600_302600_NS6detail15normal_iteratorINS9_7pointerIhNS9_11hip_rocprim5par_tENS9_11use_defaultESF_EEEENSB_INSC_IjSE_SF_SF_EEEEhNS9_4plusIvEEhEEDaPvRmT3_T4_T5_mT6_P12ihipStream_tbENKUlT_T0_E_clISt17integral_constantIbLb1EESY_IbLb0EEEEDaSU_SV_EUlSU_E0_NS1_11comp_targetILNS1_3genE2ELNS1_11target_archE906ELNS1_3gpuE6ELNS1_3repE0EEENS1_30default_config_static_selectorELNS0_4arch9wavefront6targetE0EEEvT1_
	.globl	_ZN7rocprim17ROCPRIM_400000_NS6detail17trampoline_kernelINS0_14default_configENS1_20scan_config_selectorIhEEZZNS1_9scan_implILNS1_25lookback_scan_determinismE0ELb0ELb0ES3_N6thrust23THRUST_200600_302600_NS6detail15normal_iteratorINS9_7pointerIhNS9_11hip_rocprim5par_tENS9_11use_defaultESF_EEEENSB_INSC_IjSE_SF_SF_EEEEhNS9_4plusIvEEhEEDaPvRmT3_T4_T5_mT6_P12ihipStream_tbENKUlT_T0_E_clISt17integral_constantIbLb1EESY_IbLb0EEEEDaSU_SV_EUlSU_E0_NS1_11comp_targetILNS1_3genE2ELNS1_11target_archE906ELNS1_3gpuE6ELNS1_3repE0EEENS1_30default_config_static_selectorELNS0_4arch9wavefront6targetE0EEEvT1_
	.p2align	8
	.type	_ZN7rocprim17ROCPRIM_400000_NS6detail17trampoline_kernelINS0_14default_configENS1_20scan_config_selectorIhEEZZNS1_9scan_implILNS1_25lookback_scan_determinismE0ELb0ELb0ES3_N6thrust23THRUST_200600_302600_NS6detail15normal_iteratorINS9_7pointerIhNS9_11hip_rocprim5par_tENS9_11use_defaultESF_EEEENSB_INSC_IjSE_SF_SF_EEEEhNS9_4plusIvEEhEEDaPvRmT3_T4_T5_mT6_P12ihipStream_tbENKUlT_T0_E_clISt17integral_constantIbLb1EESY_IbLb0EEEEDaSU_SV_EUlSU_E0_NS1_11comp_targetILNS1_3genE2ELNS1_11target_archE906ELNS1_3gpuE6ELNS1_3repE0EEENS1_30default_config_static_selectorELNS0_4arch9wavefront6targetE0EEEvT1_,@function
_ZN7rocprim17ROCPRIM_400000_NS6detail17trampoline_kernelINS0_14default_configENS1_20scan_config_selectorIhEEZZNS1_9scan_implILNS1_25lookback_scan_determinismE0ELb0ELb0ES3_N6thrust23THRUST_200600_302600_NS6detail15normal_iteratorINS9_7pointerIhNS9_11hip_rocprim5par_tENS9_11use_defaultESF_EEEENSB_INSC_IjSE_SF_SF_EEEEhNS9_4plusIvEEhEEDaPvRmT3_T4_T5_mT6_P12ihipStream_tbENKUlT_T0_E_clISt17integral_constantIbLb1EESY_IbLb0EEEEDaSU_SV_EUlSU_E0_NS1_11comp_targetILNS1_3genE2ELNS1_11target_archE906ELNS1_3gpuE6ELNS1_3repE0EEENS1_30default_config_static_selectorELNS0_4arch9wavefront6targetE0EEEvT1_: ; @_ZN7rocprim17ROCPRIM_400000_NS6detail17trampoline_kernelINS0_14default_configENS1_20scan_config_selectorIhEEZZNS1_9scan_implILNS1_25lookback_scan_determinismE0ELb0ELb0ES3_N6thrust23THRUST_200600_302600_NS6detail15normal_iteratorINS9_7pointerIhNS9_11hip_rocprim5par_tENS9_11use_defaultESF_EEEENSB_INSC_IjSE_SF_SF_EEEEhNS9_4plusIvEEhEEDaPvRmT3_T4_T5_mT6_P12ihipStream_tbENKUlT_T0_E_clISt17integral_constantIbLb1EESY_IbLb0EEEEDaSU_SV_EUlSU_E0_NS1_11comp_targetILNS1_3genE2ELNS1_11target_archE906ELNS1_3gpuE6ELNS1_3repE0EEENS1_30default_config_static_selectorELNS0_4arch9wavefront6targetE0EEEvT1_
; %bb.0:
	.section	.rodata,"a",@progbits
	.p2align	6, 0x0
	.amdhsa_kernel _ZN7rocprim17ROCPRIM_400000_NS6detail17trampoline_kernelINS0_14default_configENS1_20scan_config_selectorIhEEZZNS1_9scan_implILNS1_25lookback_scan_determinismE0ELb0ELb0ES3_N6thrust23THRUST_200600_302600_NS6detail15normal_iteratorINS9_7pointerIhNS9_11hip_rocprim5par_tENS9_11use_defaultESF_EEEENSB_INSC_IjSE_SF_SF_EEEEhNS9_4plusIvEEhEEDaPvRmT3_T4_T5_mT6_P12ihipStream_tbENKUlT_T0_E_clISt17integral_constantIbLb1EESY_IbLb0EEEEDaSU_SV_EUlSU_E0_NS1_11comp_targetILNS1_3genE2ELNS1_11target_archE906ELNS1_3gpuE6ELNS1_3repE0EEENS1_30default_config_static_selectorELNS0_4arch9wavefront6targetE0EEEvT1_
		.amdhsa_group_segment_fixed_size 0
		.amdhsa_private_segment_fixed_size 0
		.amdhsa_kernarg_size 32
		.amdhsa_user_sgpr_count 15
		.amdhsa_user_sgpr_dispatch_ptr 0
		.amdhsa_user_sgpr_queue_ptr 0
		.amdhsa_user_sgpr_kernarg_segment_ptr 1
		.amdhsa_user_sgpr_dispatch_id 0
		.amdhsa_user_sgpr_private_segment_size 0
		.amdhsa_wavefront_size32 1
		.amdhsa_uses_dynamic_stack 0
		.amdhsa_enable_private_segment 0
		.amdhsa_system_sgpr_workgroup_id_x 1
		.amdhsa_system_sgpr_workgroup_id_y 0
		.amdhsa_system_sgpr_workgroup_id_z 0
		.amdhsa_system_sgpr_workgroup_info 0
		.amdhsa_system_vgpr_workitem_id 0
		.amdhsa_next_free_vgpr 1
		.amdhsa_next_free_sgpr 1
		.amdhsa_reserve_vcc 0
		.amdhsa_float_round_mode_32 0
		.amdhsa_float_round_mode_16_64 0
		.amdhsa_float_denorm_mode_32 3
		.amdhsa_float_denorm_mode_16_64 3
		.amdhsa_dx10_clamp 1
		.amdhsa_ieee_mode 1
		.amdhsa_fp16_overflow 0
		.amdhsa_workgroup_processor_mode 1
		.amdhsa_memory_ordered 1
		.amdhsa_forward_progress 0
		.amdhsa_shared_vgpr_count 0
		.amdhsa_exception_fp_ieee_invalid_op 0
		.amdhsa_exception_fp_denorm_src 0
		.amdhsa_exception_fp_ieee_div_zero 0
		.amdhsa_exception_fp_ieee_overflow 0
		.amdhsa_exception_fp_ieee_underflow 0
		.amdhsa_exception_fp_ieee_inexact 0
		.amdhsa_exception_int_div_zero 0
	.end_amdhsa_kernel
	.section	.text._ZN7rocprim17ROCPRIM_400000_NS6detail17trampoline_kernelINS0_14default_configENS1_20scan_config_selectorIhEEZZNS1_9scan_implILNS1_25lookback_scan_determinismE0ELb0ELb0ES3_N6thrust23THRUST_200600_302600_NS6detail15normal_iteratorINS9_7pointerIhNS9_11hip_rocprim5par_tENS9_11use_defaultESF_EEEENSB_INSC_IjSE_SF_SF_EEEEhNS9_4plusIvEEhEEDaPvRmT3_T4_T5_mT6_P12ihipStream_tbENKUlT_T0_E_clISt17integral_constantIbLb1EESY_IbLb0EEEEDaSU_SV_EUlSU_E0_NS1_11comp_targetILNS1_3genE2ELNS1_11target_archE906ELNS1_3gpuE6ELNS1_3repE0EEENS1_30default_config_static_selectorELNS0_4arch9wavefront6targetE0EEEvT1_,"axG",@progbits,_ZN7rocprim17ROCPRIM_400000_NS6detail17trampoline_kernelINS0_14default_configENS1_20scan_config_selectorIhEEZZNS1_9scan_implILNS1_25lookback_scan_determinismE0ELb0ELb0ES3_N6thrust23THRUST_200600_302600_NS6detail15normal_iteratorINS9_7pointerIhNS9_11hip_rocprim5par_tENS9_11use_defaultESF_EEEENSB_INSC_IjSE_SF_SF_EEEEhNS9_4plusIvEEhEEDaPvRmT3_T4_T5_mT6_P12ihipStream_tbENKUlT_T0_E_clISt17integral_constantIbLb1EESY_IbLb0EEEEDaSU_SV_EUlSU_E0_NS1_11comp_targetILNS1_3genE2ELNS1_11target_archE906ELNS1_3gpuE6ELNS1_3repE0EEENS1_30default_config_static_selectorELNS0_4arch9wavefront6targetE0EEEvT1_,comdat
.Lfunc_end163:
	.size	_ZN7rocprim17ROCPRIM_400000_NS6detail17trampoline_kernelINS0_14default_configENS1_20scan_config_selectorIhEEZZNS1_9scan_implILNS1_25lookback_scan_determinismE0ELb0ELb0ES3_N6thrust23THRUST_200600_302600_NS6detail15normal_iteratorINS9_7pointerIhNS9_11hip_rocprim5par_tENS9_11use_defaultESF_EEEENSB_INSC_IjSE_SF_SF_EEEEhNS9_4plusIvEEhEEDaPvRmT3_T4_T5_mT6_P12ihipStream_tbENKUlT_T0_E_clISt17integral_constantIbLb1EESY_IbLb0EEEEDaSU_SV_EUlSU_E0_NS1_11comp_targetILNS1_3genE2ELNS1_11target_archE906ELNS1_3gpuE6ELNS1_3repE0EEENS1_30default_config_static_selectorELNS0_4arch9wavefront6targetE0EEEvT1_, .Lfunc_end163-_ZN7rocprim17ROCPRIM_400000_NS6detail17trampoline_kernelINS0_14default_configENS1_20scan_config_selectorIhEEZZNS1_9scan_implILNS1_25lookback_scan_determinismE0ELb0ELb0ES3_N6thrust23THRUST_200600_302600_NS6detail15normal_iteratorINS9_7pointerIhNS9_11hip_rocprim5par_tENS9_11use_defaultESF_EEEENSB_INSC_IjSE_SF_SF_EEEEhNS9_4plusIvEEhEEDaPvRmT3_T4_T5_mT6_P12ihipStream_tbENKUlT_T0_E_clISt17integral_constantIbLb1EESY_IbLb0EEEEDaSU_SV_EUlSU_E0_NS1_11comp_targetILNS1_3genE2ELNS1_11target_archE906ELNS1_3gpuE6ELNS1_3repE0EEENS1_30default_config_static_selectorELNS0_4arch9wavefront6targetE0EEEvT1_
                                        ; -- End function
	.section	.AMDGPU.csdata,"",@progbits
; Kernel info:
; codeLenInByte = 0
; NumSgprs: 0
; NumVgprs: 0
; ScratchSize: 0
; MemoryBound: 0
; FloatMode: 240
; IeeeMode: 1
; LDSByteSize: 0 bytes/workgroup (compile time only)
; SGPRBlocks: 0
; VGPRBlocks: 0
; NumSGPRsForWavesPerEU: 1
; NumVGPRsForWavesPerEU: 1
; Occupancy: 16
; WaveLimiterHint : 0
; COMPUTE_PGM_RSRC2:SCRATCH_EN: 0
; COMPUTE_PGM_RSRC2:USER_SGPR: 15
; COMPUTE_PGM_RSRC2:TRAP_HANDLER: 0
; COMPUTE_PGM_RSRC2:TGID_X_EN: 1
; COMPUTE_PGM_RSRC2:TGID_Y_EN: 0
; COMPUTE_PGM_RSRC2:TGID_Z_EN: 0
; COMPUTE_PGM_RSRC2:TIDIG_COMP_CNT: 0
	.section	.text._ZN7rocprim17ROCPRIM_400000_NS6detail17trampoline_kernelINS0_14default_configENS1_20scan_config_selectorIhEEZZNS1_9scan_implILNS1_25lookback_scan_determinismE0ELb0ELb0ES3_N6thrust23THRUST_200600_302600_NS6detail15normal_iteratorINS9_7pointerIhNS9_11hip_rocprim5par_tENS9_11use_defaultESF_EEEENSB_INSC_IjSE_SF_SF_EEEEhNS9_4plusIvEEhEEDaPvRmT3_T4_T5_mT6_P12ihipStream_tbENKUlT_T0_E_clISt17integral_constantIbLb1EESY_IbLb0EEEEDaSU_SV_EUlSU_E0_NS1_11comp_targetILNS1_3genE10ELNS1_11target_archE1201ELNS1_3gpuE5ELNS1_3repE0EEENS1_30default_config_static_selectorELNS0_4arch9wavefront6targetE0EEEvT1_,"axG",@progbits,_ZN7rocprim17ROCPRIM_400000_NS6detail17trampoline_kernelINS0_14default_configENS1_20scan_config_selectorIhEEZZNS1_9scan_implILNS1_25lookback_scan_determinismE0ELb0ELb0ES3_N6thrust23THRUST_200600_302600_NS6detail15normal_iteratorINS9_7pointerIhNS9_11hip_rocprim5par_tENS9_11use_defaultESF_EEEENSB_INSC_IjSE_SF_SF_EEEEhNS9_4plusIvEEhEEDaPvRmT3_T4_T5_mT6_P12ihipStream_tbENKUlT_T0_E_clISt17integral_constantIbLb1EESY_IbLb0EEEEDaSU_SV_EUlSU_E0_NS1_11comp_targetILNS1_3genE10ELNS1_11target_archE1201ELNS1_3gpuE5ELNS1_3repE0EEENS1_30default_config_static_selectorELNS0_4arch9wavefront6targetE0EEEvT1_,comdat
	.protected	_ZN7rocprim17ROCPRIM_400000_NS6detail17trampoline_kernelINS0_14default_configENS1_20scan_config_selectorIhEEZZNS1_9scan_implILNS1_25lookback_scan_determinismE0ELb0ELb0ES3_N6thrust23THRUST_200600_302600_NS6detail15normal_iteratorINS9_7pointerIhNS9_11hip_rocprim5par_tENS9_11use_defaultESF_EEEENSB_INSC_IjSE_SF_SF_EEEEhNS9_4plusIvEEhEEDaPvRmT3_T4_T5_mT6_P12ihipStream_tbENKUlT_T0_E_clISt17integral_constantIbLb1EESY_IbLb0EEEEDaSU_SV_EUlSU_E0_NS1_11comp_targetILNS1_3genE10ELNS1_11target_archE1201ELNS1_3gpuE5ELNS1_3repE0EEENS1_30default_config_static_selectorELNS0_4arch9wavefront6targetE0EEEvT1_ ; -- Begin function _ZN7rocprim17ROCPRIM_400000_NS6detail17trampoline_kernelINS0_14default_configENS1_20scan_config_selectorIhEEZZNS1_9scan_implILNS1_25lookback_scan_determinismE0ELb0ELb0ES3_N6thrust23THRUST_200600_302600_NS6detail15normal_iteratorINS9_7pointerIhNS9_11hip_rocprim5par_tENS9_11use_defaultESF_EEEENSB_INSC_IjSE_SF_SF_EEEEhNS9_4plusIvEEhEEDaPvRmT3_T4_T5_mT6_P12ihipStream_tbENKUlT_T0_E_clISt17integral_constantIbLb1EESY_IbLb0EEEEDaSU_SV_EUlSU_E0_NS1_11comp_targetILNS1_3genE10ELNS1_11target_archE1201ELNS1_3gpuE5ELNS1_3repE0EEENS1_30default_config_static_selectorELNS0_4arch9wavefront6targetE0EEEvT1_
	.globl	_ZN7rocprim17ROCPRIM_400000_NS6detail17trampoline_kernelINS0_14default_configENS1_20scan_config_selectorIhEEZZNS1_9scan_implILNS1_25lookback_scan_determinismE0ELb0ELb0ES3_N6thrust23THRUST_200600_302600_NS6detail15normal_iteratorINS9_7pointerIhNS9_11hip_rocprim5par_tENS9_11use_defaultESF_EEEENSB_INSC_IjSE_SF_SF_EEEEhNS9_4plusIvEEhEEDaPvRmT3_T4_T5_mT6_P12ihipStream_tbENKUlT_T0_E_clISt17integral_constantIbLb1EESY_IbLb0EEEEDaSU_SV_EUlSU_E0_NS1_11comp_targetILNS1_3genE10ELNS1_11target_archE1201ELNS1_3gpuE5ELNS1_3repE0EEENS1_30default_config_static_selectorELNS0_4arch9wavefront6targetE0EEEvT1_
	.p2align	8
	.type	_ZN7rocprim17ROCPRIM_400000_NS6detail17trampoline_kernelINS0_14default_configENS1_20scan_config_selectorIhEEZZNS1_9scan_implILNS1_25lookback_scan_determinismE0ELb0ELb0ES3_N6thrust23THRUST_200600_302600_NS6detail15normal_iteratorINS9_7pointerIhNS9_11hip_rocprim5par_tENS9_11use_defaultESF_EEEENSB_INSC_IjSE_SF_SF_EEEEhNS9_4plusIvEEhEEDaPvRmT3_T4_T5_mT6_P12ihipStream_tbENKUlT_T0_E_clISt17integral_constantIbLb1EESY_IbLb0EEEEDaSU_SV_EUlSU_E0_NS1_11comp_targetILNS1_3genE10ELNS1_11target_archE1201ELNS1_3gpuE5ELNS1_3repE0EEENS1_30default_config_static_selectorELNS0_4arch9wavefront6targetE0EEEvT1_,@function
_ZN7rocprim17ROCPRIM_400000_NS6detail17trampoline_kernelINS0_14default_configENS1_20scan_config_selectorIhEEZZNS1_9scan_implILNS1_25lookback_scan_determinismE0ELb0ELb0ES3_N6thrust23THRUST_200600_302600_NS6detail15normal_iteratorINS9_7pointerIhNS9_11hip_rocprim5par_tENS9_11use_defaultESF_EEEENSB_INSC_IjSE_SF_SF_EEEEhNS9_4plusIvEEhEEDaPvRmT3_T4_T5_mT6_P12ihipStream_tbENKUlT_T0_E_clISt17integral_constantIbLb1EESY_IbLb0EEEEDaSU_SV_EUlSU_E0_NS1_11comp_targetILNS1_3genE10ELNS1_11target_archE1201ELNS1_3gpuE5ELNS1_3repE0EEENS1_30default_config_static_selectorELNS0_4arch9wavefront6targetE0EEEvT1_: ; @_ZN7rocprim17ROCPRIM_400000_NS6detail17trampoline_kernelINS0_14default_configENS1_20scan_config_selectorIhEEZZNS1_9scan_implILNS1_25lookback_scan_determinismE0ELb0ELb0ES3_N6thrust23THRUST_200600_302600_NS6detail15normal_iteratorINS9_7pointerIhNS9_11hip_rocprim5par_tENS9_11use_defaultESF_EEEENSB_INSC_IjSE_SF_SF_EEEEhNS9_4plusIvEEhEEDaPvRmT3_T4_T5_mT6_P12ihipStream_tbENKUlT_T0_E_clISt17integral_constantIbLb1EESY_IbLb0EEEEDaSU_SV_EUlSU_E0_NS1_11comp_targetILNS1_3genE10ELNS1_11target_archE1201ELNS1_3gpuE5ELNS1_3repE0EEENS1_30default_config_static_selectorELNS0_4arch9wavefront6targetE0EEEvT1_
; %bb.0:
	.section	.rodata,"a",@progbits
	.p2align	6, 0x0
	.amdhsa_kernel _ZN7rocprim17ROCPRIM_400000_NS6detail17trampoline_kernelINS0_14default_configENS1_20scan_config_selectorIhEEZZNS1_9scan_implILNS1_25lookback_scan_determinismE0ELb0ELb0ES3_N6thrust23THRUST_200600_302600_NS6detail15normal_iteratorINS9_7pointerIhNS9_11hip_rocprim5par_tENS9_11use_defaultESF_EEEENSB_INSC_IjSE_SF_SF_EEEEhNS9_4plusIvEEhEEDaPvRmT3_T4_T5_mT6_P12ihipStream_tbENKUlT_T0_E_clISt17integral_constantIbLb1EESY_IbLb0EEEEDaSU_SV_EUlSU_E0_NS1_11comp_targetILNS1_3genE10ELNS1_11target_archE1201ELNS1_3gpuE5ELNS1_3repE0EEENS1_30default_config_static_selectorELNS0_4arch9wavefront6targetE0EEEvT1_
		.amdhsa_group_segment_fixed_size 0
		.amdhsa_private_segment_fixed_size 0
		.amdhsa_kernarg_size 32
		.amdhsa_user_sgpr_count 15
		.amdhsa_user_sgpr_dispatch_ptr 0
		.amdhsa_user_sgpr_queue_ptr 0
		.amdhsa_user_sgpr_kernarg_segment_ptr 1
		.amdhsa_user_sgpr_dispatch_id 0
		.amdhsa_user_sgpr_private_segment_size 0
		.amdhsa_wavefront_size32 1
		.amdhsa_uses_dynamic_stack 0
		.amdhsa_enable_private_segment 0
		.amdhsa_system_sgpr_workgroup_id_x 1
		.amdhsa_system_sgpr_workgroup_id_y 0
		.amdhsa_system_sgpr_workgroup_id_z 0
		.amdhsa_system_sgpr_workgroup_info 0
		.amdhsa_system_vgpr_workitem_id 0
		.amdhsa_next_free_vgpr 1
		.amdhsa_next_free_sgpr 1
		.amdhsa_reserve_vcc 0
		.amdhsa_float_round_mode_32 0
		.amdhsa_float_round_mode_16_64 0
		.amdhsa_float_denorm_mode_32 3
		.amdhsa_float_denorm_mode_16_64 3
		.amdhsa_dx10_clamp 1
		.amdhsa_ieee_mode 1
		.amdhsa_fp16_overflow 0
		.amdhsa_workgroup_processor_mode 1
		.amdhsa_memory_ordered 1
		.amdhsa_forward_progress 0
		.amdhsa_shared_vgpr_count 0
		.amdhsa_exception_fp_ieee_invalid_op 0
		.amdhsa_exception_fp_denorm_src 0
		.amdhsa_exception_fp_ieee_div_zero 0
		.amdhsa_exception_fp_ieee_overflow 0
		.amdhsa_exception_fp_ieee_underflow 0
		.amdhsa_exception_fp_ieee_inexact 0
		.amdhsa_exception_int_div_zero 0
	.end_amdhsa_kernel
	.section	.text._ZN7rocprim17ROCPRIM_400000_NS6detail17trampoline_kernelINS0_14default_configENS1_20scan_config_selectorIhEEZZNS1_9scan_implILNS1_25lookback_scan_determinismE0ELb0ELb0ES3_N6thrust23THRUST_200600_302600_NS6detail15normal_iteratorINS9_7pointerIhNS9_11hip_rocprim5par_tENS9_11use_defaultESF_EEEENSB_INSC_IjSE_SF_SF_EEEEhNS9_4plusIvEEhEEDaPvRmT3_T4_T5_mT6_P12ihipStream_tbENKUlT_T0_E_clISt17integral_constantIbLb1EESY_IbLb0EEEEDaSU_SV_EUlSU_E0_NS1_11comp_targetILNS1_3genE10ELNS1_11target_archE1201ELNS1_3gpuE5ELNS1_3repE0EEENS1_30default_config_static_selectorELNS0_4arch9wavefront6targetE0EEEvT1_,"axG",@progbits,_ZN7rocprim17ROCPRIM_400000_NS6detail17trampoline_kernelINS0_14default_configENS1_20scan_config_selectorIhEEZZNS1_9scan_implILNS1_25lookback_scan_determinismE0ELb0ELb0ES3_N6thrust23THRUST_200600_302600_NS6detail15normal_iteratorINS9_7pointerIhNS9_11hip_rocprim5par_tENS9_11use_defaultESF_EEEENSB_INSC_IjSE_SF_SF_EEEEhNS9_4plusIvEEhEEDaPvRmT3_T4_T5_mT6_P12ihipStream_tbENKUlT_T0_E_clISt17integral_constantIbLb1EESY_IbLb0EEEEDaSU_SV_EUlSU_E0_NS1_11comp_targetILNS1_3genE10ELNS1_11target_archE1201ELNS1_3gpuE5ELNS1_3repE0EEENS1_30default_config_static_selectorELNS0_4arch9wavefront6targetE0EEEvT1_,comdat
.Lfunc_end164:
	.size	_ZN7rocprim17ROCPRIM_400000_NS6detail17trampoline_kernelINS0_14default_configENS1_20scan_config_selectorIhEEZZNS1_9scan_implILNS1_25lookback_scan_determinismE0ELb0ELb0ES3_N6thrust23THRUST_200600_302600_NS6detail15normal_iteratorINS9_7pointerIhNS9_11hip_rocprim5par_tENS9_11use_defaultESF_EEEENSB_INSC_IjSE_SF_SF_EEEEhNS9_4plusIvEEhEEDaPvRmT3_T4_T5_mT6_P12ihipStream_tbENKUlT_T0_E_clISt17integral_constantIbLb1EESY_IbLb0EEEEDaSU_SV_EUlSU_E0_NS1_11comp_targetILNS1_3genE10ELNS1_11target_archE1201ELNS1_3gpuE5ELNS1_3repE0EEENS1_30default_config_static_selectorELNS0_4arch9wavefront6targetE0EEEvT1_, .Lfunc_end164-_ZN7rocprim17ROCPRIM_400000_NS6detail17trampoline_kernelINS0_14default_configENS1_20scan_config_selectorIhEEZZNS1_9scan_implILNS1_25lookback_scan_determinismE0ELb0ELb0ES3_N6thrust23THRUST_200600_302600_NS6detail15normal_iteratorINS9_7pointerIhNS9_11hip_rocprim5par_tENS9_11use_defaultESF_EEEENSB_INSC_IjSE_SF_SF_EEEEhNS9_4plusIvEEhEEDaPvRmT3_T4_T5_mT6_P12ihipStream_tbENKUlT_T0_E_clISt17integral_constantIbLb1EESY_IbLb0EEEEDaSU_SV_EUlSU_E0_NS1_11comp_targetILNS1_3genE10ELNS1_11target_archE1201ELNS1_3gpuE5ELNS1_3repE0EEENS1_30default_config_static_selectorELNS0_4arch9wavefront6targetE0EEEvT1_
                                        ; -- End function
	.section	.AMDGPU.csdata,"",@progbits
; Kernel info:
; codeLenInByte = 0
; NumSgprs: 0
; NumVgprs: 0
; ScratchSize: 0
; MemoryBound: 0
; FloatMode: 240
; IeeeMode: 1
; LDSByteSize: 0 bytes/workgroup (compile time only)
; SGPRBlocks: 0
; VGPRBlocks: 0
; NumSGPRsForWavesPerEU: 1
; NumVGPRsForWavesPerEU: 1
; Occupancy: 16
; WaveLimiterHint : 0
; COMPUTE_PGM_RSRC2:SCRATCH_EN: 0
; COMPUTE_PGM_RSRC2:USER_SGPR: 15
; COMPUTE_PGM_RSRC2:TRAP_HANDLER: 0
; COMPUTE_PGM_RSRC2:TGID_X_EN: 1
; COMPUTE_PGM_RSRC2:TGID_Y_EN: 0
; COMPUTE_PGM_RSRC2:TGID_Z_EN: 0
; COMPUTE_PGM_RSRC2:TIDIG_COMP_CNT: 0
	.section	.text._ZN7rocprim17ROCPRIM_400000_NS6detail17trampoline_kernelINS0_14default_configENS1_20scan_config_selectorIhEEZZNS1_9scan_implILNS1_25lookback_scan_determinismE0ELb0ELb0ES3_N6thrust23THRUST_200600_302600_NS6detail15normal_iteratorINS9_7pointerIhNS9_11hip_rocprim5par_tENS9_11use_defaultESF_EEEENSB_INSC_IjSE_SF_SF_EEEEhNS9_4plusIvEEhEEDaPvRmT3_T4_T5_mT6_P12ihipStream_tbENKUlT_T0_E_clISt17integral_constantIbLb1EESY_IbLb0EEEEDaSU_SV_EUlSU_E0_NS1_11comp_targetILNS1_3genE10ELNS1_11target_archE1200ELNS1_3gpuE4ELNS1_3repE0EEENS1_30default_config_static_selectorELNS0_4arch9wavefront6targetE0EEEvT1_,"axG",@progbits,_ZN7rocprim17ROCPRIM_400000_NS6detail17trampoline_kernelINS0_14default_configENS1_20scan_config_selectorIhEEZZNS1_9scan_implILNS1_25lookback_scan_determinismE0ELb0ELb0ES3_N6thrust23THRUST_200600_302600_NS6detail15normal_iteratorINS9_7pointerIhNS9_11hip_rocprim5par_tENS9_11use_defaultESF_EEEENSB_INSC_IjSE_SF_SF_EEEEhNS9_4plusIvEEhEEDaPvRmT3_T4_T5_mT6_P12ihipStream_tbENKUlT_T0_E_clISt17integral_constantIbLb1EESY_IbLb0EEEEDaSU_SV_EUlSU_E0_NS1_11comp_targetILNS1_3genE10ELNS1_11target_archE1200ELNS1_3gpuE4ELNS1_3repE0EEENS1_30default_config_static_selectorELNS0_4arch9wavefront6targetE0EEEvT1_,comdat
	.protected	_ZN7rocprim17ROCPRIM_400000_NS6detail17trampoline_kernelINS0_14default_configENS1_20scan_config_selectorIhEEZZNS1_9scan_implILNS1_25lookback_scan_determinismE0ELb0ELb0ES3_N6thrust23THRUST_200600_302600_NS6detail15normal_iteratorINS9_7pointerIhNS9_11hip_rocprim5par_tENS9_11use_defaultESF_EEEENSB_INSC_IjSE_SF_SF_EEEEhNS9_4plusIvEEhEEDaPvRmT3_T4_T5_mT6_P12ihipStream_tbENKUlT_T0_E_clISt17integral_constantIbLb1EESY_IbLb0EEEEDaSU_SV_EUlSU_E0_NS1_11comp_targetILNS1_3genE10ELNS1_11target_archE1200ELNS1_3gpuE4ELNS1_3repE0EEENS1_30default_config_static_selectorELNS0_4arch9wavefront6targetE0EEEvT1_ ; -- Begin function _ZN7rocprim17ROCPRIM_400000_NS6detail17trampoline_kernelINS0_14default_configENS1_20scan_config_selectorIhEEZZNS1_9scan_implILNS1_25lookback_scan_determinismE0ELb0ELb0ES3_N6thrust23THRUST_200600_302600_NS6detail15normal_iteratorINS9_7pointerIhNS9_11hip_rocprim5par_tENS9_11use_defaultESF_EEEENSB_INSC_IjSE_SF_SF_EEEEhNS9_4plusIvEEhEEDaPvRmT3_T4_T5_mT6_P12ihipStream_tbENKUlT_T0_E_clISt17integral_constantIbLb1EESY_IbLb0EEEEDaSU_SV_EUlSU_E0_NS1_11comp_targetILNS1_3genE10ELNS1_11target_archE1200ELNS1_3gpuE4ELNS1_3repE0EEENS1_30default_config_static_selectorELNS0_4arch9wavefront6targetE0EEEvT1_
	.globl	_ZN7rocprim17ROCPRIM_400000_NS6detail17trampoline_kernelINS0_14default_configENS1_20scan_config_selectorIhEEZZNS1_9scan_implILNS1_25lookback_scan_determinismE0ELb0ELb0ES3_N6thrust23THRUST_200600_302600_NS6detail15normal_iteratorINS9_7pointerIhNS9_11hip_rocprim5par_tENS9_11use_defaultESF_EEEENSB_INSC_IjSE_SF_SF_EEEEhNS9_4plusIvEEhEEDaPvRmT3_T4_T5_mT6_P12ihipStream_tbENKUlT_T0_E_clISt17integral_constantIbLb1EESY_IbLb0EEEEDaSU_SV_EUlSU_E0_NS1_11comp_targetILNS1_3genE10ELNS1_11target_archE1200ELNS1_3gpuE4ELNS1_3repE0EEENS1_30default_config_static_selectorELNS0_4arch9wavefront6targetE0EEEvT1_
	.p2align	8
	.type	_ZN7rocprim17ROCPRIM_400000_NS6detail17trampoline_kernelINS0_14default_configENS1_20scan_config_selectorIhEEZZNS1_9scan_implILNS1_25lookback_scan_determinismE0ELb0ELb0ES3_N6thrust23THRUST_200600_302600_NS6detail15normal_iteratorINS9_7pointerIhNS9_11hip_rocprim5par_tENS9_11use_defaultESF_EEEENSB_INSC_IjSE_SF_SF_EEEEhNS9_4plusIvEEhEEDaPvRmT3_T4_T5_mT6_P12ihipStream_tbENKUlT_T0_E_clISt17integral_constantIbLb1EESY_IbLb0EEEEDaSU_SV_EUlSU_E0_NS1_11comp_targetILNS1_3genE10ELNS1_11target_archE1200ELNS1_3gpuE4ELNS1_3repE0EEENS1_30default_config_static_selectorELNS0_4arch9wavefront6targetE0EEEvT1_,@function
_ZN7rocprim17ROCPRIM_400000_NS6detail17trampoline_kernelINS0_14default_configENS1_20scan_config_selectorIhEEZZNS1_9scan_implILNS1_25lookback_scan_determinismE0ELb0ELb0ES3_N6thrust23THRUST_200600_302600_NS6detail15normal_iteratorINS9_7pointerIhNS9_11hip_rocprim5par_tENS9_11use_defaultESF_EEEENSB_INSC_IjSE_SF_SF_EEEEhNS9_4plusIvEEhEEDaPvRmT3_T4_T5_mT6_P12ihipStream_tbENKUlT_T0_E_clISt17integral_constantIbLb1EESY_IbLb0EEEEDaSU_SV_EUlSU_E0_NS1_11comp_targetILNS1_3genE10ELNS1_11target_archE1200ELNS1_3gpuE4ELNS1_3repE0EEENS1_30default_config_static_selectorELNS0_4arch9wavefront6targetE0EEEvT1_: ; @_ZN7rocprim17ROCPRIM_400000_NS6detail17trampoline_kernelINS0_14default_configENS1_20scan_config_selectorIhEEZZNS1_9scan_implILNS1_25lookback_scan_determinismE0ELb0ELb0ES3_N6thrust23THRUST_200600_302600_NS6detail15normal_iteratorINS9_7pointerIhNS9_11hip_rocprim5par_tENS9_11use_defaultESF_EEEENSB_INSC_IjSE_SF_SF_EEEEhNS9_4plusIvEEhEEDaPvRmT3_T4_T5_mT6_P12ihipStream_tbENKUlT_T0_E_clISt17integral_constantIbLb1EESY_IbLb0EEEEDaSU_SV_EUlSU_E0_NS1_11comp_targetILNS1_3genE10ELNS1_11target_archE1200ELNS1_3gpuE4ELNS1_3repE0EEENS1_30default_config_static_selectorELNS0_4arch9wavefront6targetE0EEEvT1_
; %bb.0:
	.section	.rodata,"a",@progbits
	.p2align	6, 0x0
	.amdhsa_kernel _ZN7rocprim17ROCPRIM_400000_NS6detail17trampoline_kernelINS0_14default_configENS1_20scan_config_selectorIhEEZZNS1_9scan_implILNS1_25lookback_scan_determinismE0ELb0ELb0ES3_N6thrust23THRUST_200600_302600_NS6detail15normal_iteratorINS9_7pointerIhNS9_11hip_rocprim5par_tENS9_11use_defaultESF_EEEENSB_INSC_IjSE_SF_SF_EEEEhNS9_4plusIvEEhEEDaPvRmT3_T4_T5_mT6_P12ihipStream_tbENKUlT_T0_E_clISt17integral_constantIbLb1EESY_IbLb0EEEEDaSU_SV_EUlSU_E0_NS1_11comp_targetILNS1_3genE10ELNS1_11target_archE1200ELNS1_3gpuE4ELNS1_3repE0EEENS1_30default_config_static_selectorELNS0_4arch9wavefront6targetE0EEEvT1_
		.amdhsa_group_segment_fixed_size 0
		.amdhsa_private_segment_fixed_size 0
		.amdhsa_kernarg_size 32
		.amdhsa_user_sgpr_count 15
		.amdhsa_user_sgpr_dispatch_ptr 0
		.amdhsa_user_sgpr_queue_ptr 0
		.amdhsa_user_sgpr_kernarg_segment_ptr 1
		.amdhsa_user_sgpr_dispatch_id 0
		.amdhsa_user_sgpr_private_segment_size 0
		.amdhsa_wavefront_size32 1
		.amdhsa_uses_dynamic_stack 0
		.amdhsa_enable_private_segment 0
		.amdhsa_system_sgpr_workgroup_id_x 1
		.amdhsa_system_sgpr_workgroup_id_y 0
		.amdhsa_system_sgpr_workgroup_id_z 0
		.amdhsa_system_sgpr_workgroup_info 0
		.amdhsa_system_vgpr_workitem_id 0
		.amdhsa_next_free_vgpr 1
		.amdhsa_next_free_sgpr 1
		.amdhsa_reserve_vcc 0
		.amdhsa_float_round_mode_32 0
		.amdhsa_float_round_mode_16_64 0
		.amdhsa_float_denorm_mode_32 3
		.amdhsa_float_denorm_mode_16_64 3
		.amdhsa_dx10_clamp 1
		.amdhsa_ieee_mode 1
		.amdhsa_fp16_overflow 0
		.amdhsa_workgroup_processor_mode 1
		.amdhsa_memory_ordered 1
		.amdhsa_forward_progress 0
		.amdhsa_shared_vgpr_count 0
		.amdhsa_exception_fp_ieee_invalid_op 0
		.amdhsa_exception_fp_denorm_src 0
		.amdhsa_exception_fp_ieee_div_zero 0
		.amdhsa_exception_fp_ieee_overflow 0
		.amdhsa_exception_fp_ieee_underflow 0
		.amdhsa_exception_fp_ieee_inexact 0
		.amdhsa_exception_int_div_zero 0
	.end_amdhsa_kernel
	.section	.text._ZN7rocprim17ROCPRIM_400000_NS6detail17trampoline_kernelINS0_14default_configENS1_20scan_config_selectorIhEEZZNS1_9scan_implILNS1_25lookback_scan_determinismE0ELb0ELb0ES3_N6thrust23THRUST_200600_302600_NS6detail15normal_iteratorINS9_7pointerIhNS9_11hip_rocprim5par_tENS9_11use_defaultESF_EEEENSB_INSC_IjSE_SF_SF_EEEEhNS9_4plusIvEEhEEDaPvRmT3_T4_T5_mT6_P12ihipStream_tbENKUlT_T0_E_clISt17integral_constantIbLb1EESY_IbLb0EEEEDaSU_SV_EUlSU_E0_NS1_11comp_targetILNS1_3genE10ELNS1_11target_archE1200ELNS1_3gpuE4ELNS1_3repE0EEENS1_30default_config_static_selectorELNS0_4arch9wavefront6targetE0EEEvT1_,"axG",@progbits,_ZN7rocprim17ROCPRIM_400000_NS6detail17trampoline_kernelINS0_14default_configENS1_20scan_config_selectorIhEEZZNS1_9scan_implILNS1_25lookback_scan_determinismE0ELb0ELb0ES3_N6thrust23THRUST_200600_302600_NS6detail15normal_iteratorINS9_7pointerIhNS9_11hip_rocprim5par_tENS9_11use_defaultESF_EEEENSB_INSC_IjSE_SF_SF_EEEEhNS9_4plusIvEEhEEDaPvRmT3_T4_T5_mT6_P12ihipStream_tbENKUlT_T0_E_clISt17integral_constantIbLb1EESY_IbLb0EEEEDaSU_SV_EUlSU_E0_NS1_11comp_targetILNS1_3genE10ELNS1_11target_archE1200ELNS1_3gpuE4ELNS1_3repE0EEENS1_30default_config_static_selectorELNS0_4arch9wavefront6targetE0EEEvT1_,comdat
.Lfunc_end165:
	.size	_ZN7rocprim17ROCPRIM_400000_NS6detail17trampoline_kernelINS0_14default_configENS1_20scan_config_selectorIhEEZZNS1_9scan_implILNS1_25lookback_scan_determinismE0ELb0ELb0ES3_N6thrust23THRUST_200600_302600_NS6detail15normal_iteratorINS9_7pointerIhNS9_11hip_rocprim5par_tENS9_11use_defaultESF_EEEENSB_INSC_IjSE_SF_SF_EEEEhNS9_4plusIvEEhEEDaPvRmT3_T4_T5_mT6_P12ihipStream_tbENKUlT_T0_E_clISt17integral_constantIbLb1EESY_IbLb0EEEEDaSU_SV_EUlSU_E0_NS1_11comp_targetILNS1_3genE10ELNS1_11target_archE1200ELNS1_3gpuE4ELNS1_3repE0EEENS1_30default_config_static_selectorELNS0_4arch9wavefront6targetE0EEEvT1_, .Lfunc_end165-_ZN7rocprim17ROCPRIM_400000_NS6detail17trampoline_kernelINS0_14default_configENS1_20scan_config_selectorIhEEZZNS1_9scan_implILNS1_25lookback_scan_determinismE0ELb0ELb0ES3_N6thrust23THRUST_200600_302600_NS6detail15normal_iteratorINS9_7pointerIhNS9_11hip_rocprim5par_tENS9_11use_defaultESF_EEEENSB_INSC_IjSE_SF_SF_EEEEhNS9_4plusIvEEhEEDaPvRmT3_T4_T5_mT6_P12ihipStream_tbENKUlT_T0_E_clISt17integral_constantIbLb1EESY_IbLb0EEEEDaSU_SV_EUlSU_E0_NS1_11comp_targetILNS1_3genE10ELNS1_11target_archE1200ELNS1_3gpuE4ELNS1_3repE0EEENS1_30default_config_static_selectorELNS0_4arch9wavefront6targetE0EEEvT1_
                                        ; -- End function
	.section	.AMDGPU.csdata,"",@progbits
; Kernel info:
; codeLenInByte = 0
; NumSgprs: 0
; NumVgprs: 0
; ScratchSize: 0
; MemoryBound: 0
; FloatMode: 240
; IeeeMode: 1
; LDSByteSize: 0 bytes/workgroup (compile time only)
; SGPRBlocks: 0
; VGPRBlocks: 0
; NumSGPRsForWavesPerEU: 1
; NumVGPRsForWavesPerEU: 1
; Occupancy: 16
; WaveLimiterHint : 0
; COMPUTE_PGM_RSRC2:SCRATCH_EN: 0
; COMPUTE_PGM_RSRC2:USER_SGPR: 15
; COMPUTE_PGM_RSRC2:TRAP_HANDLER: 0
; COMPUTE_PGM_RSRC2:TGID_X_EN: 1
; COMPUTE_PGM_RSRC2:TGID_Y_EN: 0
; COMPUTE_PGM_RSRC2:TGID_Z_EN: 0
; COMPUTE_PGM_RSRC2:TIDIG_COMP_CNT: 0
	.section	.text._ZN7rocprim17ROCPRIM_400000_NS6detail17trampoline_kernelINS0_14default_configENS1_20scan_config_selectorIhEEZZNS1_9scan_implILNS1_25lookback_scan_determinismE0ELb0ELb0ES3_N6thrust23THRUST_200600_302600_NS6detail15normal_iteratorINS9_7pointerIhNS9_11hip_rocprim5par_tENS9_11use_defaultESF_EEEENSB_INSC_IjSE_SF_SF_EEEEhNS9_4plusIvEEhEEDaPvRmT3_T4_T5_mT6_P12ihipStream_tbENKUlT_T0_E_clISt17integral_constantIbLb1EESY_IbLb0EEEEDaSU_SV_EUlSU_E0_NS1_11comp_targetILNS1_3genE9ELNS1_11target_archE1100ELNS1_3gpuE3ELNS1_3repE0EEENS1_30default_config_static_selectorELNS0_4arch9wavefront6targetE0EEEvT1_,"axG",@progbits,_ZN7rocprim17ROCPRIM_400000_NS6detail17trampoline_kernelINS0_14default_configENS1_20scan_config_selectorIhEEZZNS1_9scan_implILNS1_25lookback_scan_determinismE0ELb0ELb0ES3_N6thrust23THRUST_200600_302600_NS6detail15normal_iteratorINS9_7pointerIhNS9_11hip_rocprim5par_tENS9_11use_defaultESF_EEEENSB_INSC_IjSE_SF_SF_EEEEhNS9_4plusIvEEhEEDaPvRmT3_T4_T5_mT6_P12ihipStream_tbENKUlT_T0_E_clISt17integral_constantIbLb1EESY_IbLb0EEEEDaSU_SV_EUlSU_E0_NS1_11comp_targetILNS1_3genE9ELNS1_11target_archE1100ELNS1_3gpuE3ELNS1_3repE0EEENS1_30default_config_static_selectorELNS0_4arch9wavefront6targetE0EEEvT1_,comdat
	.protected	_ZN7rocprim17ROCPRIM_400000_NS6detail17trampoline_kernelINS0_14default_configENS1_20scan_config_selectorIhEEZZNS1_9scan_implILNS1_25lookback_scan_determinismE0ELb0ELb0ES3_N6thrust23THRUST_200600_302600_NS6detail15normal_iteratorINS9_7pointerIhNS9_11hip_rocprim5par_tENS9_11use_defaultESF_EEEENSB_INSC_IjSE_SF_SF_EEEEhNS9_4plusIvEEhEEDaPvRmT3_T4_T5_mT6_P12ihipStream_tbENKUlT_T0_E_clISt17integral_constantIbLb1EESY_IbLb0EEEEDaSU_SV_EUlSU_E0_NS1_11comp_targetILNS1_3genE9ELNS1_11target_archE1100ELNS1_3gpuE3ELNS1_3repE0EEENS1_30default_config_static_selectorELNS0_4arch9wavefront6targetE0EEEvT1_ ; -- Begin function _ZN7rocprim17ROCPRIM_400000_NS6detail17trampoline_kernelINS0_14default_configENS1_20scan_config_selectorIhEEZZNS1_9scan_implILNS1_25lookback_scan_determinismE0ELb0ELb0ES3_N6thrust23THRUST_200600_302600_NS6detail15normal_iteratorINS9_7pointerIhNS9_11hip_rocprim5par_tENS9_11use_defaultESF_EEEENSB_INSC_IjSE_SF_SF_EEEEhNS9_4plusIvEEhEEDaPvRmT3_T4_T5_mT6_P12ihipStream_tbENKUlT_T0_E_clISt17integral_constantIbLb1EESY_IbLb0EEEEDaSU_SV_EUlSU_E0_NS1_11comp_targetILNS1_3genE9ELNS1_11target_archE1100ELNS1_3gpuE3ELNS1_3repE0EEENS1_30default_config_static_selectorELNS0_4arch9wavefront6targetE0EEEvT1_
	.globl	_ZN7rocprim17ROCPRIM_400000_NS6detail17trampoline_kernelINS0_14default_configENS1_20scan_config_selectorIhEEZZNS1_9scan_implILNS1_25lookback_scan_determinismE0ELb0ELb0ES3_N6thrust23THRUST_200600_302600_NS6detail15normal_iteratorINS9_7pointerIhNS9_11hip_rocprim5par_tENS9_11use_defaultESF_EEEENSB_INSC_IjSE_SF_SF_EEEEhNS9_4plusIvEEhEEDaPvRmT3_T4_T5_mT6_P12ihipStream_tbENKUlT_T0_E_clISt17integral_constantIbLb1EESY_IbLb0EEEEDaSU_SV_EUlSU_E0_NS1_11comp_targetILNS1_3genE9ELNS1_11target_archE1100ELNS1_3gpuE3ELNS1_3repE0EEENS1_30default_config_static_selectorELNS0_4arch9wavefront6targetE0EEEvT1_
	.p2align	8
	.type	_ZN7rocprim17ROCPRIM_400000_NS6detail17trampoline_kernelINS0_14default_configENS1_20scan_config_selectorIhEEZZNS1_9scan_implILNS1_25lookback_scan_determinismE0ELb0ELb0ES3_N6thrust23THRUST_200600_302600_NS6detail15normal_iteratorINS9_7pointerIhNS9_11hip_rocprim5par_tENS9_11use_defaultESF_EEEENSB_INSC_IjSE_SF_SF_EEEEhNS9_4plusIvEEhEEDaPvRmT3_T4_T5_mT6_P12ihipStream_tbENKUlT_T0_E_clISt17integral_constantIbLb1EESY_IbLb0EEEEDaSU_SV_EUlSU_E0_NS1_11comp_targetILNS1_3genE9ELNS1_11target_archE1100ELNS1_3gpuE3ELNS1_3repE0EEENS1_30default_config_static_selectorELNS0_4arch9wavefront6targetE0EEEvT1_,@function
_ZN7rocprim17ROCPRIM_400000_NS6detail17trampoline_kernelINS0_14default_configENS1_20scan_config_selectorIhEEZZNS1_9scan_implILNS1_25lookback_scan_determinismE0ELb0ELb0ES3_N6thrust23THRUST_200600_302600_NS6detail15normal_iteratorINS9_7pointerIhNS9_11hip_rocprim5par_tENS9_11use_defaultESF_EEEENSB_INSC_IjSE_SF_SF_EEEEhNS9_4plusIvEEhEEDaPvRmT3_T4_T5_mT6_P12ihipStream_tbENKUlT_T0_E_clISt17integral_constantIbLb1EESY_IbLb0EEEEDaSU_SV_EUlSU_E0_NS1_11comp_targetILNS1_3genE9ELNS1_11target_archE1100ELNS1_3gpuE3ELNS1_3repE0EEENS1_30default_config_static_selectorELNS0_4arch9wavefront6targetE0EEEvT1_: ; @_ZN7rocprim17ROCPRIM_400000_NS6detail17trampoline_kernelINS0_14default_configENS1_20scan_config_selectorIhEEZZNS1_9scan_implILNS1_25lookback_scan_determinismE0ELb0ELb0ES3_N6thrust23THRUST_200600_302600_NS6detail15normal_iteratorINS9_7pointerIhNS9_11hip_rocprim5par_tENS9_11use_defaultESF_EEEENSB_INSC_IjSE_SF_SF_EEEEhNS9_4plusIvEEhEEDaPvRmT3_T4_T5_mT6_P12ihipStream_tbENKUlT_T0_E_clISt17integral_constantIbLb1EESY_IbLb0EEEEDaSU_SV_EUlSU_E0_NS1_11comp_targetILNS1_3genE9ELNS1_11target_archE1100ELNS1_3gpuE3ELNS1_3repE0EEENS1_30default_config_static_selectorELNS0_4arch9wavefront6targetE0EEEvT1_
; %bb.0:
	s_load_b128 s[28:31], s[0:1], 0x0
	v_mov_b32_e32 v1, 0
	s_waitcnt lgkmcnt(0)
	global_load_u8 v1, v1, s[28:29]
	v_cmp_gt_u32_e32 vcc_lo, s30, v0
	s_waitcnt vmcnt(0)
	v_mov_b32_e32 v2, v1
	s_and_saveexec_b32 s2, vcc_lo
	s_cbranch_execz .LBB166_2
; %bb.1:
	global_load_u8 v2, v0, s[28:29]
.LBB166_2:
	s_or_b32 exec_lo, exec_lo, s2
	v_or_b32_e32 v3, 0x100, v0
	s_delay_alu instid0(VALU_DEP_1) | instskip(SKIP_1) | instid1(VALU_DEP_2)
	v_cmp_gt_u32_e64 s2, s30, v3
	v_mov_b32_e32 v3, v1
	s_and_saveexec_b32 s3, s2
	s_cbranch_execz .LBB166_4
; %bb.3:
	global_load_u8 v3, v0, s[28:29] offset:256
.LBB166_4:
	s_or_b32 exec_lo, exec_lo, s3
	v_or_b32_e32 v4, 0x200, v0
	s_delay_alu instid0(VALU_DEP_1) | instskip(SKIP_1) | instid1(VALU_DEP_2)
	v_cmp_gt_u32_e64 s3, s30, v4
	v_mov_b32_e32 v4, v1
	s_and_saveexec_b32 s4, s3
	s_cbranch_execz .LBB166_6
; %bb.5:
	global_load_u8 v4, v0, s[28:29] offset:512
.LBB166_6:
	;; [unrolled: 10-line block ×15, first 2 shown]
	s_or_b32 exec_lo, exec_lo, s17
	v_or_b32_e32 v19, 0x1000, v0
	v_mov_b32_e32 v18, v1
	s_delay_alu instid0(VALU_DEP_2) | instskip(NEXT) | instid1(VALU_DEP_1)
	v_cmp_gt_u32_e64 s17, s30, v19
	s_and_saveexec_b32 s18, s17
	s_cbranch_execz .LBB166_34
; %bb.33:
	global_load_u8 v18, v19, s[28:29]
.LBB166_34:
	s_or_b32 exec_lo, exec_lo, s18
	v_or_b32_e32 v20, 0x1100, v0
	v_mov_b32_e32 v19, v1
	s_delay_alu instid0(VALU_DEP_2) | instskip(NEXT) | instid1(VALU_DEP_1)
	v_cmp_gt_u32_e64 s18, s30, v20
	s_and_saveexec_b32 s19, s18
	s_cbranch_execz .LBB166_36
; %bb.35:
	global_load_u8 v19, v20, s[28:29]
.LBB166_36:
	;; [unrolled: 10-line block ×7, first 2 shown]
	s_or_b32 exec_lo, exec_lo, s24
	v_or_b32_e32 v25, 0x1700, v0
	s_delay_alu instid0(VALU_DEP_1) | instskip(NEXT) | instid1(VALU_DEP_1)
	v_cmp_gt_u32_e64 s24, s30, v25
	s_and_saveexec_b32 s25, s24
	s_cbranch_execz .LBB166_48
; %bb.47:
	global_load_u8 v1, v25, s[28:29]
.LBB166_48:
	s_or_b32 exec_lo, exec_lo, s25
	s_waitcnt vmcnt(0)
	ds_store_b8 v0, v2
	ds_store_b8 v0, v3 offset:256
	ds_store_b8 v0, v4 offset:512
	;; [unrolled: 1-line block ×15, first 2 shown]
	v_mad_u32_u24 v5, v0, 23, v0
	ds_store_b8 v0, v18 offset:4096
	ds_store_b8 v0, v19 offset:4352
	;; [unrolled: 1-line block ×8, first 2 shown]
	s_waitcnt lgkmcnt(0)
	s_barrier
	buffer_gl0_inv
	ds_load_2addr_b64 v[1:4], v5 offset1:1
	ds_load_b64 v[5:6], v5 offset:16
	v_mbcnt_lo_u32_b32 v48, -1, 0
	v_or_b32_e32 v52, 31, v0
	s_mov_b32 s26, exec_lo
	s_waitcnt lgkmcnt(0)
	s_barrier
	v_and_b32_e32 v50, 15, v48
	buffer_gl0_inv
	v_cmp_ne_u32_e64 s25, 0, v50
	v_lshrrev_b32_e32 v30, 8, v1
	v_lshrrev_b32_e32 v31, 16, v1
	;; [unrolled: 1-line block ×5, first 2 shown]
	v_add_nc_u16 v9, v30, v1
	v_lshrrev_b32_e32 v35, 24, v2
	v_lshrrev_b32_e32 v36, 8, v3
	v_lshrrev_b32_e32 v37, 16, v3
	v_lshrrev_b32_e32 v38, 24, v3
	v_add_nc_u16 v7, v9, v31
	v_lshrrev_b32_e32 v39, 8, v4
	v_lshrrev_b32_e32 v40, 16, v4
	v_lshrrev_b32_e32 v41, 24, v4
	v_lshrrev_b32_e32 v42, 8, v5
	;; [unrolled: 5-line block ×3, first 2 shown]
	v_add_nc_u16 v14, v8, v2
	v_lshrrev_b32_e32 v47, 24, v6
	s_delay_alu instid0(VALU_DEP_2) | instskip(NEXT) | instid1(VALU_DEP_1)
	v_add_nc_u16 v17, v14, v33
	v_add_nc_u16 v15, v17, v34
	s_delay_alu instid0(VALU_DEP_1) | instskip(NEXT) | instid1(VALU_DEP_1)
	v_add_nc_u16 v16, v15, v35
	v_add_nc_u16 v23, v16, v3
	s_delay_alu instid0(VALU_DEP_1) | instskip(NEXT) | instid1(VALU_DEP_1)
	;; [unrolled: 3-line block ×9, first 2 shown]
	v_add_nc_u16 v21, v19, v47
	v_and_b32_e32 v49, 0xff, v21
	s_delay_alu instid0(VALU_DEP_1) | instskip(NEXT) | instid1(VALU_DEP_1)
	v_mov_b32_dpp v49, v49 row_shr:1 row_mask:0xf bank_mask:0xf
	v_cndmask_b32_e64 v49, 0, v49, s25
	v_cmp_lt_u32_e64 s25, 1, v50
	s_delay_alu instid0(VALU_DEP_2) | instskip(NEXT) | instid1(VALU_DEP_1)
	v_add_nc_u16 v49, v49, v21
	v_and_b32_e32 v51, 0xff, v49
	s_delay_alu instid0(VALU_DEP_1) | instskip(NEXT) | instid1(VALU_DEP_1)
	v_mov_b32_dpp v51, v51 row_shr:2 row_mask:0xf bank_mask:0xf
	v_cndmask_b32_e64 v51, 0, v51, s25
	v_cmp_lt_u32_e64 s25, 3, v50
	s_delay_alu instid0(VALU_DEP_2) | instskip(NEXT) | instid1(VALU_DEP_1)
	;; [unrolled: 7-line block ×3, first 2 shown]
	v_add_nc_u16 v49, v49, v51
	v_and_b32_e32 v51, 0xff, v49
	s_delay_alu instid0(VALU_DEP_1) | instskip(NEXT) | instid1(VALU_DEP_1)
	v_mov_b32_dpp v51, v51 row_shr:8 row_mask:0xf bank_mask:0xf
	v_cndmask_b32_e64 v50, 0, v51, s25
	v_and_b32_e32 v51, 16, v48
	s_delay_alu instid0(VALU_DEP_2) | instskip(NEXT) | instid1(VALU_DEP_2)
	v_add_nc_u16 v49, v49, v50
	v_cmp_ne_u32_e64 s25, 0, v51
	s_delay_alu instid0(VALU_DEP_2) | instskip(SKIP_4) | instid1(VALU_DEP_2)
	v_and_b32_e32 v50, 0xff, v49
	ds_swizzle_b32 v50, v50 offset:swizzle(BROADCAST,32,15)
	s_waitcnt lgkmcnt(0)
	v_cndmask_b32_e64 v51, 0, v50, s25
	v_lshrrev_b32_e32 v50, 5, v0
	v_add_nc_u16 v49, v49, v51
	v_cmpx_eq_u32_e64 v52, v0
	s_cbranch_execz .LBB166_50
; %bb.49:
	ds_store_b8 v50, v49
.LBB166_50:
	s_or_b32 exec_lo, exec_lo, s26
	s_delay_alu instid0(SALU_CYCLE_1)
	s_mov_b32 s26, exec_lo
	s_waitcnt lgkmcnt(0)
	s_barrier
	buffer_gl0_inv
	v_cmpx_gt_u32_e32 8, v0
	s_cbranch_execz .LBB166_52
; %bb.51:
	ds_load_u8 v51, v0
	v_and_b32_e32 v53, 7, v48
	s_delay_alu instid0(VALU_DEP_1) | instskip(SKIP_2) | instid1(VALU_DEP_1)
	v_cmp_ne_u32_e64 s25, 0, v53
	s_waitcnt lgkmcnt(0)
	v_and_b32_e32 v52, 0xff, v51
	v_mov_b32_dpp v52, v52 row_shr:1 row_mask:0xf bank_mask:0xf
	s_delay_alu instid0(VALU_DEP_1) | instskip(SKIP_1) | instid1(VALU_DEP_2)
	v_cndmask_b32_e64 v52, 0, v52, s25
	v_cmp_lt_u32_e64 s25, 1, v53
	v_add_nc_u16 v51, v52, v51
	s_delay_alu instid0(VALU_DEP_1) | instskip(NEXT) | instid1(VALU_DEP_1)
	v_and_b32_e32 v52, 0xff, v51
	v_mov_b32_dpp v52, v52 row_shr:2 row_mask:0xf bank_mask:0xf
	s_delay_alu instid0(VALU_DEP_1) | instskip(SKIP_1) | instid1(VALU_DEP_2)
	v_cndmask_b32_e64 v52, 0, v52, s25
	v_cmp_lt_u32_e64 s25, 3, v53
	v_add_nc_u16 v51, v51, v52
	s_delay_alu instid0(VALU_DEP_1) | instskip(NEXT) | instid1(VALU_DEP_1)
	v_and_b32_e32 v52, 0xff, v51
	v_mov_b32_dpp v52, v52 row_shr:4 row_mask:0xf bank_mask:0xf
	s_delay_alu instid0(VALU_DEP_1) | instskip(NEXT) | instid1(VALU_DEP_1)
	v_cndmask_b32_e64 v52, 0, v52, s25
	v_add_nc_u16 v51, v51, v52
	ds_store_b8 v0, v51
.LBB166_52:
	s_or_b32 exec_lo, exec_lo, s26
	s_load_b64 s[26:27], s[0:1], 0x18
	s_mov_b32 s1, exec_lo
	s_waitcnt lgkmcnt(0)
	s_barrier
	buffer_gl0_inv
                                        ; implicit-def: $vgpr51
	v_cmpx_lt_u32_e32 31, v0
	s_cbranch_execz .LBB166_54
; %bb.53:
	v_add_nc_u32_e32 v50, -1, v50
	ds_load_u8 v51, v50
	s_waitcnt lgkmcnt(0)
	v_add_nc_u16 v49, v51, v49
.LBB166_54:
	s_or_b32 exec_lo, exec_lo, s1
	v_add_nc_u32_e32 v50, -1, v48
	s_delay_alu instid0(VALU_DEP_2) | instskip(SKIP_1) | instid1(VALU_DEP_2)
	v_and_b32_e32 v49, 0xff, v49
	s_mov_b32 s1, exec_lo
	v_cmp_gt_i32_e64 s0, 0, v50
	s_delay_alu instid0(VALU_DEP_1) | instskip(NEXT) | instid1(VALU_DEP_1)
	v_cndmask_b32_e64 v50, v50, v48, s0
	v_lshlrev_b32_e32 v50, 2, v50
	ds_bpermute_b32 v50, v50, v49
	v_mul_u32_u24_e32 v49, 23, v0
	v_cmpx_ne_u32_e32 0, v0
	s_cbranch_execz .LBB166_56
; %bb.55:
	v_cmp_eq_u32_e64 s0, 0, v48
	;;#ASMSTART
	;;#ASMEND
	s_waitcnt lgkmcnt(0)
	s_delay_alu instid0(VALU_DEP_1) | instskip(NEXT) | instid1(VALU_DEP_1)
	v_cndmask_b32_e64 v7, v50, v51, s0
	v_add_nc_u16 v1, v7, v1
	s_delay_alu instid0(VALU_DEP_1) | instskip(NEXT) | instid1(VALU_DEP_1)
	v_add_nc_u16 v9, v1, v30
	v_add_nc_u16 v7, v9, v31
	s_delay_alu instid0(VALU_DEP_1) | instskip(NEXT) | instid1(VALU_DEP_1)
	v_add_nc_u16 v8, v7, v32
	;; [unrolled: 3-line block ×11, first 2 shown]
	v_add_nc_u16 v19, v20, v46
	s_delay_alu instid0(VALU_DEP_1)
	v_add_nc_u16 v21, v19, v47
.LBB166_56:
	s_or_b32 exec_lo, exec_lo, s1
	v_lshlrev_b16 v2, 8, v28
	v_and_b32_e32 v3, 0xff, v26
	v_lshlrev_b16 v4, 8, v29
	v_and_b32_e32 v5, 0xff, v27
	;; [unrolled: 2-line block ×3, first 2 shown]
	v_or_b32_e32 v2, v3, v2
	v_lshlrev_b16 v6, 8, v24
	v_or_b32_e32 v3, v5, v4
	v_lshlrev_b16 v4, 8, v25
	v_or_b32_e32 v1, v1, v9
	v_and_b32_e32 v2, 0xffff, v2
	v_and_b32_e32 v5, 0xff, v23
	v_lshlrev_b32_e32 v3, 16, v3
	v_and_b32_e32 v22, 0xff, v22
	v_lshlrev_b16 v17, 8, v17
	v_and_b32_e32 v14, 0xff, v14
	v_and_b32_e32 v15, 0xff, v15
	v_or_b32_e32 v2, v2, v3
	v_lshlrev_b16 v3, 8, v16
	v_and_b32_e32 v9, 0xffff, v1
	v_lshlrev_b16 v1, 8, v8
	v_and_b32_e32 v7, 0xff, v7
	v_or_b32_e32 v4, v5, v4
	v_or_b32_e32 v5, v22, v6
	;; [unrolled: 1-line block ×4, first 2 shown]
	v_lshlrev_b16 v8, 8, v20
	v_and_b32_e32 v14, 0xff, v18
	v_lshlrev_b16 v15, 8, v21
	v_and_b32_e32 v16, 0xff, v19
	v_lshlrev_b16 v12, 8, v12
	v_and_b32_e32 v10, 0xff, v10
	v_lshlrev_b16 v13, 8, v13
	v_and_b32_e32 v11, 0xff, v11
	v_or_b32_e32 v1, v7, v1
	v_or_b32_e32 v7, v14, v8
	;; [unrolled: 1-line block ×5, first 2 shown]
	v_and_b32_e32 v4, 0xffff, v4
	v_lshlrev_b32_e32 v5, 16, v5
	v_and_b32_e32 v6, 0xffff, v6
	v_lshlrev_b32_e32 v3, 16, v3
	v_lshlrev_b32_e32 v12, 16, v1
	v_and_b32_e32 v7, 0xffff, v7
	v_lshlrev_b32_e32 v8, 16, v8
	v_and_b32_e32 v10, 0xffff, v10
	v_lshlrev_b32_e32 v11, 16, v11
	v_add_nc_u32_e32 v26, v0, v49
	v_or_b32_e32 v1, v4, v5
	v_or_b32_e32 v4, v6, v3
	v_or_b32_e32 v3, v9, v12
	v_or_b32_e32 v6, v7, v8
	v_or_b32_e32 v5, v10, v11
	s_waitcnt lgkmcnt(0)
	s_barrier
	buffer_gl0_inv
	ds_store_2addr_b64 v26, v[3:4], v[1:2] offset1:1
	ds_store_b64 v26, v[5:6] offset:16
	s_waitcnt lgkmcnt(0)
	s_barrier
	buffer_gl0_inv
	ds_load_u8 v25, v0 offset:256
	ds_load_u8 v24, v0 offset:512
	;; [unrolled: 1-line block ×23, first 2 shown]
	v_lshlrev_b32_e32 v1, 2, v0
	s_delay_alu instid0(VALU_DEP_1) | instskip(NEXT) | instid1(VALU_DEP_1)
	v_add_co_u32 v1, s0, s26, v1
	v_add_co_ci_u32_e64 v2, null, s27, 0, s0
	s_and_saveexec_b32 s0, vcc_lo
	s_cbranch_execnz .LBB166_81
; %bb.57:
	s_or_b32 exec_lo, exec_lo, s0
	s_and_saveexec_b32 s0, s2
	s_cbranch_execnz .LBB166_82
.LBB166_58:
	s_or_b32 exec_lo, exec_lo, s0
	s_and_saveexec_b32 s0, s3
	s_cbranch_execnz .LBB166_83
.LBB166_59:
	s_or_b32 exec_lo, exec_lo, s0
	s_and_saveexec_b32 s0, s4
	s_cbranch_execnz .LBB166_84
.LBB166_60:
	s_or_b32 exec_lo, exec_lo, s0
	s_and_saveexec_b32 s0, s5
	s_cbranch_execnz .LBB166_85
.LBB166_61:
	s_or_b32 exec_lo, exec_lo, s0
	s_and_saveexec_b32 s0, s6
	s_cbranch_execnz .LBB166_86
.LBB166_62:
	s_or_b32 exec_lo, exec_lo, s0
	s_and_saveexec_b32 s0, s7
	s_cbranch_execnz .LBB166_87
.LBB166_63:
	s_or_b32 exec_lo, exec_lo, s0
	s_and_saveexec_b32 s0, s8
	s_cbranch_execnz .LBB166_88
.LBB166_64:
	s_or_b32 exec_lo, exec_lo, s0
	s_and_saveexec_b32 s0, s9
	s_cbranch_execnz .LBB166_89
.LBB166_65:
	s_or_b32 exec_lo, exec_lo, s0
	s_and_saveexec_b32 s0, s10
	s_cbranch_execnz .LBB166_90
.LBB166_66:
	s_or_b32 exec_lo, exec_lo, s0
	s_and_saveexec_b32 s0, s11
	s_cbranch_execnz .LBB166_91
.LBB166_67:
	s_or_b32 exec_lo, exec_lo, s0
	s_and_saveexec_b32 s0, s12
	s_cbranch_execnz .LBB166_92
.LBB166_68:
	s_or_b32 exec_lo, exec_lo, s0
	s_and_saveexec_b32 s0, s13
	s_cbranch_execnz .LBB166_93
.LBB166_69:
	s_or_b32 exec_lo, exec_lo, s0
	s_and_saveexec_b32 s0, s14
	s_cbranch_execnz .LBB166_94
.LBB166_70:
	s_or_b32 exec_lo, exec_lo, s0
	s_and_saveexec_b32 s0, s15
	s_cbranch_execnz .LBB166_95
.LBB166_71:
	s_or_b32 exec_lo, exec_lo, s0
	s_and_saveexec_b32 s0, s16
	s_cbranch_execnz .LBB166_96
.LBB166_72:
	s_or_b32 exec_lo, exec_lo, s0
	s_and_saveexec_b32 s0, s17
	s_cbranch_execnz .LBB166_97
.LBB166_73:
	s_or_b32 exec_lo, exec_lo, s0
	s_and_saveexec_b32 s0, s18
	s_cbranch_execnz .LBB166_98
.LBB166_74:
	s_or_b32 exec_lo, exec_lo, s0
	s_and_saveexec_b32 s0, s19
	s_cbranch_execnz .LBB166_99
.LBB166_75:
	s_or_b32 exec_lo, exec_lo, s0
	s_and_saveexec_b32 s0, s20
	s_cbranch_execnz .LBB166_100
.LBB166_76:
	s_or_b32 exec_lo, exec_lo, s0
	s_and_saveexec_b32 s0, s21
	s_cbranch_execnz .LBB166_101
.LBB166_77:
	s_or_b32 exec_lo, exec_lo, s0
	s_and_saveexec_b32 s0, s22
	s_cbranch_execnz .LBB166_102
.LBB166_78:
	s_or_b32 exec_lo, exec_lo, s0
	s_and_saveexec_b32 s0, s23
	s_cbranch_execnz .LBB166_103
.LBB166_79:
	s_or_b32 exec_lo, exec_lo, s0
	s_and_saveexec_b32 s0, s24
	s_cbranch_execnz .LBB166_104
.LBB166_80:
	s_nop 0
	s_sendmsg sendmsg(MSG_DEALLOC_VGPRS)
	s_endpgm
.LBB166_81:
	ds_load_u8 v0, v0
	s_waitcnt lgkmcnt(0)
	global_store_b32 v[1:2], v0, off
	s_or_b32 exec_lo, exec_lo, s0
	s_and_saveexec_b32 s0, s2
	s_cbranch_execz .LBB166_58
.LBB166_82:
	s_waitcnt lgkmcnt(22)
	v_and_b32_e32 v0, 0xff, v25
	global_store_b32 v[1:2], v0, off offset:1024
	s_or_b32 exec_lo, exec_lo, s0
	s_and_saveexec_b32 s0, s3
	s_cbranch_execz .LBB166_59
.LBB166_83:
	s_waitcnt lgkmcnt(21)
	v_and_b32_e32 v0, 0xff, v24
	global_store_b32 v[1:2], v0, off offset:2048
	s_or_b32 exec_lo, exec_lo, s0
	s_and_saveexec_b32 s0, s4
	s_cbranch_execz .LBB166_60
.LBB166_84:
	s_waitcnt lgkmcnt(20)
	v_and_b32_e32 v0, 0xff, v23
	global_store_b32 v[1:2], v0, off offset:3072
	s_or_b32 exec_lo, exec_lo, s0
	s_and_saveexec_b32 s0, s5
	s_cbranch_execz .LBB166_61
.LBB166_85:
	s_waitcnt lgkmcnt(19)
	v_and_b32_e32 v0, 0xff, v22
	v_add_co_u32 v22, vcc_lo, 0x1000, v1
	v_add_co_ci_u32_e32 v23, vcc_lo, 0, v2, vcc_lo
	global_store_b32 v[22:23], v0, off
	s_or_b32 exec_lo, exec_lo, s0
	s_and_saveexec_b32 s0, s6
	s_cbranch_execz .LBB166_62
.LBB166_86:
	s_waitcnt lgkmcnt(18)
	v_and_b32_e32 v0, 0xff, v21
	v_add_co_u32 v21, vcc_lo, 0x1000, v1
	v_add_co_ci_u32_e32 v22, vcc_lo, 0, v2, vcc_lo
	global_store_b32 v[21:22], v0, off offset:1024
	s_or_b32 exec_lo, exec_lo, s0
	s_and_saveexec_b32 s0, s7
	s_cbranch_execz .LBB166_63
.LBB166_87:
	s_waitcnt lgkmcnt(17)
	v_and_b32_e32 v0, 0xff, v20
	v_add_co_u32 v20, vcc_lo, 0x1000, v1
	v_add_co_ci_u32_e32 v21, vcc_lo, 0, v2, vcc_lo
	global_store_b32 v[20:21], v0, off offset:2048
	s_or_b32 exec_lo, exec_lo, s0
	s_and_saveexec_b32 s0, s8
	s_cbranch_execz .LBB166_64
.LBB166_88:
	s_waitcnt lgkmcnt(16)
	v_and_b32_e32 v0, 0xff, v19
	v_add_co_u32 v19, vcc_lo, 0x1000, v1
	v_add_co_ci_u32_e32 v20, vcc_lo, 0, v2, vcc_lo
	global_store_b32 v[19:20], v0, off offset:3072
	s_or_b32 exec_lo, exec_lo, s0
	s_and_saveexec_b32 s0, s9
	s_cbranch_execz .LBB166_65
.LBB166_89:
	s_waitcnt lgkmcnt(15)
	v_and_b32_e32 v0, 0xff, v18
	v_add_co_u32 v18, vcc_lo, 0x2000, v1
	v_add_co_ci_u32_e32 v19, vcc_lo, 0, v2, vcc_lo
	global_store_b32 v[18:19], v0, off
	s_or_b32 exec_lo, exec_lo, s0
	s_and_saveexec_b32 s0, s10
	s_cbranch_execz .LBB166_66
.LBB166_90:
	s_waitcnt lgkmcnt(14)
	v_and_b32_e32 v0, 0xff, v17
	v_add_co_u32 v17, vcc_lo, 0x2000, v1
	v_add_co_ci_u32_e32 v18, vcc_lo, 0, v2, vcc_lo
	global_store_b32 v[17:18], v0, off offset:1024
	s_or_b32 exec_lo, exec_lo, s0
	s_and_saveexec_b32 s0, s11
	s_cbranch_execz .LBB166_67
.LBB166_91:
	s_waitcnt lgkmcnt(13)
	v_and_b32_e32 v0, 0xff, v16
	v_add_co_u32 v16, vcc_lo, 0x2000, v1
	v_add_co_ci_u32_e32 v17, vcc_lo, 0, v2, vcc_lo
	global_store_b32 v[16:17], v0, off offset:2048
	s_or_b32 exec_lo, exec_lo, s0
	s_and_saveexec_b32 s0, s12
	s_cbranch_execz .LBB166_68
.LBB166_92:
	s_waitcnt lgkmcnt(12)
	v_and_b32_e32 v0, 0xff, v15
	v_add_co_u32 v15, vcc_lo, 0x2000, v1
	v_add_co_ci_u32_e32 v16, vcc_lo, 0, v2, vcc_lo
	global_store_b32 v[15:16], v0, off offset:3072
	s_or_b32 exec_lo, exec_lo, s0
	s_and_saveexec_b32 s0, s13
	s_cbranch_execz .LBB166_69
.LBB166_93:
	s_waitcnt lgkmcnt(11)
	v_and_b32_e32 v0, 0xff, v14
	v_add_co_u32 v14, vcc_lo, 0x3000, v1
	v_add_co_ci_u32_e32 v15, vcc_lo, 0, v2, vcc_lo
	global_store_b32 v[14:15], v0, off
	s_or_b32 exec_lo, exec_lo, s0
	s_and_saveexec_b32 s0, s14
	s_cbranch_execz .LBB166_70
.LBB166_94:
	s_waitcnt lgkmcnt(10)
	v_and_b32_e32 v0, 0xff, v13
	v_add_co_u32 v13, vcc_lo, 0x3000, v1
	v_add_co_ci_u32_e32 v14, vcc_lo, 0, v2, vcc_lo
	global_store_b32 v[13:14], v0, off offset:1024
	s_or_b32 exec_lo, exec_lo, s0
	s_and_saveexec_b32 s0, s15
	s_cbranch_execz .LBB166_71
.LBB166_95:
	s_waitcnt lgkmcnt(9)
	v_and_b32_e32 v0, 0xff, v12
	v_add_co_u32 v12, vcc_lo, 0x3000, v1
	v_add_co_ci_u32_e32 v13, vcc_lo, 0, v2, vcc_lo
	global_store_b32 v[12:13], v0, off offset:2048
	s_or_b32 exec_lo, exec_lo, s0
	s_and_saveexec_b32 s0, s16
	s_cbranch_execz .LBB166_72
.LBB166_96:
	s_waitcnt lgkmcnt(8)
	v_and_b32_e32 v0, 0xff, v11
	v_add_co_u32 v11, vcc_lo, 0x3000, v1
	v_add_co_ci_u32_e32 v12, vcc_lo, 0, v2, vcc_lo
	global_store_b32 v[11:12], v0, off offset:3072
	s_or_b32 exec_lo, exec_lo, s0
	s_and_saveexec_b32 s0, s17
	s_cbranch_execz .LBB166_73
.LBB166_97:
	s_waitcnt lgkmcnt(7)
	v_and_b32_e32 v0, 0xff, v10
	v_add_co_u32 v10, vcc_lo, 0x4000, v1
	v_add_co_ci_u32_e32 v11, vcc_lo, 0, v2, vcc_lo
	global_store_b32 v[10:11], v0, off
	s_or_b32 exec_lo, exec_lo, s0
	s_and_saveexec_b32 s0, s18
	s_cbranch_execz .LBB166_74
.LBB166_98:
	s_waitcnt lgkmcnt(6)
	v_and_b32_e32 v0, 0xff, v9
	v_add_co_u32 v9, vcc_lo, 0x4000, v1
	v_add_co_ci_u32_e32 v10, vcc_lo, 0, v2, vcc_lo
	global_store_b32 v[9:10], v0, off offset:1024
	s_or_b32 exec_lo, exec_lo, s0
	s_and_saveexec_b32 s0, s19
	s_cbranch_execz .LBB166_75
.LBB166_99:
	s_waitcnt lgkmcnt(5)
	v_and_b32_e32 v0, 0xff, v8
	v_add_co_u32 v8, vcc_lo, 0x4000, v1
	v_add_co_ci_u32_e32 v9, vcc_lo, 0, v2, vcc_lo
	global_store_b32 v[8:9], v0, off offset:2048
	s_or_b32 exec_lo, exec_lo, s0
	s_and_saveexec_b32 s0, s20
	s_cbranch_execz .LBB166_76
.LBB166_100:
	s_waitcnt lgkmcnt(4)
	v_and_b32_e32 v0, 0xff, v7
	v_add_co_u32 v7, vcc_lo, 0x4000, v1
	v_add_co_ci_u32_e32 v8, vcc_lo, 0, v2, vcc_lo
	global_store_b32 v[7:8], v0, off offset:3072
	s_or_b32 exec_lo, exec_lo, s0
	s_and_saveexec_b32 s0, s21
	s_cbranch_execz .LBB166_77
.LBB166_101:
	s_waitcnt lgkmcnt(3)
	v_and_b32_e32 v0, 0xff, v6
	v_add_co_u32 v6, vcc_lo, 0x5000, v1
	v_add_co_ci_u32_e32 v7, vcc_lo, 0, v2, vcc_lo
	global_store_b32 v[6:7], v0, off
	s_or_b32 exec_lo, exec_lo, s0
	s_and_saveexec_b32 s0, s22
	s_cbranch_execz .LBB166_78
.LBB166_102:
	s_waitcnt lgkmcnt(2)
	v_and_b32_e32 v0, 0xff, v5
	v_add_co_u32 v5, vcc_lo, 0x5000, v1
	v_add_co_ci_u32_e32 v6, vcc_lo, 0, v2, vcc_lo
	global_store_b32 v[5:6], v0, off offset:1024
	s_or_b32 exec_lo, exec_lo, s0
	s_and_saveexec_b32 s0, s23
	s_cbranch_execz .LBB166_79
.LBB166_103:
	s_waitcnt lgkmcnt(1)
	v_and_b32_e32 v0, 0xff, v4
	v_add_co_u32 v4, vcc_lo, 0x5000, v1
	v_add_co_ci_u32_e32 v5, vcc_lo, 0, v2, vcc_lo
	global_store_b32 v[4:5], v0, off offset:2048
	s_or_b32 exec_lo, exec_lo, s0
	s_and_saveexec_b32 s0, s24
	s_cbranch_execz .LBB166_80
.LBB166_104:
	v_add_co_u32 v0, vcc_lo, 0x5000, v1
	s_waitcnt lgkmcnt(0)
	v_and_b32_e32 v3, 0xff, v3
	v_add_co_ci_u32_e32 v1, vcc_lo, 0, v2, vcc_lo
	global_store_b32 v[0:1], v3, off offset:3072
	s_nop 0
	s_sendmsg sendmsg(MSG_DEALLOC_VGPRS)
	s_endpgm
	.section	.rodata,"a",@progbits
	.p2align	6, 0x0
	.amdhsa_kernel _ZN7rocprim17ROCPRIM_400000_NS6detail17trampoline_kernelINS0_14default_configENS1_20scan_config_selectorIhEEZZNS1_9scan_implILNS1_25lookback_scan_determinismE0ELb0ELb0ES3_N6thrust23THRUST_200600_302600_NS6detail15normal_iteratorINS9_7pointerIhNS9_11hip_rocprim5par_tENS9_11use_defaultESF_EEEENSB_INSC_IjSE_SF_SF_EEEEhNS9_4plusIvEEhEEDaPvRmT3_T4_T5_mT6_P12ihipStream_tbENKUlT_T0_E_clISt17integral_constantIbLb1EESY_IbLb0EEEEDaSU_SV_EUlSU_E0_NS1_11comp_targetILNS1_3genE9ELNS1_11target_archE1100ELNS1_3gpuE3ELNS1_3repE0EEENS1_30default_config_static_selectorELNS0_4arch9wavefront6targetE0EEEvT1_
		.amdhsa_group_segment_fixed_size 6144
		.amdhsa_private_segment_fixed_size 0
		.amdhsa_kernarg_size 32
		.amdhsa_user_sgpr_count 15
		.amdhsa_user_sgpr_dispatch_ptr 0
		.amdhsa_user_sgpr_queue_ptr 0
		.amdhsa_user_sgpr_kernarg_segment_ptr 1
		.amdhsa_user_sgpr_dispatch_id 0
		.amdhsa_user_sgpr_private_segment_size 0
		.amdhsa_wavefront_size32 1
		.amdhsa_uses_dynamic_stack 0
		.amdhsa_enable_private_segment 0
		.amdhsa_system_sgpr_workgroup_id_x 1
		.amdhsa_system_sgpr_workgroup_id_y 0
		.amdhsa_system_sgpr_workgroup_id_z 0
		.amdhsa_system_sgpr_workgroup_info 0
		.amdhsa_system_vgpr_workitem_id 0
		.amdhsa_next_free_vgpr 54
		.amdhsa_next_free_sgpr 32
		.amdhsa_reserve_vcc 1
		.amdhsa_float_round_mode_32 0
		.amdhsa_float_round_mode_16_64 0
		.amdhsa_float_denorm_mode_32 3
		.amdhsa_float_denorm_mode_16_64 3
		.amdhsa_dx10_clamp 1
		.amdhsa_ieee_mode 1
		.amdhsa_fp16_overflow 0
		.amdhsa_workgroup_processor_mode 1
		.amdhsa_memory_ordered 1
		.amdhsa_forward_progress 0
		.amdhsa_shared_vgpr_count 0
		.amdhsa_exception_fp_ieee_invalid_op 0
		.amdhsa_exception_fp_denorm_src 0
		.amdhsa_exception_fp_ieee_div_zero 0
		.amdhsa_exception_fp_ieee_overflow 0
		.amdhsa_exception_fp_ieee_underflow 0
		.amdhsa_exception_fp_ieee_inexact 0
		.amdhsa_exception_int_div_zero 0
	.end_amdhsa_kernel
	.section	.text._ZN7rocprim17ROCPRIM_400000_NS6detail17trampoline_kernelINS0_14default_configENS1_20scan_config_selectorIhEEZZNS1_9scan_implILNS1_25lookback_scan_determinismE0ELb0ELb0ES3_N6thrust23THRUST_200600_302600_NS6detail15normal_iteratorINS9_7pointerIhNS9_11hip_rocprim5par_tENS9_11use_defaultESF_EEEENSB_INSC_IjSE_SF_SF_EEEEhNS9_4plusIvEEhEEDaPvRmT3_T4_T5_mT6_P12ihipStream_tbENKUlT_T0_E_clISt17integral_constantIbLb1EESY_IbLb0EEEEDaSU_SV_EUlSU_E0_NS1_11comp_targetILNS1_3genE9ELNS1_11target_archE1100ELNS1_3gpuE3ELNS1_3repE0EEENS1_30default_config_static_selectorELNS0_4arch9wavefront6targetE0EEEvT1_,"axG",@progbits,_ZN7rocprim17ROCPRIM_400000_NS6detail17trampoline_kernelINS0_14default_configENS1_20scan_config_selectorIhEEZZNS1_9scan_implILNS1_25lookback_scan_determinismE0ELb0ELb0ES3_N6thrust23THRUST_200600_302600_NS6detail15normal_iteratorINS9_7pointerIhNS9_11hip_rocprim5par_tENS9_11use_defaultESF_EEEENSB_INSC_IjSE_SF_SF_EEEEhNS9_4plusIvEEhEEDaPvRmT3_T4_T5_mT6_P12ihipStream_tbENKUlT_T0_E_clISt17integral_constantIbLb1EESY_IbLb0EEEEDaSU_SV_EUlSU_E0_NS1_11comp_targetILNS1_3genE9ELNS1_11target_archE1100ELNS1_3gpuE3ELNS1_3repE0EEENS1_30default_config_static_selectorELNS0_4arch9wavefront6targetE0EEEvT1_,comdat
.Lfunc_end166:
	.size	_ZN7rocprim17ROCPRIM_400000_NS6detail17trampoline_kernelINS0_14default_configENS1_20scan_config_selectorIhEEZZNS1_9scan_implILNS1_25lookback_scan_determinismE0ELb0ELb0ES3_N6thrust23THRUST_200600_302600_NS6detail15normal_iteratorINS9_7pointerIhNS9_11hip_rocprim5par_tENS9_11use_defaultESF_EEEENSB_INSC_IjSE_SF_SF_EEEEhNS9_4plusIvEEhEEDaPvRmT3_T4_T5_mT6_P12ihipStream_tbENKUlT_T0_E_clISt17integral_constantIbLb1EESY_IbLb0EEEEDaSU_SV_EUlSU_E0_NS1_11comp_targetILNS1_3genE9ELNS1_11target_archE1100ELNS1_3gpuE3ELNS1_3repE0EEENS1_30default_config_static_selectorELNS0_4arch9wavefront6targetE0EEEvT1_, .Lfunc_end166-_ZN7rocprim17ROCPRIM_400000_NS6detail17trampoline_kernelINS0_14default_configENS1_20scan_config_selectorIhEEZZNS1_9scan_implILNS1_25lookback_scan_determinismE0ELb0ELb0ES3_N6thrust23THRUST_200600_302600_NS6detail15normal_iteratorINS9_7pointerIhNS9_11hip_rocprim5par_tENS9_11use_defaultESF_EEEENSB_INSC_IjSE_SF_SF_EEEEhNS9_4plusIvEEhEEDaPvRmT3_T4_T5_mT6_P12ihipStream_tbENKUlT_T0_E_clISt17integral_constantIbLb1EESY_IbLb0EEEEDaSU_SV_EUlSU_E0_NS1_11comp_targetILNS1_3genE9ELNS1_11target_archE1100ELNS1_3gpuE3ELNS1_3repE0EEENS1_30default_config_static_selectorELNS0_4arch9wavefront6targetE0EEEvT1_
                                        ; -- End function
	.section	.AMDGPU.csdata,"",@progbits
; Kernel info:
; codeLenInByte = 4484
; NumSgprs: 34
; NumVgprs: 54
; ScratchSize: 0
; MemoryBound: 0
; FloatMode: 240
; IeeeMode: 1
; LDSByteSize: 6144 bytes/workgroup (compile time only)
; SGPRBlocks: 4
; VGPRBlocks: 6
; NumSGPRsForWavesPerEU: 34
; NumVGPRsForWavesPerEU: 54
; Occupancy: 16
; WaveLimiterHint : 0
; COMPUTE_PGM_RSRC2:SCRATCH_EN: 0
; COMPUTE_PGM_RSRC2:USER_SGPR: 15
; COMPUTE_PGM_RSRC2:TRAP_HANDLER: 0
; COMPUTE_PGM_RSRC2:TGID_X_EN: 1
; COMPUTE_PGM_RSRC2:TGID_Y_EN: 0
; COMPUTE_PGM_RSRC2:TGID_Z_EN: 0
; COMPUTE_PGM_RSRC2:TIDIG_COMP_CNT: 0
	.section	.text._ZN7rocprim17ROCPRIM_400000_NS6detail17trampoline_kernelINS0_14default_configENS1_20scan_config_selectorIhEEZZNS1_9scan_implILNS1_25lookback_scan_determinismE0ELb0ELb0ES3_N6thrust23THRUST_200600_302600_NS6detail15normal_iteratorINS9_7pointerIhNS9_11hip_rocprim5par_tENS9_11use_defaultESF_EEEENSB_INSC_IjSE_SF_SF_EEEEhNS9_4plusIvEEhEEDaPvRmT3_T4_T5_mT6_P12ihipStream_tbENKUlT_T0_E_clISt17integral_constantIbLb1EESY_IbLb0EEEEDaSU_SV_EUlSU_E0_NS1_11comp_targetILNS1_3genE8ELNS1_11target_archE1030ELNS1_3gpuE2ELNS1_3repE0EEENS1_30default_config_static_selectorELNS0_4arch9wavefront6targetE0EEEvT1_,"axG",@progbits,_ZN7rocprim17ROCPRIM_400000_NS6detail17trampoline_kernelINS0_14default_configENS1_20scan_config_selectorIhEEZZNS1_9scan_implILNS1_25lookback_scan_determinismE0ELb0ELb0ES3_N6thrust23THRUST_200600_302600_NS6detail15normal_iteratorINS9_7pointerIhNS9_11hip_rocprim5par_tENS9_11use_defaultESF_EEEENSB_INSC_IjSE_SF_SF_EEEEhNS9_4plusIvEEhEEDaPvRmT3_T4_T5_mT6_P12ihipStream_tbENKUlT_T0_E_clISt17integral_constantIbLb1EESY_IbLb0EEEEDaSU_SV_EUlSU_E0_NS1_11comp_targetILNS1_3genE8ELNS1_11target_archE1030ELNS1_3gpuE2ELNS1_3repE0EEENS1_30default_config_static_selectorELNS0_4arch9wavefront6targetE0EEEvT1_,comdat
	.protected	_ZN7rocprim17ROCPRIM_400000_NS6detail17trampoline_kernelINS0_14default_configENS1_20scan_config_selectorIhEEZZNS1_9scan_implILNS1_25lookback_scan_determinismE0ELb0ELb0ES3_N6thrust23THRUST_200600_302600_NS6detail15normal_iteratorINS9_7pointerIhNS9_11hip_rocprim5par_tENS9_11use_defaultESF_EEEENSB_INSC_IjSE_SF_SF_EEEEhNS9_4plusIvEEhEEDaPvRmT3_T4_T5_mT6_P12ihipStream_tbENKUlT_T0_E_clISt17integral_constantIbLb1EESY_IbLb0EEEEDaSU_SV_EUlSU_E0_NS1_11comp_targetILNS1_3genE8ELNS1_11target_archE1030ELNS1_3gpuE2ELNS1_3repE0EEENS1_30default_config_static_selectorELNS0_4arch9wavefront6targetE0EEEvT1_ ; -- Begin function _ZN7rocprim17ROCPRIM_400000_NS6detail17trampoline_kernelINS0_14default_configENS1_20scan_config_selectorIhEEZZNS1_9scan_implILNS1_25lookback_scan_determinismE0ELb0ELb0ES3_N6thrust23THRUST_200600_302600_NS6detail15normal_iteratorINS9_7pointerIhNS9_11hip_rocprim5par_tENS9_11use_defaultESF_EEEENSB_INSC_IjSE_SF_SF_EEEEhNS9_4plusIvEEhEEDaPvRmT3_T4_T5_mT6_P12ihipStream_tbENKUlT_T0_E_clISt17integral_constantIbLb1EESY_IbLb0EEEEDaSU_SV_EUlSU_E0_NS1_11comp_targetILNS1_3genE8ELNS1_11target_archE1030ELNS1_3gpuE2ELNS1_3repE0EEENS1_30default_config_static_selectorELNS0_4arch9wavefront6targetE0EEEvT1_
	.globl	_ZN7rocprim17ROCPRIM_400000_NS6detail17trampoline_kernelINS0_14default_configENS1_20scan_config_selectorIhEEZZNS1_9scan_implILNS1_25lookback_scan_determinismE0ELb0ELb0ES3_N6thrust23THRUST_200600_302600_NS6detail15normal_iteratorINS9_7pointerIhNS9_11hip_rocprim5par_tENS9_11use_defaultESF_EEEENSB_INSC_IjSE_SF_SF_EEEEhNS9_4plusIvEEhEEDaPvRmT3_T4_T5_mT6_P12ihipStream_tbENKUlT_T0_E_clISt17integral_constantIbLb1EESY_IbLb0EEEEDaSU_SV_EUlSU_E0_NS1_11comp_targetILNS1_3genE8ELNS1_11target_archE1030ELNS1_3gpuE2ELNS1_3repE0EEENS1_30default_config_static_selectorELNS0_4arch9wavefront6targetE0EEEvT1_
	.p2align	8
	.type	_ZN7rocprim17ROCPRIM_400000_NS6detail17trampoline_kernelINS0_14default_configENS1_20scan_config_selectorIhEEZZNS1_9scan_implILNS1_25lookback_scan_determinismE0ELb0ELb0ES3_N6thrust23THRUST_200600_302600_NS6detail15normal_iteratorINS9_7pointerIhNS9_11hip_rocprim5par_tENS9_11use_defaultESF_EEEENSB_INSC_IjSE_SF_SF_EEEEhNS9_4plusIvEEhEEDaPvRmT3_T4_T5_mT6_P12ihipStream_tbENKUlT_T0_E_clISt17integral_constantIbLb1EESY_IbLb0EEEEDaSU_SV_EUlSU_E0_NS1_11comp_targetILNS1_3genE8ELNS1_11target_archE1030ELNS1_3gpuE2ELNS1_3repE0EEENS1_30default_config_static_selectorELNS0_4arch9wavefront6targetE0EEEvT1_,@function
_ZN7rocprim17ROCPRIM_400000_NS6detail17trampoline_kernelINS0_14default_configENS1_20scan_config_selectorIhEEZZNS1_9scan_implILNS1_25lookback_scan_determinismE0ELb0ELb0ES3_N6thrust23THRUST_200600_302600_NS6detail15normal_iteratorINS9_7pointerIhNS9_11hip_rocprim5par_tENS9_11use_defaultESF_EEEENSB_INSC_IjSE_SF_SF_EEEEhNS9_4plusIvEEhEEDaPvRmT3_T4_T5_mT6_P12ihipStream_tbENKUlT_T0_E_clISt17integral_constantIbLb1EESY_IbLb0EEEEDaSU_SV_EUlSU_E0_NS1_11comp_targetILNS1_3genE8ELNS1_11target_archE1030ELNS1_3gpuE2ELNS1_3repE0EEENS1_30default_config_static_selectorELNS0_4arch9wavefront6targetE0EEEvT1_: ; @_ZN7rocprim17ROCPRIM_400000_NS6detail17trampoline_kernelINS0_14default_configENS1_20scan_config_selectorIhEEZZNS1_9scan_implILNS1_25lookback_scan_determinismE0ELb0ELb0ES3_N6thrust23THRUST_200600_302600_NS6detail15normal_iteratorINS9_7pointerIhNS9_11hip_rocprim5par_tENS9_11use_defaultESF_EEEENSB_INSC_IjSE_SF_SF_EEEEhNS9_4plusIvEEhEEDaPvRmT3_T4_T5_mT6_P12ihipStream_tbENKUlT_T0_E_clISt17integral_constantIbLb1EESY_IbLb0EEEEDaSU_SV_EUlSU_E0_NS1_11comp_targetILNS1_3genE8ELNS1_11target_archE1030ELNS1_3gpuE2ELNS1_3repE0EEENS1_30default_config_static_selectorELNS0_4arch9wavefront6targetE0EEEvT1_
; %bb.0:
	.section	.rodata,"a",@progbits
	.p2align	6, 0x0
	.amdhsa_kernel _ZN7rocprim17ROCPRIM_400000_NS6detail17trampoline_kernelINS0_14default_configENS1_20scan_config_selectorIhEEZZNS1_9scan_implILNS1_25lookback_scan_determinismE0ELb0ELb0ES3_N6thrust23THRUST_200600_302600_NS6detail15normal_iteratorINS9_7pointerIhNS9_11hip_rocprim5par_tENS9_11use_defaultESF_EEEENSB_INSC_IjSE_SF_SF_EEEEhNS9_4plusIvEEhEEDaPvRmT3_T4_T5_mT6_P12ihipStream_tbENKUlT_T0_E_clISt17integral_constantIbLb1EESY_IbLb0EEEEDaSU_SV_EUlSU_E0_NS1_11comp_targetILNS1_3genE8ELNS1_11target_archE1030ELNS1_3gpuE2ELNS1_3repE0EEENS1_30default_config_static_selectorELNS0_4arch9wavefront6targetE0EEEvT1_
		.amdhsa_group_segment_fixed_size 0
		.amdhsa_private_segment_fixed_size 0
		.amdhsa_kernarg_size 32
		.amdhsa_user_sgpr_count 15
		.amdhsa_user_sgpr_dispatch_ptr 0
		.amdhsa_user_sgpr_queue_ptr 0
		.amdhsa_user_sgpr_kernarg_segment_ptr 1
		.amdhsa_user_sgpr_dispatch_id 0
		.amdhsa_user_sgpr_private_segment_size 0
		.amdhsa_wavefront_size32 1
		.amdhsa_uses_dynamic_stack 0
		.amdhsa_enable_private_segment 0
		.amdhsa_system_sgpr_workgroup_id_x 1
		.amdhsa_system_sgpr_workgroup_id_y 0
		.amdhsa_system_sgpr_workgroup_id_z 0
		.amdhsa_system_sgpr_workgroup_info 0
		.amdhsa_system_vgpr_workitem_id 0
		.amdhsa_next_free_vgpr 1
		.amdhsa_next_free_sgpr 1
		.amdhsa_reserve_vcc 0
		.amdhsa_float_round_mode_32 0
		.amdhsa_float_round_mode_16_64 0
		.amdhsa_float_denorm_mode_32 3
		.amdhsa_float_denorm_mode_16_64 3
		.amdhsa_dx10_clamp 1
		.amdhsa_ieee_mode 1
		.amdhsa_fp16_overflow 0
		.amdhsa_workgroup_processor_mode 1
		.amdhsa_memory_ordered 1
		.amdhsa_forward_progress 0
		.amdhsa_shared_vgpr_count 0
		.amdhsa_exception_fp_ieee_invalid_op 0
		.amdhsa_exception_fp_denorm_src 0
		.amdhsa_exception_fp_ieee_div_zero 0
		.amdhsa_exception_fp_ieee_overflow 0
		.amdhsa_exception_fp_ieee_underflow 0
		.amdhsa_exception_fp_ieee_inexact 0
		.amdhsa_exception_int_div_zero 0
	.end_amdhsa_kernel
	.section	.text._ZN7rocprim17ROCPRIM_400000_NS6detail17trampoline_kernelINS0_14default_configENS1_20scan_config_selectorIhEEZZNS1_9scan_implILNS1_25lookback_scan_determinismE0ELb0ELb0ES3_N6thrust23THRUST_200600_302600_NS6detail15normal_iteratorINS9_7pointerIhNS9_11hip_rocprim5par_tENS9_11use_defaultESF_EEEENSB_INSC_IjSE_SF_SF_EEEEhNS9_4plusIvEEhEEDaPvRmT3_T4_T5_mT6_P12ihipStream_tbENKUlT_T0_E_clISt17integral_constantIbLb1EESY_IbLb0EEEEDaSU_SV_EUlSU_E0_NS1_11comp_targetILNS1_3genE8ELNS1_11target_archE1030ELNS1_3gpuE2ELNS1_3repE0EEENS1_30default_config_static_selectorELNS0_4arch9wavefront6targetE0EEEvT1_,"axG",@progbits,_ZN7rocprim17ROCPRIM_400000_NS6detail17trampoline_kernelINS0_14default_configENS1_20scan_config_selectorIhEEZZNS1_9scan_implILNS1_25lookback_scan_determinismE0ELb0ELb0ES3_N6thrust23THRUST_200600_302600_NS6detail15normal_iteratorINS9_7pointerIhNS9_11hip_rocprim5par_tENS9_11use_defaultESF_EEEENSB_INSC_IjSE_SF_SF_EEEEhNS9_4plusIvEEhEEDaPvRmT3_T4_T5_mT6_P12ihipStream_tbENKUlT_T0_E_clISt17integral_constantIbLb1EESY_IbLb0EEEEDaSU_SV_EUlSU_E0_NS1_11comp_targetILNS1_3genE8ELNS1_11target_archE1030ELNS1_3gpuE2ELNS1_3repE0EEENS1_30default_config_static_selectorELNS0_4arch9wavefront6targetE0EEEvT1_,comdat
.Lfunc_end167:
	.size	_ZN7rocprim17ROCPRIM_400000_NS6detail17trampoline_kernelINS0_14default_configENS1_20scan_config_selectorIhEEZZNS1_9scan_implILNS1_25lookback_scan_determinismE0ELb0ELb0ES3_N6thrust23THRUST_200600_302600_NS6detail15normal_iteratorINS9_7pointerIhNS9_11hip_rocprim5par_tENS9_11use_defaultESF_EEEENSB_INSC_IjSE_SF_SF_EEEEhNS9_4plusIvEEhEEDaPvRmT3_T4_T5_mT6_P12ihipStream_tbENKUlT_T0_E_clISt17integral_constantIbLb1EESY_IbLb0EEEEDaSU_SV_EUlSU_E0_NS1_11comp_targetILNS1_3genE8ELNS1_11target_archE1030ELNS1_3gpuE2ELNS1_3repE0EEENS1_30default_config_static_selectorELNS0_4arch9wavefront6targetE0EEEvT1_, .Lfunc_end167-_ZN7rocprim17ROCPRIM_400000_NS6detail17trampoline_kernelINS0_14default_configENS1_20scan_config_selectorIhEEZZNS1_9scan_implILNS1_25lookback_scan_determinismE0ELb0ELb0ES3_N6thrust23THRUST_200600_302600_NS6detail15normal_iteratorINS9_7pointerIhNS9_11hip_rocprim5par_tENS9_11use_defaultESF_EEEENSB_INSC_IjSE_SF_SF_EEEEhNS9_4plusIvEEhEEDaPvRmT3_T4_T5_mT6_P12ihipStream_tbENKUlT_T0_E_clISt17integral_constantIbLb1EESY_IbLb0EEEEDaSU_SV_EUlSU_E0_NS1_11comp_targetILNS1_3genE8ELNS1_11target_archE1030ELNS1_3gpuE2ELNS1_3repE0EEENS1_30default_config_static_selectorELNS0_4arch9wavefront6targetE0EEEvT1_
                                        ; -- End function
	.section	.AMDGPU.csdata,"",@progbits
; Kernel info:
; codeLenInByte = 0
; NumSgprs: 0
; NumVgprs: 0
; ScratchSize: 0
; MemoryBound: 0
; FloatMode: 240
; IeeeMode: 1
; LDSByteSize: 0 bytes/workgroup (compile time only)
; SGPRBlocks: 0
; VGPRBlocks: 0
; NumSGPRsForWavesPerEU: 1
; NumVGPRsForWavesPerEU: 1
; Occupancy: 16
; WaveLimiterHint : 0
; COMPUTE_PGM_RSRC2:SCRATCH_EN: 0
; COMPUTE_PGM_RSRC2:USER_SGPR: 15
; COMPUTE_PGM_RSRC2:TRAP_HANDLER: 0
; COMPUTE_PGM_RSRC2:TGID_X_EN: 1
; COMPUTE_PGM_RSRC2:TGID_Y_EN: 0
; COMPUTE_PGM_RSRC2:TGID_Z_EN: 0
; COMPUTE_PGM_RSRC2:TIDIG_COMP_CNT: 0
	.section	.text._ZN7rocprim17ROCPRIM_400000_NS6detail31init_lookback_scan_state_kernelINS1_19lookback_scan_stateIhLb0ELb1EEENS1_16block_id_wrapperIjLb1EEEEEvT_jT0_jPNS7_10value_typeE,"axG",@progbits,_ZN7rocprim17ROCPRIM_400000_NS6detail31init_lookback_scan_state_kernelINS1_19lookback_scan_stateIhLb0ELb1EEENS1_16block_id_wrapperIjLb1EEEEEvT_jT0_jPNS7_10value_typeE,comdat
	.protected	_ZN7rocprim17ROCPRIM_400000_NS6detail31init_lookback_scan_state_kernelINS1_19lookback_scan_stateIhLb0ELb1EEENS1_16block_id_wrapperIjLb1EEEEEvT_jT0_jPNS7_10value_typeE ; -- Begin function _ZN7rocprim17ROCPRIM_400000_NS6detail31init_lookback_scan_state_kernelINS1_19lookback_scan_stateIhLb0ELb1EEENS1_16block_id_wrapperIjLb1EEEEEvT_jT0_jPNS7_10value_typeE
	.globl	_ZN7rocprim17ROCPRIM_400000_NS6detail31init_lookback_scan_state_kernelINS1_19lookback_scan_stateIhLb0ELb1EEENS1_16block_id_wrapperIjLb1EEEEEvT_jT0_jPNS7_10value_typeE
	.p2align	8
	.type	_ZN7rocprim17ROCPRIM_400000_NS6detail31init_lookback_scan_state_kernelINS1_19lookback_scan_stateIhLb0ELb1EEENS1_16block_id_wrapperIjLb1EEEEEvT_jT0_jPNS7_10value_typeE,@function
_ZN7rocprim17ROCPRIM_400000_NS6detail31init_lookback_scan_state_kernelINS1_19lookback_scan_stateIhLb0ELb1EEENS1_16block_id_wrapperIjLb1EEEEEvT_jT0_jPNS7_10value_typeE: ; @_ZN7rocprim17ROCPRIM_400000_NS6detail31init_lookback_scan_state_kernelINS1_19lookback_scan_stateIhLb0ELb1EEENS1_16block_id_wrapperIjLb1EEEEEvT_jT0_jPNS7_10value_typeE
; %bb.0:
	s_clause 0x3
	s_load_b32 s6, s[0:1], 0x34
	s_load_b64 s[4:5], s[0:1], 0x20
	s_load_b64 s[2:3], s[0:1], 0x0
	s_load_b32 s8, s[0:1], 0x8
	s_waitcnt lgkmcnt(0)
	s_and_b32 s6, s6, 0xffff
	s_cmp_eq_u64 s[4:5], 0
	v_mad_u64_u32 v[1:2], null, s15, s6, v[0:1]
	s_cbranch_scc1 .LBB168_6
; %bb.1:
	s_load_b32 s6, s[0:1], 0x18
	s_waitcnt lgkmcnt(0)
	s_cmp_lt_u32 s6, s8
	s_cselect_b32 s7, s6, 0
	s_delay_alu instid0(VALU_DEP_1) | instid1(SALU_CYCLE_1)
	v_cmp_eq_u32_e32 vcc_lo, s7, v1
	s_mov_b32 s7, 0
	s_and_saveexec_b32 s9, vcc_lo
	s_cbranch_execz .LBB168_5
; %bb.2:
	s_add_i32 s6, s6, 32
	v_mov_b32_e32 v2, 0
	s_lshl_b64 s[6:7], s[6:7], 1
	s_delay_alu instid0(SALU_CYCLE_1)
	s_add_u32 s6, s2, s6
	s_addc_u32 s7, s3, s7
	global_load_u16 v0, v2, s[6:7] glc
	s_waitcnt vmcnt(0)
	v_cmp_lt_u16_e32 vcc_lo, 0xff, v0
	s_cbranch_vccnz .LBB168_4
.LBB168_3:                              ; =>This Inner Loop Header: Depth=1
	global_load_u16 v0, v2, s[6:7] glc
	s_waitcnt vmcnt(0)
	v_cmp_gt_u16_e32 vcc_lo, 0x100, v0
	s_cbranch_vccnz .LBB168_3
.LBB168_4:
	v_mov_b32_e32 v2, 0
	global_store_b8 v2, v0, s[4:5]
.LBB168_5:
	s_or_b32 exec_lo, exec_lo, s9
.LBB168_6:
	s_delay_alu instid0(SALU_CYCLE_1) | instskip(NEXT) | instid1(VALU_DEP_1)
	s_mov_b32 s4, exec_lo
	v_cmpx_eq_u32_e32 0, v1
	s_cbranch_execz .LBB168_8
; %bb.7:
	s_load_b64 s[0:1], s[0:1], 0x10
	v_mov_b32_e32 v0, 0
	s_waitcnt lgkmcnt(0)
	global_store_b32 v0, v0, s[0:1]
.LBB168_8:
	s_or_b32 exec_lo, exec_lo, s4
	s_delay_alu instid0(SALU_CYCLE_1)
	s_mov_b32 s0, exec_lo
	v_cmpx_gt_u32_e64 s8, v1
	s_cbranch_execz .LBB168_10
; %bb.9:
	v_dual_mov_b32 v3, 0 :: v_dual_add_nc_u32 v2, 32, v1
	s_delay_alu instid0(VALU_DEP_1) | instskip(NEXT) | instid1(VALU_DEP_1)
	v_lshlrev_b64 v[4:5], 1, v[2:3]
	v_add_co_u32 v4, vcc_lo, s2, v4
	s_delay_alu instid0(VALU_DEP_2)
	v_add_co_ci_u32_e32 v5, vcc_lo, s3, v5, vcc_lo
	global_store_b16 v[4:5], v3, off
.LBB168_10:
	s_or_b32 exec_lo, exec_lo, s0
	s_delay_alu instid0(SALU_CYCLE_1)
	s_mov_b32 s0, exec_lo
	v_cmpx_gt_u32_e32 32, v1
	s_cbranch_execz .LBB168_12
; %bb.11:
	v_mov_b32_e32 v2, 0
	s_delay_alu instid0(VALU_DEP_1) | instskip(SKIP_1) | instid1(VALU_DEP_2)
	v_lshlrev_b64 v[0:1], 1, v[1:2]
	v_mov_b32_e32 v2, 0xffffff00
	v_add_co_u32 v0, vcc_lo, s2, v0
	s_delay_alu instid0(VALU_DEP_3)
	v_add_co_ci_u32_e32 v1, vcc_lo, s3, v1, vcc_lo
	global_store_b16 v[0:1], v2, off
.LBB168_12:
	s_nop 0
	s_sendmsg sendmsg(MSG_DEALLOC_VGPRS)
	s_endpgm
	.section	.rodata,"a",@progbits
	.p2align	6, 0x0
	.amdhsa_kernel _ZN7rocprim17ROCPRIM_400000_NS6detail31init_lookback_scan_state_kernelINS1_19lookback_scan_stateIhLb0ELb1EEENS1_16block_id_wrapperIjLb1EEEEEvT_jT0_jPNS7_10value_typeE
		.amdhsa_group_segment_fixed_size 0
		.amdhsa_private_segment_fixed_size 0
		.amdhsa_kernarg_size 296
		.amdhsa_user_sgpr_count 15
		.amdhsa_user_sgpr_dispatch_ptr 0
		.amdhsa_user_sgpr_queue_ptr 0
		.amdhsa_user_sgpr_kernarg_segment_ptr 1
		.amdhsa_user_sgpr_dispatch_id 0
		.amdhsa_user_sgpr_private_segment_size 0
		.amdhsa_wavefront_size32 1
		.amdhsa_uses_dynamic_stack 0
		.amdhsa_enable_private_segment 0
		.amdhsa_system_sgpr_workgroup_id_x 1
		.amdhsa_system_sgpr_workgroup_id_y 0
		.amdhsa_system_sgpr_workgroup_id_z 0
		.amdhsa_system_sgpr_workgroup_info 0
		.amdhsa_system_vgpr_workitem_id 0
		.amdhsa_next_free_vgpr 6
		.amdhsa_next_free_sgpr 16
		.amdhsa_reserve_vcc 1
		.amdhsa_float_round_mode_32 0
		.amdhsa_float_round_mode_16_64 0
		.amdhsa_float_denorm_mode_32 3
		.amdhsa_float_denorm_mode_16_64 3
		.amdhsa_dx10_clamp 1
		.amdhsa_ieee_mode 1
		.amdhsa_fp16_overflow 0
		.amdhsa_workgroup_processor_mode 1
		.amdhsa_memory_ordered 1
		.amdhsa_forward_progress 0
		.amdhsa_shared_vgpr_count 0
		.amdhsa_exception_fp_ieee_invalid_op 0
		.amdhsa_exception_fp_denorm_src 0
		.amdhsa_exception_fp_ieee_div_zero 0
		.amdhsa_exception_fp_ieee_overflow 0
		.amdhsa_exception_fp_ieee_underflow 0
		.amdhsa_exception_fp_ieee_inexact 0
		.amdhsa_exception_int_div_zero 0
	.end_amdhsa_kernel
	.section	.text._ZN7rocprim17ROCPRIM_400000_NS6detail31init_lookback_scan_state_kernelINS1_19lookback_scan_stateIhLb0ELb1EEENS1_16block_id_wrapperIjLb1EEEEEvT_jT0_jPNS7_10value_typeE,"axG",@progbits,_ZN7rocprim17ROCPRIM_400000_NS6detail31init_lookback_scan_state_kernelINS1_19lookback_scan_stateIhLb0ELb1EEENS1_16block_id_wrapperIjLb1EEEEEvT_jT0_jPNS7_10value_typeE,comdat
.Lfunc_end168:
	.size	_ZN7rocprim17ROCPRIM_400000_NS6detail31init_lookback_scan_state_kernelINS1_19lookback_scan_stateIhLb0ELb1EEENS1_16block_id_wrapperIjLb1EEEEEvT_jT0_jPNS7_10value_typeE, .Lfunc_end168-_ZN7rocprim17ROCPRIM_400000_NS6detail31init_lookback_scan_state_kernelINS1_19lookback_scan_stateIhLb0ELb1EEENS1_16block_id_wrapperIjLb1EEEEEvT_jT0_jPNS7_10value_typeE
                                        ; -- End function
	.section	.AMDGPU.csdata,"",@progbits
; Kernel info:
; codeLenInByte = 380
; NumSgprs: 18
; NumVgprs: 6
; ScratchSize: 0
; MemoryBound: 0
; FloatMode: 240
; IeeeMode: 1
; LDSByteSize: 0 bytes/workgroup (compile time only)
; SGPRBlocks: 2
; VGPRBlocks: 0
; NumSGPRsForWavesPerEU: 18
; NumVGPRsForWavesPerEU: 6
; Occupancy: 16
; WaveLimiterHint : 0
; COMPUTE_PGM_RSRC2:SCRATCH_EN: 0
; COMPUTE_PGM_RSRC2:USER_SGPR: 15
; COMPUTE_PGM_RSRC2:TRAP_HANDLER: 0
; COMPUTE_PGM_RSRC2:TGID_X_EN: 1
; COMPUTE_PGM_RSRC2:TGID_Y_EN: 0
; COMPUTE_PGM_RSRC2:TGID_Z_EN: 0
; COMPUTE_PGM_RSRC2:TIDIG_COMP_CNT: 0
	.section	.text._ZN7rocprim17ROCPRIM_400000_NS6detail17trampoline_kernelINS0_14default_configENS1_20scan_config_selectorIhEEZZNS1_9scan_implILNS1_25lookback_scan_determinismE0ELb0ELb0ES3_N6thrust23THRUST_200600_302600_NS6detail15normal_iteratorINS9_7pointerIhNS9_11hip_rocprim5par_tENS9_11use_defaultESF_EEEENSB_INSC_IjSE_SF_SF_EEEEhNS9_4plusIvEEhEEDaPvRmT3_T4_T5_mT6_P12ihipStream_tbENKUlT_T0_E_clISt17integral_constantIbLb0EESY_IbLb1EEEEDaSU_SV_EUlSU_E_NS1_11comp_targetILNS1_3genE0ELNS1_11target_archE4294967295ELNS1_3gpuE0ELNS1_3repE0EEENS1_30default_config_static_selectorELNS0_4arch9wavefront6targetE0EEEvT1_,"axG",@progbits,_ZN7rocprim17ROCPRIM_400000_NS6detail17trampoline_kernelINS0_14default_configENS1_20scan_config_selectorIhEEZZNS1_9scan_implILNS1_25lookback_scan_determinismE0ELb0ELb0ES3_N6thrust23THRUST_200600_302600_NS6detail15normal_iteratorINS9_7pointerIhNS9_11hip_rocprim5par_tENS9_11use_defaultESF_EEEENSB_INSC_IjSE_SF_SF_EEEEhNS9_4plusIvEEhEEDaPvRmT3_T4_T5_mT6_P12ihipStream_tbENKUlT_T0_E_clISt17integral_constantIbLb0EESY_IbLb1EEEEDaSU_SV_EUlSU_E_NS1_11comp_targetILNS1_3genE0ELNS1_11target_archE4294967295ELNS1_3gpuE0ELNS1_3repE0EEENS1_30default_config_static_selectorELNS0_4arch9wavefront6targetE0EEEvT1_,comdat
	.protected	_ZN7rocprim17ROCPRIM_400000_NS6detail17trampoline_kernelINS0_14default_configENS1_20scan_config_selectorIhEEZZNS1_9scan_implILNS1_25lookback_scan_determinismE0ELb0ELb0ES3_N6thrust23THRUST_200600_302600_NS6detail15normal_iteratorINS9_7pointerIhNS9_11hip_rocprim5par_tENS9_11use_defaultESF_EEEENSB_INSC_IjSE_SF_SF_EEEEhNS9_4plusIvEEhEEDaPvRmT3_T4_T5_mT6_P12ihipStream_tbENKUlT_T0_E_clISt17integral_constantIbLb0EESY_IbLb1EEEEDaSU_SV_EUlSU_E_NS1_11comp_targetILNS1_3genE0ELNS1_11target_archE4294967295ELNS1_3gpuE0ELNS1_3repE0EEENS1_30default_config_static_selectorELNS0_4arch9wavefront6targetE0EEEvT1_ ; -- Begin function _ZN7rocprim17ROCPRIM_400000_NS6detail17trampoline_kernelINS0_14default_configENS1_20scan_config_selectorIhEEZZNS1_9scan_implILNS1_25lookback_scan_determinismE0ELb0ELb0ES3_N6thrust23THRUST_200600_302600_NS6detail15normal_iteratorINS9_7pointerIhNS9_11hip_rocprim5par_tENS9_11use_defaultESF_EEEENSB_INSC_IjSE_SF_SF_EEEEhNS9_4plusIvEEhEEDaPvRmT3_T4_T5_mT6_P12ihipStream_tbENKUlT_T0_E_clISt17integral_constantIbLb0EESY_IbLb1EEEEDaSU_SV_EUlSU_E_NS1_11comp_targetILNS1_3genE0ELNS1_11target_archE4294967295ELNS1_3gpuE0ELNS1_3repE0EEENS1_30default_config_static_selectorELNS0_4arch9wavefront6targetE0EEEvT1_
	.globl	_ZN7rocprim17ROCPRIM_400000_NS6detail17trampoline_kernelINS0_14default_configENS1_20scan_config_selectorIhEEZZNS1_9scan_implILNS1_25lookback_scan_determinismE0ELb0ELb0ES3_N6thrust23THRUST_200600_302600_NS6detail15normal_iteratorINS9_7pointerIhNS9_11hip_rocprim5par_tENS9_11use_defaultESF_EEEENSB_INSC_IjSE_SF_SF_EEEEhNS9_4plusIvEEhEEDaPvRmT3_T4_T5_mT6_P12ihipStream_tbENKUlT_T0_E_clISt17integral_constantIbLb0EESY_IbLb1EEEEDaSU_SV_EUlSU_E_NS1_11comp_targetILNS1_3genE0ELNS1_11target_archE4294967295ELNS1_3gpuE0ELNS1_3repE0EEENS1_30default_config_static_selectorELNS0_4arch9wavefront6targetE0EEEvT1_
	.p2align	8
	.type	_ZN7rocprim17ROCPRIM_400000_NS6detail17trampoline_kernelINS0_14default_configENS1_20scan_config_selectorIhEEZZNS1_9scan_implILNS1_25lookback_scan_determinismE0ELb0ELb0ES3_N6thrust23THRUST_200600_302600_NS6detail15normal_iteratorINS9_7pointerIhNS9_11hip_rocprim5par_tENS9_11use_defaultESF_EEEENSB_INSC_IjSE_SF_SF_EEEEhNS9_4plusIvEEhEEDaPvRmT3_T4_T5_mT6_P12ihipStream_tbENKUlT_T0_E_clISt17integral_constantIbLb0EESY_IbLb1EEEEDaSU_SV_EUlSU_E_NS1_11comp_targetILNS1_3genE0ELNS1_11target_archE4294967295ELNS1_3gpuE0ELNS1_3repE0EEENS1_30default_config_static_selectorELNS0_4arch9wavefront6targetE0EEEvT1_,@function
_ZN7rocprim17ROCPRIM_400000_NS6detail17trampoline_kernelINS0_14default_configENS1_20scan_config_selectorIhEEZZNS1_9scan_implILNS1_25lookback_scan_determinismE0ELb0ELb0ES3_N6thrust23THRUST_200600_302600_NS6detail15normal_iteratorINS9_7pointerIhNS9_11hip_rocprim5par_tENS9_11use_defaultESF_EEEENSB_INSC_IjSE_SF_SF_EEEEhNS9_4plusIvEEhEEDaPvRmT3_T4_T5_mT6_P12ihipStream_tbENKUlT_T0_E_clISt17integral_constantIbLb0EESY_IbLb1EEEEDaSU_SV_EUlSU_E_NS1_11comp_targetILNS1_3genE0ELNS1_11target_archE4294967295ELNS1_3gpuE0ELNS1_3repE0EEENS1_30default_config_static_selectorELNS0_4arch9wavefront6targetE0EEEvT1_: ; @_ZN7rocprim17ROCPRIM_400000_NS6detail17trampoline_kernelINS0_14default_configENS1_20scan_config_selectorIhEEZZNS1_9scan_implILNS1_25lookback_scan_determinismE0ELb0ELb0ES3_N6thrust23THRUST_200600_302600_NS6detail15normal_iteratorINS9_7pointerIhNS9_11hip_rocprim5par_tENS9_11use_defaultESF_EEEENSB_INSC_IjSE_SF_SF_EEEEhNS9_4plusIvEEhEEDaPvRmT3_T4_T5_mT6_P12ihipStream_tbENKUlT_T0_E_clISt17integral_constantIbLb0EESY_IbLb1EEEEDaSU_SV_EUlSU_E_NS1_11comp_targetILNS1_3genE0ELNS1_11target_archE4294967295ELNS1_3gpuE0ELNS1_3repE0EEENS1_30default_config_static_selectorELNS0_4arch9wavefront6targetE0EEEvT1_
; %bb.0:
	.section	.rodata,"a",@progbits
	.p2align	6, 0x0
	.amdhsa_kernel _ZN7rocprim17ROCPRIM_400000_NS6detail17trampoline_kernelINS0_14default_configENS1_20scan_config_selectorIhEEZZNS1_9scan_implILNS1_25lookback_scan_determinismE0ELb0ELb0ES3_N6thrust23THRUST_200600_302600_NS6detail15normal_iteratorINS9_7pointerIhNS9_11hip_rocprim5par_tENS9_11use_defaultESF_EEEENSB_INSC_IjSE_SF_SF_EEEEhNS9_4plusIvEEhEEDaPvRmT3_T4_T5_mT6_P12ihipStream_tbENKUlT_T0_E_clISt17integral_constantIbLb0EESY_IbLb1EEEEDaSU_SV_EUlSU_E_NS1_11comp_targetILNS1_3genE0ELNS1_11target_archE4294967295ELNS1_3gpuE0ELNS1_3repE0EEENS1_30default_config_static_selectorELNS0_4arch9wavefront6targetE0EEEvT1_
		.amdhsa_group_segment_fixed_size 0
		.amdhsa_private_segment_fixed_size 0
		.amdhsa_kernarg_size 96
		.amdhsa_user_sgpr_count 15
		.amdhsa_user_sgpr_dispatch_ptr 0
		.amdhsa_user_sgpr_queue_ptr 0
		.amdhsa_user_sgpr_kernarg_segment_ptr 1
		.amdhsa_user_sgpr_dispatch_id 0
		.amdhsa_user_sgpr_private_segment_size 0
		.amdhsa_wavefront_size32 1
		.amdhsa_uses_dynamic_stack 0
		.amdhsa_enable_private_segment 0
		.amdhsa_system_sgpr_workgroup_id_x 1
		.amdhsa_system_sgpr_workgroup_id_y 0
		.amdhsa_system_sgpr_workgroup_id_z 0
		.amdhsa_system_sgpr_workgroup_info 0
		.amdhsa_system_vgpr_workitem_id 0
		.amdhsa_next_free_vgpr 1
		.amdhsa_next_free_sgpr 1
		.amdhsa_reserve_vcc 0
		.amdhsa_float_round_mode_32 0
		.amdhsa_float_round_mode_16_64 0
		.amdhsa_float_denorm_mode_32 3
		.amdhsa_float_denorm_mode_16_64 3
		.amdhsa_dx10_clamp 1
		.amdhsa_ieee_mode 1
		.amdhsa_fp16_overflow 0
		.amdhsa_workgroup_processor_mode 1
		.amdhsa_memory_ordered 1
		.amdhsa_forward_progress 0
		.amdhsa_shared_vgpr_count 0
		.amdhsa_exception_fp_ieee_invalid_op 0
		.amdhsa_exception_fp_denorm_src 0
		.amdhsa_exception_fp_ieee_div_zero 0
		.amdhsa_exception_fp_ieee_overflow 0
		.amdhsa_exception_fp_ieee_underflow 0
		.amdhsa_exception_fp_ieee_inexact 0
		.amdhsa_exception_int_div_zero 0
	.end_amdhsa_kernel
	.section	.text._ZN7rocprim17ROCPRIM_400000_NS6detail17trampoline_kernelINS0_14default_configENS1_20scan_config_selectorIhEEZZNS1_9scan_implILNS1_25lookback_scan_determinismE0ELb0ELb0ES3_N6thrust23THRUST_200600_302600_NS6detail15normal_iteratorINS9_7pointerIhNS9_11hip_rocprim5par_tENS9_11use_defaultESF_EEEENSB_INSC_IjSE_SF_SF_EEEEhNS9_4plusIvEEhEEDaPvRmT3_T4_T5_mT6_P12ihipStream_tbENKUlT_T0_E_clISt17integral_constantIbLb0EESY_IbLb1EEEEDaSU_SV_EUlSU_E_NS1_11comp_targetILNS1_3genE0ELNS1_11target_archE4294967295ELNS1_3gpuE0ELNS1_3repE0EEENS1_30default_config_static_selectorELNS0_4arch9wavefront6targetE0EEEvT1_,"axG",@progbits,_ZN7rocprim17ROCPRIM_400000_NS6detail17trampoline_kernelINS0_14default_configENS1_20scan_config_selectorIhEEZZNS1_9scan_implILNS1_25lookback_scan_determinismE0ELb0ELb0ES3_N6thrust23THRUST_200600_302600_NS6detail15normal_iteratorINS9_7pointerIhNS9_11hip_rocprim5par_tENS9_11use_defaultESF_EEEENSB_INSC_IjSE_SF_SF_EEEEhNS9_4plusIvEEhEEDaPvRmT3_T4_T5_mT6_P12ihipStream_tbENKUlT_T0_E_clISt17integral_constantIbLb0EESY_IbLb1EEEEDaSU_SV_EUlSU_E_NS1_11comp_targetILNS1_3genE0ELNS1_11target_archE4294967295ELNS1_3gpuE0ELNS1_3repE0EEENS1_30default_config_static_selectorELNS0_4arch9wavefront6targetE0EEEvT1_,comdat
.Lfunc_end169:
	.size	_ZN7rocprim17ROCPRIM_400000_NS6detail17trampoline_kernelINS0_14default_configENS1_20scan_config_selectorIhEEZZNS1_9scan_implILNS1_25lookback_scan_determinismE0ELb0ELb0ES3_N6thrust23THRUST_200600_302600_NS6detail15normal_iteratorINS9_7pointerIhNS9_11hip_rocprim5par_tENS9_11use_defaultESF_EEEENSB_INSC_IjSE_SF_SF_EEEEhNS9_4plusIvEEhEEDaPvRmT3_T4_T5_mT6_P12ihipStream_tbENKUlT_T0_E_clISt17integral_constantIbLb0EESY_IbLb1EEEEDaSU_SV_EUlSU_E_NS1_11comp_targetILNS1_3genE0ELNS1_11target_archE4294967295ELNS1_3gpuE0ELNS1_3repE0EEENS1_30default_config_static_selectorELNS0_4arch9wavefront6targetE0EEEvT1_, .Lfunc_end169-_ZN7rocprim17ROCPRIM_400000_NS6detail17trampoline_kernelINS0_14default_configENS1_20scan_config_selectorIhEEZZNS1_9scan_implILNS1_25lookback_scan_determinismE0ELb0ELb0ES3_N6thrust23THRUST_200600_302600_NS6detail15normal_iteratorINS9_7pointerIhNS9_11hip_rocprim5par_tENS9_11use_defaultESF_EEEENSB_INSC_IjSE_SF_SF_EEEEhNS9_4plusIvEEhEEDaPvRmT3_T4_T5_mT6_P12ihipStream_tbENKUlT_T0_E_clISt17integral_constantIbLb0EESY_IbLb1EEEEDaSU_SV_EUlSU_E_NS1_11comp_targetILNS1_3genE0ELNS1_11target_archE4294967295ELNS1_3gpuE0ELNS1_3repE0EEENS1_30default_config_static_selectorELNS0_4arch9wavefront6targetE0EEEvT1_
                                        ; -- End function
	.section	.AMDGPU.csdata,"",@progbits
; Kernel info:
; codeLenInByte = 0
; NumSgprs: 0
; NumVgprs: 0
; ScratchSize: 0
; MemoryBound: 0
; FloatMode: 240
; IeeeMode: 1
; LDSByteSize: 0 bytes/workgroup (compile time only)
; SGPRBlocks: 0
; VGPRBlocks: 0
; NumSGPRsForWavesPerEU: 1
; NumVGPRsForWavesPerEU: 1
; Occupancy: 16
; WaveLimiterHint : 0
; COMPUTE_PGM_RSRC2:SCRATCH_EN: 0
; COMPUTE_PGM_RSRC2:USER_SGPR: 15
; COMPUTE_PGM_RSRC2:TRAP_HANDLER: 0
; COMPUTE_PGM_RSRC2:TGID_X_EN: 1
; COMPUTE_PGM_RSRC2:TGID_Y_EN: 0
; COMPUTE_PGM_RSRC2:TGID_Z_EN: 0
; COMPUTE_PGM_RSRC2:TIDIG_COMP_CNT: 0
	.section	.text._ZN7rocprim17ROCPRIM_400000_NS6detail17trampoline_kernelINS0_14default_configENS1_20scan_config_selectorIhEEZZNS1_9scan_implILNS1_25lookback_scan_determinismE0ELb0ELb0ES3_N6thrust23THRUST_200600_302600_NS6detail15normal_iteratorINS9_7pointerIhNS9_11hip_rocprim5par_tENS9_11use_defaultESF_EEEENSB_INSC_IjSE_SF_SF_EEEEhNS9_4plusIvEEhEEDaPvRmT3_T4_T5_mT6_P12ihipStream_tbENKUlT_T0_E_clISt17integral_constantIbLb0EESY_IbLb1EEEEDaSU_SV_EUlSU_E_NS1_11comp_targetILNS1_3genE5ELNS1_11target_archE942ELNS1_3gpuE9ELNS1_3repE0EEENS1_30default_config_static_selectorELNS0_4arch9wavefront6targetE0EEEvT1_,"axG",@progbits,_ZN7rocprim17ROCPRIM_400000_NS6detail17trampoline_kernelINS0_14default_configENS1_20scan_config_selectorIhEEZZNS1_9scan_implILNS1_25lookback_scan_determinismE0ELb0ELb0ES3_N6thrust23THRUST_200600_302600_NS6detail15normal_iteratorINS9_7pointerIhNS9_11hip_rocprim5par_tENS9_11use_defaultESF_EEEENSB_INSC_IjSE_SF_SF_EEEEhNS9_4plusIvEEhEEDaPvRmT3_T4_T5_mT6_P12ihipStream_tbENKUlT_T0_E_clISt17integral_constantIbLb0EESY_IbLb1EEEEDaSU_SV_EUlSU_E_NS1_11comp_targetILNS1_3genE5ELNS1_11target_archE942ELNS1_3gpuE9ELNS1_3repE0EEENS1_30default_config_static_selectorELNS0_4arch9wavefront6targetE0EEEvT1_,comdat
	.protected	_ZN7rocprim17ROCPRIM_400000_NS6detail17trampoline_kernelINS0_14default_configENS1_20scan_config_selectorIhEEZZNS1_9scan_implILNS1_25lookback_scan_determinismE0ELb0ELb0ES3_N6thrust23THRUST_200600_302600_NS6detail15normal_iteratorINS9_7pointerIhNS9_11hip_rocprim5par_tENS9_11use_defaultESF_EEEENSB_INSC_IjSE_SF_SF_EEEEhNS9_4plusIvEEhEEDaPvRmT3_T4_T5_mT6_P12ihipStream_tbENKUlT_T0_E_clISt17integral_constantIbLb0EESY_IbLb1EEEEDaSU_SV_EUlSU_E_NS1_11comp_targetILNS1_3genE5ELNS1_11target_archE942ELNS1_3gpuE9ELNS1_3repE0EEENS1_30default_config_static_selectorELNS0_4arch9wavefront6targetE0EEEvT1_ ; -- Begin function _ZN7rocprim17ROCPRIM_400000_NS6detail17trampoline_kernelINS0_14default_configENS1_20scan_config_selectorIhEEZZNS1_9scan_implILNS1_25lookback_scan_determinismE0ELb0ELb0ES3_N6thrust23THRUST_200600_302600_NS6detail15normal_iteratorINS9_7pointerIhNS9_11hip_rocprim5par_tENS9_11use_defaultESF_EEEENSB_INSC_IjSE_SF_SF_EEEEhNS9_4plusIvEEhEEDaPvRmT3_T4_T5_mT6_P12ihipStream_tbENKUlT_T0_E_clISt17integral_constantIbLb0EESY_IbLb1EEEEDaSU_SV_EUlSU_E_NS1_11comp_targetILNS1_3genE5ELNS1_11target_archE942ELNS1_3gpuE9ELNS1_3repE0EEENS1_30default_config_static_selectorELNS0_4arch9wavefront6targetE0EEEvT1_
	.globl	_ZN7rocprim17ROCPRIM_400000_NS6detail17trampoline_kernelINS0_14default_configENS1_20scan_config_selectorIhEEZZNS1_9scan_implILNS1_25lookback_scan_determinismE0ELb0ELb0ES3_N6thrust23THRUST_200600_302600_NS6detail15normal_iteratorINS9_7pointerIhNS9_11hip_rocprim5par_tENS9_11use_defaultESF_EEEENSB_INSC_IjSE_SF_SF_EEEEhNS9_4plusIvEEhEEDaPvRmT3_T4_T5_mT6_P12ihipStream_tbENKUlT_T0_E_clISt17integral_constantIbLb0EESY_IbLb1EEEEDaSU_SV_EUlSU_E_NS1_11comp_targetILNS1_3genE5ELNS1_11target_archE942ELNS1_3gpuE9ELNS1_3repE0EEENS1_30default_config_static_selectorELNS0_4arch9wavefront6targetE0EEEvT1_
	.p2align	8
	.type	_ZN7rocprim17ROCPRIM_400000_NS6detail17trampoline_kernelINS0_14default_configENS1_20scan_config_selectorIhEEZZNS1_9scan_implILNS1_25lookback_scan_determinismE0ELb0ELb0ES3_N6thrust23THRUST_200600_302600_NS6detail15normal_iteratorINS9_7pointerIhNS9_11hip_rocprim5par_tENS9_11use_defaultESF_EEEENSB_INSC_IjSE_SF_SF_EEEEhNS9_4plusIvEEhEEDaPvRmT3_T4_T5_mT6_P12ihipStream_tbENKUlT_T0_E_clISt17integral_constantIbLb0EESY_IbLb1EEEEDaSU_SV_EUlSU_E_NS1_11comp_targetILNS1_3genE5ELNS1_11target_archE942ELNS1_3gpuE9ELNS1_3repE0EEENS1_30default_config_static_selectorELNS0_4arch9wavefront6targetE0EEEvT1_,@function
_ZN7rocprim17ROCPRIM_400000_NS6detail17trampoline_kernelINS0_14default_configENS1_20scan_config_selectorIhEEZZNS1_9scan_implILNS1_25lookback_scan_determinismE0ELb0ELb0ES3_N6thrust23THRUST_200600_302600_NS6detail15normal_iteratorINS9_7pointerIhNS9_11hip_rocprim5par_tENS9_11use_defaultESF_EEEENSB_INSC_IjSE_SF_SF_EEEEhNS9_4plusIvEEhEEDaPvRmT3_T4_T5_mT6_P12ihipStream_tbENKUlT_T0_E_clISt17integral_constantIbLb0EESY_IbLb1EEEEDaSU_SV_EUlSU_E_NS1_11comp_targetILNS1_3genE5ELNS1_11target_archE942ELNS1_3gpuE9ELNS1_3repE0EEENS1_30default_config_static_selectorELNS0_4arch9wavefront6targetE0EEEvT1_: ; @_ZN7rocprim17ROCPRIM_400000_NS6detail17trampoline_kernelINS0_14default_configENS1_20scan_config_selectorIhEEZZNS1_9scan_implILNS1_25lookback_scan_determinismE0ELb0ELb0ES3_N6thrust23THRUST_200600_302600_NS6detail15normal_iteratorINS9_7pointerIhNS9_11hip_rocprim5par_tENS9_11use_defaultESF_EEEENSB_INSC_IjSE_SF_SF_EEEEhNS9_4plusIvEEhEEDaPvRmT3_T4_T5_mT6_P12ihipStream_tbENKUlT_T0_E_clISt17integral_constantIbLb0EESY_IbLb1EEEEDaSU_SV_EUlSU_E_NS1_11comp_targetILNS1_3genE5ELNS1_11target_archE942ELNS1_3gpuE9ELNS1_3repE0EEENS1_30default_config_static_selectorELNS0_4arch9wavefront6targetE0EEEvT1_
; %bb.0:
	.section	.rodata,"a",@progbits
	.p2align	6, 0x0
	.amdhsa_kernel _ZN7rocprim17ROCPRIM_400000_NS6detail17trampoline_kernelINS0_14default_configENS1_20scan_config_selectorIhEEZZNS1_9scan_implILNS1_25lookback_scan_determinismE0ELb0ELb0ES3_N6thrust23THRUST_200600_302600_NS6detail15normal_iteratorINS9_7pointerIhNS9_11hip_rocprim5par_tENS9_11use_defaultESF_EEEENSB_INSC_IjSE_SF_SF_EEEEhNS9_4plusIvEEhEEDaPvRmT3_T4_T5_mT6_P12ihipStream_tbENKUlT_T0_E_clISt17integral_constantIbLb0EESY_IbLb1EEEEDaSU_SV_EUlSU_E_NS1_11comp_targetILNS1_3genE5ELNS1_11target_archE942ELNS1_3gpuE9ELNS1_3repE0EEENS1_30default_config_static_selectorELNS0_4arch9wavefront6targetE0EEEvT1_
		.amdhsa_group_segment_fixed_size 0
		.amdhsa_private_segment_fixed_size 0
		.amdhsa_kernarg_size 96
		.amdhsa_user_sgpr_count 15
		.amdhsa_user_sgpr_dispatch_ptr 0
		.amdhsa_user_sgpr_queue_ptr 0
		.amdhsa_user_sgpr_kernarg_segment_ptr 1
		.amdhsa_user_sgpr_dispatch_id 0
		.amdhsa_user_sgpr_private_segment_size 0
		.amdhsa_wavefront_size32 1
		.amdhsa_uses_dynamic_stack 0
		.amdhsa_enable_private_segment 0
		.amdhsa_system_sgpr_workgroup_id_x 1
		.amdhsa_system_sgpr_workgroup_id_y 0
		.amdhsa_system_sgpr_workgroup_id_z 0
		.amdhsa_system_sgpr_workgroup_info 0
		.amdhsa_system_vgpr_workitem_id 0
		.amdhsa_next_free_vgpr 1
		.amdhsa_next_free_sgpr 1
		.amdhsa_reserve_vcc 0
		.amdhsa_float_round_mode_32 0
		.amdhsa_float_round_mode_16_64 0
		.amdhsa_float_denorm_mode_32 3
		.amdhsa_float_denorm_mode_16_64 3
		.amdhsa_dx10_clamp 1
		.amdhsa_ieee_mode 1
		.amdhsa_fp16_overflow 0
		.amdhsa_workgroup_processor_mode 1
		.amdhsa_memory_ordered 1
		.amdhsa_forward_progress 0
		.amdhsa_shared_vgpr_count 0
		.amdhsa_exception_fp_ieee_invalid_op 0
		.amdhsa_exception_fp_denorm_src 0
		.amdhsa_exception_fp_ieee_div_zero 0
		.amdhsa_exception_fp_ieee_overflow 0
		.amdhsa_exception_fp_ieee_underflow 0
		.amdhsa_exception_fp_ieee_inexact 0
		.amdhsa_exception_int_div_zero 0
	.end_amdhsa_kernel
	.section	.text._ZN7rocprim17ROCPRIM_400000_NS6detail17trampoline_kernelINS0_14default_configENS1_20scan_config_selectorIhEEZZNS1_9scan_implILNS1_25lookback_scan_determinismE0ELb0ELb0ES3_N6thrust23THRUST_200600_302600_NS6detail15normal_iteratorINS9_7pointerIhNS9_11hip_rocprim5par_tENS9_11use_defaultESF_EEEENSB_INSC_IjSE_SF_SF_EEEEhNS9_4plusIvEEhEEDaPvRmT3_T4_T5_mT6_P12ihipStream_tbENKUlT_T0_E_clISt17integral_constantIbLb0EESY_IbLb1EEEEDaSU_SV_EUlSU_E_NS1_11comp_targetILNS1_3genE5ELNS1_11target_archE942ELNS1_3gpuE9ELNS1_3repE0EEENS1_30default_config_static_selectorELNS0_4arch9wavefront6targetE0EEEvT1_,"axG",@progbits,_ZN7rocprim17ROCPRIM_400000_NS6detail17trampoline_kernelINS0_14default_configENS1_20scan_config_selectorIhEEZZNS1_9scan_implILNS1_25lookback_scan_determinismE0ELb0ELb0ES3_N6thrust23THRUST_200600_302600_NS6detail15normal_iteratorINS9_7pointerIhNS9_11hip_rocprim5par_tENS9_11use_defaultESF_EEEENSB_INSC_IjSE_SF_SF_EEEEhNS9_4plusIvEEhEEDaPvRmT3_T4_T5_mT6_P12ihipStream_tbENKUlT_T0_E_clISt17integral_constantIbLb0EESY_IbLb1EEEEDaSU_SV_EUlSU_E_NS1_11comp_targetILNS1_3genE5ELNS1_11target_archE942ELNS1_3gpuE9ELNS1_3repE0EEENS1_30default_config_static_selectorELNS0_4arch9wavefront6targetE0EEEvT1_,comdat
.Lfunc_end170:
	.size	_ZN7rocprim17ROCPRIM_400000_NS6detail17trampoline_kernelINS0_14default_configENS1_20scan_config_selectorIhEEZZNS1_9scan_implILNS1_25lookback_scan_determinismE0ELb0ELb0ES3_N6thrust23THRUST_200600_302600_NS6detail15normal_iteratorINS9_7pointerIhNS9_11hip_rocprim5par_tENS9_11use_defaultESF_EEEENSB_INSC_IjSE_SF_SF_EEEEhNS9_4plusIvEEhEEDaPvRmT3_T4_T5_mT6_P12ihipStream_tbENKUlT_T0_E_clISt17integral_constantIbLb0EESY_IbLb1EEEEDaSU_SV_EUlSU_E_NS1_11comp_targetILNS1_3genE5ELNS1_11target_archE942ELNS1_3gpuE9ELNS1_3repE0EEENS1_30default_config_static_selectorELNS0_4arch9wavefront6targetE0EEEvT1_, .Lfunc_end170-_ZN7rocprim17ROCPRIM_400000_NS6detail17trampoline_kernelINS0_14default_configENS1_20scan_config_selectorIhEEZZNS1_9scan_implILNS1_25lookback_scan_determinismE0ELb0ELb0ES3_N6thrust23THRUST_200600_302600_NS6detail15normal_iteratorINS9_7pointerIhNS9_11hip_rocprim5par_tENS9_11use_defaultESF_EEEENSB_INSC_IjSE_SF_SF_EEEEhNS9_4plusIvEEhEEDaPvRmT3_T4_T5_mT6_P12ihipStream_tbENKUlT_T0_E_clISt17integral_constantIbLb0EESY_IbLb1EEEEDaSU_SV_EUlSU_E_NS1_11comp_targetILNS1_3genE5ELNS1_11target_archE942ELNS1_3gpuE9ELNS1_3repE0EEENS1_30default_config_static_selectorELNS0_4arch9wavefront6targetE0EEEvT1_
                                        ; -- End function
	.section	.AMDGPU.csdata,"",@progbits
; Kernel info:
; codeLenInByte = 0
; NumSgprs: 0
; NumVgprs: 0
; ScratchSize: 0
; MemoryBound: 0
; FloatMode: 240
; IeeeMode: 1
; LDSByteSize: 0 bytes/workgroup (compile time only)
; SGPRBlocks: 0
; VGPRBlocks: 0
; NumSGPRsForWavesPerEU: 1
; NumVGPRsForWavesPerEU: 1
; Occupancy: 16
; WaveLimiterHint : 0
; COMPUTE_PGM_RSRC2:SCRATCH_EN: 0
; COMPUTE_PGM_RSRC2:USER_SGPR: 15
; COMPUTE_PGM_RSRC2:TRAP_HANDLER: 0
; COMPUTE_PGM_RSRC2:TGID_X_EN: 1
; COMPUTE_PGM_RSRC2:TGID_Y_EN: 0
; COMPUTE_PGM_RSRC2:TGID_Z_EN: 0
; COMPUTE_PGM_RSRC2:TIDIG_COMP_CNT: 0
	.section	.text._ZN7rocprim17ROCPRIM_400000_NS6detail17trampoline_kernelINS0_14default_configENS1_20scan_config_selectorIhEEZZNS1_9scan_implILNS1_25lookback_scan_determinismE0ELb0ELb0ES3_N6thrust23THRUST_200600_302600_NS6detail15normal_iteratorINS9_7pointerIhNS9_11hip_rocprim5par_tENS9_11use_defaultESF_EEEENSB_INSC_IjSE_SF_SF_EEEEhNS9_4plusIvEEhEEDaPvRmT3_T4_T5_mT6_P12ihipStream_tbENKUlT_T0_E_clISt17integral_constantIbLb0EESY_IbLb1EEEEDaSU_SV_EUlSU_E_NS1_11comp_targetILNS1_3genE4ELNS1_11target_archE910ELNS1_3gpuE8ELNS1_3repE0EEENS1_30default_config_static_selectorELNS0_4arch9wavefront6targetE0EEEvT1_,"axG",@progbits,_ZN7rocprim17ROCPRIM_400000_NS6detail17trampoline_kernelINS0_14default_configENS1_20scan_config_selectorIhEEZZNS1_9scan_implILNS1_25lookback_scan_determinismE0ELb0ELb0ES3_N6thrust23THRUST_200600_302600_NS6detail15normal_iteratorINS9_7pointerIhNS9_11hip_rocprim5par_tENS9_11use_defaultESF_EEEENSB_INSC_IjSE_SF_SF_EEEEhNS9_4plusIvEEhEEDaPvRmT3_T4_T5_mT6_P12ihipStream_tbENKUlT_T0_E_clISt17integral_constantIbLb0EESY_IbLb1EEEEDaSU_SV_EUlSU_E_NS1_11comp_targetILNS1_3genE4ELNS1_11target_archE910ELNS1_3gpuE8ELNS1_3repE0EEENS1_30default_config_static_selectorELNS0_4arch9wavefront6targetE0EEEvT1_,comdat
	.protected	_ZN7rocprim17ROCPRIM_400000_NS6detail17trampoline_kernelINS0_14default_configENS1_20scan_config_selectorIhEEZZNS1_9scan_implILNS1_25lookback_scan_determinismE0ELb0ELb0ES3_N6thrust23THRUST_200600_302600_NS6detail15normal_iteratorINS9_7pointerIhNS9_11hip_rocprim5par_tENS9_11use_defaultESF_EEEENSB_INSC_IjSE_SF_SF_EEEEhNS9_4plusIvEEhEEDaPvRmT3_T4_T5_mT6_P12ihipStream_tbENKUlT_T0_E_clISt17integral_constantIbLb0EESY_IbLb1EEEEDaSU_SV_EUlSU_E_NS1_11comp_targetILNS1_3genE4ELNS1_11target_archE910ELNS1_3gpuE8ELNS1_3repE0EEENS1_30default_config_static_selectorELNS0_4arch9wavefront6targetE0EEEvT1_ ; -- Begin function _ZN7rocprim17ROCPRIM_400000_NS6detail17trampoline_kernelINS0_14default_configENS1_20scan_config_selectorIhEEZZNS1_9scan_implILNS1_25lookback_scan_determinismE0ELb0ELb0ES3_N6thrust23THRUST_200600_302600_NS6detail15normal_iteratorINS9_7pointerIhNS9_11hip_rocprim5par_tENS9_11use_defaultESF_EEEENSB_INSC_IjSE_SF_SF_EEEEhNS9_4plusIvEEhEEDaPvRmT3_T4_T5_mT6_P12ihipStream_tbENKUlT_T0_E_clISt17integral_constantIbLb0EESY_IbLb1EEEEDaSU_SV_EUlSU_E_NS1_11comp_targetILNS1_3genE4ELNS1_11target_archE910ELNS1_3gpuE8ELNS1_3repE0EEENS1_30default_config_static_selectorELNS0_4arch9wavefront6targetE0EEEvT1_
	.globl	_ZN7rocprim17ROCPRIM_400000_NS6detail17trampoline_kernelINS0_14default_configENS1_20scan_config_selectorIhEEZZNS1_9scan_implILNS1_25lookback_scan_determinismE0ELb0ELb0ES3_N6thrust23THRUST_200600_302600_NS6detail15normal_iteratorINS9_7pointerIhNS9_11hip_rocprim5par_tENS9_11use_defaultESF_EEEENSB_INSC_IjSE_SF_SF_EEEEhNS9_4plusIvEEhEEDaPvRmT3_T4_T5_mT6_P12ihipStream_tbENKUlT_T0_E_clISt17integral_constantIbLb0EESY_IbLb1EEEEDaSU_SV_EUlSU_E_NS1_11comp_targetILNS1_3genE4ELNS1_11target_archE910ELNS1_3gpuE8ELNS1_3repE0EEENS1_30default_config_static_selectorELNS0_4arch9wavefront6targetE0EEEvT1_
	.p2align	8
	.type	_ZN7rocprim17ROCPRIM_400000_NS6detail17trampoline_kernelINS0_14default_configENS1_20scan_config_selectorIhEEZZNS1_9scan_implILNS1_25lookback_scan_determinismE0ELb0ELb0ES3_N6thrust23THRUST_200600_302600_NS6detail15normal_iteratorINS9_7pointerIhNS9_11hip_rocprim5par_tENS9_11use_defaultESF_EEEENSB_INSC_IjSE_SF_SF_EEEEhNS9_4plusIvEEhEEDaPvRmT3_T4_T5_mT6_P12ihipStream_tbENKUlT_T0_E_clISt17integral_constantIbLb0EESY_IbLb1EEEEDaSU_SV_EUlSU_E_NS1_11comp_targetILNS1_3genE4ELNS1_11target_archE910ELNS1_3gpuE8ELNS1_3repE0EEENS1_30default_config_static_selectorELNS0_4arch9wavefront6targetE0EEEvT1_,@function
_ZN7rocprim17ROCPRIM_400000_NS6detail17trampoline_kernelINS0_14default_configENS1_20scan_config_selectorIhEEZZNS1_9scan_implILNS1_25lookback_scan_determinismE0ELb0ELb0ES3_N6thrust23THRUST_200600_302600_NS6detail15normal_iteratorINS9_7pointerIhNS9_11hip_rocprim5par_tENS9_11use_defaultESF_EEEENSB_INSC_IjSE_SF_SF_EEEEhNS9_4plusIvEEhEEDaPvRmT3_T4_T5_mT6_P12ihipStream_tbENKUlT_T0_E_clISt17integral_constantIbLb0EESY_IbLb1EEEEDaSU_SV_EUlSU_E_NS1_11comp_targetILNS1_3genE4ELNS1_11target_archE910ELNS1_3gpuE8ELNS1_3repE0EEENS1_30default_config_static_selectorELNS0_4arch9wavefront6targetE0EEEvT1_: ; @_ZN7rocprim17ROCPRIM_400000_NS6detail17trampoline_kernelINS0_14default_configENS1_20scan_config_selectorIhEEZZNS1_9scan_implILNS1_25lookback_scan_determinismE0ELb0ELb0ES3_N6thrust23THRUST_200600_302600_NS6detail15normal_iteratorINS9_7pointerIhNS9_11hip_rocprim5par_tENS9_11use_defaultESF_EEEENSB_INSC_IjSE_SF_SF_EEEEhNS9_4plusIvEEhEEDaPvRmT3_T4_T5_mT6_P12ihipStream_tbENKUlT_T0_E_clISt17integral_constantIbLb0EESY_IbLb1EEEEDaSU_SV_EUlSU_E_NS1_11comp_targetILNS1_3genE4ELNS1_11target_archE910ELNS1_3gpuE8ELNS1_3repE0EEENS1_30default_config_static_selectorELNS0_4arch9wavefront6targetE0EEEvT1_
; %bb.0:
	.section	.rodata,"a",@progbits
	.p2align	6, 0x0
	.amdhsa_kernel _ZN7rocprim17ROCPRIM_400000_NS6detail17trampoline_kernelINS0_14default_configENS1_20scan_config_selectorIhEEZZNS1_9scan_implILNS1_25lookback_scan_determinismE0ELb0ELb0ES3_N6thrust23THRUST_200600_302600_NS6detail15normal_iteratorINS9_7pointerIhNS9_11hip_rocprim5par_tENS9_11use_defaultESF_EEEENSB_INSC_IjSE_SF_SF_EEEEhNS9_4plusIvEEhEEDaPvRmT3_T4_T5_mT6_P12ihipStream_tbENKUlT_T0_E_clISt17integral_constantIbLb0EESY_IbLb1EEEEDaSU_SV_EUlSU_E_NS1_11comp_targetILNS1_3genE4ELNS1_11target_archE910ELNS1_3gpuE8ELNS1_3repE0EEENS1_30default_config_static_selectorELNS0_4arch9wavefront6targetE0EEEvT1_
		.amdhsa_group_segment_fixed_size 0
		.amdhsa_private_segment_fixed_size 0
		.amdhsa_kernarg_size 96
		.amdhsa_user_sgpr_count 15
		.amdhsa_user_sgpr_dispatch_ptr 0
		.amdhsa_user_sgpr_queue_ptr 0
		.amdhsa_user_sgpr_kernarg_segment_ptr 1
		.amdhsa_user_sgpr_dispatch_id 0
		.amdhsa_user_sgpr_private_segment_size 0
		.amdhsa_wavefront_size32 1
		.amdhsa_uses_dynamic_stack 0
		.amdhsa_enable_private_segment 0
		.amdhsa_system_sgpr_workgroup_id_x 1
		.amdhsa_system_sgpr_workgroup_id_y 0
		.amdhsa_system_sgpr_workgroup_id_z 0
		.amdhsa_system_sgpr_workgroup_info 0
		.amdhsa_system_vgpr_workitem_id 0
		.amdhsa_next_free_vgpr 1
		.amdhsa_next_free_sgpr 1
		.amdhsa_reserve_vcc 0
		.amdhsa_float_round_mode_32 0
		.amdhsa_float_round_mode_16_64 0
		.amdhsa_float_denorm_mode_32 3
		.amdhsa_float_denorm_mode_16_64 3
		.amdhsa_dx10_clamp 1
		.amdhsa_ieee_mode 1
		.amdhsa_fp16_overflow 0
		.amdhsa_workgroup_processor_mode 1
		.amdhsa_memory_ordered 1
		.amdhsa_forward_progress 0
		.amdhsa_shared_vgpr_count 0
		.amdhsa_exception_fp_ieee_invalid_op 0
		.amdhsa_exception_fp_denorm_src 0
		.amdhsa_exception_fp_ieee_div_zero 0
		.amdhsa_exception_fp_ieee_overflow 0
		.amdhsa_exception_fp_ieee_underflow 0
		.amdhsa_exception_fp_ieee_inexact 0
		.amdhsa_exception_int_div_zero 0
	.end_amdhsa_kernel
	.section	.text._ZN7rocprim17ROCPRIM_400000_NS6detail17trampoline_kernelINS0_14default_configENS1_20scan_config_selectorIhEEZZNS1_9scan_implILNS1_25lookback_scan_determinismE0ELb0ELb0ES3_N6thrust23THRUST_200600_302600_NS6detail15normal_iteratorINS9_7pointerIhNS9_11hip_rocprim5par_tENS9_11use_defaultESF_EEEENSB_INSC_IjSE_SF_SF_EEEEhNS9_4plusIvEEhEEDaPvRmT3_T4_T5_mT6_P12ihipStream_tbENKUlT_T0_E_clISt17integral_constantIbLb0EESY_IbLb1EEEEDaSU_SV_EUlSU_E_NS1_11comp_targetILNS1_3genE4ELNS1_11target_archE910ELNS1_3gpuE8ELNS1_3repE0EEENS1_30default_config_static_selectorELNS0_4arch9wavefront6targetE0EEEvT1_,"axG",@progbits,_ZN7rocprim17ROCPRIM_400000_NS6detail17trampoline_kernelINS0_14default_configENS1_20scan_config_selectorIhEEZZNS1_9scan_implILNS1_25lookback_scan_determinismE0ELb0ELb0ES3_N6thrust23THRUST_200600_302600_NS6detail15normal_iteratorINS9_7pointerIhNS9_11hip_rocprim5par_tENS9_11use_defaultESF_EEEENSB_INSC_IjSE_SF_SF_EEEEhNS9_4plusIvEEhEEDaPvRmT3_T4_T5_mT6_P12ihipStream_tbENKUlT_T0_E_clISt17integral_constantIbLb0EESY_IbLb1EEEEDaSU_SV_EUlSU_E_NS1_11comp_targetILNS1_3genE4ELNS1_11target_archE910ELNS1_3gpuE8ELNS1_3repE0EEENS1_30default_config_static_selectorELNS0_4arch9wavefront6targetE0EEEvT1_,comdat
.Lfunc_end171:
	.size	_ZN7rocprim17ROCPRIM_400000_NS6detail17trampoline_kernelINS0_14default_configENS1_20scan_config_selectorIhEEZZNS1_9scan_implILNS1_25lookback_scan_determinismE0ELb0ELb0ES3_N6thrust23THRUST_200600_302600_NS6detail15normal_iteratorINS9_7pointerIhNS9_11hip_rocprim5par_tENS9_11use_defaultESF_EEEENSB_INSC_IjSE_SF_SF_EEEEhNS9_4plusIvEEhEEDaPvRmT3_T4_T5_mT6_P12ihipStream_tbENKUlT_T0_E_clISt17integral_constantIbLb0EESY_IbLb1EEEEDaSU_SV_EUlSU_E_NS1_11comp_targetILNS1_3genE4ELNS1_11target_archE910ELNS1_3gpuE8ELNS1_3repE0EEENS1_30default_config_static_selectorELNS0_4arch9wavefront6targetE0EEEvT1_, .Lfunc_end171-_ZN7rocprim17ROCPRIM_400000_NS6detail17trampoline_kernelINS0_14default_configENS1_20scan_config_selectorIhEEZZNS1_9scan_implILNS1_25lookback_scan_determinismE0ELb0ELb0ES3_N6thrust23THRUST_200600_302600_NS6detail15normal_iteratorINS9_7pointerIhNS9_11hip_rocprim5par_tENS9_11use_defaultESF_EEEENSB_INSC_IjSE_SF_SF_EEEEhNS9_4plusIvEEhEEDaPvRmT3_T4_T5_mT6_P12ihipStream_tbENKUlT_T0_E_clISt17integral_constantIbLb0EESY_IbLb1EEEEDaSU_SV_EUlSU_E_NS1_11comp_targetILNS1_3genE4ELNS1_11target_archE910ELNS1_3gpuE8ELNS1_3repE0EEENS1_30default_config_static_selectorELNS0_4arch9wavefront6targetE0EEEvT1_
                                        ; -- End function
	.section	.AMDGPU.csdata,"",@progbits
; Kernel info:
; codeLenInByte = 0
; NumSgprs: 0
; NumVgprs: 0
; ScratchSize: 0
; MemoryBound: 0
; FloatMode: 240
; IeeeMode: 1
; LDSByteSize: 0 bytes/workgroup (compile time only)
; SGPRBlocks: 0
; VGPRBlocks: 0
; NumSGPRsForWavesPerEU: 1
; NumVGPRsForWavesPerEU: 1
; Occupancy: 16
; WaveLimiterHint : 0
; COMPUTE_PGM_RSRC2:SCRATCH_EN: 0
; COMPUTE_PGM_RSRC2:USER_SGPR: 15
; COMPUTE_PGM_RSRC2:TRAP_HANDLER: 0
; COMPUTE_PGM_RSRC2:TGID_X_EN: 1
; COMPUTE_PGM_RSRC2:TGID_Y_EN: 0
; COMPUTE_PGM_RSRC2:TGID_Z_EN: 0
; COMPUTE_PGM_RSRC2:TIDIG_COMP_CNT: 0
	.section	.text._ZN7rocprim17ROCPRIM_400000_NS6detail17trampoline_kernelINS0_14default_configENS1_20scan_config_selectorIhEEZZNS1_9scan_implILNS1_25lookback_scan_determinismE0ELb0ELb0ES3_N6thrust23THRUST_200600_302600_NS6detail15normal_iteratorINS9_7pointerIhNS9_11hip_rocprim5par_tENS9_11use_defaultESF_EEEENSB_INSC_IjSE_SF_SF_EEEEhNS9_4plusIvEEhEEDaPvRmT3_T4_T5_mT6_P12ihipStream_tbENKUlT_T0_E_clISt17integral_constantIbLb0EESY_IbLb1EEEEDaSU_SV_EUlSU_E_NS1_11comp_targetILNS1_3genE3ELNS1_11target_archE908ELNS1_3gpuE7ELNS1_3repE0EEENS1_30default_config_static_selectorELNS0_4arch9wavefront6targetE0EEEvT1_,"axG",@progbits,_ZN7rocprim17ROCPRIM_400000_NS6detail17trampoline_kernelINS0_14default_configENS1_20scan_config_selectorIhEEZZNS1_9scan_implILNS1_25lookback_scan_determinismE0ELb0ELb0ES3_N6thrust23THRUST_200600_302600_NS6detail15normal_iteratorINS9_7pointerIhNS9_11hip_rocprim5par_tENS9_11use_defaultESF_EEEENSB_INSC_IjSE_SF_SF_EEEEhNS9_4plusIvEEhEEDaPvRmT3_T4_T5_mT6_P12ihipStream_tbENKUlT_T0_E_clISt17integral_constantIbLb0EESY_IbLb1EEEEDaSU_SV_EUlSU_E_NS1_11comp_targetILNS1_3genE3ELNS1_11target_archE908ELNS1_3gpuE7ELNS1_3repE0EEENS1_30default_config_static_selectorELNS0_4arch9wavefront6targetE0EEEvT1_,comdat
	.protected	_ZN7rocprim17ROCPRIM_400000_NS6detail17trampoline_kernelINS0_14default_configENS1_20scan_config_selectorIhEEZZNS1_9scan_implILNS1_25lookback_scan_determinismE0ELb0ELb0ES3_N6thrust23THRUST_200600_302600_NS6detail15normal_iteratorINS9_7pointerIhNS9_11hip_rocprim5par_tENS9_11use_defaultESF_EEEENSB_INSC_IjSE_SF_SF_EEEEhNS9_4plusIvEEhEEDaPvRmT3_T4_T5_mT6_P12ihipStream_tbENKUlT_T0_E_clISt17integral_constantIbLb0EESY_IbLb1EEEEDaSU_SV_EUlSU_E_NS1_11comp_targetILNS1_3genE3ELNS1_11target_archE908ELNS1_3gpuE7ELNS1_3repE0EEENS1_30default_config_static_selectorELNS0_4arch9wavefront6targetE0EEEvT1_ ; -- Begin function _ZN7rocprim17ROCPRIM_400000_NS6detail17trampoline_kernelINS0_14default_configENS1_20scan_config_selectorIhEEZZNS1_9scan_implILNS1_25lookback_scan_determinismE0ELb0ELb0ES3_N6thrust23THRUST_200600_302600_NS6detail15normal_iteratorINS9_7pointerIhNS9_11hip_rocprim5par_tENS9_11use_defaultESF_EEEENSB_INSC_IjSE_SF_SF_EEEEhNS9_4plusIvEEhEEDaPvRmT3_T4_T5_mT6_P12ihipStream_tbENKUlT_T0_E_clISt17integral_constantIbLb0EESY_IbLb1EEEEDaSU_SV_EUlSU_E_NS1_11comp_targetILNS1_3genE3ELNS1_11target_archE908ELNS1_3gpuE7ELNS1_3repE0EEENS1_30default_config_static_selectorELNS0_4arch9wavefront6targetE0EEEvT1_
	.globl	_ZN7rocprim17ROCPRIM_400000_NS6detail17trampoline_kernelINS0_14default_configENS1_20scan_config_selectorIhEEZZNS1_9scan_implILNS1_25lookback_scan_determinismE0ELb0ELb0ES3_N6thrust23THRUST_200600_302600_NS6detail15normal_iteratorINS9_7pointerIhNS9_11hip_rocprim5par_tENS9_11use_defaultESF_EEEENSB_INSC_IjSE_SF_SF_EEEEhNS9_4plusIvEEhEEDaPvRmT3_T4_T5_mT6_P12ihipStream_tbENKUlT_T0_E_clISt17integral_constantIbLb0EESY_IbLb1EEEEDaSU_SV_EUlSU_E_NS1_11comp_targetILNS1_3genE3ELNS1_11target_archE908ELNS1_3gpuE7ELNS1_3repE0EEENS1_30default_config_static_selectorELNS0_4arch9wavefront6targetE0EEEvT1_
	.p2align	8
	.type	_ZN7rocprim17ROCPRIM_400000_NS6detail17trampoline_kernelINS0_14default_configENS1_20scan_config_selectorIhEEZZNS1_9scan_implILNS1_25lookback_scan_determinismE0ELb0ELb0ES3_N6thrust23THRUST_200600_302600_NS6detail15normal_iteratorINS9_7pointerIhNS9_11hip_rocprim5par_tENS9_11use_defaultESF_EEEENSB_INSC_IjSE_SF_SF_EEEEhNS9_4plusIvEEhEEDaPvRmT3_T4_T5_mT6_P12ihipStream_tbENKUlT_T0_E_clISt17integral_constantIbLb0EESY_IbLb1EEEEDaSU_SV_EUlSU_E_NS1_11comp_targetILNS1_3genE3ELNS1_11target_archE908ELNS1_3gpuE7ELNS1_3repE0EEENS1_30default_config_static_selectorELNS0_4arch9wavefront6targetE0EEEvT1_,@function
_ZN7rocprim17ROCPRIM_400000_NS6detail17trampoline_kernelINS0_14default_configENS1_20scan_config_selectorIhEEZZNS1_9scan_implILNS1_25lookback_scan_determinismE0ELb0ELb0ES3_N6thrust23THRUST_200600_302600_NS6detail15normal_iteratorINS9_7pointerIhNS9_11hip_rocprim5par_tENS9_11use_defaultESF_EEEENSB_INSC_IjSE_SF_SF_EEEEhNS9_4plusIvEEhEEDaPvRmT3_T4_T5_mT6_P12ihipStream_tbENKUlT_T0_E_clISt17integral_constantIbLb0EESY_IbLb1EEEEDaSU_SV_EUlSU_E_NS1_11comp_targetILNS1_3genE3ELNS1_11target_archE908ELNS1_3gpuE7ELNS1_3repE0EEENS1_30default_config_static_selectorELNS0_4arch9wavefront6targetE0EEEvT1_: ; @_ZN7rocprim17ROCPRIM_400000_NS6detail17trampoline_kernelINS0_14default_configENS1_20scan_config_selectorIhEEZZNS1_9scan_implILNS1_25lookback_scan_determinismE0ELb0ELb0ES3_N6thrust23THRUST_200600_302600_NS6detail15normal_iteratorINS9_7pointerIhNS9_11hip_rocprim5par_tENS9_11use_defaultESF_EEEENSB_INSC_IjSE_SF_SF_EEEEhNS9_4plusIvEEhEEDaPvRmT3_T4_T5_mT6_P12ihipStream_tbENKUlT_T0_E_clISt17integral_constantIbLb0EESY_IbLb1EEEEDaSU_SV_EUlSU_E_NS1_11comp_targetILNS1_3genE3ELNS1_11target_archE908ELNS1_3gpuE7ELNS1_3repE0EEENS1_30default_config_static_selectorELNS0_4arch9wavefront6targetE0EEEvT1_
; %bb.0:
	.section	.rodata,"a",@progbits
	.p2align	6, 0x0
	.amdhsa_kernel _ZN7rocprim17ROCPRIM_400000_NS6detail17trampoline_kernelINS0_14default_configENS1_20scan_config_selectorIhEEZZNS1_9scan_implILNS1_25lookback_scan_determinismE0ELb0ELb0ES3_N6thrust23THRUST_200600_302600_NS6detail15normal_iteratorINS9_7pointerIhNS9_11hip_rocprim5par_tENS9_11use_defaultESF_EEEENSB_INSC_IjSE_SF_SF_EEEEhNS9_4plusIvEEhEEDaPvRmT3_T4_T5_mT6_P12ihipStream_tbENKUlT_T0_E_clISt17integral_constantIbLb0EESY_IbLb1EEEEDaSU_SV_EUlSU_E_NS1_11comp_targetILNS1_3genE3ELNS1_11target_archE908ELNS1_3gpuE7ELNS1_3repE0EEENS1_30default_config_static_selectorELNS0_4arch9wavefront6targetE0EEEvT1_
		.amdhsa_group_segment_fixed_size 0
		.amdhsa_private_segment_fixed_size 0
		.amdhsa_kernarg_size 96
		.amdhsa_user_sgpr_count 15
		.amdhsa_user_sgpr_dispatch_ptr 0
		.amdhsa_user_sgpr_queue_ptr 0
		.amdhsa_user_sgpr_kernarg_segment_ptr 1
		.amdhsa_user_sgpr_dispatch_id 0
		.amdhsa_user_sgpr_private_segment_size 0
		.amdhsa_wavefront_size32 1
		.amdhsa_uses_dynamic_stack 0
		.amdhsa_enable_private_segment 0
		.amdhsa_system_sgpr_workgroup_id_x 1
		.amdhsa_system_sgpr_workgroup_id_y 0
		.amdhsa_system_sgpr_workgroup_id_z 0
		.amdhsa_system_sgpr_workgroup_info 0
		.amdhsa_system_vgpr_workitem_id 0
		.amdhsa_next_free_vgpr 1
		.amdhsa_next_free_sgpr 1
		.amdhsa_reserve_vcc 0
		.amdhsa_float_round_mode_32 0
		.amdhsa_float_round_mode_16_64 0
		.amdhsa_float_denorm_mode_32 3
		.amdhsa_float_denorm_mode_16_64 3
		.amdhsa_dx10_clamp 1
		.amdhsa_ieee_mode 1
		.amdhsa_fp16_overflow 0
		.amdhsa_workgroup_processor_mode 1
		.amdhsa_memory_ordered 1
		.amdhsa_forward_progress 0
		.amdhsa_shared_vgpr_count 0
		.amdhsa_exception_fp_ieee_invalid_op 0
		.amdhsa_exception_fp_denorm_src 0
		.amdhsa_exception_fp_ieee_div_zero 0
		.amdhsa_exception_fp_ieee_overflow 0
		.amdhsa_exception_fp_ieee_underflow 0
		.amdhsa_exception_fp_ieee_inexact 0
		.amdhsa_exception_int_div_zero 0
	.end_amdhsa_kernel
	.section	.text._ZN7rocprim17ROCPRIM_400000_NS6detail17trampoline_kernelINS0_14default_configENS1_20scan_config_selectorIhEEZZNS1_9scan_implILNS1_25lookback_scan_determinismE0ELb0ELb0ES3_N6thrust23THRUST_200600_302600_NS6detail15normal_iteratorINS9_7pointerIhNS9_11hip_rocprim5par_tENS9_11use_defaultESF_EEEENSB_INSC_IjSE_SF_SF_EEEEhNS9_4plusIvEEhEEDaPvRmT3_T4_T5_mT6_P12ihipStream_tbENKUlT_T0_E_clISt17integral_constantIbLb0EESY_IbLb1EEEEDaSU_SV_EUlSU_E_NS1_11comp_targetILNS1_3genE3ELNS1_11target_archE908ELNS1_3gpuE7ELNS1_3repE0EEENS1_30default_config_static_selectorELNS0_4arch9wavefront6targetE0EEEvT1_,"axG",@progbits,_ZN7rocprim17ROCPRIM_400000_NS6detail17trampoline_kernelINS0_14default_configENS1_20scan_config_selectorIhEEZZNS1_9scan_implILNS1_25lookback_scan_determinismE0ELb0ELb0ES3_N6thrust23THRUST_200600_302600_NS6detail15normal_iteratorINS9_7pointerIhNS9_11hip_rocprim5par_tENS9_11use_defaultESF_EEEENSB_INSC_IjSE_SF_SF_EEEEhNS9_4plusIvEEhEEDaPvRmT3_T4_T5_mT6_P12ihipStream_tbENKUlT_T0_E_clISt17integral_constantIbLb0EESY_IbLb1EEEEDaSU_SV_EUlSU_E_NS1_11comp_targetILNS1_3genE3ELNS1_11target_archE908ELNS1_3gpuE7ELNS1_3repE0EEENS1_30default_config_static_selectorELNS0_4arch9wavefront6targetE0EEEvT1_,comdat
.Lfunc_end172:
	.size	_ZN7rocprim17ROCPRIM_400000_NS6detail17trampoline_kernelINS0_14default_configENS1_20scan_config_selectorIhEEZZNS1_9scan_implILNS1_25lookback_scan_determinismE0ELb0ELb0ES3_N6thrust23THRUST_200600_302600_NS6detail15normal_iteratorINS9_7pointerIhNS9_11hip_rocprim5par_tENS9_11use_defaultESF_EEEENSB_INSC_IjSE_SF_SF_EEEEhNS9_4plusIvEEhEEDaPvRmT3_T4_T5_mT6_P12ihipStream_tbENKUlT_T0_E_clISt17integral_constantIbLb0EESY_IbLb1EEEEDaSU_SV_EUlSU_E_NS1_11comp_targetILNS1_3genE3ELNS1_11target_archE908ELNS1_3gpuE7ELNS1_3repE0EEENS1_30default_config_static_selectorELNS0_4arch9wavefront6targetE0EEEvT1_, .Lfunc_end172-_ZN7rocprim17ROCPRIM_400000_NS6detail17trampoline_kernelINS0_14default_configENS1_20scan_config_selectorIhEEZZNS1_9scan_implILNS1_25lookback_scan_determinismE0ELb0ELb0ES3_N6thrust23THRUST_200600_302600_NS6detail15normal_iteratorINS9_7pointerIhNS9_11hip_rocprim5par_tENS9_11use_defaultESF_EEEENSB_INSC_IjSE_SF_SF_EEEEhNS9_4plusIvEEhEEDaPvRmT3_T4_T5_mT6_P12ihipStream_tbENKUlT_T0_E_clISt17integral_constantIbLb0EESY_IbLb1EEEEDaSU_SV_EUlSU_E_NS1_11comp_targetILNS1_3genE3ELNS1_11target_archE908ELNS1_3gpuE7ELNS1_3repE0EEENS1_30default_config_static_selectorELNS0_4arch9wavefront6targetE0EEEvT1_
                                        ; -- End function
	.section	.AMDGPU.csdata,"",@progbits
; Kernel info:
; codeLenInByte = 0
; NumSgprs: 0
; NumVgprs: 0
; ScratchSize: 0
; MemoryBound: 0
; FloatMode: 240
; IeeeMode: 1
; LDSByteSize: 0 bytes/workgroup (compile time only)
; SGPRBlocks: 0
; VGPRBlocks: 0
; NumSGPRsForWavesPerEU: 1
; NumVGPRsForWavesPerEU: 1
; Occupancy: 16
; WaveLimiterHint : 0
; COMPUTE_PGM_RSRC2:SCRATCH_EN: 0
; COMPUTE_PGM_RSRC2:USER_SGPR: 15
; COMPUTE_PGM_RSRC2:TRAP_HANDLER: 0
; COMPUTE_PGM_RSRC2:TGID_X_EN: 1
; COMPUTE_PGM_RSRC2:TGID_Y_EN: 0
; COMPUTE_PGM_RSRC2:TGID_Z_EN: 0
; COMPUTE_PGM_RSRC2:TIDIG_COMP_CNT: 0
	.section	.text._ZN7rocprim17ROCPRIM_400000_NS6detail17trampoline_kernelINS0_14default_configENS1_20scan_config_selectorIhEEZZNS1_9scan_implILNS1_25lookback_scan_determinismE0ELb0ELb0ES3_N6thrust23THRUST_200600_302600_NS6detail15normal_iteratorINS9_7pointerIhNS9_11hip_rocprim5par_tENS9_11use_defaultESF_EEEENSB_INSC_IjSE_SF_SF_EEEEhNS9_4plusIvEEhEEDaPvRmT3_T4_T5_mT6_P12ihipStream_tbENKUlT_T0_E_clISt17integral_constantIbLb0EESY_IbLb1EEEEDaSU_SV_EUlSU_E_NS1_11comp_targetILNS1_3genE2ELNS1_11target_archE906ELNS1_3gpuE6ELNS1_3repE0EEENS1_30default_config_static_selectorELNS0_4arch9wavefront6targetE0EEEvT1_,"axG",@progbits,_ZN7rocprim17ROCPRIM_400000_NS6detail17trampoline_kernelINS0_14default_configENS1_20scan_config_selectorIhEEZZNS1_9scan_implILNS1_25lookback_scan_determinismE0ELb0ELb0ES3_N6thrust23THRUST_200600_302600_NS6detail15normal_iteratorINS9_7pointerIhNS9_11hip_rocprim5par_tENS9_11use_defaultESF_EEEENSB_INSC_IjSE_SF_SF_EEEEhNS9_4plusIvEEhEEDaPvRmT3_T4_T5_mT6_P12ihipStream_tbENKUlT_T0_E_clISt17integral_constantIbLb0EESY_IbLb1EEEEDaSU_SV_EUlSU_E_NS1_11comp_targetILNS1_3genE2ELNS1_11target_archE906ELNS1_3gpuE6ELNS1_3repE0EEENS1_30default_config_static_selectorELNS0_4arch9wavefront6targetE0EEEvT1_,comdat
	.protected	_ZN7rocprim17ROCPRIM_400000_NS6detail17trampoline_kernelINS0_14default_configENS1_20scan_config_selectorIhEEZZNS1_9scan_implILNS1_25lookback_scan_determinismE0ELb0ELb0ES3_N6thrust23THRUST_200600_302600_NS6detail15normal_iteratorINS9_7pointerIhNS9_11hip_rocprim5par_tENS9_11use_defaultESF_EEEENSB_INSC_IjSE_SF_SF_EEEEhNS9_4plusIvEEhEEDaPvRmT3_T4_T5_mT6_P12ihipStream_tbENKUlT_T0_E_clISt17integral_constantIbLb0EESY_IbLb1EEEEDaSU_SV_EUlSU_E_NS1_11comp_targetILNS1_3genE2ELNS1_11target_archE906ELNS1_3gpuE6ELNS1_3repE0EEENS1_30default_config_static_selectorELNS0_4arch9wavefront6targetE0EEEvT1_ ; -- Begin function _ZN7rocprim17ROCPRIM_400000_NS6detail17trampoline_kernelINS0_14default_configENS1_20scan_config_selectorIhEEZZNS1_9scan_implILNS1_25lookback_scan_determinismE0ELb0ELb0ES3_N6thrust23THRUST_200600_302600_NS6detail15normal_iteratorINS9_7pointerIhNS9_11hip_rocprim5par_tENS9_11use_defaultESF_EEEENSB_INSC_IjSE_SF_SF_EEEEhNS9_4plusIvEEhEEDaPvRmT3_T4_T5_mT6_P12ihipStream_tbENKUlT_T0_E_clISt17integral_constantIbLb0EESY_IbLb1EEEEDaSU_SV_EUlSU_E_NS1_11comp_targetILNS1_3genE2ELNS1_11target_archE906ELNS1_3gpuE6ELNS1_3repE0EEENS1_30default_config_static_selectorELNS0_4arch9wavefront6targetE0EEEvT1_
	.globl	_ZN7rocprim17ROCPRIM_400000_NS6detail17trampoline_kernelINS0_14default_configENS1_20scan_config_selectorIhEEZZNS1_9scan_implILNS1_25lookback_scan_determinismE0ELb0ELb0ES3_N6thrust23THRUST_200600_302600_NS6detail15normal_iteratorINS9_7pointerIhNS9_11hip_rocprim5par_tENS9_11use_defaultESF_EEEENSB_INSC_IjSE_SF_SF_EEEEhNS9_4plusIvEEhEEDaPvRmT3_T4_T5_mT6_P12ihipStream_tbENKUlT_T0_E_clISt17integral_constantIbLb0EESY_IbLb1EEEEDaSU_SV_EUlSU_E_NS1_11comp_targetILNS1_3genE2ELNS1_11target_archE906ELNS1_3gpuE6ELNS1_3repE0EEENS1_30default_config_static_selectorELNS0_4arch9wavefront6targetE0EEEvT1_
	.p2align	8
	.type	_ZN7rocprim17ROCPRIM_400000_NS6detail17trampoline_kernelINS0_14default_configENS1_20scan_config_selectorIhEEZZNS1_9scan_implILNS1_25lookback_scan_determinismE0ELb0ELb0ES3_N6thrust23THRUST_200600_302600_NS6detail15normal_iteratorINS9_7pointerIhNS9_11hip_rocprim5par_tENS9_11use_defaultESF_EEEENSB_INSC_IjSE_SF_SF_EEEEhNS9_4plusIvEEhEEDaPvRmT3_T4_T5_mT6_P12ihipStream_tbENKUlT_T0_E_clISt17integral_constantIbLb0EESY_IbLb1EEEEDaSU_SV_EUlSU_E_NS1_11comp_targetILNS1_3genE2ELNS1_11target_archE906ELNS1_3gpuE6ELNS1_3repE0EEENS1_30default_config_static_selectorELNS0_4arch9wavefront6targetE0EEEvT1_,@function
_ZN7rocprim17ROCPRIM_400000_NS6detail17trampoline_kernelINS0_14default_configENS1_20scan_config_selectorIhEEZZNS1_9scan_implILNS1_25lookback_scan_determinismE0ELb0ELb0ES3_N6thrust23THRUST_200600_302600_NS6detail15normal_iteratorINS9_7pointerIhNS9_11hip_rocprim5par_tENS9_11use_defaultESF_EEEENSB_INSC_IjSE_SF_SF_EEEEhNS9_4plusIvEEhEEDaPvRmT3_T4_T5_mT6_P12ihipStream_tbENKUlT_T0_E_clISt17integral_constantIbLb0EESY_IbLb1EEEEDaSU_SV_EUlSU_E_NS1_11comp_targetILNS1_3genE2ELNS1_11target_archE906ELNS1_3gpuE6ELNS1_3repE0EEENS1_30default_config_static_selectorELNS0_4arch9wavefront6targetE0EEEvT1_: ; @_ZN7rocprim17ROCPRIM_400000_NS6detail17trampoline_kernelINS0_14default_configENS1_20scan_config_selectorIhEEZZNS1_9scan_implILNS1_25lookback_scan_determinismE0ELb0ELb0ES3_N6thrust23THRUST_200600_302600_NS6detail15normal_iteratorINS9_7pointerIhNS9_11hip_rocprim5par_tENS9_11use_defaultESF_EEEENSB_INSC_IjSE_SF_SF_EEEEhNS9_4plusIvEEhEEDaPvRmT3_T4_T5_mT6_P12ihipStream_tbENKUlT_T0_E_clISt17integral_constantIbLb0EESY_IbLb1EEEEDaSU_SV_EUlSU_E_NS1_11comp_targetILNS1_3genE2ELNS1_11target_archE906ELNS1_3gpuE6ELNS1_3repE0EEENS1_30default_config_static_selectorELNS0_4arch9wavefront6targetE0EEEvT1_
; %bb.0:
	.section	.rodata,"a",@progbits
	.p2align	6, 0x0
	.amdhsa_kernel _ZN7rocprim17ROCPRIM_400000_NS6detail17trampoline_kernelINS0_14default_configENS1_20scan_config_selectorIhEEZZNS1_9scan_implILNS1_25lookback_scan_determinismE0ELb0ELb0ES3_N6thrust23THRUST_200600_302600_NS6detail15normal_iteratorINS9_7pointerIhNS9_11hip_rocprim5par_tENS9_11use_defaultESF_EEEENSB_INSC_IjSE_SF_SF_EEEEhNS9_4plusIvEEhEEDaPvRmT3_T4_T5_mT6_P12ihipStream_tbENKUlT_T0_E_clISt17integral_constantIbLb0EESY_IbLb1EEEEDaSU_SV_EUlSU_E_NS1_11comp_targetILNS1_3genE2ELNS1_11target_archE906ELNS1_3gpuE6ELNS1_3repE0EEENS1_30default_config_static_selectorELNS0_4arch9wavefront6targetE0EEEvT1_
		.amdhsa_group_segment_fixed_size 0
		.amdhsa_private_segment_fixed_size 0
		.amdhsa_kernarg_size 96
		.amdhsa_user_sgpr_count 15
		.amdhsa_user_sgpr_dispatch_ptr 0
		.amdhsa_user_sgpr_queue_ptr 0
		.amdhsa_user_sgpr_kernarg_segment_ptr 1
		.amdhsa_user_sgpr_dispatch_id 0
		.amdhsa_user_sgpr_private_segment_size 0
		.amdhsa_wavefront_size32 1
		.amdhsa_uses_dynamic_stack 0
		.amdhsa_enable_private_segment 0
		.amdhsa_system_sgpr_workgroup_id_x 1
		.amdhsa_system_sgpr_workgroup_id_y 0
		.amdhsa_system_sgpr_workgroup_id_z 0
		.amdhsa_system_sgpr_workgroup_info 0
		.amdhsa_system_vgpr_workitem_id 0
		.amdhsa_next_free_vgpr 1
		.amdhsa_next_free_sgpr 1
		.amdhsa_reserve_vcc 0
		.amdhsa_float_round_mode_32 0
		.amdhsa_float_round_mode_16_64 0
		.amdhsa_float_denorm_mode_32 3
		.amdhsa_float_denorm_mode_16_64 3
		.amdhsa_dx10_clamp 1
		.amdhsa_ieee_mode 1
		.amdhsa_fp16_overflow 0
		.amdhsa_workgroup_processor_mode 1
		.amdhsa_memory_ordered 1
		.amdhsa_forward_progress 0
		.amdhsa_shared_vgpr_count 0
		.amdhsa_exception_fp_ieee_invalid_op 0
		.amdhsa_exception_fp_denorm_src 0
		.amdhsa_exception_fp_ieee_div_zero 0
		.amdhsa_exception_fp_ieee_overflow 0
		.amdhsa_exception_fp_ieee_underflow 0
		.amdhsa_exception_fp_ieee_inexact 0
		.amdhsa_exception_int_div_zero 0
	.end_amdhsa_kernel
	.section	.text._ZN7rocprim17ROCPRIM_400000_NS6detail17trampoline_kernelINS0_14default_configENS1_20scan_config_selectorIhEEZZNS1_9scan_implILNS1_25lookback_scan_determinismE0ELb0ELb0ES3_N6thrust23THRUST_200600_302600_NS6detail15normal_iteratorINS9_7pointerIhNS9_11hip_rocprim5par_tENS9_11use_defaultESF_EEEENSB_INSC_IjSE_SF_SF_EEEEhNS9_4plusIvEEhEEDaPvRmT3_T4_T5_mT6_P12ihipStream_tbENKUlT_T0_E_clISt17integral_constantIbLb0EESY_IbLb1EEEEDaSU_SV_EUlSU_E_NS1_11comp_targetILNS1_3genE2ELNS1_11target_archE906ELNS1_3gpuE6ELNS1_3repE0EEENS1_30default_config_static_selectorELNS0_4arch9wavefront6targetE0EEEvT1_,"axG",@progbits,_ZN7rocprim17ROCPRIM_400000_NS6detail17trampoline_kernelINS0_14default_configENS1_20scan_config_selectorIhEEZZNS1_9scan_implILNS1_25lookback_scan_determinismE0ELb0ELb0ES3_N6thrust23THRUST_200600_302600_NS6detail15normal_iteratorINS9_7pointerIhNS9_11hip_rocprim5par_tENS9_11use_defaultESF_EEEENSB_INSC_IjSE_SF_SF_EEEEhNS9_4plusIvEEhEEDaPvRmT3_T4_T5_mT6_P12ihipStream_tbENKUlT_T0_E_clISt17integral_constantIbLb0EESY_IbLb1EEEEDaSU_SV_EUlSU_E_NS1_11comp_targetILNS1_3genE2ELNS1_11target_archE906ELNS1_3gpuE6ELNS1_3repE0EEENS1_30default_config_static_selectorELNS0_4arch9wavefront6targetE0EEEvT1_,comdat
.Lfunc_end173:
	.size	_ZN7rocprim17ROCPRIM_400000_NS6detail17trampoline_kernelINS0_14default_configENS1_20scan_config_selectorIhEEZZNS1_9scan_implILNS1_25lookback_scan_determinismE0ELb0ELb0ES3_N6thrust23THRUST_200600_302600_NS6detail15normal_iteratorINS9_7pointerIhNS9_11hip_rocprim5par_tENS9_11use_defaultESF_EEEENSB_INSC_IjSE_SF_SF_EEEEhNS9_4plusIvEEhEEDaPvRmT3_T4_T5_mT6_P12ihipStream_tbENKUlT_T0_E_clISt17integral_constantIbLb0EESY_IbLb1EEEEDaSU_SV_EUlSU_E_NS1_11comp_targetILNS1_3genE2ELNS1_11target_archE906ELNS1_3gpuE6ELNS1_3repE0EEENS1_30default_config_static_selectorELNS0_4arch9wavefront6targetE0EEEvT1_, .Lfunc_end173-_ZN7rocprim17ROCPRIM_400000_NS6detail17trampoline_kernelINS0_14default_configENS1_20scan_config_selectorIhEEZZNS1_9scan_implILNS1_25lookback_scan_determinismE0ELb0ELb0ES3_N6thrust23THRUST_200600_302600_NS6detail15normal_iteratorINS9_7pointerIhNS9_11hip_rocprim5par_tENS9_11use_defaultESF_EEEENSB_INSC_IjSE_SF_SF_EEEEhNS9_4plusIvEEhEEDaPvRmT3_T4_T5_mT6_P12ihipStream_tbENKUlT_T0_E_clISt17integral_constantIbLb0EESY_IbLb1EEEEDaSU_SV_EUlSU_E_NS1_11comp_targetILNS1_3genE2ELNS1_11target_archE906ELNS1_3gpuE6ELNS1_3repE0EEENS1_30default_config_static_selectorELNS0_4arch9wavefront6targetE0EEEvT1_
                                        ; -- End function
	.section	.AMDGPU.csdata,"",@progbits
; Kernel info:
; codeLenInByte = 0
; NumSgprs: 0
; NumVgprs: 0
; ScratchSize: 0
; MemoryBound: 0
; FloatMode: 240
; IeeeMode: 1
; LDSByteSize: 0 bytes/workgroup (compile time only)
; SGPRBlocks: 0
; VGPRBlocks: 0
; NumSGPRsForWavesPerEU: 1
; NumVGPRsForWavesPerEU: 1
; Occupancy: 16
; WaveLimiterHint : 0
; COMPUTE_PGM_RSRC2:SCRATCH_EN: 0
; COMPUTE_PGM_RSRC2:USER_SGPR: 15
; COMPUTE_PGM_RSRC2:TRAP_HANDLER: 0
; COMPUTE_PGM_RSRC2:TGID_X_EN: 1
; COMPUTE_PGM_RSRC2:TGID_Y_EN: 0
; COMPUTE_PGM_RSRC2:TGID_Z_EN: 0
; COMPUTE_PGM_RSRC2:TIDIG_COMP_CNT: 0
	.section	.text._ZN7rocprim17ROCPRIM_400000_NS6detail17trampoline_kernelINS0_14default_configENS1_20scan_config_selectorIhEEZZNS1_9scan_implILNS1_25lookback_scan_determinismE0ELb0ELb0ES3_N6thrust23THRUST_200600_302600_NS6detail15normal_iteratorINS9_7pointerIhNS9_11hip_rocprim5par_tENS9_11use_defaultESF_EEEENSB_INSC_IjSE_SF_SF_EEEEhNS9_4plusIvEEhEEDaPvRmT3_T4_T5_mT6_P12ihipStream_tbENKUlT_T0_E_clISt17integral_constantIbLb0EESY_IbLb1EEEEDaSU_SV_EUlSU_E_NS1_11comp_targetILNS1_3genE10ELNS1_11target_archE1201ELNS1_3gpuE5ELNS1_3repE0EEENS1_30default_config_static_selectorELNS0_4arch9wavefront6targetE0EEEvT1_,"axG",@progbits,_ZN7rocprim17ROCPRIM_400000_NS6detail17trampoline_kernelINS0_14default_configENS1_20scan_config_selectorIhEEZZNS1_9scan_implILNS1_25lookback_scan_determinismE0ELb0ELb0ES3_N6thrust23THRUST_200600_302600_NS6detail15normal_iteratorINS9_7pointerIhNS9_11hip_rocprim5par_tENS9_11use_defaultESF_EEEENSB_INSC_IjSE_SF_SF_EEEEhNS9_4plusIvEEhEEDaPvRmT3_T4_T5_mT6_P12ihipStream_tbENKUlT_T0_E_clISt17integral_constantIbLb0EESY_IbLb1EEEEDaSU_SV_EUlSU_E_NS1_11comp_targetILNS1_3genE10ELNS1_11target_archE1201ELNS1_3gpuE5ELNS1_3repE0EEENS1_30default_config_static_selectorELNS0_4arch9wavefront6targetE0EEEvT1_,comdat
	.protected	_ZN7rocprim17ROCPRIM_400000_NS6detail17trampoline_kernelINS0_14default_configENS1_20scan_config_selectorIhEEZZNS1_9scan_implILNS1_25lookback_scan_determinismE0ELb0ELb0ES3_N6thrust23THRUST_200600_302600_NS6detail15normal_iteratorINS9_7pointerIhNS9_11hip_rocprim5par_tENS9_11use_defaultESF_EEEENSB_INSC_IjSE_SF_SF_EEEEhNS9_4plusIvEEhEEDaPvRmT3_T4_T5_mT6_P12ihipStream_tbENKUlT_T0_E_clISt17integral_constantIbLb0EESY_IbLb1EEEEDaSU_SV_EUlSU_E_NS1_11comp_targetILNS1_3genE10ELNS1_11target_archE1201ELNS1_3gpuE5ELNS1_3repE0EEENS1_30default_config_static_selectorELNS0_4arch9wavefront6targetE0EEEvT1_ ; -- Begin function _ZN7rocprim17ROCPRIM_400000_NS6detail17trampoline_kernelINS0_14default_configENS1_20scan_config_selectorIhEEZZNS1_9scan_implILNS1_25lookback_scan_determinismE0ELb0ELb0ES3_N6thrust23THRUST_200600_302600_NS6detail15normal_iteratorINS9_7pointerIhNS9_11hip_rocprim5par_tENS9_11use_defaultESF_EEEENSB_INSC_IjSE_SF_SF_EEEEhNS9_4plusIvEEhEEDaPvRmT3_T4_T5_mT6_P12ihipStream_tbENKUlT_T0_E_clISt17integral_constantIbLb0EESY_IbLb1EEEEDaSU_SV_EUlSU_E_NS1_11comp_targetILNS1_3genE10ELNS1_11target_archE1201ELNS1_3gpuE5ELNS1_3repE0EEENS1_30default_config_static_selectorELNS0_4arch9wavefront6targetE0EEEvT1_
	.globl	_ZN7rocprim17ROCPRIM_400000_NS6detail17trampoline_kernelINS0_14default_configENS1_20scan_config_selectorIhEEZZNS1_9scan_implILNS1_25lookback_scan_determinismE0ELb0ELb0ES3_N6thrust23THRUST_200600_302600_NS6detail15normal_iteratorINS9_7pointerIhNS9_11hip_rocprim5par_tENS9_11use_defaultESF_EEEENSB_INSC_IjSE_SF_SF_EEEEhNS9_4plusIvEEhEEDaPvRmT3_T4_T5_mT6_P12ihipStream_tbENKUlT_T0_E_clISt17integral_constantIbLb0EESY_IbLb1EEEEDaSU_SV_EUlSU_E_NS1_11comp_targetILNS1_3genE10ELNS1_11target_archE1201ELNS1_3gpuE5ELNS1_3repE0EEENS1_30default_config_static_selectorELNS0_4arch9wavefront6targetE0EEEvT1_
	.p2align	8
	.type	_ZN7rocprim17ROCPRIM_400000_NS6detail17trampoline_kernelINS0_14default_configENS1_20scan_config_selectorIhEEZZNS1_9scan_implILNS1_25lookback_scan_determinismE0ELb0ELb0ES3_N6thrust23THRUST_200600_302600_NS6detail15normal_iteratorINS9_7pointerIhNS9_11hip_rocprim5par_tENS9_11use_defaultESF_EEEENSB_INSC_IjSE_SF_SF_EEEEhNS9_4plusIvEEhEEDaPvRmT3_T4_T5_mT6_P12ihipStream_tbENKUlT_T0_E_clISt17integral_constantIbLb0EESY_IbLb1EEEEDaSU_SV_EUlSU_E_NS1_11comp_targetILNS1_3genE10ELNS1_11target_archE1201ELNS1_3gpuE5ELNS1_3repE0EEENS1_30default_config_static_selectorELNS0_4arch9wavefront6targetE0EEEvT1_,@function
_ZN7rocprim17ROCPRIM_400000_NS6detail17trampoline_kernelINS0_14default_configENS1_20scan_config_selectorIhEEZZNS1_9scan_implILNS1_25lookback_scan_determinismE0ELb0ELb0ES3_N6thrust23THRUST_200600_302600_NS6detail15normal_iteratorINS9_7pointerIhNS9_11hip_rocprim5par_tENS9_11use_defaultESF_EEEENSB_INSC_IjSE_SF_SF_EEEEhNS9_4plusIvEEhEEDaPvRmT3_T4_T5_mT6_P12ihipStream_tbENKUlT_T0_E_clISt17integral_constantIbLb0EESY_IbLb1EEEEDaSU_SV_EUlSU_E_NS1_11comp_targetILNS1_3genE10ELNS1_11target_archE1201ELNS1_3gpuE5ELNS1_3repE0EEENS1_30default_config_static_selectorELNS0_4arch9wavefront6targetE0EEEvT1_: ; @_ZN7rocprim17ROCPRIM_400000_NS6detail17trampoline_kernelINS0_14default_configENS1_20scan_config_selectorIhEEZZNS1_9scan_implILNS1_25lookback_scan_determinismE0ELb0ELb0ES3_N6thrust23THRUST_200600_302600_NS6detail15normal_iteratorINS9_7pointerIhNS9_11hip_rocprim5par_tENS9_11use_defaultESF_EEEENSB_INSC_IjSE_SF_SF_EEEEhNS9_4plusIvEEhEEDaPvRmT3_T4_T5_mT6_P12ihipStream_tbENKUlT_T0_E_clISt17integral_constantIbLb0EESY_IbLb1EEEEDaSU_SV_EUlSU_E_NS1_11comp_targetILNS1_3genE10ELNS1_11target_archE1201ELNS1_3gpuE5ELNS1_3repE0EEENS1_30default_config_static_selectorELNS0_4arch9wavefront6targetE0EEEvT1_
; %bb.0:
	.section	.rodata,"a",@progbits
	.p2align	6, 0x0
	.amdhsa_kernel _ZN7rocprim17ROCPRIM_400000_NS6detail17trampoline_kernelINS0_14default_configENS1_20scan_config_selectorIhEEZZNS1_9scan_implILNS1_25lookback_scan_determinismE0ELb0ELb0ES3_N6thrust23THRUST_200600_302600_NS6detail15normal_iteratorINS9_7pointerIhNS9_11hip_rocprim5par_tENS9_11use_defaultESF_EEEENSB_INSC_IjSE_SF_SF_EEEEhNS9_4plusIvEEhEEDaPvRmT3_T4_T5_mT6_P12ihipStream_tbENKUlT_T0_E_clISt17integral_constantIbLb0EESY_IbLb1EEEEDaSU_SV_EUlSU_E_NS1_11comp_targetILNS1_3genE10ELNS1_11target_archE1201ELNS1_3gpuE5ELNS1_3repE0EEENS1_30default_config_static_selectorELNS0_4arch9wavefront6targetE0EEEvT1_
		.amdhsa_group_segment_fixed_size 0
		.amdhsa_private_segment_fixed_size 0
		.amdhsa_kernarg_size 96
		.amdhsa_user_sgpr_count 15
		.amdhsa_user_sgpr_dispatch_ptr 0
		.amdhsa_user_sgpr_queue_ptr 0
		.amdhsa_user_sgpr_kernarg_segment_ptr 1
		.amdhsa_user_sgpr_dispatch_id 0
		.amdhsa_user_sgpr_private_segment_size 0
		.amdhsa_wavefront_size32 1
		.amdhsa_uses_dynamic_stack 0
		.amdhsa_enable_private_segment 0
		.amdhsa_system_sgpr_workgroup_id_x 1
		.amdhsa_system_sgpr_workgroup_id_y 0
		.amdhsa_system_sgpr_workgroup_id_z 0
		.amdhsa_system_sgpr_workgroup_info 0
		.amdhsa_system_vgpr_workitem_id 0
		.amdhsa_next_free_vgpr 1
		.amdhsa_next_free_sgpr 1
		.amdhsa_reserve_vcc 0
		.amdhsa_float_round_mode_32 0
		.amdhsa_float_round_mode_16_64 0
		.amdhsa_float_denorm_mode_32 3
		.amdhsa_float_denorm_mode_16_64 3
		.amdhsa_dx10_clamp 1
		.amdhsa_ieee_mode 1
		.amdhsa_fp16_overflow 0
		.amdhsa_workgroup_processor_mode 1
		.amdhsa_memory_ordered 1
		.amdhsa_forward_progress 0
		.amdhsa_shared_vgpr_count 0
		.amdhsa_exception_fp_ieee_invalid_op 0
		.amdhsa_exception_fp_denorm_src 0
		.amdhsa_exception_fp_ieee_div_zero 0
		.amdhsa_exception_fp_ieee_overflow 0
		.amdhsa_exception_fp_ieee_underflow 0
		.amdhsa_exception_fp_ieee_inexact 0
		.amdhsa_exception_int_div_zero 0
	.end_amdhsa_kernel
	.section	.text._ZN7rocprim17ROCPRIM_400000_NS6detail17trampoline_kernelINS0_14default_configENS1_20scan_config_selectorIhEEZZNS1_9scan_implILNS1_25lookback_scan_determinismE0ELb0ELb0ES3_N6thrust23THRUST_200600_302600_NS6detail15normal_iteratorINS9_7pointerIhNS9_11hip_rocprim5par_tENS9_11use_defaultESF_EEEENSB_INSC_IjSE_SF_SF_EEEEhNS9_4plusIvEEhEEDaPvRmT3_T4_T5_mT6_P12ihipStream_tbENKUlT_T0_E_clISt17integral_constantIbLb0EESY_IbLb1EEEEDaSU_SV_EUlSU_E_NS1_11comp_targetILNS1_3genE10ELNS1_11target_archE1201ELNS1_3gpuE5ELNS1_3repE0EEENS1_30default_config_static_selectorELNS0_4arch9wavefront6targetE0EEEvT1_,"axG",@progbits,_ZN7rocprim17ROCPRIM_400000_NS6detail17trampoline_kernelINS0_14default_configENS1_20scan_config_selectorIhEEZZNS1_9scan_implILNS1_25lookback_scan_determinismE0ELb0ELb0ES3_N6thrust23THRUST_200600_302600_NS6detail15normal_iteratorINS9_7pointerIhNS9_11hip_rocprim5par_tENS9_11use_defaultESF_EEEENSB_INSC_IjSE_SF_SF_EEEEhNS9_4plusIvEEhEEDaPvRmT3_T4_T5_mT6_P12ihipStream_tbENKUlT_T0_E_clISt17integral_constantIbLb0EESY_IbLb1EEEEDaSU_SV_EUlSU_E_NS1_11comp_targetILNS1_3genE10ELNS1_11target_archE1201ELNS1_3gpuE5ELNS1_3repE0EEENS1_30default_config_static_selectorELNS0_4arch9wavefront6targetE0EEEvT1_,comdat
.Lfunc_end174:
	.size	_ZN7rocprim17ROCPRIM_400000_NS6detail17trampoline_kernelINS0_14default_configENS1_20scan_config_selectorIhEEZZNS1_9scan_implILNS1_25lookback_scan_determinismE0ELb0ELb0ES3_N6thrust23THRUST_200600_302600_NS6detail15normal_iteratorINS9_7pointerIhNS9_11hip_rocprim5par_tENS9_11use_defaultESF_EEEENSB_INSC_IjSE_SF_SF_EEEEhNS9_4plusIvEEhEEDaPvRmT3_T4_T5_mT6_P12ihipStream_tbENKUlT_T0_E_clISt17integral_constantIbLb0EESY_IbLb1EEEEDaSU_SV_EUlSU_E_NS1_11comp_targetILNS1_3genE10ELNS1_11target_archE1201ELNS1_3gpuE5ELNS1_3repE0EEENS1_30default_config_static_selectorELNS0_4arch9wavefront6targetE0EEEvT1_, .Lfunc_end174-_ZN7rocprim17ROCPRIM_400000_NS6detail17trampoline_kernelINS0_14default_configENS1_20scan_config_selectorIhEEZZNS1_9scan_implILNS1_25lookback_scan_determinismE0ELb0ELb0ES3_N6thrust23THRUST_200600_302600_NS6detail15normal_iteratorINS9_7pointerIhNS9_11hip_rocprim5par_tENS9_11use_defaultESF_EEEENSB_INSC_IjSE_SF_SF_EEEEhNS9_4plusIvEEhEEDaPvRmT3_T4_T5_mT6_P12ihipStream_tbENKUlT_T0_E_clISt17integral_constantIbLb0EESY_IbLb1EEEEDaSU_SV_EUlSU_E_NS1_11comp_targetILNS1_3genE10ELNS1_11target_archE1201ELNS1_3gpuE5ELNS1_3repE0EEENS1_30default_config_static_selectorELNS0_4arch9wavefront6targetE0EEEvT1_
                                        ; -- End function
	.section	.AMDGPU.csdata,"",@progbits
; Kernel info:
; codeLenInByte = 0
; NumSgprs: 0
; NumVgprs: 0
; ScratchSize: 0
; MemoryBound: 0
; FloatMode: 240
; IeeeMode: 1
; LDSByteSize: 0 bytes/workgroup (compile time only)
; SGPRBlocks: 0
; VGPRBlocks: 0
; NumSGPRsForWavesPerEU: 1
; NumVGPRsForWavesPerEU: 1
; Occupancy: 16
; WaveLimiterHint : 0
; COMPUTE_PGM_RSRC2:SCRATCH_EN: 0
; COMPUTE_PGM_RSRC2:USER_SGPR: 15
; COMPUTE_PGM_RSRC2:TRAP_HANDLER: 0
; COMPUTE_PGM_RSRC2:TGID_X_EN: 1
; COMPUTE_PGM_RSRC2:TGID_Y_EN: 0
; COMPUTE_PGM_RSRC2:TGID_Z_EN: 0
; COMPUTE_PGM_RSRC2:TIDIG_COMP_CNT: 0
	.section	.text._ZN7rocprim17ROCPRIM_400000_NS6detail17trampoline_kernelINS0_14default_configENS1_20scan_config_selectorIhEEZZNS1_9scan_implILNS1_25lookback_scan_determinismE0ELb0ELb0ES3_N6thrust23THRUST_200600_302600_NS6detail15normal_iteratorINS9_7pointerIhNS9_11hip_rocprim5par_tENS9_11use_defaultESF_EEEENSB_INSC_IjSE_SF_SF_EEEEhNS9_4plusIvEEhEEDaPvRmT3_T4_T5_mT6_P12ihipStream_tbENKUlT_T0_E_clISt17integral_constantIbLb0EESY_IbLb1EEEEDaSU_SV_EUlSU_E_NS1_11comp_targetILNS1_3genE10ELNS1_11target_archE1200ELNS1_3gpuE4ELNS1_3repE0EEENS1_30default_config_static_selectorELNS0_4arch9wavefront6targetE0EEEvT1_,"axG",@progbits,_ZN7rocprim17ROCPRIM_400000_NS6detail17trampoline_kernelINS0_14default_configENS1_20scan_config_selectorIhEEZZNS1_9scan_implILNS1_25lookback_scan_determinismE0ELb0ELb0ES3_N6thrust23THRUST_200600_302600_NS6detail15normal_iteratorINS9_7pointerIhNS9_11hip_rocprim5par_tENS9_11use_defaultESF_EEEENSB_INSC_IjSE_SF_SF_EEEEhNS9_4plusIvEEhEEDaPvRmT3_T4_T5_mT6_P12ihipStream_tbENKUlT_T0_E_clISt17integral_constantIbLb0EESY_IbLb1EEEEDaSU_SV_EUlSU_E_NS1_11comp_targetILNS1_3genE10ELNS1_11target_archE1200ELNS1_3gpuE4ELNS1_3repE0EEENS1_30default_config_static_selectorELNS0_4arch9wavefront6targetE0EEEvT1_,comdat
	.protected	_ZN7rocprim17ROCPRIM_400000_NS6detail17trampoline_kernelINS0_14default_configENS1_20scan_config_selectorIhEEZZNS1_9scan_implILNS1_25lookback_scan_determinismE0ELb0ELb0ES3_N6thrust23THRUST_200600_302600_NS6detail15normal_iteratorINS9_7pointerIhNS9_11hip_rocprim5par_tENS9_11use_defaultESF_EEEENSB_INSC_IjSE_SF_SF_EEEEhNS9_4plusIvEEhEEDaPvRmT3_T4_T5_mT6_P12ihipStream_tbENKUlT_T0_E_clISt17integral_constantIbLb0EESY_IbLb1EEEEDaSU_SV_EUlSU_E_NS1_11comp_targetILNS1_3genE10ELNS1_11target_archE1200ELNS1_3gpuE4ELNS1_3repE0EEENS1_30default_config_static_selectorELNS0_4arch9wavefront6targetE0EEEvT1_ ; -- Begin function _ZN7rocprim17ROCPRIM_400000_NS6detail17trampoline_kernelINS0_14default_configENS1_20scan_config_selectorIhEEZZNS1_9scan_implILNS1_25lookback_scan_determinismE0ELb0ELb0ES3_N6thrust23THRUST_200600_302600_NS6detail15normal_iteratorINS9_7pointerIhNS9_11hip_rocprim5par_tENS9_11use_defaultESF_EEEENSB_INSC_IjSE_SF_SF_EEEEhNS9_4plusIvEEhEEDaPvRmT3_T4_T5_mT6_P12ihipStream_tbENKUlT_T0_E_clISt17integral_constantIbLb0EESY_IbLb1EEEEDaSU_SV_EUlSU_E_NS1_11comp_targetILNS1_3genE10ELNS1_11target_archE1200ELNS1_3gpuE4ELNS1_3repE0EEENS1_30default_config_static_selectorELNS0_4arch9wavefront6targetE0EEEvT1_
	.globl	_ZN7rocprim17ROCPRIM_400000_NS6detail17trampoline_kernelINS0_14default_configENS1_20scan_config_selectorIhEEZZNS1_9scan_implILNS1_25lookback_scan_determinismE0ELb0ELb0ES3_N6thrust23THRUST_200600_302600_NS6detail15normal_iteratorINS9_7pointerIhNS9_11hip_rocprim5par_tENS9_11use_defaultESF_EEEENSB_INSC_IjSE_SF_SF_EEEEhNS9_4plusIvEEhEEDaPvRmT3_T4_T5_mT6_P12ihipStream_tbENKUlT_T0_E_clISt17integral_constantIbLb0EESY_IbLb1EEEEDaSU_SV_EUlSU_E_NS1_11comp_targetILNS1_3genE10ELNS1_11target_archE1200ELNS1_3gpuE4ELNS1_3repE0EEENS1_30default_config_static_selectorELNS0_4arch9wavefront6targetE0EEEvT1_
	.p2align	8
	.type	_ZN7rocprim17ROCPRIM_400000_NS6detail17trampoline_kernelINS0_14default_configENS1_20scan_config_selectorIhEEZZNS1_9scan_implILNS1_25lookback_scan_determinismE0ELb0ELb0ES3_N6thrust23THRUST_200600_302600_NS6detail15normal_iteratorINS9_7pointerIhNS9_11hip_rocprim5par_tENS9_11use_defaultESF_EEEENSB_INSC_IjSE_SF_SF_EEEEhNS9_4plusIvEEhEEDaPvRmT3_T4_T5_mT6_P12ihipStream_tbENKUlT_T0_E_clISt17integral_constantIbLb0EESY_IbLb1EEEEDaSU_SV_EUlSU_E_NS1_11comp_targetILNS1_3genE10ELNS1_11target_archE1200ELNS1_3gpuE4ELNS1_3repE0EEENS1_30default_config_static_selectorELNS0_4arch9wavefront6targetE0EEEvT1_,@function
_ZN7rocprim17ROCPRIM_400000_NS6detail17trampoline_kernelINS0_14default_configENS1_20scan_config_selectorIhEEZZNS1_9scan_implILNS1_25lookback_scan_determinismE0ELb0ELb0ES3_N6thrust23THRUST_200600_302600_NS6detail15normal_iteratorINS9_7pointerIhNS9_11hip_rocprim5par_tENS9_11use_defaultESF_EEEENSB_INSC_IjSE_SF_SF_EEEEhNS9_4plusIvEEhEEDaPvRmT3_T4_T5_mT6_P12ihipStream_tbENKUlT_T0_E_clISt17integral_constantIbLb0EESY_IbLb1EEEEDaSU_SV_EUlSU_E_NS1_11comp_targetILNS1_3genE10ELNS1_11target_archE1200ELNS1_3gpuE4ELNS1_3repE0EEENS1_30default_config_static_selectorELNS0_4arch9wavefront6targetE0EEEvT1_: ; @_ZN7rocprim17ROCPRIM_400000_NS6detail17trampoline_kernelINS0_14default_configENS1_20scan_config_selectorIhEEZZNS1_9scan_implILNS1_25lookback_scan_determinismE0ELb0ELb0ES3_N6thrust23THRUST_200600_302600_NS6detail15normal_iteratorINS9_7pointerIhNS9_11hip_rocprim5par_tENS9_11use_defaultESF_EEEENSB_INSC_IjSE_SF_SF_EEEEhNS9_4plusIvEEhEEDaPvRmT3_T4_T5_mT6_P12ihipStream_tbENKUlT_T0_E_clISt17integral_constantIbLb0EESY_IbLb1EEEEDaSU_SV_EUlSU_E_NS1_11comp_targetILNS1_3genE10ELNS1_11target_archE1200ELNS1_3gpuE4ELNS1_3repE0EEENS1_30default_config_static_selectorELNS0_4arch9wavefront6targetE0EEEvT1_
; %bb.0:
	.section	.rodata,"a",@progbits
	.p2align	6, 0x0
	.amdhsa_kernel _ZN7rocprim17ROCPRIM_400000_NS6detail17trampoline_kernelINS0_14default_configENS1_20scan_config_selectorIhEEZZNS1_9scan_implILNS1_25lookback_scan_determinismE0ELb0ELb0ES3_N6thrust23THRUST_200600_302600_NS6detail15normal_iteratorINS9_7pointerIhNS9_11hip_rocprim5par_tENS9_11use_defaultESF_EEEENSB_INSC_IjSE_SF_SF_EEEEhNS9_4plusIvEEhEEDaPvRmT3_T4_T5_mT6_P12ihipStream_tbENKUlT_T0_E_clISt17integral_constantIbLb0EESY_IbLb1EEEEDaSU_SV_EUlSU_E_NS1_11comp_targetILNS1_3genE10ELNS1_11target_archE1200ELNS1_3gpuE4ELNS1_3repE0EEENS1_30default_config_static_selectorELNS0_4arch9wavefront6targetE0EEEvT1_
		.amdhsa_group_segment_fixed_size 0
		.amdhsa_private_segment_fixed_size 0
		.amdhsa_kernarg_size 96
		.amdhsa_user_sgpr_count 15
		.amdhsa_user_sgpr_dispatch_ptr 0
		.amdhsa_user_sgpr_queue_ptr 0
		.amdhsa_user_sgpr_kernarg_segment_ptr 1
		.amdhsa_user_sgpr_dispatch_id 0
		.amdhsa_user_sgpr_private_segment_size 0
		.amdhsa_wavefront_size32 1
		.amdhsa_uses_dynamic_stack 0
		.amdhsa_enable_private_segment 0
		.amdhsa_system_sgpr_workgroup_id_x 1
		.amdhsa_system_sgpr_workgroup_id_y 0
		.amdhsa_system_sgpr_workgroup_id_z 0
		.amdhsa_system_sgpr_workgroup_info 0
		.amdhsa_system_vgpr_workitem_id 0
		.amdhsa_next_free_vgpr 1
		.amdhsa_next_free_sgpr 1
		.amdhsa_reserve_vcc 0
		.amdhsa_float_round_mode_32 0
		.amdhsa_float_round_mode_16_64 0
		.amdhsa_float_denorm_mode_32 3
		.amdhsa_float_denorm_mode_16_64 3
		.amdhsa_dx10_clamp 1
		.amdhsa_ieee_mode 1
		.amdhsa_fp16_overflow 0
		.amdhsa_workgroup_processor_mode 1
		.amdhsa_memory_ordered 1
		.amdhsa_forward_progress 0
		.amdhsa_shared_vgpr_count 0
		.amdhsa_exception_fp_ieee_invalid_op 0
		.amdhsa_exception_fp_denorm_src 0
		.amdhsa_exception_fp_ieee_div_zero 0
		.amdhsa_exception_fp_ieee_overflow 0
		.amdhsa_exception_fp_ieee_underflow 0
		.amdhsa_exception_fp_ieee_inexact 0
		.amdhsa_exception_int_div_zero 0
	.end_amdhsa_kernel
	.section	.text._ZN7rocprim17ROCPRIM_400000_NS6detail17trampoline_kernelINS0_14default_configENS1_20scan_config_selectorIhEEZZNS1_9scan_implILNS1_25lookback_scan_determinismE0ELb0ELb0ES3_N6thrust23THRUST_200600_302600_NS6detail15normal_iteratorINS9_7pointerIhNS9_11hip_rocprim5par_tENS9_11use_defaultESF_EEEENSB_INSC_IjSE_SF_SF_EEEEhNS9_4plusIvEEhEEDaPvRmT3_T4_T5_mT6_P12ihipStream_tbENKUlT_T0_E_clISt17integral_constantIbLb0EESY_IbLb1EEEEDaSU_SV_EUlSU_E_NS1_11comp_targetILNS1_3genE10ELNS1_11target_archE1200ELNS1_3gpuE4ELNS1_3repE0EEENS1_30default_config_static_selectorELNS0_4arch9wavefront6targetE0EEEvT1_,"axG",@progbits,_ZN7rocprim17ROCPRIM_400000_NS6detail17trampoline_kernelINS0_14default_configENS1_20scan_config_selectorIhEEZZNS1_9scan_implILNS1_25lookback_scan_determinismE0ELb0ELb0ES3_N6thrust23THRUST_200600_302600_NS6detail15normal_iteratorINS9_7pointerIhNS9_11hip_rocprim5par_tENS9_11use_defaultESF_EEEENSB_INSC_IjSE_SF_SF_EEEEhNS9_4plusIvEEhEEDaPvRmT3_T4_T5_mT6_P12ihipStream_tbENKUlT_T0_E_clISt17integral_constantIbLb0EESY_IbLb1EEEEDaSU_SV_EUlSU_E_NS1_11comp_targetILNS1_3genE10ELNS1_11target_archE1200ELNS1_3gpuE4ELNS1_3repE0EEENS1_30default_config_static_selectorELNS0_4arch9wavefront6targetE0EEEvT1_,comdat
.Lfunc_end175:
	.size	_ZN7rocprim17ROCPRIM_400000_NS6detail17trampoline_kernelINS0_14default_configENS1_20scan_config_selectorIhEEZZNS1_9scan_implILNS1_25lookback_scan_determinismE0ELb0ELb0ES3_N6thrust23THRUST_200600_302600_NS6detail15normal_iteratorINS9_7pointerIhNS9_11hip_rocprim5par_tENS9_11use_defaultESF_EEEENSB_INSC_IjSE_SF_SF_EEEEhNS9_4plusIvEEhEEDaPvRmT3_T4_T5_mT6_P12ihipStream_tbENKUlT_T0_E_clISt17integral_constantIbLb0EESY_IbLb1EEEEDaSU_SV_EUlSU_E_NS1_11comp_targetILNS1_3genE10ELNS1_11target_archE1200ELNS1_3gpuE4ELNS1_3repE0EEENS1_30default_config_static_selectorELNS0_4arch9wavefront6targetE0EEEvT1_, .Lfunc_end175-_ZN7rocprim17ROCPRIM_400000_NS6detail17trampoline_kernelINS0_14default_configENS1_20scan_config_selectorIhEEZZNS1_9scan_implILNS1_25lookback_scan_determinismE0ELb0ELb0ES3_N6thrust23THRUST_200600_302600_NS6detail15normal_iteratorINS9_7pointerIhNS9_11hip_rocprim5par_tENS9_11use_defaultESF_EEEENSB_INSC_IjSE_SF_SF_EEEEhNS9_4plusIvEEhEEDaPvRmT3_T4_T5_mT6_P12ihipStream_tbENKUlT_T0_E_clISt17integral_constantIbLb0EESY_IbLb1EEEEDaSU_SV_EUlSU_E_NS1_11comp_targetILNS1_3genE10ELNS1_11target_archE1200ELNS1_3gpuE4ELNS1_3repE0EEENS1_30default_config_static_selectorELNS0_4arch9wavefront6targetE0EEEvT1_
                                        ; -- End function
	.section	.AMDGPU.csdata,"",@progbits
; Kernel info:
; codeLenInByte = 0
; NumSgprs: 0
; NumVgprs: 0
; ScratchSize: 0
; MemoryBound: 0
; FloatMode: 240
; IeeeMode: 1
; LDSByteSize: 0 bytes/workgroup (compile time only)
; SGPRBlocks: 0
; VGPRBlocks: 0
; NumSGPRsForWavesPerEU: 1
; NumVGPRsForWavesPerEU: 1
; Occupancy: 16
; WaveLimiterHint : 0
; COMPUTE_PGM_RSRC2:SCRATCH_EN: 0
; COMPUTE_PGM_RSRC2:USER_SGPR: 15
; COMPUTE_PGM_RSRC2:TRAP_HANDLER: 0
; COMPUTE_PGM_RSRC2:TGID_X_EN: 1
; COMPUTE_PGM_RSRC2:TGID_Y_EN: 0
; COMPUTE_PGM_RSRC2:TGID_Z_EN: 0
; COMPUTE_PGM_RSRC2:TIDIG_COMP_CNT: 0
	.section	.text._ZN7rocprim17ROCPRIM_400000_NS6detail17trampoline_kernelINS0_14default_configENS1_20scan_config_selectorIhEEZZNS1_9scan_implILNS1_25lookback_scan_determinismE0ELb0ELb0ES3_N6thrust23THRUST_200600_302600_NS6detail15normal_iteratorINS9_7pointerIhNS9_11hip_rocprim5par_tENS9_11use_defaultESF_EEEENSB_INSC_IjSE_SF_SF_EEEEhNS9_4plusIvEEhEEDaPvRmT3_T4_T5_mT6_P12ihipStream_tbENKUlT_T0_E_clISt17integral_constantIbLb0EESY_IbLb1EEEEDaSU_SV_EUlSU_E_NS1_11comp_targetILNS1_3genE9ELNS1_11target_archE1100ELNS1_3gpuE3ELNS1_3repE0EEENS1_30default_config_static_selectorELNS0_4arch9wavefront6targetE0EEEvT1_,"axG",@progbits,_ZN7rocprim17ROCPRIM_400000_NS6detail17trampoline_kernelINS0_14default_configENS1_20scan_config_selectorIhEEZZNS1_9scan_implILNS1_25lookback_scan_determinismE0ELb0ELb0ES3_N6thrust23THRUST_200600_302600_NS6detail15normal_iteratorINS9_7pointerIhNS9_11hip_rocprim5par_tENS9_11use_defaultESF_EEEENSB_INSC_IjSE_SF_SF_EEEEhNS9_4plusIvEEhEEDaPvRmT3_T4_T5_mT6_P12ihipStream_tbENKUlT_T0_E_clISt17integral_constantIbLb0EESY_IbLb1EEEEDaSU_SV_EUlSU_E_NS1_11comp_targetILNS1_3genE9ELNS1_11target_archE1100ELNS1_3gpuE3ELNS1_3repE0EEENS1_30default_config_static_selectorELNS0_4arch9wavefront6targetE0EEEvT1_,comdat
	.protected	_ZN7rocprim17ROCPRIM_400000_NS6detail17trampoline_kernelINS0_14default_configENS1_20scan_config_selectorIhEEZZNS1_9scan_implILNS1_25lookback_scan_determinismE0ELb0ELb0ES3_N6thrust23THRUST_200600_302600_NS6detail15normal_iteratorINS9_7pointerIhNS9_11hip_rocprim5par_tENS9_11use_defaultESF_EEEENSB_INSC_IjSE_SF_SF_EEEEhNS9_4plusIvEEhEEDaPvRmT3_T4_T5_mT6_P12ihipStream_tbENKUlT_T0_E_clISt17integral_constantIbLb0EESY_IbLb1EEEEDaSU_SV_EUlSU_E_NS1_11comp_targetILNS1_3genE9ELNS1_11target_archE1100ELNS1_3gpuE3ELNS1_3repE0EEENS1_30default_config_static_selectorELNS0_4arch9wavefront6targetE0EEEvT1_ ; -- Begin function _ZN7rocprim17ROCPRIM_400000_NS6detail17trampoline_kernelINS0_14default_configENS1_20scan_config_selectorIhEEZZNS1_9scan_implILNS1_25lookback_scan_determinismE0ELb0ELb0ES3_N6thrust23THRUST_200600_302600_NS6detail15normal_iteratorINS9_7pointerIhNS9_11hip_rocprim5par_tENS9_11use_defaultESF_EEEENSB_INSC_IjSE_SF_SF_EEEEhNS9_4plusIvEEhEEDaPvRmT3_T4_T5_mT6_P12ihipStream_tbENKUlT_T0_E_clISt17integral_constantIbLb0EESY_IbLb1EEEEDaSU_SV_EUlSU_E_NS1_11comp_targetILNS1_3genE9ELNS1_11target_archE1100ELNS1_3gpuE3ELNS1_3repE0EEENS1_30default_config_static_selectorELNS0_4arch9wavefront6targetE0EEEvT1_
	.globl	_ZN7rocprim17ROCPRIM_400000_NS6detail17trampoline_kernelINS0_14default_configENS1_20scan_config_selectorIhEEZZNS1_9scan_implILNS1_25lookback_scan_determinismE0ELb0ELb0ES3_N6thrust23THRUST_200600_302600_NS6detail15normal_iteratorINS9_7pointerIhNS9_11hip_rocprim5par_tENS9_11use_defaultESF_EEEENSB_INSC_IjSE_SF_SF_EEEEhNS9_4plusIvEEhEEDaPvRmT3_T4_T5_mT6_P12ihipStream_tbENKUlT_T0_E_clISt17integral_constantIbLb0EESY_IbLb1EEEEDaSU_SV_EUlSU_E_NS1_11comp_targetILNS1_3genE9ELNS1_11target_archE1100ELNS1_3gpuE3ELNS1_3repE0EEENS1_30default_config_static_selectorELNS0_4arch9wavefront6targetE0EEEvT1_
	.p2align	8
	.type	_ZN7rocprim17ROCPRIM_400000_NS6detail17trampoline_kernelINS0_14default_configENS1_20scan_config_selectorIhEEZZNS1_9scan_implILNS1_25lookback_scan_determinismE0ELb0ELb0ES3_N6thrust23THRUST_200600_302600_NS6detail15normal_iteratorINS9_7pointerIhNS9_11hip_rocprim5par_tENS9_11use_defaultESF_EEEENSB_INSC_IjSE_SF_SF_EEEEhNS9_4plusIvEEhEEDaPvRmT3_T4_T5_mT6_P12ihipStream_tbENKUlT_T0_E_clISt17integral_constantIbLb0EESY_IbLb1EEEEDaSU_SV_EUlSU_E_NS1_11comp_targetILNS1_3genE9ELNS1_11target_archE1100ELNS1_3gpuE3ELNS1_3repE0EEENS1_30default_config_static_selectorELNS0_4arch9wavefront6targetE0EEEvT1_,@function
_ZN7rocprim17ROCPRIM_400000_NS6detail17trampoline_kernelINS0_14default_configENS1_20scan_config_selectorIhEEZZNS1_9scan_implILNS1_25lookback_scan_determinismE0ELb0ELb0ES3_N6thrust23THRUST_200600_302600_NS6detail15normal_iteratorINS9_7pointerIhNS9_11hip_rocprim5par_tENS9_11use_defaultESF_EEEENSB_INSC_IjSE_SF_SF_EEEEhNS9_4plusIvEEhEEDaPvRmT3_T4_T5_mT6_P12ihipStream_tbENKUlT_T0_E_clISt17integral_constantIbLb0EESY_IbLb1EEEEDaSU_SV_EUlSU_E_NS1_11comp_targetILNS1_3genE9ELNS1_11target_archE1100ELNS1_3gpuE3ELNS1_3repE0EEENS1_30default_config_static_selectorELNS0_4arch9wavefront6targetE0EEEvT1_: ; @_ZN7rocprim17ROCPRIM_400000_NS6detail17trampoline_kernelINS0_14default_configENS1_20scan_config_selectorIhEEZZNS1_9scan_implILNS1_25lookback_scan_determinismE0ELb0ELb0ES3_N6thrust23THRUST_200600_302600_NS6detail15normal_iteratorINS9_7pointerIhNS9_11hip_rocprim5par_tENS9_11use_defaultESF_EEEENSB_INSC_IjSE_SF_SF_EEEEhNS9_4plusIvEEhEEDaPvRmT3_T4_T5_mT6_P12ihipStream_tbENKUlT_T0_E_clISt17integral_constantIbLb0EESY_IbLb1EEEEDaSU_SV_EUlSU_E_NS1_11comp_targetILNS1_3genE9ELNS1_11target_archE1100ELNS1_3gpuE3ELNS1_3repE0EEENS1_30default_config_static_selectorELNS0_4arch9wavefront6targetE0EEEvT1_
; %bb.0:
	s_load_b64 s[6:7], s[0:1], 0x28
	v_cmp_ne_u32_e64 s2, 0, v0
	v_cmp_eq_u32_e64 s3, 0, v0
	s_delay_alu instid0(VALU_DEP_1)
	s_and_saveexec_b32 s4, s3
	s_cbranch_execz .LBB176_4
; %bb.1:
	s_mov_b32 s8, exec_lo
	s_mov_b32 s5, exec_lo
	v_mbcnt_lo_u32_b32 v1, s8, 0
                                        ; implicit-def: $vgpr2
	s_delay_alu instid0(VALU_DEP_1)
	v_cmpx_eq_u32_e32 0, v1
	s_cbranch_execz .LBB176_3
; %bb.2:
	s_load_b64 s[10:11], s[0:1], 0x58
	s_bcnt1_i32_b32 s8, s8
	s_delay_alu instid0(SALU_CYCLE_1)
	v_dual_mov_b32 v2, 0 :: v_dual_mov_b32 v3, s8
	s_waitcnt lgkmcnt(0)
	global_atomic_add_u32 v2, v2, v3, s[10:11] glc
.LBB176_3:
	s_or_b32 exec_lo, exec_lo, s5
	s_waitcnt vmcnt(0)
	v_readfirstlane_b32 s5, v2
	s_delay_alu instid0(VALU_DEP_1)
	v_dual_mov_b32 v2, 0 :: v_dual_add_nc_u32 v1, s5, v1
	ds_store_b32 v2, v1
.LBB176_4:
	s_or_b32 exec_lo, exec_lo, s4
	v_mov_b32_e32 v6, 0
	s_clause 0x2
	s_load_b256 s[16:23], s[0:1], 0x0
	s_load_b32 s4, s[0:1], 0x30
	s_load_b256 s[8:15], s[0:1], 0x38
	s_waitcnt lgkmcnt(0)
	s_barrier
	buffer_gl0_inv
	ds_load_b32 v1, v6
	s_waitcnt lgkmcnt(0)
	s_barrier
	buffer_gl0_inv
	s_add_u32 s1, s16, s18
	s_addc_u32 s24, s17, s19
	s_add_i32 s0, s4, -1
	s_delay_alu instid0(SALU_CYCLE_1) | instskip(NEXT) | instid1(SALU_CYCLE_1)
	s_mul_i32 s4, s0, 0x1800
	s_sub_u32 s5, s22, s4
	v_mul_lo_u32 v5, 0x1800, v1
	v_readfirstlane_b32 s17, v1
	v_cmp_ne_u32_e64 s0, s0, v1
	s_subb_u32 s16, s23, 0
	s_mov_b32 s4, -1
	s_delay_alu instid0(VALU_DEP_1) | instskip(NEXT) | instid1(VALU_DEP_3)
	s_and_b32 vcc_lo, exec_lo, s0
	v_add_co_u32 v1, s1, s1, v5
	s_delay_alu instid0(VALU_DEP_1)
	v_add_co_ci_u32_e64 v2, null, s24, 0, s1
	s_cbranch_vccz .LBB176_6
; %bb.5:
	s_delay_alu instid0(VALU_DEP_2) | instskip(NEXT) | instid1(VALU_DEP_2)
	v_add_co_u32 v3, vcc_lo, v1, v0
	v_add_co_ci_u32_e32 v4, vcc_lo, 0, v2, vcc_lo
	s_mov_b32 s4, 0
	s_delay_alu instid0(VALU_DEP_2)
	v_add_co_u32 v7, vcc_lo, 0x1000, v3
	s_clause 0x7
	flat_load_u8 v9, v[3:4]
	flat_load_u8 v10, v[3:4] offset:256
	flat_load_u8 v11, v[3:4] offset:512
	;; [unrolled: 1-line block ×7, first 2 shown]
	v_add_co_ci_u32_e32 v8, vcc_lo, 0, v4, vcc_lo
	s_clause 0xf
	flat_load_u8 v17, v[3:4] offset:2048
	flat_load_u8 v18, v[3:4] offset:2304
	;; [unrolled: 1-line block ×8, first 2 shown]
	flat_load_u8 v4, v[7:8]
	flat_load_u8 v24, v[7:8] offset:256
	flat_load_u8 v25, v[7:8] offset:512
	;; [unrolled: 1-line block ×7, first 2 shown]
	s_waitcnt vmcnt(23) lgkmcnt(23)
	ds_store_b8 v0, v9
	s_waitcnt vmcnt(22) lgkmcnt(23)
	ds_store_b8 v0, v10 offset:256
	s_waitcnt vmcnt(21) lgkmcnt(23)
	ds_store_b8 v0, v11 offset:512
	;; [unrolled: 2-line block ×23, first 2 shown]
	s_waitcnt lgkmcnt(0)
	s_barrier
.LBB176_6:
	v_cmp_gt_u32_e64 s1, s5, v0
	s_and_not1_b32 vcc_lo, exec_lo, s4
	s_cbranch_vccnz .LBB176_56
; %bb.7:
	flat_load_u8 v3, v[1:2]
	s_waitcnt vmcnt(0) lgkmcnt(0)
	v_mov_b32_e32 v4, v3
	s_and_saveexec_b32 s4, s1
	s_cbranch_execz .LBB176_9
; %bb.8:
	v_add_co_u32 v7, vcc_lo, v1, v0
	v_add_co_ci_u32_e32 v8, vcc_lo, 0, v2, vcc_lo
	flat_load_u8 v4, v[7:8]
.LBB176_9:
	s_or_b32 exec_lo, exec_lo, s4
	v_or_b32_e32 v7, 0x100, v0
	s_delay_alu instid0(VALU_DEP_1)
	v_cmp_gt_u32_e32 vcc_lo, s5, v7
	v_mov_b32_e32 v7, v3
	s_and_saveexec_b32 s1, vcc_lo
	s_cbranch_execz .LBB176_11
; %bb.10:
	v_add_co_u32 v7, vcc_lo, v1, v0
	v_add_co_ci_u32_e32 v8, vcc_lo, 0, v2, vcc_lo
	flat_load_u8 v7, v[7:8] offset:256
.LBB176_11:
	s_or_b32 exec_lo, exec_lo, s1
	v_or_b32_e32 v8, 0x200, v0
	s_delay_alu instid0(VALU_DEP_1)
	v_cmp_gt_u32_e32 vcc_lo, s5, v8
	v_mov_b32_e32 v8, v3
	s_and_saveexec_b32 s1, vcc_lo
	s_cbranch_execz .LBB176_13
; %bb.12:
	v_add_co_u32 v8, vcc_lo, v1, v0
	v_add_co_ci_u32_e32 v9, vcc_lo, 0, v2, vcc_lo
	flat_load_u8 v8, v[8:9] offset:512
.LBB176_13:
	;; [unrolled: 12-line block ×15, first 2 shown]
	s_or_b32 exec_lo, exec_lo, s1
	v_or_b32_e32 v23, 0x1000, v0
	v_mov_b32_e32 v22, v3
	s_mov_b32 s1, exec_lo
	s_delay_alu instid0(VALU_DEP_2)
	v_cmpx_gt_u32_e64 s5, v23
	s_cbranch_execz .LBB176_41
; %bb.40:
	v_add_co_u32 v22, vcc_lo, v1, v23
	v_add_co_ci_u32_e32 v23, vcc_lo, 0, v2, vcc_lo
	flat_load_u8 v22, v[22:23]
.LBB176_41:
	s_or_b32 exec_lo, exec_lo, s1
	v_or_b32_e32 v24, 0x1100, v0
	v_mov_b32_e32 v23, v3
	s_mov_b32 s1, exec_lo
	s_delay_alu instid0(VALU_DEP_2)
	v_cmpx_gt_u32_e64 s5, v24
	s_cbranch_execz .LBB176_43
; %bb.42:
	v_add_co_u32 v23, vcc_lo, v1, v24
	v_add_co_ci_u32_e32 v24, vcc_lo, 0, v2, vcc_lo
	flat_load_u8 v23, v[23:24]
.LBB176_43:
	;; [unrolled: 12-line block ×7, first 2 shown]
	s_or_b32 exec_lo, exec_lo, s1
	v_or_b32_e32 v29, 0x1700, v0
	s_mov_b32 s1, exec_lo
	s_delay_alu instid0(VALU_DEP_1)
	v_cmpx_gt_u32_e64 s5, v29
	s_cbranch_execz .LBB176_55
; %bb.54:
	v_add_co_u32 v1, vcc_lo, v1, v29
	v_add_co_ci_u32_e32 v2, vcc_lo, 0, v2, vcc_lo
	flat_load_u8 v3, v[1:2]
.LBB176_55:
	s_or_b32 exec_lo, exec_lo, s1
	s_waitcnt vmcnt(0) lgkmcnt(0)
	ds_store_b8 v0, v4
	ds_store_b8 v0, v7 offset:256
	ds_store_b8 v0, v8 offset:512
	;; [unrolled: 1-line block ×23, first 2 shown]
	s_waitcnt lgkmcnt(0)
	s_barrier
.LBB176_56:
	v_mul_u32_u24_e32 v13, 24, v0
	buffer_gl0_inv
	v_mbcnt_lo_u32_b32 v32, -1, 0
	v_lshrrev_b32_e32 v33, 5, v0
	v_or_b32_e32 v34, 31, v0
	ds_load_2addr_b64 v[1:4], v13 offset1:1
	ds_load_b64 v[7:8], v13 offset:16
	s_cmp_lg_u32 s17, 0
	s_waitcnt lgkmcnt(0)
	s_barrier
	buffer_gl0_inv
	v_lshrrev_b32_e32 v29, 8, v1
	v_lshrrev_b32_e32 v30, 16, v1
	;; [unrolled: 1-line block ×18, first 2 shown]
	s_cbranch_scc0 .LBB176_82
; %bb.57:
	v_add_nc_u16 v9, v29, v1
	s_mov_b32 s1, exec_lo
	s_delay_alu instid0(VALU_DEP_1) | instskip(NEXT) | instid1(VALU_DEP_1)
	v_add_nc_u16 v9, v9, v30
	v_add_nc_u16 v9, v9, v31
	s_delay_alu instid0(VALU_DEP_1) | instskip(NEXT) | instid1(VALU_DEP_1)
	v_add_nc_u16 v9, v9, v2
	v_add_nc_u16 v9, v9, v26
	;; [unrolled: 3-line block ×11, first 2 shown]
	s_delay_alu instid0(VALU_DEP_1) | instskip(NEXT) | instid1(VALU_DEP_1)
	v_and_b32_e32 v10, 0xff, v9
	v_mov_b32_dpp v10, v10 row_shr:1 row_mask:0xf bank_mask:0xf
	v_and_b32_e32 v11, 15, v32
	s_delay_alu instid0(VALU_DEP_1) | instskip(NEXT) | instid1(VALU_DEP_3)
	v_cmp_ne_u32_e32 vcc_lo, 0, v11
	v_cndmask_b32_e32 v10, 0, v10, vcc_lo
	v_cmp_lt_u32_e32 vcc_lo, 1, v11
	s_delay_alu instid0(VALU_DEP_2) | instskip(NEXT) | instid1(VALU_DEP_1)
	v_add_nc_u16 v9, v10, v9
	v_and_b32_e32 v10, 0xff, v9
	s_delay_alu instid0(VALU_DEP_1) | instskip(NEXT) | instid1(VALU_DEP_1)
	v_mov_b32_dpp v10, v10 row_shr:2 row_mask:0xf bank_mask:0xf
	v_cndmask_b32_e32 v10, 0, v10, vcc_lo
	v_cmp_lt_u32_e32 vcc_lo, 3, v11
	s_delay_alu instid0(VALU_DEP_2) | instskip(NEXT) | instid1(VALU_DEP_1)
	v_add_nc_u16 v9, v9, v10
	v_and_b32_e32 v10, 0xff, v9
	s_delay_alu instid0(VALU_DEP_1) | instskip(NEXT) | instid1(VALU_DEP_1)
	v_mov_b32_dpp v10, v10 row_shr:4 row_mask:0xf bank_mask:0xf
	v_cndmask_b32_e32 v10, 0, v10, vcc_lo
	v_cmp_lt_u32_e32 vcc_lo, 7, v11
	v_and_b32_e32 v11, 16, v32
	s_delay_alu instid0(VALU_DEP_3) | instskip(NEXT) | instid1(VALU_DEP_1)
	v_add_nc_u16 v9, v9, v10
	v_and_b32_e32 v10, 0xff, v9
	s_delay_alu instid0(VALU_DEP_1) | instskip(NEXT) | instid1(VALU_DEP_1)
	v_mov_b32_dpp v10, v10 row_shr:8 row_mask:0xf bank_mask:0xf
	v_cndmask_b32_e32 v10, 0, v10, vcc_lo
	v_cmp_ne_u32_e32 vcc_lo, 0, v11
	s_delay_alu instid0(VALU_DEP_2) | instskip(NEXT) | instid1(VALU_DEP_1)
	v_add_nc_u16 v9, v9, v10
	v_and_b32_e32 v10, 0xff, v9
	ds_swizzle_b32 v10, v10 offset:swizzle(BROADCAST,32,15)
	s_waitcnt lgkmcnt(0)
	v_cndmask_b32_e32 v10, 0, v10, vcc_lo
	s_delay_alu instid0(VALU_DEP_1)
	v_add_nc_u16 v9, v9, v10
	v_cmpx_eq_u32_e64 v34, v0
	s_cbranch_execz .LBB176_59
; %bb.58:
	ds_store_b8 v33, v9
.LBB176_59:
	s_or_b32 exec_lo, exec_lo, s1
	s_delay_alu instid0(SALU_CYCLE_1)
	s_mov_b32 s1, exec_lo
	s_waitcnt lgkmcnt(0)
	s_barrier
	buffer_gl0_inv
	v_cmpx_gt_u32_e32 8, v0
	s_cbranch_execz .LBB176_61
; %bb.60:
	ds_load_u8 v10, v0
	s_waitcnt lgkmcnt(0)
	v_and_b32_e32 v11, 0xff, v10
	s_delay_alu instid0(VALU_DEP_1) | instskip(SKIP_1) | instid1(VALU_DEP_1)
	v_mov_b32_dpp v11, v11 row_shr:1 row_mask:0xf bank_mask:0xf
	v_and_b32_e32 v12, 7, v32
	v_cmp_ne_u32_e32 vcc_lo, 0, v12
	s_delay_alu instid0(VALU_DEP_3) | instskip(SKIP_1) | instid1(VALU_DEP_2)
	v_cndmask_b32_e32 v11, 0, v11, vcc_lo
	v_cmp_lt_u32_e32 vcc_lo, 1, v12
	v_add_nc_u16 v10, v11, v10
	s_delay_alu instid0(VALU_DEP_1) | instskip(NEXT) | instid1(VALU_DEP_1)
	v_and_b32_e32 v11, 0xff, v10
	v_mov_b32_dpp v11, v11 row_shr:2 row_mask:0xf bank_mask:0xf
	s_delay_alu instid0(VALU_DEP_1) | instskip(SKIP_1) | instid1(VALU_DEP_2)
	v_cndmask_b32_e32 v11, 0, v11, vcc_lo
	v_cmp_lt_u32_e32 vcc_lo, 3, v12
	v_add_nc_u16 v10, v10, v11
	s_delay_alu instid0(VALU_DEP_1) | instskip(NEXT) | instid1(VALU_DEP_1)
	v_and_b32_e32 v11, 0xff, v10
	v_mov_b32_dpp v11, v11 row_shr:4 row_mask:0xf bank_mask:0xf
	s_delay_alu instid0(VALU_DEP_1) | instskip(NEXT) | instid1(VALU_DEP_1)
	v_cndmask_b32_e32 v11, 0, v11, vcc_lo
	v_add_nc_u16 v10, v10, v11
	ds_store_b8 v0, v10
.LBB176_61:
	s_or_b32 exec_lo, exec_lo, s1
	v_cmp_gt_u32_e32 vcc_lo, 32, v0
	s_mov_b32 s4, exec_lo
	s_waitcnt lgkmcnt(0)
	s_barrier
	buffer_gl0_inv
                                        ; implicit-def: $vgpr35
	v_cmpx_lt_u32_e32 31, v0
	s_cbranch_execz .LBB176_63
; %bb.62:
	v_add_nc_u32_e32 v10, -1, v33
	ds_load_u8 v35, v10
	s_waitcnt lgkmcnt(0)
	v_add_nc_u16 v9, v35, v9
.LBB176_63:
	s_or_b32 exec_lo, exec_lo, s4
	v_add_nc_u32_e32 v10, -1, v32
	s_delay_alu instid0(VALU_DEP_2) | instskip(NEXT) | instid1(VALU_DEP_2)
	v_and_b32_e32 v9, 0xff, v9
	v_cmp_gt_i32_e64 s1, 0, v10
	s_delay_alu instid0(VALU_DEP_1) | instskip(SKIP_1) | instid1(VALU_DEP_2)
	v_cndmask_b32_e64 v10, v10, v32, s1
	v_cmp_eq_u32_e64 s1, 0, v32
	v_lshlrev_b32_e32 v10, 2, v10
	ds_bpermute_b32 v36, v10, v9
	s_and_saveexec_b32 s22, vcc_lo
	s_cbranch_execz .LBB176_81
; %bb.64:
	v_mov_b32_e32 v11, 0
	ds_load_u8 v37, v11 offset:7
	s_and_saveexec_b32 s4, s1
	s_cbranch_execz .LBB176_66
; %bb.65:
	s_waitcnt lgkmcnt(0)
	v_and_b32_e32 v9, 0xff, v37
	s_add_i32 s24, s17, 32
	s_mov_b32 s25, 0
	s_delay_alu instid0(SALU_CYCLE_1) | instskip(NEXT) | instid1(VALU_DEP_1)
	s_lshl_b64 s[24:25], s[24:25], 1
	v_or_b32_e32 v9, 0x100, v9
	s_add_u32 s24, s6, s24
	s_addc_u32 s25, s7, s25
	global_store_b16 v11, v9, s[24:25]
.LBB176_66:
	s_or_b32 exec_lo, exec_lo, s4
	v_xad_u32 v9, v32, -1, s17
	s_mov_b32 s23, 0
	s_mov_b32 s4, exec_lo
	s_delay_alu instid0(VALU_DEP_1) | instskip(NEXT) | instid1(VALU_DEP_1)
	v_add_nc_u32_e32 v10, 32, v9
	v_lshlrev_b64 v[10:11], 1, v[10:11]
	s_delay_alu instid0(VALU_DEP_1) | instskip(NEXT) | instid1(VALU_DEP_2)
	v_add_co_u32 v10, vcc_lo, s6, v10
	v_add_co_ci_u32_e32 v11, vcc_lo, s7, v11, vcc_lo
	global_load_u16 v12, v[10:11], off glc
	s_waitcnt vmcnt(0)
	v_lshrrev_b16 v38, 8, v12
	s_delay_alu instid0(VALU_DEP_1)
	v_cmpx_eq_u16_e32 0, v38
	s_cbranch_execz .LBB176_69
.LBB176_67:                             ; =>This Inner Loop Header: Depth=1
	global_load_u16 v12, v[10:11], off glc
	s_waitcnt vmcnt(0)
	v_lshrrev_b16 v38, 8, v12
	s_delay_alu instid0(VALU_DEP_1) | instskip(SKIP_1) | instid1(SALU_CYCLE_1)
	v_cmp_ne_u16_e32 vcc_lo, 0, v38
	s_or_b32 s23, vcc_lo, s23
	s_and_not1_b32 exec_lo, exec_lo, s23
	s_cbranch_execnz .LBB176_67
; %bb.68:
	s_or_b32 exec_lo, exec_lo, s23
.LBB176_69:
	s_delay_alu instid0(SALU_CYCLE_1)
	s_or_b32 exec_lo, exec_lo, s4
	v_cmp_ne_u32_e32 vcc_lo, 31, v32
	v_lshlrev_b32_e64 v40, v32, -1
	v_cmp_gt_u32_e64 s4, 30, v32
	v_add_co_ci_u32_e32 v10, vcc_lo, 0, v32, vcc_lo
	v_cmp_eq_u16_e32 vcc_lo, 2, v38
	s_delay_alu instid0(VALU_DEP_3) | instskip(SKIP_1) | instid1(VALU_DEP_4)
	v_cndmask_b32_e64 v41, 0, 1, s4
	v_cmp_gt_u32_e64 s4, 28, v32
	v_lshlrev_b32_e32 v39, 2, v10
	v_and_or_b32 v42, vcc_lo, v40, 0x80000000
	s_delay_alu instid0(VALU_DEP_4) | instskip(NEXT) | instid1(VALU_DEP_4)
	v_lshlrev_b32_e32 v41, 1, v41
	v_cndmask_b32_e64 v43, 0, 1, s4
	s_delay_alu instid0(VALU_DEP_3) | instskip(NEXT) | instid1(VALU_DEP_3)
	v_ctz_i32_b32_e32 v46, v42
	v_add_lshl_u32 v41, v41, v32, 2
	s_delay_alu instid0(VALU_DEP_3) | instskip(NEXT) | instid1(VALU_DEP_3)
	v_lshlrev_b32_e32 v43, 2, v43
	v_cmp_lt_u32_e32 vcc_lo, v32, v46
	v_and_b32_e32 v11, 0xff, v12
	s_delay_alu instid0(VALU_DEP_3) | instskip(SKIP_3) | instid1(VALU_DEP_1)
	v_add_lshl_u32 v43, v43, v32, 2
	ds_bpermute_b32 v10, v39, v11
	s_waitcnt lgkmcnt(0)
	v_add_nc_u16 v10, v12, v10
	v_and_b32_e32 v42, 0xff, v10
	v_cndmask_b32_e32 v10, v12, v10, vcc_lo
	s_delay_alu instid0(VALU_DEP_2) | instskip(SKIP_4) | instid1(VALU_DEP_2)
	v_cndmask_b32_e32 v11, v11, v42, vcc_lo
	ds_bpermute_b32 v42, v41, v11
	s_waitcnt lgkmcnt(0)
	v_add_nc_u16 v44, v10, v42
	v_add_nc_u32_e32 v42, 2, v32
	v_and_b32_e32 v45, 0xff, v44
	s_delay_alu instid0(VALU_DEP_2) | instskip(NEXT) | instid1(VALU_DEP_1)
	v_cmp_gt_u32_e64 s4, v42, v46
	v_cndmask_b32_e64 v11, v45, v11, s4
	v_cndmask_b32_e64 v10, v44, v10, s4
	v_cmp_gt_u32_e64 s4, 24, v32
	ds_bpermute_b32 v45, v43, v11
	v_cndmask_b32_e64 v44, 0, 1, s4
	s_waitcnt lgkmcnt(0)
	v_add_nc_u16 v47, v10, v45
	s_delay_alu instid0(VALU_DEP_2) | instskip(SKIP_1) | instid1(VALU_DEP_3)
	v_lshlrev_b32_e32 v45, 3, v44
	v_add_nc_u32_e32 v44, 4, v32
	v_and_b32_e32 v48, 0xff, v47
	s_delay_alu instid0(VALU_DEP_3) | instskip(NEXT) | instid1(VALU_DEP_3)
	v_add_lshl_u32 v45, v45, v32, 2
	v_cmp_gt_u32_e64 s4, v44, v46
	s_delay_alu instid0(VALU_DEP_1)
	v_cndmask_b32_e64 v11, v48, v11, s4
	v_cndmask_b32_e64 v10, v47, v10, s4
	v_cmp_gt_u32_e64 s4, 16, v32
	ds_bpermute_b32 v48, v45, v11
	v_cndmask_b32_e64 v47, 0, 1, s4
	s_waitcnt lgkmcnt(0)
	v_add_nc_u16 v50, v10, v48
	s_delay_alu instid0(VALU_DEP_2) | instskip(SKIP_1) | instid1(VALU_DEP_3)
	v_lshlrev_b32_e32 v48, 4, v47
	v_add_nc_u32_e32 v47, 8, v32
	v_and_b32_e32 v49, 0xff, v50
	s_delay_alu instid0(VALU_DEP_3) | instskip(NEXT) | instid1(VALU_DEP_3)
	v_add_lshl_u32 v48, v48, v32, 2
	v_cmp_gt_u32_e64 s4, v47, v46
	s_delay_alu instid0(VALU_DEP_1)
	v_cndmask_b32_e64 v11, v49, v11, s4
	v_add_nc_u32_e32 v49, 16, v32
	v_cndmask_b32_e64 v10, v50, v10, s4
	ds_bpermute_b32 v11, v48, v11
	v_cmp_le_u32_e64 s4, v49, v46
	s_waitcnt lgkmcnt(0)
	s_delay_alu instid0(VALU_DEP_1) | instskip(NEXT) | instid1(VALU_DEP_1)
	v_cndmask_b32_e64 v11, 0, v11, s4
	v_add_nc_u16 v10, v10, v11
	s_delay_alu instid0(VALU_DEP_1)
	v_dual_cndmask_b32 v11, v12, v10 :: v_dual_mov_b32 v10, 0
	s_branch .LBB176_71
.LBB176_70:                             ;   in Loop: Header=BB176_71 Depth=1
	s_or_b32 exec_lo, exec_lo, s4
	v_cmp_eq_u16_e32 vcc_lo, 2, v38
	v_subrev_nc_u32_e32 v9, 32, v9
	v_and_or_b32 v51, vcc_lo, v40, 0x80000000
	s_delay_alu instid0(VALU_DEP_1) | instskip(NEXT) | instid1(VALU_DEP_1)
	v_ctz_i32_b32_e32 v51, v51
	v_cmp_lt_u32_e32 vcc_lo, v32, v51
	v_and_b32_e32 v11, 0xff, v50
	v_cmp_gt_u32_e64 s4, v42, v51
	ds_bpermute_b32 v12, v39, v11
	s_waitcnt lgkmcnt(0)
	v_add_nc_u16 v12, v50, v12
	s_delay_alu instid0(VALU_DEP_1) | instskip(SKIP_1) | instid1(VALU_DEP_2)
	v_and_b32_e32 v52, 0xff, v12
	v_cndmask_b32_e32 v12, v50, v12, vcc_lo
	v_cndmask_b32_e32 v11, v11, v52, vcc_lo
	ds_bpermute_b32 v52, v41, v11
	s_waitcnt lgkmcnt(0)
	v_add_nc_u16 v52, v12, v52
	s_delay_alu instid0(VALU_DEP_1) | instskip(SKIP_1) | instid1(VALU_DEP_2)
	v_and_b32_e32 v53, 0xff, v52
	v_cndmask_b32_e64 v12, v52, v12, s4
	v_cndmask_b32_e64 v11, v53, v11, s4
	v_cmp_gt_u32_e64 s4, v44, v51
	ds_bpermute_b32 v53, v43, v11
	s_waitcnt lgkmcnt(0)
	v_add_nc_u16 v52, v12, v53
	s_delay_alu instid0(VALU_DEP_1) | instskip(SKIP_1) | instid1(VALU_DEP_2)
	v_and_b32_e32 v53, 0xff, v52
	v_cndmask_b32_e64 v12, v52, v12, s4
	v_cndmask_b32_e64 v11, v53, v11, s4
	v_cmp_gt_u32_e64 s4, v47, v51
	ds_bpermute_b32 v53, v45, v11
	s_waitcnt lgkmcnt(0)
	v_add_nc_u16 v52, v12, v53
	s_delay_alu instid0(VALU_DEP_1) | instskip(SKIP_1) | instid1(VALU_DEP_2)
	v_and_b32_e32 v53, 0xff, v52
	v_cndmask_b32_e64 v12, v52, v12, s4
	v_cndmask_b32_e64 v11, v53, v11, s4
	v_cmp_le_u32_e64 s4, v49, v51
	ds_bpermute_b32 v11, v48, v11
	s_waitcnt lgkmcnt(0)
	v_cndmask_b32_e64 v11, 0, v11, s4
	s_delay_alu instid0(VALU_DEP_1) | instskip(NEXT) | instid1(VALU_DEP_1)
	v_add_nc_u16 v11, v12, v11
	v_cndmask_b32_e32 v11, v50, v11, vcc_lo
	s_delay_alu instid0(VALU_DEP_1)
	v_add_nc_u16 v11, v11, v46
.LBB176_71:                             ; =>This Loop Header: Depth=1
                                        ;     Child Loop BB176_74 Depth 2
	v_and_b32_e32 v12, 0xff, v38
	s_delay_alu instid0(VALU_DEP_2) | instskip(NEXT) | instid1(VALU_DEP_2)
	v_mov_b32_e32 v46, v11
	v_cmp_ne_u16_e32 vcc_lo, 2, v12
	v_cndmask_b32_e64 v12, 0, 1, vcc_lo
	;;#ASMSTART
	;;#ASMEND
	s_delay_alu instid0(VALU_DEP_1)
	v_cmp_ne_u32_e32 vcc_lo, 0, v12
	s_cmp_lg_u32 vcc_lo, exec_lo
	s_cbranch_scc1 .LBB176_76
; %bb.72:                               ;   in Loop: Header=BB176_71 Depth=1
	v_lshlrev_b64 v[11:12], 1, v[9:10]
	s_mov_b32 s4, exec_lo
	s_delay_alu instid0(VALU_DEP_1) | instskip(NEXT) | instid1(VALU_DEP_2)
	v_add_co_u32 v11, vcc_lo, s6, v11
	v_add_co_ci_u32_e32 v12, vcc_lo, s7, v12, vcc_lo
	global_load_u16 v50, v[11:12], off glc
	s_waitcnt vmcnt(0)
	v_lshrrev_b16 v38, 8, v50
	s_delay_alu instid0(VALU_DEP_1)
	v_cmpx_eq_u16_e32 0, v38
	s_cbranch_execz .LBB176_70
; %bb.73:                               ;   in Loop: Header=BB176_71 Depth=1
	s_mov_b32 s23, 0
.LBB176_74:                             ;   Parent Loop BB176_71 Depth=1
                                        ; =>  This Inner Loop Header: Depth=2
	global_load_u16 v50, v[11:12], off glc
	s_waitcnt vmcnt(0)
	v_lshrrev_b16 v38, 8, v50
	s_delay_alu instid0(VALU_DEP_1) | instskip(SKIP_1) | instid1(SALU_CYCLE_1)
	v_cmp_ne_u16_e32 vcc_lo, 0, v38
	s_or_b32 s23, vcc_lo, s23
	s_and_not1_b32 exec_lo, exec_lo, s23
	s_cbranch_execnz .LBB176_74
; %bb.75:                               ;   in Loop: Header=BB176_71 Depth=1
	s_or_b32 exec_lo, exec_lo, s23
	s_branch .LBB176_70
.LBB176_76:                             ;   in Loop: Header=BB176_71 Depth=1
                                        ; implicit-def: $vgpr11
                                        ; implicit-def: $vgpr38
	s_cbranch_execz .LBB176_71
; %bb.77:
	s_and_saveexec_b32 s4, s1
	s_cbranch_execz .LBB176_79
; %bb.78:
	v_add_nc_u16 v9, v46, v37
	s_add_i32 s24, s17, 32
	s_mov_b32 s25, 0
	v_mov_b32_e32 v10, 0
	s_lshl_b64 s[24:25], s[24:25], 1
	v_and_b32_e32 v9, 0xff, v9
	s_add_u32 s24, s6, s24
	s_addc_u32 s25, s7, s25
	s_delay_alu instid0(VALU_DEP_1)
	v_or_b32_e32 v9, 0x200, v9
	global_store_b16 v10, v9, s[24:25]
.LBB176_79:
	s_or_b32 exec_lo, exec_lo, s4
	s_delay_alu instid0(SALU_CYCLE_1)
	s_and_b32 exec_lo, exec_lo, s3
	s_cbranch_execz .LBB176_81
; %bb.80:
	v_mov_b32_e32 v9, 0
	ds_store_b8 v9, v46 offset:7
.LBB176_81:
	s_or_b32 exec_lo, exec_lo, s22
	v_mov_b32_e32 v9, 0
	s_waitcnt lgkmcnt(0)
	s_waitcnt_vscnt null, 0x0
	s_barrier
	buffer_gl0_inv
	v_cndmask_b32_e64 v10, v36, v35, s1
	ds_load_u8 v9, v9 offset:7
	v_cndmask_b32_e64 v10, v10, 0, s3
	s_delay_alu instid0(VALU_DEP_1) | instskip(SKIP_1) | instid1(VALU_DEP_1)
	v_add_nc_u16 v10, v10, v1
	s_waitcnt lgkmcnt(0)
	v_add_nc_u16 v9, v10, v9
	s_delay_alu instid0(VALU_DEP_1) | instskip(NEXT) | instid1(VALU_DEP_1)
	v_add_nc_u16 v10, v9, v29
	v_add_nc_u16 v11, v10, v30
	s_delay_alu instid0(VALU_DEP_1) | instskip(NEXT) | instid1(VALU_DEP_1)
	v_add_nc_u16 v12, v11, v31
	;; [unrolled: 3-line block ×11, first 2 shown]
	v_add_nc_u16 v53, v52, v15
	s_delay_alu instid0(VALU_DEP_1)
	v_add_nc_u16 v54, v53, v16
	s_branch .LBB176_96
.LBB176_82:
                                        ; implicit-def: $vgpr9
                                        ; implicit-def: $vgpr10
                                        ; implicit-def: $vgpr11
                                        ; implicit-def: $vgpr12
                                        ; implicit-def: $vgpr35
                                        ; implicit-def: $vgpr36
                                        ; implicit-def: $vgpr37
                                        ; implicit-def: $vgpr38
                                        ; implicit-def: $vgpr39
                                        ; implicit-def: $vgpr40
                                        ; implicit-def: $vgpr41
                                        ; implicit-def: $vgpr42
                                        ; implicit-def: $vgpr44
                                        ; implicit-def: $vgpr47
                                        ; implicit-def: $vgpr48
                                        ; implicit-def: $vgpr50
                                        ; implicit-def: $vgpr43
                                        ; implicit-def: $vgpr45
                                        ; implicit-def: $vgpr46
                                        ; implicit-def: $vgpr49
                                        ; implicit-def: $vgpr51
                                        ; implicit-def: $vgpr52
                                        ; implicit-def: $vgpr53
                                        ; implicit-def: $vgpr54
	s_cbranch_execz .LBB176_96
; %bb.83:
	s_cmp_lg_u64 s[12:13], 0
	v_mov_b32_e32 v9, v1
	s_cselect_b32 s1, -1, 0
	s_delay_alu instid0(SALU_CYCLE_1) | instskip(NEXT) | instid1(SALU_CYCLE_1)
	s_and_b32 s3, s3, s1
	s_and_saveexec_b32 s1, s3
	s_cbranch_execz .LBB176_85
; %bb.84:
	v_mov_b32_e32 v9, 0
	global_load_u8 v9, v9, s[8:9]
	s_waitcnt vmcnt(0)
	v_add_nc_u16 v9, v9, v1
.LBB176_85:
	s_or_b32 exec_lo, exec_lo, s1
	s_delay_alu instid0(VALU_DEP_1) | instskip(SKIP_2) | instid1(VALU_DEP_2)
	v_add_nc_u16 v10, v9, v29
	v_and_b32_e32 v55, 15, v32
	s_mov_b32 s1, exec_lo
	v_add_nc_u16 v11, v10, v30
	s_delay_alu instid0(VALU_DEP_2) | instskip(NEXT) | instid1(VALU_DEP_2)
	v_cmp_ne_u32_e32 vcc_lo, 0, v55
	v_add_nc_u16 v12, v11, v31
	s_delay_alu instid0(VALU_DEP_1) | instskip(NEXT) | instid1(VALU_DEP_1)
	v_add_nc_u16 v35, v12, v2
	v_add_nc_u16 v36, v35, v26
	s_delay_alu instid0(VALU_DEP_1) | instskip(NEXT) | instid1(VALU_DEP_1)
	v_add_nc_u16 v37, v36, v27
	v_add_nc_u16 v38, v37, v28
	s_delay_alu instid0(VALU_DEP_1) | instskip(NEXT) | instid1(VALU_DEP_1)
	v_add_nc_u16 v39, v38, v3
	v_add_nc_u16 v40, v39, v23
	s_delay_alu instid0(VALU_DEP_1) | instskip(NEXT) | instid1(VALU_DEP_1)
	v_add_nc_u16 v41, v40, v24
	v_add_nc_u16 v42, v41, v25
	s_delay_alu instid0(VALU_DEP_1) | instskip(NEXT) | instid1(VALU_DEP_1)
	v_add_nc_u16 v44, v42, v4
	v_add_nc_u16 v47, v44, v20
	s_delay_alu instid0(VALU_DEP_1) | instskip(NEXT) | instid1(VALU_DEP_1)
	v_add_nc_u16 v48, v47, v21
	v_add_nc_u16 v50, v48, v22
	s_delay_alu instid0(VALU_DEP_1) | instskip(NEXT) | instid1(VALU_DEP_1)
	v_add_nc_u16 v43, v50, v7
	v_add_nc_u16 v45, v43, v17
	s_delay_alu instid0(VALU_DEP_1) | instskip(NEXT) | instid1(VALU_DEP_1)
	v_add_nc_u16 v46, v45, v18
	v_add_nc_u16 v49, v46, v19
	s_delay_alu instid0(VALU_DEP_1) | instskip(NEXT) | instid1(VALU_DEP_1)
	v_add_nc_u16 v51, v49, v8
	v_add_nc_u16 v52, v51, v14
	s_delay_alu instid0(VALU_DEP_1) | instskip(NEXT) | instid1(VALU_DEP_1)
	v_add_nc_u16 v53, v52, v15
	v_add_nc_u16 v54, v53, v16
	s_delay_alu instid0(VALU_DEP_1) | instskip(NEXT) | instid1(VALU_DEP_1)
	v_and_b32_e32 v1, 0xff, v54
	v_mov_b32_dpp v1, v1 row_shr:1 row_mask:0xf bank_mask:0xf
	s_delay_alu instid0(VALU_DEP_1) | instskip(SKIP_1) | instid1(VALU_DEP_2)
	v_cndmask_b32_e32 v1, 0, v1, vcc_lo
	v_cmp_lt_u32_e32 vcc_lo, 1, v55
	v_add_nc_u16 v1, v54, v1
	s_delay_alu instid0(VALU_DEP_1) | instskip(NEXT) | instid1(VALU_DEP_1)
	v_and_b32_e32 v56, 0xff, v1
	v_mov_b32_dpp v56, v56 row_shr:2 row_mask:0xf bank_mask:0xf
	s_delay_alu instid0(VALU_DEP_1) | instskip(SKIP_1) | instid1(VALU_DEP_2)
	v_cndmask_b32_e32 v56, 0, v56, vcc_lo
	v_cmp_lt_u32_e32 vcc_lo, 3, v55
	;; [unrolled: 7-line block ×3, first 2 shown]
	v_add_nc_u16 v1, v1, v56
	s_delay_alu instid0(VALU_DEP_1) | instskip(NEXT) | instid1(VALU_DEP_1)
	v_and_b32_e32 v56, 0xff, v1
	v_mov_b32_dpp v56, v56 row_shr:8 row_mask:0xf bank_mask:0xf
	s_delay_alu instid0(VALU_DEP_1) | instskip(SKIP_1) | instid1(VALU_DEP_2)
	v_cndmask_b32_e32 v55, 0, v56, vcc_lo
	v_and_b32_e32 v56, 16, v32
	v_add_nc_u16 v1, v1, v55
	s_delay_alu instid0(VALU_DEP_2) | instskip(NEXT) | instid1(VALU_DEP_2)
	v_cmp_ne_u32_e32 vcc_lo, 0, v56
	v_and_b32_e32 v55, 0xff, v1
	ds_swizzle_b32 v55, v55 offset:swizzle(BROADCAST,32,15)
	s_waitcnt lgkmcnt(0)
	v_cndmask_b32_e32 v55, 0, v55, vcc_lo
	s_delay_alu instid0(VALU_DEP_1)
	v_add_nc_u16 v1, v1, v55
	v_cmpx_eq_u32_e64 v34, v0
	s_cbranch_execz .LBB176_87
; %bb.86:
	ds_store_b8 v33, v1
.LBB176_87:
	s_or_b32 exec_lo, exec_lo, s1
	s_delay_alu instid0(SALU_CYCLE_1)
	s_mov_b32 s1, exec_lo
	s_waitcnt lgkmcnt(0)
	s_barrier
	buffer_gl0_inv
	v_cmpx_gt_u32_e32 8, v0
	s_cbranch_execz .LBB176_89
; %bb.88:
	ds_load_u8 v34, v0
	s_waitcnt lgkmcnt(0)
	v_and_b32_e32 v55, 0xff, v34
	s_delay_alu instid0(VALU_DEP_1) | instskip(SKIP_1) | instid1(VALU_DEP_1)
	v_mov_b32_dpp v55, v55 row_shr:1 row_mask:0xf bank_mask:0xf
	v_and_b32_e32 v56, 7, v32
	v_cmp_ne_u32_e32 vcc_lo, 0, v56
	s_delay_alu instid0(VALU_DEP_3) | instskip(SKIP_1) | instid1(VALU_DEP_2)
	v_cndmask_b32_e32 v55, 0, v55, vcc_lo
	v_cmp_lt_u32_e32 vcc_lo, 1, v56
	v_add_nc_u16 v34, v55, v34
	s_delay_alu instid0(VALU_DEP_1) | instskip(NEXT) | instid1(VALU_DEP_1)
	v_and_b32_e32 v55, 0xff, v34
	v_mov_b32_dpp v55, v55 row_shr:2 row_mask:0xf bank_mask:0xf
	s_delay_alu instid0(VALU_DEP_1) | instskip(SKIP_1) | instid1(VALU_DEP_2)
	v_cndmask_b32_e32 v55, 0, v55, vcc_lo
	v_cmp_lt_u32_e32 vcc_lo, 3, v56
	v_add_nc_u16 v34, v34, v55
	s_delay_alu instid0(VALU_DEP_1) | instskip(NEXT) | instid1(VALU_DEP_1)
	v_and_b32_e32 v55, 0xff, v34
	v_mov_b32_dpp v55, v55 row_shr:4 row_mask:0xf bank_mask:0xf
	s_delay_alu instid0(VALU_DEP_1) | instskip(NEXT) | instid1(VALU_DEP_1)
	v_cndmask_b32_e32 v55, 0, v55, vcc_lo
	v_add_nc_u16 v34, v34, v55
	ds_store_b8 v0, v34
.LBB176_89:
	s_or_b32 exec_lo, exec_lo, s1
	s_delay_alu instid0(SALU_CYCLE_1)
	s_mov_b32 s1, exec_lo
	s_waitcnt lgkmcnt(0)
	s_barrier
	buffer_gl0_inv
                                        ; implicit-def: $vgpr34
	v_cmpx_lt_u32_e32 31, v0
	s_cbranch_execz .LBB176_91
; %bb.90:
	v_add_nc_u32_e32 v33, -1, v33
	ds_load_u8 v34, v33
	s_waitcnt lgkmcnt(0)
	v_add_nc_u16 v1, v34, v1
.LBB176_91:
	s_or_b32 exec_lo, exec_lo, s1
	v_add_nc_u32_e32 v33, -1, v32
	s_delay_alu instid0(VALU_DEP_2) | instskip(NEXT) | instid1(VALU_DEP_2)
	v_and_b32_e32 v1, 0xff, v1
	v_cmp_gt_i32_e32 vcc_lo, 0, v33
	v_cndmask_b32_e32 v33, v33, v32, vcc_lo
	s_delay_alu instid0(VALU_DEP_1)
	v_lshlrev_b32_e32 v33, 2, v33
	ds_bpermute_b32 v1, v33, v1
	s_and_saveexec_b32 s1, s2
	s_cbranch_execz .LBB176_93
; %bb.92:
	v_cmp_eq_u32_e32 vcc_lo, 0, v32
	;;#ASMSTART
	;;#ASMEND
	s_waitcnt lgkmcnt(0)
	v_cndmask_b32_e32 v1, v1, v34, vcc_lo
	s_delay_alu instid0(VALU_DEP_1) | instskip(NEXT) | instid1(VALU_DEP_1)
	v_add_nc_u16 v9, v1, v9
	v_add_nc_u16 v10, v9, v29
	s_delay_alu instid0(VALU_DEP_1) | instskip(NEXT) | instid1(VALU_DEP_1)
	v_add_nc_u16 v11, v10, v30
	v_add_nc_u16 v12, v11, v31
	;; [unrolled: 3-line block ×12, first 2 shown]
.LBB176_93:
	s_or_b32 exec_lo, exec_lo, s1
	s_delay_alu instid0(SALU_CYCLE_1)
	s_mov_b32 s1, exec_lo
	v_cmpx_eq_u32_e32 0xff, v0
	s_cbranch_execz .LBB176_95
; %bb.94:
	s_waitcnt lgkmcnt(0)
	v_dual_mov_b32 v2, 0 :: v_dual_and_b32 v1, 0xff, v54
	s_delay_alu instid0(VALU_DEP_1)
	v_or_b32_e32 v1, 0x200, v1
	global_store_b16 v2, v1, s[6:7] offset:64
.LBB176_95:
	s_or_b32 exec_lo, exec_lo, s1
.LBB176_96:
	v_lshlrev_b64 v[2:3], 2, v[5:6]
	s_lshl_b64 s[2:3], s[18:19], 2
	v_lshlrev_b16 v22, 8, v47
	s_add_u32 s1, s20, s2
	s_addc_u32 s2, s21, s3
	v_and_b32_e32 v26, 0xff, v44
	v_add_co_u32 v2, vcc_lo, s1, v2
	v_add_co_ci_u32_e32 v3, vcc_lo, s2, v3, vcc_lo
	v_lshlrev_b16 v23, 8, v50
	v_and_b32_e32 v27, 0xff, v48
	v_lshlrev_b16 v20, 8, v40
	v_and_b32_e32 v24, 0xff, v39
	;; [unrolled: 2-line block ×9, first 2 shown]
	s_waitcnt lgkmcnt(0)
	v_lshlrev_b16 v1, 8, v45
	v_and_b32_e32 v7, 0xff, v43
	v_lshlrev_b16 v4, 8, v49
	v_and_b32_e32 v8, 0xff, v46
	v_lshlrev_b32_e32 v29, 2, v0
	s_and_b32 vcc_lo, exec_lo, s0
	s_mov_b32 s0, -1
	s_waitcnt_vscnt null, 0x0
	s_barrier
	buffer_gl0_inv
	s_cbranch_vccz .LBB176_98
; %bb.97:
	v_or_b32_e32 v28, v26, v22
	v_or_b32_e32 v30, v27, v23
	;; [unrolled: 1-line block ×5, first 2 shown]
	v_and_b32_e32 v28, 0xffff, v28
	v_lshlrev_b32_e32 v30, 16, v30
	v_or_b32_e32 v34, v19, v16
	v_or_b32_e32 v35, v17, v14
	v_and_b32_e32 v36, 0xffff, v31
	v_or_b32_e32 v37, v10, v6
	v_or_b32_e32 v31, v28, v30
	;; [unrolled: 1-line block ×3, first 2 shown]
	v_lshlrev_b32_e32 v28, 16, v32
	v_and_b32_e32 v32, 0xffff, v33
	v_lshlrev_b32_e32 v33, 16, v34
	v_and_b32_e32 v34, 0xffff, v35
	v_or_b32_e32 v35, v9, v5
	v_or_b32_e32 v38, v7, v1
	;; [unrolled: 1-line block ×3, first 2 shown]
	v_lshlrev_b32_e32 v40, 16, v30
	v_lshlrev_b32_e32 v37, 16, v37
	v_and_b32_e32 v35, 0xffff, v35
	v_and_b32_e32 v38, 0xffff, v38
	v_lshlrev_b32_e32 v39, 16, v39
	v_or_b32_e32 v30, v36, v28
	v_or_b32_e32 v33, v32, v33
	;; [unrolled: 1-line block ×5, first 2 shown]
	ds_store_2addr_b64 v13, v[32:33], v[30:31] offset1:1
	ds_store_b64 v13, v[34:35] offset:16
	v_add_co_u32 v30, vcc_lo, v2, v29
	s_waitcnt lgkmcnt(0)
	s_barrier
	buffer_gl0_inv
	ds_load_u8 v28, v0
	ds_load_u8 v34, v0 offset:256
	ds_load_u8 v35, v0 offset:512
	;; [unrolled: 1-line block ×23, first 2 shown]
	v_add_co_ci_u32_e32 v31, vcc_lo, 0, v3, vcc_lo
	v_add_co_u32 v32, vcc_lo, 0x1000, v30
	s_mov_b32 s0, 0
	s_delay_alu instid0(VALU_DEP_2)
	v_add_co_ci_u32_e32 v33, vcc_lo, 0, v31, vcc_lo
	s_waitcnt lgkmcnt(23)
	flat_store_b32 v[30:31], v28
	s_waitcnt lgkmcnt(23)
	flat_store_b32 v[30:31], v34 offset:1024
	s_waitcnt lgkmcnt(23)
	flat_store_b32 v[30:31], v35 offset:2048
	;; [unrolled: 2-line block ×3, first 2 shown]
	s_waitcnt lgkmcnt(23)
	flat_store_b32 v[32:33], v37
	s_waitcnt lgkmcnt(23)
	flat_store_b32 v[32:33], v38 offset:1024
	s_waitcnt lgkmcnt(23)
	flat_store_b32 v[32:33], v39 offset:2048
	;; [unrolled: 2-line block ×3, first 2 shown]
	v_add_co_u32 v32, vcc_lo, 0x2000, v30
	v_add_co_ci_u32_e32 v33, vcc_lo, 0, v31, vcc_lo
	v_add_co_u32 v34, vcc_lo, 0x3000, v30
	v_add_co_ci_u32_e32 v35, vcc_lo, 0, v31, vcc_lo
	s_waitcnt lgkmcnt(23)
	flat_store_b32 v[32:33], v41
	s_waitcnt lgkmcnt(23)
	flat_store_b32 v[32:33], v42 offset:1024
	s_waitcnt lgkmcnt(23)
	flat_store_b32 v[32:33], v43 offset:2048
	;; [unrolled: 2-line block ×3, first 2 shown]
	s_waitcnt lgkmcnt(23)
	flat_store_b32 v[34:35], v45
	s_waitcnt lgkmcnt(23)
	flat_store_b32 v[34:35], v46 offset:1024
	s_waitcnt lgkmcnt(23)
	flat_store_b32 v[34:35], v47 offset:2048
	;; [unrolled: 2-line block ×3, first 2 shown]
	v_add_co_u32 v32, vcc_lo, 0x4000, v30
	v_add_co_ci_u32_e32 v33, vcc_lo, 0, v31, vcc_lo
	v_add_co_u32 v30, vcc_lo, 0x5000, v30
	v_add_co_ci_u32_e32 v31, vcc_lo, 0, v31, vcc_lo
	s_waitcnt lgkmcnt(23)
	flat_store_b32 v[32:33], v49
	s_waitcnt lgkmcnt(23)
	flat_store_b32 v[32:33], v50 offset:1024
	s_waitcnt lgkmcnt(23)
	flat_store_b32 v[32:33], v51 offset:2048
	;; [unrolled: 2-line block ×3, first 2 shown]
	s_waitcnt lgkmcnt(23)
	flat_store_b32 v[30:31], v53
	s_waitcnt lgkmcnt(23)
	flat_store_b32 v[30:31], v54 offset:1024
	s_waitcnt lgkmcnt(23)
	flat_store_b32 v[30:31], v55 offset:2048
	;; [unrolled: 2-line block ×3, first 2 shown]
.LBB176_98:
	s_and_not1_b32 vcc_lo, exec_lo, s0
	s_cbranch_vccnz .LBB176_155
; %bb.99:
	v_or_b32_e32 v22, v26, v22
	v_or_b32_e32 v23, v27, v23
	;; [unrolled: 1-line block ×12, first 2 shown]
	v_and_b32_e32 v22, 0xffff, v22
	v_lshlrev_b32_e32 v23, 16, v23
	v_and_b32_e32 v17, 0xffff, v20
	v_lshlrev_b32_e32 v19, 16, v21
	;; [unrolled: 2-line block ×6, first 2 shown]
	v_or_b32_e32 v14, v17, v19
	v_or_b32_e32 v5, v18, v16
	;; [unrolled: 1-line block ×5, first 2 shown]
	v_mov_b32_e32 v1, 0
	v_or_b32_e32 v15, v22, v23
	ds_store_2addr_b64 v13, v[4:5], v[14:15] offset1:1
	ds_store_b64 v13, v[6:7] offset:16
	s_waitcnt lgkmcnt(0)
	s_waitcnt_vscnt null, 0x0
	s_barrier
	buffer_gl0_inv
	ds_load_u8 v5, v0
	ds_load_u8 v4, v0 offset:256
	ds_load_u8 v7, v0 offset:512
	;; [unrolled: 1-line block ×23, first 2 shown]
	v_add_co_u32 v2, vcc_lo, v2, v29
	v_add_co_ci_u32_e32 v3, vcc_lo, 0, v3, vcc_lo
	s_mov_b32 s0, exec_lo
	v_cmpx_gt_u32_e64 s5, v0
	s_cbranch_execz .LBB176_101
; %bb.100:
	s_waitcnt lgkmcnt(23)
	v_and_b32_e32 v29, 0xff, v5
	flat_store_b32 v[2:3], v29
.LBB176_101:
	s_or_b32 exec_lo, exec_lo, s0
	v_or_b32_e32 v29, 0x100, v0
	s_mov_b32 s0, exec_lo
	s_delay_alu instid0(VALU_DEP_1)
	v_cmpx_gt_u32_e64 s5, v29
	s_cbranch_execz .LBB176_103
; %bb.102:
	s_waitcnt lgkmcnt(22)
	v_and_b32_e32 v29, 0xff, v4
	flat_store_b32 v[2:3], v29 offset:1024
.LBB176_103:
	s_or_b32 exec_lo, exec_lo, s0
	v_or_b32_e32 v29, 0x200, v0
	s_mov_b32 s0, exec_lo
	s_delay_alu instid0(VALU_DEP_1)
	v_cmpx_gt_u32_e64 s5, v29
	s_cbranch_execz .LBB176_105
; %bb.104:
	s_waitcnt lgkmcnt(21)
	v_and_b32_e32 v29, 0xff, v7
	flat_store_b32 v[2:3], v29 offset:2048
.LBB176_105:
	;; [unrolled: 11-line block ×3, first 2 shown]
	s_or_b32 exec_lo, exec_lo, s0
	v_or_b32_e32 v29, 0x400, v0
	s_mov_b32 s0, exec_lo
	s_delay_alu instid0(VALU_DEP_1)
	v_cmpx_gt_u32_e64 s5, v29
	s_cbranch_execz .LBB176_109
; %bb.108:
	v_add_co_u32 v29, vcc_lo, 0x1000, v2
	s_waitcnt lgkmcnt(19)
	v_and_b32_e32 v31, 0xff, v6
	v_add_co_ci_u32_e32 v30, vcc_lo, 0, v3, vcc_lo
	flat_store_b32 v[29:30], v31
.LBB176_109:
	s_or_b32 exec_lo, exec_lo, s0
	v_or_b32_e32 v29, 0x500, v0
	s_mov_b32 s0, exec_lo
	s_delay_alu instid0(VALU_DEP_1)
	v_cmpx_gt_u32_e64 s5, v29
	s_cbranch_execz .LBB176_111
; %bb.110:
	v_add_co_u32 v29, vcc_lo, 0x1000, v2
	s_waitcnt lgkmcnt(18)
	v_and_b32_e32 v31, 0xff, v9
	v_add_co_ci_u32_e32 v30, vcc_lo, 0, v3, vcc_lo
	flat_store_b32 v[29:30], v31 offset:1024
.LBB176_111:
	s_or_b32 exec_lo, exec_lo, s0
	v_or_b32_e32 v29, 0x600, v0
	s_mov_b32 s0, exec_lo
	s_delay_alu instid0(VALU_DEP_1)
	v_cmpx_gt_u32_e64 s5, v29
	s_cbranch_execz .LBB176_113
; %bb.112:
	v_add_co_u32 v29, vcc_lo, 0x1000, v2
	s_waitcnt lgkmcnt(17)
	v_and_b32_e32 v31, 0xff, v18
	v_add_co_ci_u32_e32 v30, vcc_lo, 0, v3, vcc_lo
	flat_store_b32 v[29:30], v31 offset:2048
.LBB176_113:
	s_or_b32 exec_lo, exec_lo, s0
	v_or_b32_e32 v29, 0x700, v0
	s_mov_b32 s0, exec_lo
	s_delay_alu instid0(VALU_DEP_1)
	v_cmpx_gt_u32_e64 s5, v29
	s_cbranch_execz .LBB176_115
; %bb.114:
	v_add_co_u32 v29, vcc_lo, 0x1000, v2
	s_waitcnt lgkmcnt(16)
	v_and_b32_e32 v31, 0xff, v15
	v_add_co_ci_u32_e32 v30, vcc_lo, 0, v3, vcc_lo
	flat_store_b32 v[29:30], v31 offset:3072
.LBB176_115:
	s_or_b32 exec_lo, exec_lo, s0
	v_or_b32_e32 v29, 0x800, v0
	s_mov_b32 s0, exec_lo
	s_delay_alu instid0(VALU_DEP_1)
	v_cmpx_gt_u32_e64 s5, v29
	s_cbranch_execz .LBB176_117
; %bb.116:
	v_add_co_u32 v29, vcc_lo, 0x2000, v2
	s_waitcnt lgkmcnt(15)
	v_and_b32_e32 v31, 0xff, v17
	v_add_co_ci_u32_e32 v30, vcc_lo, 0, v3, vcc_lo
	flat_store_b32 v[29:30], v31
.LBB176_117:
	s_or_b32 exec_lo, exec_lo, s0
	v_or_b32_e32 v29, 0x900, v0
	s_mov_b32 s0, exec_lo
	s_delay_alu instid0(VALU_DEP_1)
	v_cmpx_gt_u32_e64 s5, v29
	s_cbranch_execz .LBB176_119
; %bb.118:
	v_add_co_u32 v29, vcc_lo, 0x2000, v2
	s_waitcnt lgkmcnt(14)
	v_and_b32_e32 v31, 0xff, v24
	v_add_co_ci_u32_e32 v30, vcc_lo, 0, v3, vcc_lo
	flat_store_b32 v[29:30], v31 offset:1024
.LBB176_119:
	s_or_b32 exec_lo, exec_lo, s0
	v_or_b32_e32 v29, 0xa00, v0
	s_mov_b32 s0, exec_lo
	s_delay_alu instid0(VALU_DEP_1)
	v_cmpx_gt_u32_e64 s5, v29
	s_cbranch_execz .LBB176_121
; %bb.120:
	v_add_co_u32 v29, vcc_lo, 0x2000, v2
	s_waitcnt lgkmcnt(13)
	v_and_b32_e32 v31, 0xff, v21
	v_add_co_ci_u32_e32 v30, vcc_lo, 0, v3, vcc_lo
	flat_store_b32 v[29:30], v31 offset:2048
.LBB176_121:
	s_or_b32 exec_lo, exec_lo, s0
	v_or_b32_e32 v29, 0xb00, v0
	s_mov_b32 s0, exec_lo
	s_delay_alu instid0(VALU_DEP_1)
	v_cmpx_gt_u32_e64 s5, v29
	s_cbranch_execz .LBB176_123
; %bb.122:
	v_add_co_u32 v29, vcc_lo, 0x2000, v2
	s_waitcnt lgkmcnt(12)
	v_and_b32_e32 v31, 0xff, v20
	v_add_co_ci_u32_e32 v30, vcc_lo, 0, v3, vcc_lo
	flat_store_b32 v[29:30], v31 offset:3072
.LBB176_123:
	;; [unrolled: 52-line block ×5, first 2 shown]
	s_or_b32 exec_lo, exec_lo, s0
	v_cmp_lt_u64_e64 s0, s[14:15], 2
	s_delay_alu instid0(VALU_DEP_1)
	s_and_b32 vcc_lo, exec_lo, s0
	s_cbranch_vccnz .LBB176_155
; %bb.148:
	s_add_u32 s0, s5, -1
	s_addc_u32 s1, s16, -1
	s_add_u32 s2, 0, 0xaaaa0000
	s_addc_u32 s3, 0, 42
	s_mul_hi_u32 s5, s2, 0xffffffe8
	s_add_i32 s3, s3, 0xaaaaa80
	s_sub_i32 s5, s5, s2
	s_mul_i32 s6, s3, 0xffffffe8
	s_mul_i32 s4, s2, 0xffffffe8
	s_add_i32 s5, s5, s6
	s_mul_hi_u32 s7, s3, s4
	s_mul_i32 s6, s3, s4
	s_mul_i32 s8, s2, s5
	s_mul_hi_u32 s4, s2, s4
	s_mul_hi_u32 s9, s2, s5
	s_add_u32 s4, s4, s8
	s_addc_u32 s8, 0, s9
	s_mul_hi_u32 s9, s3, s5
	s_add_u32 s4, s4, s6
	s_addc_u32 s4, s8, s7
	s_mul_i32 s5, s3, s5
	s_addc_u32 s6, s9, 0
	s_add_u32 s4, s4, s5
	s_delay_alu instid0(SALU_CYCLE_1) | instskip(SKIP_2) | instid1(VALU_DEP_1)
	v_add_co_u32 v2, s2, s2, s4
	s_addc_u32 s4, 0, s6
	s_cmp_lg_u32 s2, 0
	v_readfirstlane_b32 s2, v2
	s_addc_u32 s3, s3, s4
	s_delay_alu instid0(SALU_CYCLE_1) | instskip(SKIP_1) | instid1(VALU_DEP_1)
	s_mul_i32 s4, s0, s3
	s_mul_hi_u32 s6, s0, s3
	s_mul_hi_u32 s5, s0, s2
	s_mul_i32 s7, s1, s2
	s_add_u32 s4, s5, s4
	s_addc_u32 s5, 0, s6
	s_mul_hi_u32 s2, s1, s2
	s_mul_hi_u32 s6, s1, s3
	s_add_u32 s4, s4, s7
	s_addc_u32 s2, s5, s2
	s_mul_i32 s3, s1, s3
	s_addc_u32 s4, s6, 0
	s_add_u32 s2, s2, s3
	s_addc_u32 s3, 0, s4
	s_mul_i32 s5, s2, 24
	s_add_u32 s4, s2, 1
	v_sub_co_u32 v2, s5, s0, s5
	s_addc_u32 s6, s3, 0
	s_mul_i32 s8, s3, 24
	s_mul_hi_u32 s12, s2, 24
	s_delay_alu instid0(VALU_DEP_1)
	v_sub_co_u32 v3, s9, v2, 24
	s_add_u32 s7, s2, 2
	s_addc_u32 s13, s3, 0
	s_add_i32 s12, s12, s8
	s_cmp_lg_u32 s5, 0
	v_readfirstlane_b32 s5, v3
	s_subb_u32 s8, s1, s12
	s_cmp_lg_u32 s9, 0
	s_subb_u32 s9, s8, 0
	s_delay_alu instid0(VALU_DEP_1) | instskip(SKIP_4) | instid1(SALU_CYCLE_1)
	s_cmp_gt_u32 s5, 23
	s_cselect_b32 s5, -1, 0
	s_cmp_eq_u32 s9, 0
	v_readfirstlane_b32 s9, v2
	s_cselect_b32 s5, s5, -1
	s_cmp_lg_u32 s5, 0
	s_cselect_b32 s4, s7, s4
	s_cselect_b32 s5, s13, s6
	s_cmp_gt_u32 s9, 23
	s_cselect_b32 s6, -1, 0
	s_cmp_eq_u32 s8, 0
	s_cselect_b32 s6, s6, -1
	s_delay_alu instid0(SALU_CYCLE_1) | instskip(SKIP_2) | instid1(SALU_CYCLE_1)
	s_cmp_lg_u32 s6, 0
	s_cselect_b32 s3, s5, s3
	s_cselect_b32 s2, s4, s2
	v_cmp_eq_u64_e32 vcc_lo, s[2:3], v[0:1]
	s_and_saveexec_b32 s2, vcc_lo
	s_cbranch_execz .LBB176_155
; %bb.149:
	v_mul_hi_u32_u24_e32 v1, 24, v0
	v_sub_co_u32 v0, vcc_lo, s0, v13
	s_mov_b32 s0, 0
	s_mov_b32 s4, 0
	s_delay_alu instid0(VALU_DEP_2) | instskip(SKIP_3) | instid1(VALU_DEP_1)
	v_sub_co_ci_u32_e32 v1, vcc_lo, s1, v1, vcc_lo
	s_mov_b32 s3, 0
	s_mov_b32 s2, 0
	s_mov_b32 s1, exec_lo
	v_cmpx_lt_i64_e32 11, v[0:1]
	s_xor_b32 s1, exec_lo, s1
	s_cbranch_execnz .LBB176_156
; %bb.150:
	s_and_not1_saveexec_b32 s1, s1
	s_cbranch_execnz .LBB176_201
.LBB176_151:
	s_or_b32 exec_lo, exec_lo, s1
	s_and_saveexec_b32 s1, s4
	s_cbranch_execnz .LBB176_218
.LBB176_152:
	s_or_b32 exec_lo, exec_lo, s1
	s_and_saveexec_b32 s1, s3
	s_cbranch_execnz .LBB176_219
.LBB176_153:
	s_or_b32 exec_lo, exec_lo, s1
	s_and_saveexec_b32 s1, s2
	s_delay_alu instid0(SALU_CYCLE_1)
	s_xor_b32 s1, exec_lo, s1
	s_cbranch_execnz .LBB176_220
.LBB176_154:
	s_or_b32 exec_lo, exec_lo, s1
	s_delay_alu instid0(SALU_CYCLE_1)
	s_and_b32 exec_lo, exec_lo, s0
	s_cbranch_execnz .LBB176_221
.LBB176_155:
	s_endpgm
.LBB176_156:
	s_mov_b32 s5, exec_lo
	v_cmpx_lt_i64_e32 17, v[0:1]
	s_xor_b32 s5, exec_lo, s5
	s_cbranch_execz .LBB176_178
; %bb.157:
	s_mov_b32 s6, exec_lo
                                        ; implicit-def: $vgpr10
	v_cmpx_lt_i64_e32 20, v[0:1]
	s_xor_b32 s6, exec_lo, s6
	s_cbranch_execz .LBB176_167
; %bb.158:
	s_mov_b32 s7, 0
	s_mov_b32 s2, exec_lo
                                        ; implicit-def: $vgpr10
	v_cmpx_lt_i64_e32 21, v[0:1]
	s_xor_b32 s2, exec_lo, s2
	s_cbranch_execz .LBB176_164
; %bb.159:
	s_mov_b32 s7, exec_lo
	v_cmpx_lt_i64_e32 22, v[0:1]
	s_xor_b32 s7, exec_lo, s7
	s_cbranch_execz .LBB176_161
; %bb.160:
	v_mov_b32_e32 v2, 0
                                        ; implicit-def: $vgpr27
	s_waitcnt lgkmcnt(0)
	global_store_b8 v2, v28, s[10:11]
.LBB176_161:
	s_or_saveexec_b32 s7, s7
	s_mov_b32 s8, 0
	s_xor_b32 exec_lo, exec_lo, s7
; %bb.162:
	s_delay_alu instid0(SALU_CYCLE_1)
	s_mov_b32 s8, exec_lo
; %bb.163:
	s_or_b32 exec_lo, exec_lo, s7
	s_waitcnt lgkmcnt(1)
	v_mov_b32_e32 v10, v27
	s_and_b32 s7, s8, exec_lo
                                        ; implicit-def: $vgpr11
.LBB176_164:
	s_and_not1_saveexec_b32 s2, s2
; %bb.165:
	s_mov_b32 s3, exec_lo
                                        ; implicit-def: $vgpr10
; %bb.166:
	s_or_b32 exec_lo, exec_lo, s2
	s_delay_alu instid0(SALU_CYCLE_1)
	s_and_b32 s2, s7, exec_lo
	s_and_b32 s3, s3, exec_lo
                                        ; implicit-def: $vgpr25
                                        ; implicit-def: $vgpr12
                                        ; implicit-def: $vgpr22
.LBB176_167:
	s_and_not1_saveexec_b32 s6, s6
	s_cbranch_execz .LBB176_177
; %bb.168:
	s_mov_b32 s7, 0
	s_mov_b32 s4, exec_lo
	v_cmpx_lt_i64_e32 18, v[0:1]
	s_xor_b32 s4, exec_lo, s4
	s_cbranch_execz .LBB176_174
; %bb.169:
	s_mov_b32 s8, exec_lo
	v_cmpx_lt_i64_e32 19, v[0:1]
	s_xor_b32 s8, exec_lo, s8
; %bb.170:
	s_mov_b32 s7, exec_lo
                                        ; implicit-def: $vgpr22
; %bb.171:
	s_and_not1_saveexec_b32 s8, s8
	s_cbranch_execz .LBB176_173
; %bb.172:
	v_mov_b32_e32 v2, 0
                                        ; implicit-def: $vgpr12
	s_waitcnt lgkmcnt(4)
	global_store_b8 v2, v22, s[10:11]
.LBB176_173:
	s_or_b32 exec_lo, exec_lo, s8
	s_delay_alu instid0(SALU_CYCLE_1)
	s_and_b32 s7, s7, exec_lo
                                        ; implicit-def: $vgpr25
.LBB176_174:
	s_and_not1_saveexec_b32 s4, s4
	s_cbranch_execz .LBB176_176
; %bb.175:
	v_mov_b32_e32 v2, 0
                                        ; implicit-def: $vgpr12
	s_waitcnt lgkmcnt(5)
	global_store_b8 v2, v25, s[10:11]
.LBB176_176:
	s_or_b32 exec_lo, exec_lo, s4
	s_delay_alu instid0(SALU_CYCLE_1)
	s_and_b32 s4, s7, exec_lo
                                        ; implicit-def: $vgpr10
                                        ; implicit-def: $vgpr11
.LBB176_177:
	s_or_b32 exec_lo, exec_lo, s6
	s_delay_alu instid0(SALU_CYCLE_1)
	s_and_b32 s2, s2, exec_lo
	s_and_b32 s3, s3, exec_lo
	;; [unrolled: 1-line block ×3, first 2 shown]
                                        ; implicit-def: $vgpr19
                                        ; implicit-def: $vgpr14
                                        ; implicit-def: $vgpr16
                                        ; implicit-def: $vgpr23
                                        ; implicit-def: $vgpr26
.LBB176_178:
	s_and_not1_saveexec_b32 s5, s5
	s_cbranch_execz .LBB176_200
; %bb.179:
	s_mov_b32 s6, s2
	s_mov_b32 s7, exec_lo
	v_cmpx_lt_i64_e32 14, v[0:1]
	s_xor_b32 s7, exec_lo, s7
	s_cbranch_execz .LBB176_189
; %bb.180:
	s_mov_b32 s6, exec_lo
	v_cmpx_lt_i64_e32 15, v[0:1]
	s_xor_b32 s6, exec_lo, s6
	s_cbranch_execz .LBB176_186
; %bb.181:
	;; [unrolled: 5-line block ×3, first 2 shown]
	v_mov_b32_e32 v2, 0
                                        ; implicit-def: $vgpr23
	s_waitcnt lgkmcnt(6)
	global_store_b8 v2, v26, s[10:11]
.LBB176_183:
	s_and_not1_saveexec_b32 s8, s8
	s_cbranch_execz .LBB176_185
; %bb.184:
	v_mov_b32_e32 v2, 0
	s_waitcnt lgkmcnt(7)
	global_store_b8 v2, v23, s[10:11]
.LBB176_185:
	s_or_b32 exec_lo, exec_lo, s8
                                        ; implicit-def: $vgpr10
.LBB176_186:
	s_or_saveexec_b32 s6, s6
	s_mov_b32 s8, s2
	s_xor_b32 exec_lo, exec_lo, s6
; %bb.187:
	s_delay_alu instid0(SALU_CYCLE_1)
	s_or_b32 s8, s2, exec_lo
; %bb.188:
	s_or_b32 exec_lo, exec_lo, s6
	s_delay_alu instid0(SALU_CYCLE_1) | instskip(SKIP_1) | instid1(SALU_CYCLE_1)
	s_and_not1_b32 s6, s2, exec_lo
	s_and_b32 s8, s8, exec_lo
                                        ; implicit-def: $vgpr19
                                        ; implicit-def: $vgpr14
                                        ; implicit-def: $vgpr16
	s_or_b32 s6, s6, s8
.LBB176_189:
	s_or_saveexec_b32 s7, s7
	s_mov_b32 s8, s3
                                        ; implicit-def: $vgpr11
	s_xor_b32 exec_lo, exec_lo, s7
	s_cbranch_execz .LBB176_199
; %bb.190:
	s_mov_b32 s9, s3
	s_mov_b32 s12, s6
	s_mov_b32 s8, exec_lo
                                        ; implicit-def: $vgpr10
                                        ; implicit-def: $vgpr11
	v_cmpx_lt_i64_e32 12, v[0:1]
	s_xor_b32 s8, exec_lo, s8
	s_cbranch_execz .LBB176_196
; %bb.191:
	s_mov_b32 s9, s6
	s_mov_b32 s12, exec_lo
	v_cmpx_lt_i64_e32 13, v[0:1]
	s_xor_b32 s12, exec_lo, s12
; %bb.192:
	s_or_b32 s9, s6, exec_lo
                                        ; implicit-def: $vgpr14
; %bb.193:
	s_or_saveexec_b32 s13, s12
	s_mov_b32 s12, s3
	s_xor_b32 exec_lo, exec_lo, s13
; %bb.194:
	s_delay_alu instid0(SALU_CYCLE_1)
	s_or_b32 s12, s3, exec_lo
                                        ; implicit-def: $vgpr16
; %bb.195:
	s_or_b32 exec_lo, exec_lo, s13
	s_waitcnt lgkmcnt(2)
	v_dual_mov_b32 v10, v16 :: v_dual_mov_b32 v11, v14
	s_and_not1_b32 s13, s6, exec_lo
	s_and_b32 s9, s9, exec_lo
	s_and_not1_b32 s14, s3, exec_lo
	s_and_b32 s15, s12, exec_lo
	s_or_b32 s12, s13, s9
	s_or_b32 s9, s14, s15
                                        ; implicit-def: $vgpr19
.LBB176_196:
	s_and_not1_saveexec_b32 s8, s8
	s_cbranch_execz .LBB176_198
; %bb.197:
	s_waitcnt lgkmcnt(2)
	v_mov_b32_e32 v11, v19
	s_or_b32 s9, s9, exec_lo
                                        ; implicit-def: $vgpr10
.LBB176_198:
	s_or_b32 exec_lo, exec_lo, s8
	s_delay_alu instid0(SALU_CYCLE_1)
	s_and_not1_b32 s6, s6, exec_lo
	s_and_b32 s8, s12, exec_lo
	s_and_not1_b32 s12, s3, exec_lo
	s_and_b32 s9, s9, exec_lo
	s_or_b32 s6, s6, s8
	s_or_b32 s8, s12, s9
.LBB176_199:
	s_or_b32 exec_lo, exec_lo, s7
	s_delay_alu instid0(SALU_CYCLE_1)
	s_and_not1_b32 s2, s2, exec_lo
	s_and_b32 s6, s6, exec_lo
	s_and_not1_b32 s3, s3, exec_lo
	s_and_b32 s7, s8, exec_lo
	s_or_b32 s2, s2, s6
	s_or_b32 s3, s3, s7
                                        ; implicit-def: $vgpr12
.LBB176_200:
	s_or_b32 exec_lo, exec_lo, s5
	s_delay_alu instid0(SALU_CYCLE_1)
	s_and_b32 s2, s2, exec_lo
	s_and_b32 s3, s3, exec_lo
	s_and_b32 s4, s4, exec_lo
                                        ; implicit-def: $vgpr18
                                        ; implicit-def: $vgpr15
                                        ; implicit-def: $vgpr17
                                        ; implicit-def: $vgpr24
                                        ; implicit-def: $vgpr21
                                        ; implicit-def: $vgpr20
	s_and_not1_saveexec_b32 s1, s1
	s_cbranch_execz .LBB176_151
.LBB176_201:
	s_mov_b32 s6, -1
	s_mov_b32 s5, s4
	s_mov_b32 s8, s3
	;; [unrolled: 1-line block ×3, first 2 shown]
	s_mov_b32 s0, exec_lo
                                        ; implicit-def: $vgpr10
                                        ; implicit-def: $vgpr11
                                        ; implicit-def: $vgpr12
	v_cmpx_lt_i64_e32 5, v[0:1]
	s_cbranch_execz .LBB176_217
; %bb.202:
	s_mov_b32 s5, s4
	s_mov_b32 s6, exec_lo
                                        ; implicit-def: $vgpr12
	v_cmpx_lt_i64_e32 8, v[0:1]
	s_xor_b32 s6, exec_lo, s6
	s_cbranch_execz .LBB176_212
; %bb.203:
	s_mov_b32 s5, exec_lo
	v_cmpx_lt_i64_e32 9, v[0:1]
	s_xor_b32 s5, exec_lo, s5
	s_cbranch_execz .LBB176_209
; %bb.204:
	s_mov_b32 s7, exec_lo
	v_cmpx_lt_i64_e32 10, v[0:1]
	s_xor_b32 s7, exec_lo, s7
; %bb.205:
                                        ; implicit-def: $vgpr21
; %bb.206:
	s_delay_alu instid0(SALU_CYCLE_1)
	s_and_not1_saveexec_b32 s7, s7
	s_cbranch_execz .LBB176_208
; %bb.207:
	s_waitcnt lgkmcnt(12)
	v_mov_b32_e32 v20, v21
.LBB176_208:
	s_or_b32 exec_lo, exec_lo, s7
                                        ; implicit-def: $vgpr24
.LBB176_209:
	s_and_not1_saveexec_b32 s5, s5
	s_cbranch_execz .LBB176_211
; %bb.210:
	s_waitcnt lgkmcnt(12)
	v_mov_b32_e32 v20, v24
.LBB176_211:
	s_or_b32 exec_lo, exec_lo, s5
	s_waitcnt lgkmcnt(3)
	s_delay_alu instid0(VALU_DEP_1)
	v_mov_b32_e32 v12, v20
	s_or_b32 s5, s4, exec_lo
                                        ; implicit-def: $vgpr18
                                        ; implicit-def: $vgpr15
                                        ; implicit-def: $vgpr17
.LBB176_212:
	s_or_saveexec_b32 s6, s6
	s_mov_b32 s9, s3
	s_mov_b32 s8, s2
                                        ; implicit-def: $vgpr10
                                        ; implicit-def: $vgpr11
	s_xor_b32 exec_lo, exec_lo, s6
	s_cbranch_execz .LBB176_216
; %bb.213:
	s_mov_b32 s8, -1
	s_mov_b32 s7, s5
	s_mov_b32 s9, s3
	s_mov_b32 s12, exec_lo
	v_cmpx_lt_i64_e32 6, v[0:1]
; %bb.214:
	v_cmp_lt_i64_e32 vcc_lo, 7, v[0:1]
	s_and_not1_b32 s7, s5, exec_lo
	s_xor_b32 s8, exec_lo, -1
	s_or_b32 s9, s3, exec_lo
                                        ; implicit-def: $vgpr18
	s_and_b32 s13, vcc_lo, exec_lo
	s_delay_alu instid0(SALU_CYCLE_1)
	s_or_b32 s7, s7, s13
; %bb.215:
	s_or_b32 exec_lo, exec_lo, s12
	s_delay_alu instid0(SALU_CYCLE_1)
	s_and_not1_b32 s12, s2, exec_lo
	s_and_b32 s8, s8, exec_lo
	s_waitcnt lgkmcnt(2)
	v_dual_mov_b32 v10, v18 :: v_dual_mov_b32 v11, v15
	v_mov_b32_e32 v12, v17
	s_or_b32 s8, s12, s8
	s_and_not1_b32 s12, s3, exec_lo
	s_and_b32 s9, s9, exec_lo
	s_and_not1_b32 s5, s5, exec_lo
	s_and_b32 s7, s7, exec_lo
	s_or_b32 s9, s12, s9
	s_or_b32 s5, s5, s7
.LBB176_216:
	s_or_b32 exec_lo, exec_lo, s6
	s_delay_alu instid0(SALU_CYCLE_1)
	s_and_not1_b32 s7, s2, exec_lo
	s_and_b32 s8, s8, exec_lo
	s_and_b32 s9, s9, exec_lo
	s_or_b32 s7, s7, s8
	s_and_not1_b32 s8, s3, exec_lo
	s_and_not1_b32 s12, s4, exec_lo
	s_and_b32 s5, s5, exec_lo
	s_xor_b32 s6, exec_lo, -1
	s_or_b32 s8, s8, s9
	s_or_b32 s5, s12, s5
.LBB176_217:
	s_or_b32 exec_lo, exec_lo, s0
	s_delay_alu instid0(SALU_CYCLE_1)
	s_and_not1_b32 s2, s2, exec_lo
	s_and_b32 s7, s7, exec_lo
	s_and_b32 s0, s6, exec_lo
	s_and_not1_b32 s3, s3, exec_lo
	s_and_b32 s6, s8, exec_lo
	s_and_not1_b32 s4, s4, exec_lo
	s_and_b32 s5, s5, exec_lo
	s_or_b32 s2, s2, s7
	s_or_b32 s3, s3, s6
	;; [unrolled: 1-line block ×3, first 2 shown]
	s_or_b32 exec_lo, exec_lo, s1
	s_and_saveexec_b32 s1, s4
	s_cbranch_execz .LBB176_152
.LBB176_218:
	v_mov_b32_e32 v2, 0
	s_and_not1_b32 s3, s3, exec_lo
                                        ; implicit-def: $vgpr10
                                        ; implicit-def: $vgpr11
	s_waitcnt lgkmcnt(3)
	global_store_b8 v2, v12, s[10:11]
	s_or_b32 exec_lo, exec_lo, s1
	s_and_saveexec_b32 s1, s3
	s_cbranch_execz .LBB176_153
.LBB176_219:
	v_mov_b32_e32 v2, 0
                                        ; implicit-def: $vgpr10
	s_waitcnt lgkmcnt(2)
	global_store_b8 v2, v11, s[10:11]
	s_or_b32 exec_lo, exec_lo, s1
	s_and_saveexec_b32 s1, s2
	s_delay_alu instid0(SALU_CYCLE_1)
	s_xor_b32 s1, exec_lo, s1
	s_cbranch_execz .LBB176_154
.LBB176_220:
	v_mov_b32_e32 v2, 0
	s_waitcnt lgkmcnt(8)
	global_store_b8 v2, v10, s[10:11]
	s_or_b32 exec_lo, exec_lo, s1
	s_delay_alu instid0(SALU_CYCLE_1)
	s_and_b32 exec_lo, exec_lo, s0
	s_cbranch_execz .LBB176_155
.LBB176_221:
	s_mov_b32 s0, exec_lo
	v_cmpx_lt_i64_e32 2, v[0:1]
	s_xor_b32 s0, exec_lo, s0
	s_cbranch_execz .LBB176_231
; %bb.222:
	s_mov_b32 s1, exec_lo
	v_cmpx_lt_i64_e32 3, v[0:1]
	s_xor_b32 s1, exec_lo, s1
	s_cbranch_execz .LBB176_228
; %bb.223:
	;; [unrolled: 5-line block ×3, first 2 shown]
	v_mov_b32_e32 v0, 0
                                        ; implicit-def: $vgpr6
	s_waitcnt lgkmcnt(18)
	global_store_b8 v0, v9, s[10:11]
.LBB176_225:
	s_and_not1_saveexec_b32 s2, s2
	s_cbranch_execz .LBB176_227
; %bb.226:
	v_mov_b32_e32 v0, 0
	s_waitcnt lgkmcnt(19)
	global_store_b8 v0, v6, s[10:11]
.LBB176_227:
	s_or_b32 exec_lo, exec_lo, s2
                                        ; implicit-def: $vgpr8
.LBB176_228:
	s_and_not1_saveexec_b32 s1, s1
	s_cbranch_execz .LBB176_230
; %bb.229:
	v_mov_b32_e32 v0, 0
	s_waitcnt lgkmcnt(20)
	global_store_b8 v0, v8, s[10:11]
.LBB176_230:
	s_or_b32 exec_lo, exec_lo, s1
                                        ; implicit-def: $vgpr0_vgpr1
                                        ; implicit-def: $vgpr7
                                        ; implicit-def: $vgpr4
                                        ; implicit-def: $vgpr5
.LBB176_231:
	s_and_not1_saveexec_b32 s0, s0
	s_cbranch_execz .LBB176_155
; %bb.232:
	s_mov_b32 s0, exec_lo
	v_cmpx_lt_i64_e32 1, v[0:1]
	s_xor_b32 s0, exec_lo, s0
	s_cbranch_execz .LBB176_234
; %bb.233:
	v_mov_b32_e32 v0, 0
                                        ; implicit-def: $vgpr4
                                        ; implicit-def: $vgpr5
	s_waitcnt lgkmcnt(21)
	global_store_b8 v0, v7, s[10:11]
                                        ; implicit-def: $vgpr0_vgpr1
.LBB176_234:
	s_and_not1_saveexec_b32 s0, s0
	s_cbranch_execz .LBB176_155
; %bb.235:
	s_mov_b32 s0, exec_lo
	v_cmpx_ne_u64_e32 1, v[0:1]
	s_xor_b32 s0, exec_lo, s0
	s_cbranch_execz .LBB176_237
; %bb.236:
	v_mov_b32_e32 v0, 0
                                        ; implicit-def: $vgpr4
	s_waitcnt lgkmcnt(23)
	global_store_b8 v0, v5, s[10:11]
.LBB176_237:
	s_and_not1_saveexec_b32 s0, s0
	s_cbranch_execz .LBB176_155
; %bb.238:
	v_mov_b32_e32 v0, 0
	s_waitcnt lgkmcnt(22)
	global_store_b8 v0, v4, s[10:11]
	s_endpgm
	.section	.rodata,"a",@progbits
	.p2align	6, 0x0
	.amdhsa_kernel _ZN7rocprim17ROCPRIM_400000_NS6detail17trampoline_kernelINS0_14default_configENS1_20scan_config_selectorIhEEZZNS1_9scan_implILNS1_25lookback_scan_determinismE0ELb0ELb0ES3_N6thrust23THRUST_200600_302600_NS6detail15normal_iteratorINS9_7pointerIhNS9_11hip_rocprim5par_tENS9_11use_defaultESF_EEEENSB_INSC_IjSE_SF_SF_EEEEhNS9_4plusIvEEhEEDaPvRmT3_T4_T5_mT6_P12ihipStream_tbENKUlT_T0_E_clISt17integral_constantIbLb0EESY_IbLb1EEEEDaSU_SV_EUlSU_E_NS1_11comp_targetILNS1_3genE9ELNS1_11target_archE1100ELNS1_3gpuE3ELNS1_3repE0EEENS1_30default_config_static_selectorELNS0_4arch9wavefront6targetE0EEEvT1_
		.amdhsa_group_segment_fixed_size 6144
		.amdhsa_private_segment_fixed_size 0
		.amdhsa_kernarg_size 96
		.amdhsa_user_sgpr_count 15
		.amdhsa_user_sgpr_dispatch_ptr 0
		.amdhsa_user_sgpr_queue_ptr 0
		.amdhsa_user_sgpr_kernarg_segment_ptr 1
		.amdhsa_user_sgpr_dispatch_id 0
		.amdhsa_user_sgpr_private_segment_size 0
		.amdhsa_wavefront_size32 1
		.amdhsa_uses_dynamic_stack 0
		.amdhsa_enable_private_segment 0
		.amdhsa_system_sgpr_workgroup_id_x 1
		.amdhsa_system_sgpr_workgroup_id_y 0
		.amdhsa_system_sgpr_workgroup_id_z 0
		.amdhsa_system_sgpr_workgroup_info 0
		.amdhsa_system_vgpr_workitem_id 0
		.amdhsa_next_free_vgpr 57
		.amdhsa_next_free_sgpr 26
		.amdhsa_reserve_vcc 1
		.amdhsa_float_round_mode_32 0
		.amdhsa_float_round_mode_16_64 0
		.amdhsa_float_denorm_mode_32 3
		.amdhsa_float_denorm_mode_16_64 3
		.amdhsa_dx10_clamp 1
		.amdhsa_ieee_mode 1
		.amdhsa_fp16_overflow 0
		.amdhsa_workgroup_processor_mode 1
		.amdhsa_memory_ordered 1
		.amdhsa_forward_progress 0
		.amdhsa_shared_vgpr_count 0
		.amdhsa_exception_fp_ieee_invalid_op 0
		.amdhsa_exception_fp_denorm_src 0
		.amdhsa_exception_fp_ieee_div_zero 0
		.amdhsa_exception_fp_ieee_overflow 0
		.amdhsa_exception_fp_ieee_underflow 0
		.amdhsa_exception_fp_ieee_inexact 0
		.amdhsa_exception_int_div_zero 0
	.end_amdhsa_kernel
	.section	.text._ZN7rocprim17ROCPRIM_400000_NS6detail17trampoline_kernelINS0_14default_configENS1_20scan_config_selectorIhEEZZNS1_9scan_implILNS1_25lookback_scan_determinismE0ELb0ELb0ES3_N6thrust23THRUST_200600_302600_NS6detail15normal_iteratorINS9_7pointerIhNS9_11hip_rocprim5par_tENS9_11use_defaultESF_EEEENSB_INSC_IjSE_SF_SF_EEEEhNS9_4plusIvEEhEEDaPvRmT3_T4_T5_mT6_P12ihipStream_tbENKUlT_T0_E_clISt17integral_constantIbLb0EESY_IbLb1EEEEDaSU_SV_EUlSU_E_NS1_11comp_targetILNS1_3genE9ELNS1_11target_archE1100ELNS1_3gpuE3ELNS1_3repE0EEENS1_30default_config_static_selectorELNS0_4arch9wavefront6targetE0EEEvT1_,"axG",@progbits,_ZN7rocprim17ROCPRIM_400000_NS6detail17trampoline_kernelINS0_14default_configENS1_20scan_config_selectorIhEEZZNS1_9scan_implILNS1_25lookback_scan_determinismE0ELb0ELb0ES3_N6thrust23THRUST_200600_302600_NS6detail15normal_iteratorINS9_7pointerIhNS9_11hip_rocprim5par_tENS9_11use_defaultESF_EEEENSB_INSC_IjSE_SF_SF_EEEEhNS9_4plusIvEEhEEDaPvRmT3_T4_T5_mT6_P12ihipStream_tbENKUlT_T0_E_clISt17integral_constantIbLb0EESY_IbLb1EEEEDaSU_SV_EUlSU_E_NS1_11comp_targetILNS1_3genE9ELNS1_11target_archE1100ELNS1_3gpuE3ELNS1_3repE0EEENS1_30default_config_static_selectorELNS0_4arch9wavefront6targetE0EEEvT1_,comdat
.Lfunc_end176:
	.size	_ZN7rocprim17ROCPRIM_400000_NS6detail17trampoline_kernelINS0_14default_configENS1_20scan_config_selectorIhEEZZNS1_9scan_implILNS1_25lookback_scan_determinismE0ELb0ELb0ES3_N6thrust23THRUST_200600_302600_NS6detail15normal_iteratorINS9_7pointerIhNS9_11hip_rocprim5par_tENS9_11use_defaultESF_EEEENSB_INSC_IjSE_SF_SF_EEEEhNS9_4plusIvEEhEEDaPvRmT3_T4_T5_mT6_P12ihipStream_tbENKUlT_T0_E_clISt17integral_constantIbLb0EESY_IbLb1EEEEDaSU_SV_EUlSU_E_NS1_11comp_targetILNS1_3genE9ELNS1_11target_archE1100ELNS1_3gpuE3ELNS1_3repE0EEENS1_30default_config_static_selectorELNS0_4arch9wavefront6targetE0EEEvT1_, .Lfunc_end176-_ZN7rocprim17ROCPRIM_400000_NS6detail17trampoline_kernelINS0_14default_configENS1_20scan_config_selectorIhEEZZNS1_9scan_implILNS1_25lookback_scan_determinismE0ELb0ELb0ES3_N6thrust23THRUST_200600_302600_NS6detail15normal_iteratorINS9_7pointerIhNS9_11hip_rocprim5par_tENS9_11use_defaultESF_EEEENSB_INSC_IjSE_SF_SF_EEEEhNS9_4plusIvEEhEEDaPvRmT3_T4_T5_mT6_P12ihipStream_tbENKUlT_T0_E_clISt17integral_constantIbLb0EESY_IbLb1EEEEDaSU_SV_EUlSU_E_NS1_11comp_targetILNS1_3genE9ELNS1_11target_archE1100ELNS1_3gpuE3ELNS1_3repE0EEENS1_30default_config_static_selectorELNS0_4arch9wavefront6targetE0EEEvT1_
                                        ; -- End function
	.section	.AMDGPU.csdata,"",@progbits
; Kernel info:
; codeLenInByte = 10760
; NumSgprs: 28
; NumVgprs: 57
; ScratchSize: 0
; MemoryBound: 0
; FloatMode: 240
; IeeeMode: 1
; LDSByteSize: 6144 bytes/workgroup (compile time only)
; SGPRBlocks: 3
; VGPRBlocks: 7
; NumSGPRsForWavesPerEU: 28
; NumVGPRsForWavesPerEU: 57
; Occupancy: 16
; WaveLimiterHint : 1
; COMPUTE_PGM_RSRC2:SCRATCH_EN: 0
; COMPUTE_PGM_RSRC2:USER_SGPR: 15
; COMPUTE_PGM_RSRC2:TRAP_HANDLER: 0
; COMPUTE_PGM_RSRC2:TGID_X_EN: 1
; COMPUTE_PGM_RSRC2:TGID_Y_EN: 0
; COMPUTE_PGM_RSRC2:TGID_Z_EN: 0
; COMPUTE_PGM_RSRC2:TIDIG_COMP_CNT: 0
	.section	.text._ZN7rocprim17ROCPRIM_400000_NS6detail17trampoline_kernelINS0_14default_configENS1_20scan_config_selectorIhEEZZNS1_9scan_implILNS1_25lookback_scan_determinismE0ELb0ELb0ES3_N6thrust23THRUST_200600_302600_NS6detail15normal_iteratorINS9_7pointerIhNS9_11hip_rocprim5par_tENS9_11use_defaultESF_EEEENSB_INSC_IjSE_SF_SF_EEEEhNS9_4plusIvEEhEEDaPvRmT3_T4_T5_mT6_P12ihipStream_tbENKUlT_T0_E_clISt17integral_constantIbLb0EESY_IbLb1EEEEDaSU_SV_EUlSU_E_NS1_11comp_targetILNS1_3genE8ELNS1_11target_archE1030ELNS1_3gpuE2ELNS1_3repE0EEENS1_30default_config_static_selectorELNS0_4arch9wavefront6targetE0EEEvT1_,"axG",@progbits,_ZN7rocprim17ROCPRIM_400000_NS6detail17trampoline_kernelINS0_14default_configENS1_20scan_config_selectorIhEEZZNS1_9scan_implILNS1_25lookback_scan_determinismE0ELb0ELb0ES3_N6thrust23THRUST_200600_302600_NS6detail15normal_iteratorINS9_7pointerIhNS9_11hip_rocprim5par_tENS9_11use_defaultESF_EEEENSB_INSC_IjSE_SF_SF_EEEEhNS9_4plusIvEEhEEDaPvRmT3_T4_T5_mT6_P12ihipStream_tbENKUlT_T0_E_clISt17integral_constantIbLb0EESY_IbLb1EEEEDaSU_SV_EUlSU_E_NS1_11comp_targetILNS1_3genE8ELNS1_11target_archE1030ELNS1_3gpuE2ELNS1_3repE0EEENS1_30default_config_static_selectorELNS0_4arch9wavefront6targetE0EEEvT1_,comdat
	.protected	_ZN7rocprim17ROCPRIM_400000_NS6detail17trampoline_kernelINS0_14default_configENS1_20scan_config_selectorIhEEZZNS1_9scan_implILNS1_25lookback_scan_determinismE0ELb0ELb0ES3_N6thrust23THRUST_200600_302600_NS6detail15normal_iteratorINS9_7pointerIhNS9_11hip_rocprim5par_tENS9_11use_defaultESF_EEEENSB_INSC_IjSE_SF_SF_EEEEhNS9_4plusIvEEhEEDaPvRmT3_T4_T5_mT6_P12ihipStream_tbENKUlT_T0_E_clISt17integral_constantIbLb0EESY_IbLb1EEEEDaSU_SV_EUlSU_E_NS1_11comp_targetILNS1_3genE8ELNS1_11target_archE1030ELNS1_3gpuE2ELNS1_3repE0EEENS1_30default_config_static_selectorELNS0_4arch9wavefront6targetE0EEEvT1_ ; -- Begin function _ZN7rocprim17ROCPRIM_400000_NS6detail17trampoline_kernelINS0_14default_configENS1_20scan_config_selectorIhEEZZNS1_9scan_implILNS1_25lookback_scan_determinismE0ELb0ELb0ES3_N6thrust23THRUST_200600_302600_NS6detail15normal_iteratorINS9_7pointerIhNS9_11hip_rocprim5par_tENS9_11use_defaultESF_EEEENSB_INSC_IjSE_SF_SF_EEEEhNS9_4plusIvEEhEEDaPvRmT3_T4_T5_mT6_P12ihipStream_tbENKUlT_T0_E_clISt17integral_constantIbLb0EESY_IbLb1EEEEDaSU_SV_EUlSU_E_NS1_11comp_targetILNS1_3genE8ELNS1_11target_archE1030ELNS1_3gpuE2ELNS1_3repE0EEENS1_30default_config_static_selectorELNS0_4arch9wavefront6targetE0EEEvT1_
	.globl	_ZN7rocprim17ROCPRIM_400000_NS6detail17trampoline_kernelINS0_14default_configENS1_20scan_config_selectorIhEEZZNS1_9scan_implILNS1_25lookback_scan_determinismE0ELb0ELb0ES3_N6thrust23THRUST_200600_302600_NS6detail15normal_iteratorINS9_7pointerIhNS9_11hip_rocprim5par_tENS9_11use_defaultESF_EEEENSB_INSC_IjSE_SF_SF_EEEEhNS9_4plusIvEEhEEDaPvRmT3_T4_T5_mT6_P12ihipStream_tbENKUlT_T0_E_clISt17integral_constantIbLb0EESY_IbLb1EEEEDaSU_SV_EUlSU_E_NS1_11comp_targetILNS1_3genE8ELNS1_11target_archE1030ELNS1_3gpuE2ELNS1_3repE0EEENS1_30default_config_static_selectorELNS0_4arch9wavefront6targetE0EEEvT1_
	.p2align	8
	.type	_ZN7rocprim17ROCPRIM_400000_NS6detail17trampoline_kernelINS0_14default_configENS1_20scan_config_selectorIhEEZZNS1_9scan_implILNS1_25lookback_scan_determinismE0ELb0ELb0ES3_N6thrust23THRUST_200600_302600_NS6detail15normal_iteratorINS9_7pointerIhNS9_11hip_rocprim5par_tENS9_11use_defaultESF_EEEENSB_INSC_IjSE_SF_SF_EEEEhNS9_4plusIvEEhEEDaPvRmT3_T4_T5_mT6_P12ihipStream_tbENKUlT_T0_E_clISt17integral_constantIbLb0EESY_IbLb1EEEEDaSU_SV_EUlSU_E_NS1_11comp_targetILNS1_3genE8ELNS1_11target_archE1030ELNS1_3gpuE2ELNS1_3repE0EEENS1_30default_config_static_selectorELNS0_4arch9wavefront6targetE0EEEvT1_,@function
_ZN7rocprim17ROCPRIM_400000_NS6detail17trampoline_kernelINS0_14default_configENS1_20scan_config_selectorIhEEZZNS1_9scan_implILNS1_25lookback_scan_determinismE0ELb0ELb0ES3_N6thrust23THRUST_200600_302600_NS6detail15normal_iteratorINS9_7pointerIhNS9_11hip_rocprim5par_tENS9_11use_defaultESF_EEEENSB_INSC_IjSE_SF_SF_EEEEhNS9_4plusIvEEhEEDaPvRmT3_T4_T5_mT6_P12ihipStream_tbENKUlT_T0_E_clISt17integral_constantIbLb0EESY_IbLb1EEEEDaSU_SV_EUlSU_E_NS1_11comp_targetILNS1_3genE8ELNS1_11target_archE1030ELNS1_3gpuE2ELNS1_3repE0EEENS1_30default_config_static_selectorELNS0_4arch9wavefront6targetE0EEEvT1_: ; @_ZN7rocprim17ROCPRIM_400000_NS6detail17trampoline_kernelINS0_14default_configENS1_20scan_config_selectorIhEEZZNS1_9scan_implILNS1_25lookback_scan_determinismE0ELb0ELb0ES3_N6thrust23THRUST_200600_302600_NS6detail15normal_iteratorINS9_7pointerIhNS9_11hip_rocprim5par_tENS9_11use_defaultESF_EEEENSB_INSC_IjSE_SF_SF_EEEEhNS9_4plusIvEEhEEDaPvRmT3_T4_T5_mT6_P12ihipStream_tbENKUlT_T0_E_clISt17integral_constantIbLb0EESY_IbLb1EEEEDaSU_SV_EUlSU_E_NS1_11comp_targetILNS1_3genE8ELNS1_11target_archE1030ELNS1_3gpuE2ELNS1_3repE0EEENS1_30default_config_static_selectorELNS0_4arch9wavefront6targetE0EEEvT1_
; %bb.0:
	.section	.rodata,"a",@progbits
	.p2align	6, 0x0
	.amdhsa_kernel _ZN7rocprim17ROCPRIM_400000_NS6detail17trampoline_kernelINS0_14default_configENS1_20scan_config_selectorIhEEZZNS1_9scan_implILNS1_25lookback_scan_determinismE0ELb0ELb0ES3_N6thrust23THRUST_200600_302600_NS6detail15normal_iteratorINS9_7pointerIhNS9_11hip_rocprim5par_tENS9_11use_defaultESF_EEEENSB_INSC_IjSE_SF_SF_EEEEhNS9_4plusIvEEhEEDaPvRmT3_T4_T5_mT6_P12ihipStream_tbENKUlT_T0_E_clISt17integral_constantIbLb0EESY_IbLb1EEEEDaSU_SV_EUlSU_E_NS1_11comp_targetILNS1_3genE8ELNS1_11target_archE1030ELNS1_3gpuE2ELNS1_3repE0EEENS1_30default_config_static_selectorELNS0_4arch9wavefront6targetE0EEEvT1_
		.amdhsa_group_segment_fixed_size 0
		.amdhsa_private_segment_fixed_size 0
		.amdhsa_kernarg_size 96
		.amdhsa_user_sgpr_count 15
		.amdhsa_user_sgpr_dispatch_ptr 0
		.amdhsa_user_sgpr_queue_ptr 0
		.amdhsa_user_sgpr_kernarg_segment_ptr 1
		.amdhsa_user_sgpr_dispatch_id 0
		.amdhsa_user_sgpr_private_segment_size 0
		.amdhsa_wavefront_size32 1
		.amdhsa_uses_dynamic_stack 0
		.amdhsa_enable_private_segment 0
		.amdhsa_system_sgpr_workgroup_id_x 1
		.amdhsa_system_sgpr_workgroup_id_y 0
		.amdhsa_system_sgpr_workgroup_id_z 0
		.amdhsa_system_sgpr_workgroup_info 0
		.amdhsa_system_vgpr_workitem_id 0
		.amdhsa_next_free_vgpr 1
		.amdhsa_next_free_sgpr 1
		.amdhsa_reserve_vcc 0
		.amdhsa_float_round_mode_32 0
		.amdhsa_float_round_mode_16_64 0
		.amdhsa_float_denorm_mode_32 3
		.amdhsa_float_denorm_mode_16_64 3
		.amdhsa_dx10_clamp 1
		.amdhsa_ieee_mode 1
		.amdhsa_fp16_overflow 0
		.amdhsa_workgroup_processor_mode 1
		.amdhsa_memory_ordered 1
		.amdhsa_forward_progress 0
		.amdhsa_shared_vgpr_count 0
		.amdhsa_exception_fp_ieee_invalid_op 0
		.amdhsa_exception_fp_denorm_src 0
		.amdhsa_exception_fp_ieee_div_zero 0
		.amdhsa_exception_fp_ieee_overflow 0
		.amdhsa_exception_fp_ieee_underflow 0
		.amdhsa_exception_fp_ieee_inexact 0
		.amdhsa_exception_int_div_zero 0
	.end_amdhsa_kernel
	.section	.text._ZN7rocprim17ROCPRIM_400000_NS6detail17trampoline_kernelINS0_14default_configENS1_20scan_config_selectorIhEEZZNS1_9scan_implILNS1_25lookback_scan_determinismE0ELb0ELb0ES3_N6thrust23THRUST_200600_302600_NS6detail15normal_iteratorINS9_7pointerIhNS9_11hip_rocprim5par_tENS9_11use_defaultESF_EEEENSB_INSC_IjSE_SF_SF_EEEEhNS9_4plusIvEEhEEDaPvRmT3_T4_T5_mT6_P12ihipStream_tbENKUlT_T0_E_clISt17integral_constantIbLb0EESY_IbLb1EEEEDaSU_SV_EUlSU_E_NS1_11comp_targetILNS1_3genE8ELNS1_11target_archE1030ELNS1_3gpuE2ELNS1_3repE0EEENS1_30default_config_static_selectorELNS0_4arch9wavefront6targetE0EEEvT1_,"axG",@progbits,_ZN7rocprim17ROCPRIM_400000_NS6detail17trampoline_kernelINS0_14default_configENS1_20scan_config_selectorIhEEZZNS1_9scan_implILNS1_25lookback_scan_determinismE0ELb0ELb0ES3_N6thrust23THRUST_200600_302600_NS6detail15normal_iteratorINS9_7pointerIhNS9_11hip_rocprim5par_tENS9_11use_defaultESF_EEEENSB_INSC_IjSE_SF_SF_EEEEhNS9_4plusIvEEhEEDaPvRmT3_T4_T5_mT6_P12ihipStream_tbENKUlT_T0_E_clISt17integral_constantIbLb0EESY_IbLb1EEEEDaSU_SV_EUlSU_E_NS1_11comp_targetILNS1_3genE8ELNS1_11target_archE1030ELNS1_3gpuE2ELNS1_3repE0EEENS1_30default_config_static_selectorELNS0_4arch9wavefront6targetE0EEEvT1_,comdat
.Lfunc_end177:
	.size	_ZN7rocprim17ROCPRIM_400000_NS6detail17trampoline_kernelINS0_14default_configENS1_20scan_config_selectorIhEEZZNS1_9scan_implILNS1_25lookback_scan_determinismE0ELb0ELb0ES3_N6thrust23THRUST_200600_302600_NS6detail15normal_iteratorINS9_7pointerIhNS9_11hip_rocprim5par_tENS9_11use_defaultESF_EEEENSB_INSC_IjSE_SF_SF_EEEEhNS9_4plusIvEEhEEDaPvRmT3_T4_T5_mT6_P12ihipStream_tbENKUlT_T0_E_clISt17integral_constantIbLb0EESY_IbLb1EEEEDaSU_SV_EUlSU_E_NS1_11comp_targetILNS1_3genE8ELNS1_11target_archE1030ELNS1_3gpuE2ELNS1_3repE0EEENS1_30default_config_static_selectorELNS0_4arch9wavefront6targetE0EEEvT1_, .Lfunc_end177-_ZN7rocprim17ROCPRIM_400000_NS6detail17trampoline_kernelINS0_14default_configENS1_20scan_config_selectorIhEEZZNS1_9scan_implILNS1_25lookback_scan_determinismE0ELb0ELb0ES3_N6thrust23THRUST_200600_302600_NS6detail15normal_iteratorINS9_7pointerIhNS9_11hip_rocprim5par_tENS9_11use_defaultESF_EEEENSB_INSC_IjSE_SF_SF_EEEEhNS9_4plusIvEEhEEDaPvRmT3_T4_T5_mT6_P12ihipStream_tbENKUlT_T0_E_clISt17integral_constantIbLb0EESY_IbLb1EEEEDaSU_SV_EUlSU_E_NS1_11comp_targetILNS1_3genE8ELNS1_11target_archE1030ELNS1_3gpuE2ELNS1_3repE0EEENS1_30default_config_static_selectorELNS0_4arch9wavefront6targetE0EEEvT1_
                                        ; -- End function
	.section	.AMDGPU.csdata,"",@progbits
; Kernel info:
; codeLenInByte = 0
; NumSgprs: 0
; NumVgprs: 0
; ScratchSize: 0
; MemoryBound: 0
; FloatMode: 240
; IeeeMode: 1
; LDSByteSize: 0 bytes/workgroup (compile time only)
; SGPRBlocks: 0
; VGPRBlocks: 0
; NumSGPRsForWavesPerEU: 1
; NumVGPRsForWavesPerEU: 1
; Occupancy: 16
; WaveLimiterHint : 0
; COMPUTE_PGM_RSRC2:SCRATCH_EN: 0
; COMPUTE_PGM_RSRC2:USER_SGPR: 15
; COMPUTE_PGM_RSRC2:TRAP_HANDLER: 0
; COMPUTE_PGM_RSRC2:TGID_X_EN: 1
; COMPUTE_PGM_RSRC2:TGID_Y_EN: 0
; COMPUTE_PGM_RSRC2:TGID_Z_EN: 0
; COMPUTE_PGM_RSRC2:TIDIG_COMP_CNT: 0
	.section	.text._ZN7rocprim17ROCPRIM_400000_NS6detail17trampoline_kernelINS0_14default_configENS1_20scan_config_selectorIhEEZZNS1_9scan_implILNS1_25lookback_scan_determinismE0ELb0ELb0ES3_N6thrust23THRUST_200600_302600_NS6detail15normal_iteratorINS9_7pointerIhNS9_11hip_rocprim5par_tENS9_11use_defaultESF_EEEENSB_INSC_IjSE_SF_SF_EEEEhNS9_4plusIvEEhEEDaPvRmT3_T4_T5_mT6_P12ihipStream_tbENKUlT_T0_E_clISt17integral_constantIbLb0EESY_IbLb1EEEEDaSU_SV_EUlSU_E0_NS1_11comp_targetILNS1_3genE0ELNS1_11target_archE4294967295ELNS1_3gpuE0ELNS1_3repE0EEENS1_30default_config_static_selectorELNS0_4arch9wavefront6targetE0EEEvT1_,"axG",@progbits,_ZN7rocprim17ROCPRIM_400000_NS6detail17trampoline_kernelINS0_14default_configENS1_20scan_config_selectorIhEEZZNS1_9scan_implILNS1_25lookback_scan_determinismE0ELb0ELb0ES3_N6thrust23THRUST_200600_302600_NS6detail15normal_iteratorINS9_7pointerIhNS9_11hip_rocprim5par_tENS9_11use_defaultESF_EEEENSB_INSC_IjSE_SF_SF_EEEEhNS9_4plusIvEEhEEDaPvRmT3_T4_T5_mT6_P12ihipStream_tbENKUlT_T0_E_clISt17integral_constantIbLb0EESY_IbLb1EEEEDaSU_SV_EUlSU_E0_NS1_11comp_targetILNS1_3genE0ELNS1_11target_archE4294967295ELNS1_3gpuE0ELNS1_3repE0EEENS1_30default_config_static_selectorELNS0_4arch9wavefront6targetE0EEEvT1_,comdat
	.protected	_ZN7rocprim17ROCPRIM_400000_NS6detail17trampoline_kernelINS0_14default_configENS1_20scan_config_selectorIhEEZZNS1_9scan_implILNS1_25lookback_scan_determinismE0ELb0ELb0ES3_N6thrust23THRUST_200600_302600_NS6detail15normal_iteratorINS9_7pointerIhNS9_11hip_rocprim5par_tENS9_11use_defaultESF_EEEENSB_INSC_IjSE_SF_SF_EEEEhNS9_4plusIvEEhEEDaPvRmT3_T4_T5_mT6_P12ihipStream_tbENKUlT_T0_E_clISt17integral_constantIbLb0EESY_IbLb1EEEEDaSU_SV_EUlSU_E0_NS1_11comp_targetILNS1_3genE0ELNS1_11target_archE4294967295ELNS1_3gpuE0ELNS1_3repE0EEENS1_30default_config_static_selectorELNS0_4arch9wavefront6targetE0EEEvT1_ ; -- Begin function _ZN7rocprim17ROCPRIM_400000_NS6detail17trampoline_kernelINS0_14default_configENS1_20scan_config_selectorIhEEZZNS1_9scan_implILNS1_25lookback_scan_determinismE0ELb0ELb0ES3_N6thrust23THRUST_200600_302600_NS6detail15normal_iteratorINS9_7pointerIhNS9_11hip_rocprim5par_tENS9_11use_defaultESF_EEEENSB_INSC_IjSE_SF_SF_EEEEhNS9_4plusIvEEhEEDaPvRmT3_T4_T5_mT6_P12ihipStream_tbENKUlT_T0_E_clISt17integral_constantIbLb0EESY_IbLb1EEEEDaSU_SV_EUlSU_E0_NS1_11comp_targetILNS1_3genE0ELNS1_11target_archE4294967295ELNS1_3gpuE0ELNS1_3repE0EEENS1_30default_config_static_selectorELNS0_4arch9wavefront6targetE0EEEvT1_
	.globl	_ZN7rocprim17ROCPRIM_400000_NS6detail17trampoline_kernelINS0_14default_configENS1_20scan_config_selectorIhEEZZNS1_9scan_implILNS1_25lookback_scan_determinismE0ELb0ELb0ES3_N6thrust23THRUST_200600_302600_NS6detail15normal_iteratorINS9_7pointerIhNS9_11hip_rocprim5par_tENS9_11use_defaultESF_EEEENSB_INSC_IjSE_SF_SF_EEEEhNS9_4plusIvEEhEEDaPvRmT3_T4_T5_mT6_P12ihipStream_tbENKUlT_T0_E_clISt17integral_constantIbLb0EESY_IbLb1EEEEDaSU_SV_EUlSU_E0_NS1_11comp_targetILNS1_3genE0ELNS1_11target_archE4294967295ELNS1_3gpuE0ELNS1_3repE0EEENS1_30default_config_static_selectorELNS0_4arch9wavefront6targetE0EEEvT1_
	.p2align	8
	.type	_ZN7rocprim17ROCPRIM_400000_NS6detail17trampoline_kernelINS0_14default_configENS1_20scan_config_selectorIhEEZZNS1_9scan_implILNS1_25lookback_scan_determinismE0ELb0ELb0ES3_N6thrust23THRUST_200600_302600_NS6detail15normal_iteratorINS9_7pointerIhNS9_11hip_rocprim5par_tENS9_11use_defaultESF_EEEENSB_INSC_IjSE_SF_SF_EEEEhNS9_4plusIvEEhEEDaPvRmT3_T4_T5_mT6_P12ihipStream_tbENKUlT_T0_E_clISt17integral_constantIbLb0EESY_IbLb1EEEEDaSU_SV_EUlSU_E0_NS1_11comp_targetILNS1_3genE0ELNS1_11target_archE4294967295ELNS1_3gpuE0ELNS1_3repE0EEENS1_30default_config_static_selectorELNS0_4arch9wavefront6targetE0EEEvT1_,@function
_ZN7rocprim17ROCPRIM_400000_NS6detail17trampoline_kernelINS0_14default_configENS1_20scan_config_selectorIhEEZZNS1_9scan_implILNS1_25lookback_scan_determinismE0ELb0ELb0ES3_N6thrust23THRUST_200600_302600_NS6detail15normal_iteratorINS9_7pointerIhNS9_11hip_rocprim5par_tENS9_11use_defaultESF_EEEENSB_INSC_IjSE_SF_SF_EEEEhNS9_4plusIvEEhEEDaPvRmT3_T4_T5_mT6_P12ihipStream_tbENKUlT_T0_E_clISt17integral_constantIbLb0EESY_IbLb1EEEEDaSU_SV_EUlSU_E0_NS1_11comp_targetILNS1_3genE0ELNS1_11target_archE4294967295ELNS1_3gpuE0ELNS1_3repE0EEENS1_30default_config_static_selectorELNS0_4arch9wavefront6targetE0EEEvT1_: ; @_ZN7rocprim17ROCPRIM_400000_NS6detail17trampoline_kernelINS0_14default_configENS1_20scan_config_selectorIhEEZZNS1_9scan_implILNS1_25lookback_scan_determinismE0ELb0ELb0ES3_N6thrust23THRUST_200600_302600_NS6detail15normal_iteratorINS9_7pointerIhNS9_11hip_rocprim5par_tENS9_11use_defaultESF_EEEENSB_INSC_IjSE_SF_SF_EEEEhNS9_4plusIvEEhEEDaPvRmT3_T4_T5_mT6_P12ihipStream_tbENKUlT_T0_E_clISt17integral_constantIbLb0EESY_IbLb1EEEEDaSU_SV_EUlSU_E0_NS1_11comp_targetILNS1_3genE0ELNS1_11target_archE4294967295ELNS1_3gpuE0ELNS1_3repE0EEENS1_30default_config_static_selectorELNS0_4arch9wavefront6targetE0EEEvT1_
; %bb.0:
	.section	.rodata,"a",@progbits
	.p2align	6, 0x0
	.amdhsa_kernel _ZN7rocprim17ROCPRIM_400000_NS6detail17trampoline_kernelINS0_14default_configENS1_20scan_config_selectorIhEEZZNS1_9scan_implILNS1_25lookback_scan_determinismE0ELb0ELb0ES3_N6thrust23THRUST_200600_302600_NS6detail15normal_iteratorINS9_7pointerIhNS9_11hip_rocprim5par_tENS9_11use_defaultESF_EEEENSB_INSC_IjSE_SF_SF_EEEEhNS9_4plusIvEEhEEDaPvRmT3_T4_T5_mT6_P12ihipStream_tbENKUlT_T0_E_clISt17integral_constantIbLb0EESY_IbLb1EEEEDaSU_SV_EUlSU_E0_NS1_11comp_targetILNS1_3genE0ELNS1_11target_archE4294967295ELNS1_3gpuE0ELNS1_3repE0EEENS1_30default_config_static_selectorELNS0_4arch9wavefront6targetE0EEEvT1_
		.amdhsa_group_segment_fixed_size 0
		.amdhsa_private_segment_fixed_size 0
		.amdhsa_kernarg_size 32
		.amdhsa_user_sgpr_count 15
		.amdhsa_user_sgpr_dispatch_ptr 0
		.amdhsa_user_sgpr_queue_ptr 0
		.amdhsa_user_sgpr_kernarg_segment_ptr 1
		.amdhsa_user_sgpr_dispatch_id 0
		.amdhsa_user_sgpr_private_segment_size 0
		.amdhsa_wavefront_size32 1
		.amdhsa_uses_dynamic_stack 0
		.amdhsa_enable_private_segment 0
		.amdhsa_system_sgpr_workgroup_id_x 1
		.amdhsa_system_sgpr_workgroup_id_y 0
		.amdhsa_system_sgpr_workgroup_id_z 0
		.amdhsa_system_sgpr_workgroup_info 0
		.amdhsa_system_vgpr_workitem_id 0
		.amdhsa_next_free_vgpr 1
		.amdhsa_next_free_sgpr 1
		.amdhsa_reserve_vcc 0
		.amdhsa_float_round_mode_32 0
		.amdhsa_float_round_mode_16_64 0
		.amdhsa_float_denorm_mode_32 3
		.amdhsa_float_denorm_mode_16_64 3
		.amdhsa_dx10_clamp 1
		.amdhsa_ieee_mode 1
		.amdhsa_fp16_overflow 0
		.amdhsa_workgroup_processor_mode 1
		.amdhsa_memory_ordered 1
		.amdhsa_forward_progress 0
		.amdhsa_shared_vgpr_count 0
		.amdhsa_exception_fp_ieee_invalid_op 0
		.amdhsa_exception_fp_denorm_src 0
		.amdhsa_exception_fp_ieee_div_zero 0
		.amdhsa_exception_fp_ieee_overflow 0
		.amdhsa_exception_fp_ieee_underflow 0
		.amdhsa_exception_fp_ieee_inexact 0
		.amdhsa_exception_int_div_zero 0
	.end_amdhsa_kernel
	.section	.text._ZN7rocprim17ROCPRIM_400000_NS6detail17trampoline_kernelINS0_14default_configENS1_20scan_config_selectorIhEEZZNS1_9scan_implILNS1_25lookback_scan_determinismE0ELb0ELb0ES3_N6thrust23THRUST_200600_302600_NS6detail15normal_iteratorINS9_7pointerIhNS9_11hip_rocprim5par_tENS9_11use_defaultESF_EEEENSB_INSC_IjSE_SF_SF_EEEEhNS9_4plusIvEEhEEDaPvRmT3_T4_T5_mT6_P12ihipStream_tbENKUlT_T0_E_clISt17integral_constantIbLb0EESY_IbLb1EEEEDaSU_SV_EUlSU_E0_NS1_11comp_targetILNS1_3genE0ELNS1_11target_archE4294967295ELNS1_3gpuE0ELNS1_3repE0EEENS1_30default_config_static_selectorELNS0_4arch9wavefront6targetE0EEEvT1_,"axG",@progbits,_ZN7rocprim17ROCPRIM_400000_NS6detail17trampoline_kernelINS0_14default_configENS1_20scan_config_selectorIhEEZZNS1_9scan_implILNS1_25lookback_scan_determinismE0ELb0ELb0ES3_N6thrust23THRUST_200600_302600_NS6detail15normal_iteratorINS9_7pointerIhNS9_11hip_rocprim5par_tENS9_11use_defaultESF_EEEENSB_INSC_IjSE_SF_SF_EEEEhNS9_4plusIvEEhEEDaPvRmT3_T4_T5_mT6_P12ihipStream_tbENKUlT_T0_E_clISt17integral_constantIbLb0EESY_IbLb1EEEEDaSU_SV_EUlSU_E0_NS1_11comp_targetILNS1_3genE0ELNS1_11target_archE4294967295ELNS1_3gpuE0ELNS1_3repE0EEENS1_30default_config_static_selectorELNS0_4arch9wavefront6targetE0EEEvT1_,comdat
.Lfunc_end178:
	.size	_ZN7rocprim17ROCPRIM_400000_NS6detail17trampoline_kernelINS0_14default_configENS1_20scan_config_selectorIhEEZZNS1_9scan_implILNS1_25lookback_scan_determinismE0ELb0ELb0ES3_N6thrust23THRUST_200600_302600_NS6detail15normal_iteratorINS9_7pointerIhNS9_11hip_rocprim5par_tENS9_11use_defaultESF_EEEENSB_INSC_IjSE_SF_SF_EEEEhNS9_4plusIvEEhEEDaPvRmT3_T4_T5_mT6_P12ihipStream_tbENKUlT_T0_E_clISt17integral_constantIbLb0EESY_IbLb1EEEEDaSU_SV_EUlSU_E0_NS1_11comp_targetILNS1_3genE0ELNS1_11target_archE4294967295ELNS1_3gpuE0ELNS1_3repE0EEENS1_30default_config_static_selectorELNS0_4arch9wavefront6targetE0EEEvT1_, .Lfunc_end178-_ZN7rocprim17ROCPRIM_400000_NS6detail17trampoline_kernelINS0_14default_configENS1_20scan_config_selectorIhEEZZNS1_9scan_implILNS1_25lookback_scan_determinismE0ELb0ELb0ES3_N6thrust23THRUST_200600_302600_NS6detail15normal_iteratorINS9_7pointerIhNS9_11hip_rocprim5par_tENS9_11use_defaultESF_EEEENSB_INSC_IjSE_SF_SF_EEEEhNS9_4plusIvEEhEEDaPvRmT3_T4_T5_mT6_P12ihipStream_tbENKUlT_T0_E_clISt17integral_constantIbLb0EESY_IbLb1EEEEDaSU_SV_EUlSU_E0_NS1_11comp_targetILNS1_3genE0ELNS1_11target_archE4294967295ELNS1_3gpuE0ELNS1_3repE0EEENS1_30default_config_static_selectorELNS0_4arch9wavefront6targetE0EEEvT1_
                                        ; -- End function
	.section	.AMDGPU.csdata,"",@progbits
; Kernel info:
; codeLenInByte = 0
; NumSgprs: 0
; NumVgprs: 0
; ScratchSize: 0
; MemoryBound: 0
; FloatMode: 240
; IeeeMode: 1
; LDSByteSize: 0 bytes/workgroup (compile time only)
; SGPRBlocks: 0
; VGPRBlocks: 0
; NumSGPRsForWavesPerEU: 1
; NumVGPRsForWavesPerEU: 1
; Occupancy: 16
; WaveLimiterHint : 0
; COMPUTE_PGM_RSRC2:SCRATCH_EN: 0
; COMPUTE_PGM_RSRC2:USER_SGPR: 15
; COMPUTE_PGM_RSRC2:TRAP_HANDLER: 0
; COMPUTE_PGM_RSRC2:TGID_X_EN: 1
; COMPUTE_PGM_RSRC2:TGID_Y_EN: 0
; COMPUTE_PGM_RSRC2:TGID_Z_EN: 0
; COMPUTE_PGM_RSRC2:TIDIG_COMP_CNT: 0
	.section	.text._ZN7rocprim17ROCPRIM_400000_NS6detail17trampoline_kernelINS0_14default_configENS1_20scan_config_selectorIhEEZZNS1_9scan_implILNS1_25lookback_scan_determinismE0ELb0ELb0ES3_N6thrust23THRUST_200600_302600_NS6detail15normal_iteratorINS9_7pointerIhNS9_11hip_rocprim5par_tENS9_11use_defaultESF_EEEENSB_INSC_IjSE_SF_SF_EEEEhNS9_4plusIvEEhEEDaPvRmT3_T4_T5_mT6_P12ihipStream_tbENKUlT_T0_E_clISt17integral_constantIbLb0EESY_IbLb1EEEEDaSU_SV_EUlSU_E0_NS1_11comp_targetILNS1_3genE5ELNS1_11target_archE942ELNS1_3gpuE9ELNS1_3repE0EEENS1_30default_config_static_selectorELNS0_4arch9wavefront6targetE0EEEvT1_,"axG",@progbits,_ZN7rocprim17ROCPRIM_400000_NS6detail17trampoline_kernelINS0_14default_configENS1_20scan_config_selectorIhEEZZNS1_9scan_implILNS1_25lookback_scan_determinismE0ELb0ELb0ES3_N6thrust23THRUST_200600_302600_NS6detail15normal_iteratorINS9_7pointerIhNS9_11hip_rocprim5par_tENS9_11use_defaultESF_EEEENSB_INSC_IjSE_SF_SF_EEEEhNS9_4plusIvEEhEEDaPvRmT3_T4_T5_mT6_P12ihipStream_tbENKUlT_T0_E_clISt17integral_constantIbLb0EESY_IbLb1EEEEDaSU_SV_EUlSU_E0_NS1_11comp_targetILNS1_3genE5ELNS1_11target_archE942ELNS1_3gpuE9ELNS1_3repE0EEENS1_30default_config_static_selectorELNS0_4arch9wavefront6targetE0EEEvT1_,comdat
	.protected	_ZN7rocprim17ROCPRIM_400000_NS6detail17trampoline_kernelINS0_14default_configENS1_20scan_config_selectorIhEEZZNS1_9scan_implILNS1_25lookback_scan_determinismE0ELb0ELb0ES3_N6thrust23THRUST_200600_302600_NS6detail15normal_iteratorINS9_7pointerIhNS9_11hip_rocprim5par_tENS9_11use_defaultESF_EEEENSB_INSC_IjSE_SF_SF_EEEEhNS9_4plusIvEEhEEDaPvRmT3_T4_T5_mT6_P12ihipStream_tbENKUlT_T0_E_clISt17integral_constantIbLb0EESY_IbLb1EEEEDaSU_SV_EUlSU_E0_NS1_11comp_targetILNS1_3genE5ELNS1_11target_archE942ELNS1_3gpuE9ELNS1_3repE0EEENS1_30default_config_static_selectorELNS0_4arch9wavefront6targetE0EEEvT1_ ; -- Begin function _ZN7rocprim17ROCPRIM_400000_NS6detail17trampoline_kernelINS0_14default_configENS1_20scan_config_selectorIhEEZZNS1_9scan_implILNS1_25lookback_scan_determinismE0ELb0ELb0ES3_N6thrust23THRUST_200600_302600_NS6detail15normal_iteratorINS9_7pointerIhNS9_11hip_rocprim5par_tENS9_11use_defaultESF_EEEENSB_INSC_IjSE_SF_SF_EEEEhNS9_4plusIvEEhEEDaPvRmT3_T4_T5_mT6_P12ihipStream_tbENKUlT_T0_E_clISt17integral_constantIbLb0EESY_IbLb1EEEEDaSU_SV_EUlSU_E0_NS1_11comp_targetILNS1_3genE5ELNS1_11target_archE942ELNS1_3gpuE9ELNS1_3repE0EEENS1_30default_config_static_selectorELNS0_4arch9wavefront6targetE0EEEvT1_
	.globl	_ZN7rocprim17ROCPRIM_400000_NS6detail17trampoline_kernelINS0_14default_configENS1_20scan_config_selectorIhEEZZNS1_9scan_implILNS1_25lookback_scan_determinismE0ELb0ELb0ES3_N6thrust23THRUST_200600_302600_NS6detail15normal_iteratorINS9_7pointerIhNS9_11hip_rocprim5par_tENS9_11use_defaultESF_EEEENSB_INSC_IjSE_SF_SF_EEEEhNS9_4plusIvEEhEEDaPvRmT3_T4_T5_mT6_P12ihipStream_tbENKUlT_T0_E_clISt17integral_constantIbLb0EESY_IbLb1EEEEDaSU_SV_EUlSU_E0_NS1_11comp_targetILNS1_3genE5ELNS1_11target_archE942ELNS1_3gpuE9ELNS1_3repE0EEENS1_30default_config_static_selectorELNS0_4arch9wavefront6targetE0EEEvT1_
	.p2align	8
	.type	_ZN7rocprim17ROCPRIM_400000_NS6detail17trampoline_kernelINS0_14default_configENS1_20scan_config_selectorIhEEZZNS1_9scan_implILNS1_25lookback_scan_determinismE0ELb0ELb0ES3_N6thrust23THRUST_200600_302600_NS6detail15normal_iteratorINS9_7pointerIhNS9_11hip_rocprim5par_tENS9_11use_defaultESF_EEEENSB_INSC_IjSE_SF_SF_EEEEhNS9_4plusIvEEhEEDaPvRmT3_T4_T5_mT6_P12ihipStream_tbENKUlT_T0_E_clISt17integral_constantIbLb0EESY_IbLb1EEEEDaSU_SV_EUlSU_E0_NS1_11comp_targetILNS1_3genE5ELNS1_11target_archE942ELNS1_3gpuE9ELNS1_3repE0EEENS1_30default_config_static_selectorELNS0_4arch9wavefront6targetE0EEEvT1_,@function
_ZN7rocprim17ROCPRIM_400000_NS6detail17trampoline_kernelINS0_14default_configENS1_20scan_config_selectorIhEEZZNS1_9scan_implILNS1_25lookback_scan_determinismE0ELb0ELb0ES3_N6thrust23THRUST_200600_302600_NS6detail15normal_iteratorINS9_7pointerIhNS9_11hip_rocprim5par_tENS9_11use_defaultESF_EEEENSB_INSC_IjSE_SF_SF_EEEEhNS9_4plusIvEEhEEDaPvRmT3_T4_T5_mT6_P12ihipStream_tbENKUlT_T0_E_clISt17integral_constantIbLb0EESY_IbLb1EEEEDaSU_SV_EUlSU_E0_NS1_11comp_targetILNS1_3genE5ELNS1_11target_archE942ELNS1_3gpuE9ELNS1_3repE0EEENS1_30default_config_static_selectorELNS0_4arch9wavefront6targetE0EEEvT1_: ; @_ZN7rocprim17ROCPRIM_400000_NS6detail17trampoline_kernelINS0_14default_configENS1_20scan_config_selectorIhEEZZNS1_9scan_implILNS1_25lookback_scan_determinismE0ELb0ELb0ES3_N6thrust23THRUST_200600_302600_NS6detail15normal_iteratorINS9_7pointerIhNS9_11hip_rocprim5par_tENS9_11use_defaultESF_EEEENSB_INSC_IjSE_SF_SF_EEEEhNS9_4plusIvEEhEEDaPvRmT3_T4_T5_mT6_P12ihipStream_tbENKUlT_T0_E_clISt17integral_constantIbLb0EESY_IbLb1EEEEDaSU_SV_EUlSU_E0_NS1_11comp_targetILNS1_3genE5ELNS1_11target_archE942ELNS1_3gpuE9ELNS1_3repE0EEENS1_30default_config_static_selectorELNS0_4arch9wavefront6targetE0EEEvT1_
; %bb.0:
	.section	.rodata,"a",@progbits
	.p2align	6, 0x0
	.amdhsa_kernel _ZN7rocprim17ROCPRIM_400000_NS6detail17trampoline_kernelINS0_14default_configENS1_20scan_config_selectorIhEEZZNS1_9scan_implILNS1_25lookback_scan_determinismE0ELb0ELb0ES3_N6thrust23THRUST_200600_302600_NS6detail15normal_iteratorINS9_7pointerIhNS9_11hip_rocprim5par_tENS9_11use_defaultESF_EEEENSB_INSC_IjSE_SF_SF_EEEEhNS9_4plusIvEEhEEDaPvRmT3_T4_T5_mT6_P12ihipStream_tbENKUlT_T0_E_clISt17integral_constantIbLb0EESY_IbLb1EEEEDaSU_SV_EUlSU_E0_NS1_11comp_targetILNS1_3genE5ELNS1_11target_archE942ELNS1_3gpuE9ELNS1_3repE0EEENS1_30default_config_static_selectorELNS0_4arch9wavefront6targetE0EEEvT1_
		.amdhsa_group_segment_fixed_size 0
		.amdhsa_private_segment_fixed_size 0
		.amdhsa_kernarg_size 32
		.amdhsa_user_sgpr_count 15
		.amdhsa_user_sgpr_dispatch_ptr 0
		.amdhsa_user_sgpr_queue_ptr 0
		.amdhsa_user_sgpr_kernarg_segment_ptr 1
		.amdhsa_user_sgpr_dispatch_id 0
		.amdhsa_user_sgpr_private_segment_size 0
		.amdhsa_wavefront_size32 1
		.amdhsa_uses_dynamic_stack 0
		.amdhsa_enable_private_segment 0
		.amdhsa_system_sgpr_workgroup_id_x 1
		.amdhsa_system_sgpr_workgroup_id_y 0
		.amdhsa_system_sgpr_workgroup_id_z 0
		.amdhsa_system_sgpr_workgroup_info 0
		.amdhsa_system_vgpr_workitem_id 0
		.amdhsa_next_free_vgpr 1
		.amdhsa_next_free_sgpr 1
		.amdhsa_reserve_vcc 0
		.amdhsa_float_round_mode_32 0
		.amdhsa_float_round_mode_16_64 0
		.amdhsa_float_denorm_mode_32 3
		.amdhsa_float_denorm_mode_16_64 3
		.amdhsa_dx10_clamp 1
		.amdhsa_ieee_mode 1
		.amdhsa_fp16_overflow 0
		.amdhsa_workgroup_processor_mode 1
		.amdhsa_memory_ordered 1
		.amdhsa_forward_progress 0
		.amdhsa_shared_vgpr_count 0
		.amdhsa_exception_fp_ieee_invalid_op 0
		.amdhsa_exception_fp_denorm_src 0
		.amdhsa_exception_fp_ieee_div_zero 0
		.amdhsa_exception_fp_ieee_overflow 0
		.amdhsa_exception_fp_ieee_underflow 0
		.amdhsa_exception_fp_ieee_inexact 0
		.amdhsa_exception_int_div_zero 0
	.end_amdhsa_kernel
	.section	.text._ZN7rocprim17ROCPRIM_400000_NS6detail17trampoline_kernelINS0_14default_configENS1_20scan_config_selectorIhEEZZNS1_9scan_implILNS1_25lookback_scan_determinismE0ELb0ELb0ES3_N6thrust23THRUST_200600_302600_NS6detail15normal_iteratorINS9_7pointerIhNS9_11hip_rocprim5par_tENS9_11use_defaultESF_EEEENSB_INSC_IjSE_SF_SF_EEEEhNS9_4plusIvEEhEEDaPvRmT3_T4_T5_mT6_P12ihipStream_tbENKUlT_T0_E_clISt17integral_constantIbLb0EESY_IbLb1EEEEDaSU_SV_EUlSU_E0_NS1_11comp_targetILNS1_3genE5ELNS1_11target_archE942ELNS1_3gpuE9ELNS1_3repE0EEENS1_30default_config_static_selectorELNS0_4arch9wavefront6targetE0EEEvT1_,"axG",@progbits,_ZN7rocprim17ROCPRIM_400000_NS6detail17trampoline_kernelINS0_14default_configENS1_20scan_config_selectorIhEEZZNS1_9scan_implILNS1_25lookback_scan_determinismE0ELb0ELb0ES3_N6thrust23THRUST_200600_302600_NS6detail15normal_iteratorINS9_7pointerIhNS9_11hip_rocprim5par_tENS9_11use_defaultESF_EEEENSB_INSC_IjSE_SF_SF_EEEEhNS9_4plusIvEEhEEDaPvRmT3_T4_T5_mT6_P12ihipStream_tbENKUlT_T0_E_clISt17integral_constantIbLb0EESY_IbLb1EEEEDaSU_SV_EUlSU_E0_NS1_11comp_targetILNS1_3genE5ELNS1_11target_archE942ELNS1_3gpuE9ELNS1_3repE0EEENS1_30default_config_static_selectorELNS0_4arch9wavefront6targetE0EEEvT1_,comdat
.Lfunc_end179:
	.size	_ZN7rocprim17ROCPRIM_400000_NS6detail17trampoline_kernelINS0_14default_configENS1_20scan_config_selectorIhEEZZNS1_9scan_implILNS1_25lookback_scan_determinismE0ELb0ELb0ES3_N6thrust23THRUST_200600_302600_NS6detail15normal_iteratorINS9_7pointerIhNS9_11hip_rocprim5par_tENS9_11use_defaultESF_EEEENSB_INSC_IjSE_SF_SF_EEEEhNS9_4plusIvEEhEEDaPvRmT3_T4_T5_mT6_P12ihipStream_tbENKUlT_T0_E_clISt17integral_constantIbLb0EESY_IbLb1EEEEDaSU_SV_EUlSU_E0_NS1_11comp_targetILNS1_3genE5ELNS1_11target_archE942ELNS1_3gpuE9ELNS1_3repE0EEENS1_30default_config_static_selectorELNS0_4arch9wavefront6targetE0EEEvT1_, .Lfunc_end179-_ZN7rocprim17ROCPRIM_400000_NS6detail17trampoline_kernelINS0_14default_configENS1_20scan_config_selectorIhEEZZNS1_9scan_implILNS1_25lookback_scan_determinismE0ELb0ELb0ES3_N6thrust23THRUST_200600_302600_NS6detail15normal_iteratorINS9_7pointerIhNS9_11hip_rocprim5par_tENS9_11use_defaultESF_EEEENSB_INSC_IjSE_SF_SF_EEEEhNS9_4plusIvEEhEEDaPvRmT3_T4_T5_mT6_P12ihipStream_tbENKUlT_T0_E_clISt17integral_constantIbLb0EESY_IbLb1EEEEDaSU_SV_EUlSU_E0_NS1_11comp_targetILNS1_3genE5ELNS1_11target_archE942ELNS1_3gpuE9ELNS1_3repE0EEENS1_30default_config_static_selectorELNS0_4arch9wavefront6targetE0EEEvT1_
                                        ; -- End function
	.section	.AMDGPU.csdata,"",@progbits
; Kernel info:
; codeLenInByte = 0
; NumSgprs: 0
; NumVgprs: 0
; ScratchSize: 0
; MemoryBound: 0
; FloatMode: 240
; IeeeMode: 1
; LDSByteSize: 0 bytes/workgroup (compile time only)
; SGPRBlocks: 0
; VGPRBlocks: 0
; NumSGPRsForWavesPerEU: 1
; NumVGPRsForWavesPerEU: 1
; Occupancy: 16
; WaveLimiterHint : 0
; COMPUTE_PGM_RSRC2:SCRATCH_EN: 0
; COMPUTE_PGM_RSRC2:USER_SGPR: 15
; COMPUTE_PGM_RSRC2:TRAP_HANDLER: 0
; COMPUTE_PGM_RSRC2:TGID_X_EN: 1
; COMPUTE_PGM_RSRC2:TGID_Y_EN: 0
; COMPUTE_PGM_RSRC2:TGID_Z_EN: 0
; COMPUTE_PGM_RSRC2:TIDIG_COMP_CNT: 0
	.section	.text._ZN7rocprim17ROCPRIM_400000_NS6detail17trampoline_kernelINS0_14default_configENS1_20scan_config_selectorIhEEZZNS1_9scan_implILNS1_25lookback_scan_determinismE0ELb0ELb0ES3_N6thrust23THRUST_200600_302600_NS6detail15normal_iteratorINS9_7pointerIhNS9_11hip_rocprim5par_tENS9_11use_defaultESF_EEEENSB_INSC_IjSE_SF_SF_EEEEhNS9_4plusIvEEhEEDaPvRmT3_T4_T5_mT6_P12ihipStream_tbENKUlT_T0_E_clISt17integral_constantIbLb0EESY_IbLb1EEEEDaSU_SV_EUlSU_E0_NS1_11comp_targetILNS1_3genE4ELNS1_11target_archE910ELNS1_3gpuE8ELNS1_3repE0EEENS1_30default_config_static_selectorELNS0_4arch9wavefront6targetE0EEEvT1_,"axG",@progbits,_ZN7rocprim17ROCPRIM_400000_NS6detail17trampoline_kernelINS0_14default_configENS1_20scan_config_selectorIhEEZZNS1_9scan_implILNS1_25lookback_scan_determinismE0ELb0ELb0ES3_N6thrust23THRUST_200600_302600_NS6detail15normal_iteratorINS9_7pointerIhNS9_11hip_rocprim5par_tENS9_11use_defaultESF_EEEENSB_INSC_IjSE_SF_SF_EEEEhNS9_4plusIvEEhEEDaPvRmT3_T4_T5_mT6_P12ihipStream_tbENKUlT_T0_E_clISt17integral_constantIbLb0EESY_IbLb1EEEEDaSU_SV_EUlSU_E0_NS1_11comp_targetILNS1_3genE4ELNS1_11target_archE910ELNS1_3gpuE8ELNS1_3repE0EEENS1_30default_config_static_selectorELNS0_4arch9wavefront6targetE0EEEvT1_,comdat
	.protected	_ZN7rocprim17ROCPRIM_400000_NS6detail17trampoline_kernelINS0_14default_configENS1_20scan_config_selectorIhEEZZNS1_9scan_implILNS1_25lookback_scan_determinismE0ELb0ELb0ES3_N6thrust23THRUST_200600_302600_NS6detail15normal_iteratorINS9_7pointerIhNS9_11hip_rocprim5par_tENS9_11use_defaultESF_EEEENSB_INSC_IjSE_SF_SF_EEEEhNS9_4plusIvEEhEEDaPvRmT3_T4_T5_mT6_P12ihipStream_tbENKUlT_T0_E_clISt17integral_constantIbLb0EESY_IbLb1EEEEDaSU_SV_EUlSU_E0_NS1_11comp_targetILNS1_3genE4ELNS1_11target_archE910ELNS1_3gpuE8ELNS1_3repE0EEENS1_30default_config_static_selectorELNS0_4arch9wavefront6targetE0EEEvT1_ ; -- Begin function _ZN7rocprim17ROCPRIM_400000_NS6detail17trampoline_kernelINS0_14default_configENS1_20scan_config_selectorIhEEZZNS1_9scan_implILNS1_25lookback_scan_determinismE0ELb0ELb0ES3_N6thrust23THRUST_200600_302600_NS6detail15normal_iteratorINS9_7pointerIhNS9_11hip_rocprim5par_tENS9_11use_defaultESF_EEEENSB_INSC_IjSE_SF_SF_EEEEhNS9_4plusIvEEhEEDaPvRmT3_T4_T5_mT6_P12ihipStream_tbENKUlT_T0_E_clISt17integral_constantIbLb0EESY_IbLb1EEEEDaSU_SV_EUlSU_E0_NS1_11comp_targetILNS1_3genE4ELNS1_11target_archE910ELNS1_3gpuE8ELNS1_3repE0EEENS1_30default_config_static_selectorELNS0_4arch9wavefront6targetE0EEEvT1_
	.globl	_ZN7rocprim17ROCPRIM_400000_NS6detail17trampoline_kernelINS0_14default_configENS1_20scan_config_selectorIhEEZZNS1_9scan_implILNS1_25lookback_scan_determinismE0ELb0ELb0ES3_N6thrust23THRUST_200600_302600_NS6detail15normal_iteratorINS9_7pointerIhNS9_11hip_rocprim5par_tENS9_11use_defaultESF_EEEENSB_INSC_IjSE_SF_SF_EEEEhNS9_4plusIvEEhEEDaPvRmT3_T4_T5_mT6_P12ihipStream_tbENKUlT_T0_E_clISt17integral_constantIbLb0EESY_IbLb1EEEEDaSU_SV_EUlSU_E0_NS1_11comp_targetILNS1_3genE4ELNS1_11target_archE910ELNS1_3gpuE8ELNS1_3repE0EEENS1_30default_config_static_selectorELNS0_4arch9wavefront6targetE0EEEvT1_
	.p2align	8
	.type	_ZN7rocprim17ROCPRIM_400000_NS6detail17trampoline_kernelINS0_14default_configENS1_20scan_config_selectorIhEEZZNS1_9scan_implILNS1_25lookback_scan_determinismE0ELb0ELb0ES3_N6thrust23THRUST_200600_302600_NS6detail15normal_iteratorINS9_7pointerIhNS9_11hip_rocprim5par_tENS9_11use_defaultESF_EEEENSB_INSC_IjSE_SF_SF_EEEEhNS9_4plusIvEEhEEDaPvRmT3_T4_T5_mT6_P12ihipStream_tbENKUlT_T0_E_clISt17integral_constantIbLb0EESY_IbLb1EEEEDaSU_SV_EUlSU_E0_NS1_11comp_targetILNS1_3genE4ELNS1_11target_archE910ELNS1_3gpuE8ELNS1_3repE0EEENS1_30default_config_static_selectorELNS0_4arch9wavefront6targetE0EEEvT1_,@function
_ZN7rocprim17ROCPRIM_400000_NS6detail17trampoline_kernelINS0_14default_configENS1_20scan_config_selectorIhEEZZNS1_9scan_implILNS1_25lookback_scan_determinismE0ELb0ELb0ES3_N6thrust23THRUST_200600_302600_NS6detail15normal_iteratorINS9_7pointerIhNS9_11hip_rocprim5par_tENS9_11use_defaultESF_EEEENSB_INSC_IjSE_SF_SF_EEEEhNS9_4plusIvEEhEEDaPvRmT3_T4_T5_mT6_P12ihipStream_tbENKUlT_T0_E_clISt17integral_constantIbLb0EESY_IbLb1EEEEDaSU_SV_EUlSU_E0_NS1_11comp_targetILNS1_3genE4ELNS1_11target_archE910ELNS1_3gpuE8ELNS1_3repE0EEENS1_30default_config_static_selectorELNS0_4arch9wavefront6targetE0EEEvT1_: ; @_ZN7rocprim17ROCPRIM_400000_NS6detail17trampoline_kernelINS0_14default_configENS1_20scan_config_selectorIhEEZZNS1_9scan_implILNS1_25lookback_scan_determinismE0ELb0ELb0ES3_N6thrust23THRUST_200600_302600_NS6detail15normal_iteratorINS9_7pointerIhNS9_11hip_rocprim5par_tENS9_11use_defaultESF_EEEENSB_INSC_IjSE_SF_SF_EEEEhNS9_4plusIvEEhEEDaPvRmT3_T4_T5_mT6_P12ihipStream_tbENKUlT_T0_E_clISt17integral_constantIbLb0EESY_IbLb1EEEEDaSU_SV_EUlSU_E0_NS1_11comp_targetILNS1_3genE4ELNS1_11target_archE910ELNS1_3gpuE8ELNS1_3repE0EEENS1_30default_config_static_selectorELNS0_4arch9wavefront6targetE0EEEvT1_
; %bb.0:
	.section	.rodata,"a",@progbits
	.p2align	6, 0x0
	.amdhsa_kernel _ZN7rocprim17ROCPRIM_400000_NS6detail17trampoline_kernelINS0_14default_configENS1_20scan_config_selectorIhEEZZNS1_9scan_implILNS1_25lookback_scan_determinismE0ELb0ELb0ES3_N6thrust23THRUST_200600_302600_NS6detail15normal_iteratorINS9_7pointerIhNS9_11hip_rocprim5par_tENS9_11use_defaultESF_EEEENSB_INSC_IjSE_SF_SF_EEEEhNS9_4plusIvEEhEEDaPvRmT3_T4_T5_mT6_P12ihipStream_tbENKUlT_T0_E_clISt17integral_constantIbLb0EESY_IbLb1EEEEDaSU_SV_EUlSU_E0_NS1_11comp_targetILNS1_3genE4ELNS1_11target_archE910ELNS1_3gpuE8ELNS1_3repE0EEENS1_30default_config_static_selectorELNS0_4arch9wavefront6targetE0EEEvT1_
		.amdhsa_group_segment_fixed_size 0
		.amdhsa_private_segment_fixed_size 0
		.amdhsa_kernarg_size 32
		.amdhsa_user_sgpr_count 15
		.amdhsa_user_sgpr_dispatch_ptr 0
		.amdhsa_user_sgpr_queue_ptr 0
		.amdhsa_user_sgpr_kernarg_segment_ptr 1
		.amdhsa_user_sgpr_dispatch_id 0
		.amdhsa_user_sgpr_private_segment_size 0
		.amdhsa_wavefront_size32 1
		.amdhsa_uses_dynamic_stack 0
		.amdhsa_enable_private_segment 0
		.amdhsa_system_sgpr_workgroup_id_x 1
		.amdhsa_system_sgpr_workgroup_id_y 0
		.amdhsa_system_sgpr_workgroup_id_z 0
		.amdhsa_system_sgpr_workgroup_info 0
		.amdhsa_system_vgpr_workitem_id 0
		.amdhsa_next_free_vgpr 1
		.amdhsa_next_free_sgpr 1
		.amdhsa_reserve_vcc 0
		.amdhsa_float_round_mode_32 0
		.amdhsa_float_round_mode_16_64 0
		.amdhsa_float_denorm_mode_32 3
		.amdhsa_float_denorm_mode_16_64 3
		.amdhsa_dx10_clamp 1
		.amdhsa_ieee_mode 1
		.amdhsa_fp16_overflow 0
		.amdhsa_workgroup_processor_mode 1
		.amdhsa_memory_ordered 1
		.amdhsa_forward_progress 0
		.amdhsa_shared_vgpr_count 0
		.amdhsa_exception_fp_ieee_invalid_op 0
		.amdhsa_exception_fp_denorm_src 0
		.amdhsa_exception_fp_ieee_div_zero 0
		.amdhsa_exception_fp_ieee_overflow 0
		.amdhsa_exception_fp_ieee_underflow 0
		.amdhsa_exception_fp_ieee_inexact 0
		.amdhsa_exception_int_div_zero 0
	.end_amdhsa_kernel
	.section	.text._ZN7rocprim17ROCPRIM_400000_NS6detail17trampoline_kernelINS0_14default_configENS1_20scan_config_selectorIhEEZZNS1_9scan_implILNS1_25lookback_scan_determinismE0ELb0ELb0ES3_N6thrust23THRUST_200600_302600_NS6detail15normal_iteratorINS9_7pointerIhNS9_11hip_rocprim5par_tENS9_11use_defaultESF_EEEENSB_INSC_IjSE_SF_SF_EEEEhNS9_4plusIvEEhEEDaPvRmT3_T4_T5_mT6_P12ihipStream_tbENKUlT_T0_E_clISt17integral_constantIbLb0EESY_IbLb1EEEEDaSU_SV_EUlSU_E0_NS1_11comp_targetILNS1_3genE4ELNS1_11target_archE910ELNS1_3gpuE8ELNS1_3repE0EEENS1_30default_config_static_selectorELNS0_4arch9wavefront6targetE0EEEvT1_,"axG",@progbits,_ZN7rocprim17ROCPRIM_400000_NS6detail17trampoline_kernelINS0_14default_configENS1_20scan_config_selectorIhEEZZNS1_9scan_implILNS1_25lookback_scan_determinismE0ELb0ELb0ES3_N6thrust23THRUST_200600_302600_NS6detail15normal_iteratorINS9_7pointerIhNS9_11hip_rocprim5par_tENS9_11use_defaultESF_EEEENSB_INSC_IjSE_SF_SF_EEEEhNS9_4plusIvEEhEEDaPvRmT3_T4_T5_mT6_P12ihipStream_tbENKUlT_T0_E_clISt17integral_constantIbLb0EESY_IbLb1EEEEDaSU_SV_EUlSU_E0_NS1_11comp_targetILNS1_3genE4ELNS1_11target_archE910ELNS1_3gpuE8ELNS1_3repE0EEENS1_30default_config_static_selectorELNS0_4arch9wavefront6targetE0EEEvT1_,comdat
.Lfunc_end180:
	.size	_ZN7rocprim17ROCPRIM_400000_NS6detail17trampoline_kernelINS0_14default_configENS1_20scan_config_selectorIhEEZZNS1_9scan_implILNS1_25lookback_scan_determinismE0ELb0ELb0ES3_N6thrust23THRUST_200600_302600_NS6detail15normal_iteratorINS9_7pointerIhNS9_11hip_rocprim5par_tENS9_11use_defaultESF_EEEENSB_INSC_IjSE_SF_SF_EEEEhNS9_4plusIvEEhEEDaPvRmT3_T4_T5_mT6_P12ihipStream_tbENKUlT_T0_E_clISt17integral_constantIbLb0EESY_IbLb1EEEEDaSU_SV_EUlSU_E0_NS1_11comp_targetILNS1_3genE4ELNS1_11target_archE910ELNS1_3gpuE8ELNS1_3repE0EEENS1_30default_config_static_selectorELNS0_4arch9wavefront6targetE0EEEvT1_, .Lfunc_end180-_ZN7rocprim17ROCPRIM_400000_NS6detail17trampoline_kernelINS0_14default_configENS1_20scan_config_selectorIhEEZZNS1_9scan_implILNS1_25lookback_scan_determinismE0ELb0ELb0ES3_N6thrust23THRUST_200600_302600_NS6detail15normal_iteratorINS9_7pointerIhNS9_11hip_rocprim5par_tENS9_11use_defaultESF_EEEENSB_INSC_IjSE_SF_SF_EEEEhNS9_4plusIvEEhEEDaPvRmT3_T4_T5_mT6_P12ihipStream_tbENKUlT_T0_E_clISt17integral_constantIbLb0EESY_IbLb1EEEEDaSU_SV_EUlSU_E0_NS1_11comp_targetILNS1_3genE4ELNS1_11target_archE910ELNS1_3gpuE8ELNS1_3repE0EEENS1_30default_config_static_selectorELNS0_4arch9wavefront6targetE0EEEvT1_
                                        ; -- End function
	.section	.AMDGPU.csdata,"",@progbits
; Kernel info:
; codeLenInByte = 0
; NumSgprs: 0
; NumVgprs: 0
; ScratchSize: 0
; MemoryBound: 0
; FloatMode: 240
; IeeeMode: 1
; LDSByteSize: 0 bytes/workgroup (compile time only)
; SGPRBlocks: 0
; VGPRBlocks: 0
; NumSGPRsForWavesPerEU: 1
; NumVGPRsForWavesPerEU: 1
; Occupancy: 16
; WaveLimiterHint : 0
; COMPUTE_PGM_RSRC2:SCRATCH_EN: 0
; COMPUTE_PGM_RSRC2:USER_SGPR: 15
; COMPUTE_PGM_RSRC2:TRAP_HANDLER: 0
; COMPUTE_PGM_RSRC2:TGID_X_EN: 1
; COMPUTE_PGM_RSRC2:TGID_Y_EN: 0
; COMPUTE_PGM_RSRC2:TGID_Z_EN: 0
; COMPUTE_PGM_RSRC2:TIDIG_COMP_CNT: 0
	.section	.text._ZN7rocprim17ROCPRIM_400000_NS6detail17trampoline_kernelINS0_14default_configENS1_20scan_config_selectorIhEEZZNS1_9scan_implILNS1_25lookback_scan_determinismE0ELb0ELb0ES3_N6thrust23THRUST_200600_302600_NS6detail15normal_iteratorINS9_7pointerIhNS9_11hip_rocprim5par_tENS9_11use_defaultESF_EEEENSB_INSC_IjSE_SF_SF_EEEEhNS9_4plusIvEEhEEDaPvRmT3_T4_T5_mT6_P12ihipStream_tbENKUlT_T0_E_clISt17integral_constantIbLb0EESY_IbLb1EEEEDaSU_SV_EUlSU_E0_NS1_11comp_targetILNS1_3genE3ELNS1_11target_archE908ELNS1_3gpuE7ELNS1_3repE0EEENS1_30default_config_static_selectorELNS0_4arch9wavefront6targetE0EEEvT1_,"axG",@progbits,_ZN7rocprim17ROCPRIM_400000_NS6detail17trampoline_kernelINS0_14default_configENS1_20scan_config_selectorIhEEZZNS1_9scan_implILNS1_25lookback_scan_determinismE0ELb0ELb0ES3_N6thrust23THRUST_200600_302600_NS6detail15normal_iteratorINS9_7pointerIhNS9_11hip_rocprim5par_tENS9_11use_defaultESF_EEEENSB_INSC_IjSE_SF_SF_EEEEhNS9_4plusIvEEhEEDaPvRmT3_T4_T5_mT6_P12ihipStream_tbENKUlT_T0_E_clISt17integral_constantIbLb0EESY_IbLb1EEEEDaSU_SV_EUlSU_E0_NS1_11comp_targetILNS1_3genE3ELNS1_11target_archE908ELNS1_3gpuE7ELNS1_3repE0EEENS1_30default_config_static_selectorELNS0_4arch9wavefront6targetE0EEEvT1_,comdat
	.protected	_ZN7rocprim17ROCPRIM_400000_NS6detail17trampoline_kernelINS0_14default_configENS1_20scan_config_selectorIhEEZZNS1_9scan_implILNS1_25lookback_scan_determinismE0ELb0ELb0ES3_N6thrust23THRUST_200600_302600_NS6detail15normal_iteratorINS9_7pointerIhNS9_11hip_rocprim5par_tENS9_11use_defaultESF_EEEENSB_INSC_IjSE_SF_SF_EEEEhNS9_4plusIvEEhEEDaPvRmT3_T4_T5_mT6_P12ihipStream_tbENKUlT_T0_E_clISt17integral_constantIbLb0EESY_IbLb1EEEEDaSU_SV_EUlSU_E0_NS1_11comp_targetILNS1_3genE3ELNS1_11target_archE908ELNS1_3gpuE7ELNS1_3repE0EEENS1_30default_config_static_selectorELNS0_4arch9wavefront6targetE0EEEvT1_ ; -- Begin function _ZN7rocprim17ROCPRIM_400000_NS6detail17trampoline_kernelINS0_14default_configENS1_20scan_config_selectorIhEEZZNS1_9scan_implILNS1_25lookback_scan_determinismE0ELb0ELb0ES3_N6thrust23THRUST_200600_302600_NS6detail15normal_iteratorINS9_7pointerIhNS9_11hip_rocprim5par_tENS9_11use_defaultESF_EEEENSB_INSC_IjSE_SF_SF_EEEEhNS9_4plusIvEEhEEDaPvRmT3_T4_T5_mT6_P12ihipStream_tbENKUlT_T0_E_clISt17integral_constantIbLb0EESY_IbLb1EEEEDaSU_SV_EUlSU_E0_NS1_11comp_targetILNS1_3genE3ELNS1_11target_archE908ELNS1_3gpuE7ELNS1_3repE0EEENS1_30default_config_static_selectorELNS0_4arch9wavefront6targetE0EEEvT1_
	.globl	_ZN7rocprim17ROCPRIM_400000_NS6detail17trampoline_kernelINS0_14default_configENS1_20scan_config_selectorIhEEZZNS1_9scan_implILNS1_25lookback_scan_determinismE0ELb0ELb0ES3_N6thrust23THRUST_200600_302600_NS6detail15normal_iteratorINS9_7pointerIhNS9_11hip_rocprim5par_tENS9_11use_defaultESF_EEEENSB_INSC_IjSE_SF_SF_EEEEhNS9_4plusIvEEhEEDaPvRmT3_T4_T5_mT6_P12ihipStream_tbENKUlT_T0_E_clISt17integral_constantIbLb0EESY_IbLb1EEEEDaSU_SV_EUlSU_E0_NS1_11comp_targetILNS1_3genE3ELNS1_11target_archE908ELNS1_3gpuE7ELNS1_3repE0EEENS1_30default_config_static_selectorELNS0_4arch9wavefront6targetE0EEEvT1_
	.p2align	8
	.type	_ZN7rocprim17ROCPRIM_400000_NS6detail17trampoline_kernelINS0_14default_configENS1_20scan_config_selectorIhEEZZNS1_9scan_implILNS1_25lookback_scan_determinismE0ELb0ELb0ES3_N6thrust23THRUST_200600_302600_NS6detail15normal_iteratorINS9_7pointerIhNS9_11hip_rocprim5par_tENS9_11use_defaultESF_EEEENSB_INSC_IjSE_SF_SF_EEEEhNS9_4plusIvEEhEEDaPvRmT3_T4_T5_mT6_P12ihipStream_tbENKUlT_T0_E_clISt17integral_constantIbLb0EESY_IbLb1EEEEDaSU_SV_EUlSU_E0_NS1_11comp_targetILNS1_3genE3ELNS1_11target_archE908ELNS1_3gpuE7ELNS1_3repE0EEENS1_30default_config_static_selectorELNS0_4arch9wavefront6targetE0EEEvT1_,@function
_ZN7rocprim17ROCPRIM_400000_NS6detail17trampoline_kernelINS0_14default_configENS1_20scan_config_selectorIhEEZZNS1_9scan_implILNS1_25lookback_scan_determinismE0ELb0ELb0ES3_N6thrust23THRUST_200600_302600_NS6detail15normal_iteratorINS9_7pointerIhNS9_11hip_rocprim5par_tENS9_11use_defaultESF_EEEENSB_INSC_IjSE_SF_SF_EEEEhNS9_4plusIvEEhEEDaPvRmT3_T4_T5_mT6_P12ihipStream_tbENKUlT_T0_E_clISt17integral_constantIbLb0EESY_IbLb1EEEEDaSU_SV_EUlSU_E0_NS1_11comp_targetILNS1_3genE3ELNS1_11target_archE908ELNS1_3gpuE7ELNS1_3repE0EEENS1_30default_config_static_selectorELNS0_4arch9wavefront6targetE0EEEvT1_: ; @_ZN7rocprim17ROCPRIM_400000_NS6detail17trampoline_kernelINS0_14default_configENS1_20scan_config_selectorIhEEZZNS1_9scan_implILNS1_25lookback_scan_determinismE0ELb0ELb0ES3_N6thrust23THRUST_200600_302600_NS6detail15normal_iteratorINS9_7pointerIhNS9_11hip_rocprim5par_tENS9_11use_defaultESF_EEEENSB_INSC_IjSE_SF_SF_EEEEhNS9_4plusIvEEhEEDaPvRmT3_T4_T5_mT6_P12ihipStream_tbENKUlT_T0_E_clISt17integral_constantIbLb0EESY_IbLb1EEEEDaSU_SV_EUlSU_E0_NS1_11comp_targetILNS1_3genE3ELNS1_11target_archE908ELNS1_3gpuE7ELNS1_3repE0EEENS1_30default_config_static_selectorELNS0_4arch9wavefront6targetE0EEEvT1_
; %bb.0:
	.section	.rodata,"a",@progbits
	.p2align	6, 0x0
	.amdhsa_kernel _ZN7rocprim17ROCPRIM_400000_NS6detail17trampoline_kernelINS0_14default_configENS1_20scan_config_selectorIhEEZZNS1_9scan_implILNS1_25lookback_scan_determinismE0ELb0ELb0ES3_N6thrust23THRUST_200600_302600_NS6detail15normal_iteratorINS9_7pointerIhNS9_11hip_rocprim5par_tENS9_11use_defaultESF_EEEENSB_INSC_IjSE_SF_SF_EEEEhNS9_4plusIvEEhEEDaPvRmT3_T4_T5_mT6_P12ihipStream_tbENKUlT_T0_E_clISt17integral_constantIbLb0EESY_IbLb1EEEEDaSU_SV_EUlSU_E0_NS1_11comp_targetILNS1_3genE3ELNS1_11target_archE908ELNS1_3gpuE7ELNS1_3repE0EEENS1_30default_config_static_selectorELNS0_4arch9wavefront6targetE0EEEvT1_
		.amdhsa_group_segment_fixed_size 0
		.amdhsa_private_segment_fixed_size 0
		.amdhsa_kernarg_size 32
		.amdhsa_user_sgpr_count 15
		.amdhsa_user_sgpr_dispatch_ptr 0
		.amdhsa_user_sgpr_queue_ptr 0
		.amdhsa_user_sgpr_kernarg_segment_ptr 1
		.amdhsa_user_sgpr_dispatch_id 0
		.amdhsa_user_sgpr_private_segment_size 0
		.amdhsa_wavefront_size32 1
		.amdhsa_uses_dynamic_stack 0
		.amdhsa_enable_private_segment 0
		.amdhsa_system_sgpr_workgroup_id_x 1
		.amdhsa_system_sgpr_workgroup_id_y 0
		.amdhsa_system_sgpr_workgroup_id_z 0
		.amdhsa_system_sgpr_workgroup_info 0
		.amdhsa_system_vgpr_workitem_id 0
		.amdhsa_next_free_vgpr 1
		.amdhsa_next_free_sgpr 1
		.amdhsa_reserve_vcc 0
		.amdhsa_float_round_mode_32 0
		.amdhsa_float_round_mode_16_64 0
		.amdhsa_float_denorm_mode_32 3
		.amdhsa_float_denorm_mode_16_64 3
		.amdhsa_dx10_clamp 1
		.amdhsa_ieee_mode 1
		.amdhsa_fp16_overflow 0
		.amdhsa_workgroup_processor_mode 1
		.amdhsa_memory_ordered 1
		.amdhsa_forward_progress 0
		.amdhsa_shared_vgpr_count 0
		.amdhsa_exception_fp_ieee_invalid_op 0
		.amdhsa_exception_fp_denorm_src 0
		.amdhsa_exception_fp_ieee_div_zero 0
		.amdhsa_exception_fp_ieee_overflow 0
		.amdhsa_exception_fp_ieee_underflow 0
		.amdhsa_exception_fp_ieee_inexact 0
		.amdhsa_exception_int_div_zero 0
	.end_amdhsa_kernel
	.section	.text._ZN7rocprim17ROCPRIM_400000_NS6detail17trampoline_kernelINS0_14default_configENS1_20scan_config_selectorIhEEZZNS1_9scan_implILNS1_25lookback_scan_determinismE0ELb0ELb0ES3_N6thrust23THRUST_200600_302600_NS6detail15normal_iteratorINS9_7pointerIhNS9_11hip_rocprim5par_tENS9_11use_defaultESF_EEEENSB_INSC_IjSE_SF_SF_EEEEhNS9_4plusIvEEhEEDaPvRmT3_T4_T5_mT6_P12ihipStream_tbENKUlT_T0_E_clISt17integral_constantIbLb0EESY_IbLb1EEEEDaSU_SV_EUlSU_E0_NS1_11comp_targetILNS1_3genE3ELNS1_11target_archE908ELNS1_3gpuE7ELNS1_3repE0EEENS1_30default_config_static_selectorELNS0_4arch9wavefront6targetE0EEEvT1_,"axG",@progbits,_ZN7rocprim17ROCPRIM_400000_NS6detail17trampoline_kernelINS0_14default_configENS1_20scan_config_selectorIhEEZZNS1_9scan_implILNS1_25lookback_scan_determinismE0ELb0ELb0ES3_N6thrust23THRUST_200600_302600_NS6detail15normal_iteratorINS9_7pointerIhNS9_11hip_rocprim5par_tENS9_11use_defaultESF_EEEENSB_INSC_IjSE_SF_SF_EEEEhNS9_4plusIvEEhEEDaPvRmT3_T4_T5_mT6_P12ihipStream_tbENKUlT_T0_E_clISt17integral_constantIbLb0EESY_IbLb1EEEEDaSU_SV_EUlSU_E0_NS1_11comp_targetILNS1_3genE3ELNS1_11target_archE908ELNS1_3gpuE7ELNS1_3repE0EEENS1_30default_config_static_selectorELNS0_4arch9wavefront6targetE0EEEvT1_,comdat
.Lfunc_end181:
	.size	_ZN7rocprim17ROCPRIM_400000_NS6detail17trampoline_kernelINS0_14default_configENS1_20scan_config_selectorIhEEZZNS1_9scan_implILNS1_25lookback_scan_determinismE0ELb0ELb0ES3_N6thrust23THRUST_200600_302600_NS6detail15normal_iteratorINS9_7pointerIhNS9_11hip_rocprim5par_tENS9_11use_defaultESF_EEEENSB_INSC_IjSE_SF_SF_EEEEhNS9_4plusIvEEhEEDaPvRmT3_T4_T5_mT6_P12ihipStream_tbENKUlT_T0_E_clISt17integral_constantIbLb0EESY_IbLb1EEEEDaSU_SV_EUlSU_E0_NS1_11comp_targetILNS1_3genE3ELNS1_11target_archE908ELNS1_3gpuE7ELNS1_3repE0EEENS1_30default_config_static_selectorELNS0_4arch9wavefront6targetE0EEEvT1_, .Lfunc_end181-_ZN7rocprim17ROCPRIM_400000_NS6detail17trampoline_kernelINS0_14default_configENS1_20scan_config_selectorIhEEZZNS1_9scan_implILNS1_25lookback_scan_determinismE0ELb0ELb0ES3_N6thrust23THRUST_200600_302600_NS6detail15normal_iteratorINS9_7pointerIhNS9_11hip_rocprim5par_tENS9_11use_defaultESF_EEEENSB_INSC_IjSE_SF_SF_EEEEhNS9_4plusIvEEhEEDaPvRmT3_T4_T5_mT6_P12ihipStream_tbENKUlT_T0_E_clISt17integral_constantIbLb0EESY_IbLb1EEEEDaSU_SV_EUlSU_E0_NS1_11comp_targetILNS1_3genE3ELNS1_11target_archE908ELNS1_3gpuE7ELNS1_3repE0EEENS1_30default_config_static_selectorELNS0_4arch9wavefront6targetE0EEEvT1_
                                        ; -- End function
	.section	.AMDGPU.csdata,"",@progbits
; Kernel info:
; codeLenInByte = 0
; NumSgprs: 0
; NumVgprs: 0
; ScratchSize: 0
; MemoryBound: 0
; FloatMode: 240
; IeeeMode: 1
; LDSByteSize: 0 bytes/workgroup (compile time only)
; SGPRBlocks: 0
; VGPRBlocks: 0
; NumSGPRsForWavesPerEU: 1
; NumVGPRsForWavesPerEU: 1
; Occupancy: 16
; WaveLimiterHint : 0
; COMPUTE_PGM_RSRC2:SCRATCH_EN: 0
; COMPUTE_PGM_RSRC2:USER_SGPR: 15
; COMPUTE_PGM_RSRC2:TRAP_HANDLER: 0
; COMPUTE_PGM_RSRC2:TGID_X_EN: 1
; COMPUTE_PGM_RSRC2:TGID_Y_EN: 0
; COMPUTE_PGM_RSRC2:TGID_Z_EN: 0
; COMPUTE_PGM_RSRC2:TIDIG_COMP_CNT: 0
	.section	.text._ZN7rocprim17ROCPRIM_400000_NS6detail17trampoline_kernelINS0_14default_configENS1_20scan_config_selectorIhEEZZNS1_9scan_implILNS1_25lookback_scan_determinismE0ELb0ELb0ES3_N6thrust23THRUST_200600_302600_NS6detail15normal_iteratorINS9_7pointerIhNS9_11hip_rocprim5par_tENS9_11use_defaultESF_EEEENSB_INSC_IjSE_SF_SF_EEEEhNS9_4plusIvEEhEEDaPvRmT3_T4_T5_mT6_P12ihipStream_tbENKUlT_T0_E_clISt17integral_constantIbLb0EESY_IbLb1EEEEDaSU_SV_EUlSU_E0_NS1_11comp_targetILNS1_3genE2ELNS1_11target_archE906ELNS1_3gpuE6ELNS1_3repE0EEENS1_30default_config_static_selectorELNS0_4arch9wavefront6targetE0EEEvT1_,"axG",@progbits,_ZN7rocprim17ROCPRIM_400000_NS6detail17trampoline_kernelINS0_14default_configENS1_20scan_config_selectorIhEEZZNS1_9scan_implILNS1_25lookback_scan_determinismE0ELb0ELb0ES3_N6thrust23THRUST_200600_302600_NS6detail15normal_iteratorINS9_7pointerIhNS9_11hip_rocprim5par_tENS9_11use_defaultESF_EEEENSB_INSC_IjSE_SF_SF_EEEEhNS9_4plusIvEEhEEDaPvRmT3_T4_T5_mT6_P12ihipStream_tbENKUlT_T0_E_clISt17integral_constantIbLb0EESY_IbLb1EEEEDaSU_SV_EUlSU_E0_NS1_11comp_targetILNS1_3genE2ELNS1_11target_archE906ELNS1_3gpuE6ELNS1_3repE0EEENS1_30default_config_static_selectorELNS0_4arch9wavefront6targetE0EEEvT1_,comdat
	.protected	_ZN7rocprim17ROCPRIM_400000_NS6detail17trampoline_kernelINS0_14default_configENS1_20scan_config_selectorIhEEZZNS1_9scan_implILNS1_25lookback_scan_determinismE0ELb0ELb0ES3_N6thrust23THRUST_200600_302600_NS6detail15normal_iteratorINS9_7pointerIhNS9_11hip_rocprim5par_tENS9_11use_defaultESF_EEEENSB_INSC_IjSE_SF_SF_EEEEhNS9_4plusIvEEhEEDaPvRmT3_T4_T5_mT6_P12ihipStream_tbENKUlT_T0_E_clISt17integral_constantIbLb0EESY_IbLb1EEEEDaSU_SV_EUlSU_E0_NS1_11comp_targetILNS1_3genE2ELNS1_11target_archE906ELNS1_3gpuE6ELNS1_3repE0EEENS1_30default_config_static_selectorELNS0_4arch9wavefront6targetE0EEEvT1_ ; -- Begin function _ZN7rocprim17ROCPRIM_400000_NS6detail17trampoline_kernelINS0_14default_configENS1_20scan_config_selectorIhEEZZNS1_9scan_implILNS1_25lookback_scan_determinismE0ELb0ELb0ES3_N6thrust23THRUST_200600_302600_NS6detail15normal_iteratorINS9_7pointerIhNS9_11hip_rocprim5par_tENS9_11use_defaultESF_EEEENSB_INSC_IjSE_SF_SF_EEEEhNS9_4plusIvEEhEEDaPvRmT3_T4_T5_mT6_P12ihipStream_tbENKUlT_T0_E_clISt17integral_constantIbLb0EESY_IbLb1EEEEDaSU_SV_EUlSU_E0_NS1_11comp_targetILNS1_3genE2ELNS1_11target_archE906ELNS1_3gpuE6ELNS1_3repE0EEENS1_30default_config_static_selectorELNS0_4arch9wavefront6targetE0EEEvT1_
	.globl	_ZN7rocprim17ROCPRIM_400000_NS6detail17trampoline_kernelINS0_14default_configENS1_20scan_config_selectorIhEEZZNS1_9scan_implILNS1_25lookback_scan_determinismE0ELb0ELb0ES3_N6thrust23THRUST_200600_302600_NS6detail15normal_iteratorINS9_7pointerIhNS9_11hip_rocprim5par_tENS9_11use_defaultESF_EEEENSB_INSC_IjSE_SF_SF_EEEEhNS9_4plusIvEEhEEDaPvRmT3_T4_T5_mT6_P12ihipStream_tbENKUlT_T0_E_clISt17integral_constantIbLb0EESY_IbLb1EEEEDaSU_SV_EUlSU_E0_NS1_11comp_targetILNS1_3genE2ELNS1_11target_archE906ELNS1_3gpuE6ELNS1_3repE0EEENS1_30default_config_static_selectorELNS0_4arch9wavefront6targetE0EEEvT1_
	.p2align	8
	.type	_ZN7rocprim17ROCPRIM_400000_NS6detail17trampoline_kernelINS0_14default_configENS1_20scan_config_selectorIhEEZZNS1_9scan_implILNS1_25lookback_scan_determinismE0ELb0ELb0ES3_N6thrust23THRUST_200600_302600_NS6detail15normal_iteratorINS9_7pointerIhNS9_11hip_rocprim5par_tENS9_11use_defaultESF_EEEENSB_INSC_IjSE_SF_SF_EEEEhNS9_4plusIvEEhEEDaPvRmT3_T4_T5_mT6_P12ihipStream_tbENKUlT_T0_E_clISt17integral_constantIbLb0EESY_IbLb1EEEEDaSU_SV_EUlSU_E0_NS1_11comp_targetILNS1_3genE2ELNS1_11target_archE906ELNS1_3gpuE6ELNS1_3repE0EEENS1_30default_config_static_selectorELNS0_4arch9wavefront6targetE0EEEvT1_,@function
_ZN7rocprim17ROCPRIM_400000_NS6detail17trampoline_kernelINS0_14default_configENS1_20scan_config_selectorIhEEZZNS1_9scan_implILNS1_25lookback_scan_determinismE0ELb0ELb0ES3_N6thrust23THRUST_200600_302600_NS6detail15normal_iteratorINS9_7pointerIhNS9_11hip_rocprim5par_tENS9_11use_defaultESF_EEEENSB_INSC_IjSE_SF_SF_EEEEhNS9_4plusIvEEhEEDaPvRmT3_T4_T5_mT6_P12ihipStream_tbENKUlT_T0_E_clISt17integral_constantIbLb0EESY_IbLb1EEEEDaSU_SV_EUlSU_E0_NS1_11comp_targetILNS1_3genE2ELNS1_11target_archE906ELNS1_3gpuE6ELNS1_3repE0EEENS1_30default_config_static_selectorELNS0_4arch9wavefront6targetE0EEEvT1_: ; @_ZN7rocprim17ROCPRIM_400000_NS6detail17trampoline_kernelINS0_14default_configENS1_20scan_config_selectorIhEEZZNS1_9scan_implILNS1_25lookback_scan_determinismE0ELb0ELb0ES3_N6thrust23THRUST_200600_302600_NS6detail15normal_iteratorINS9_7pointerIhNS9_11hip_rocprim5par_tENS9_11use_defaultESF_EEEENSB_INSC_IjSE_SF_SF_EEEEhNS9_4plusIvEEhEEDaPvRmT3_T4_T5_mT6_P12ihipStream_tbENKUlT_T0_E_clISt17integral_constantIbLb0EESY_IbLb1EEEEDaSU_SV_EUlSU_E0_NS1_11comp_targetILNS1_3genE2ELNS1_11target_archE906ELNS1_3gpuE6ELNS1_3repE0EEENS1_30default_config_static_selectorELNS0_4arch9wavefront6targetE0EEEvT1_
; %bb.0:
	.section	.rodata,"a",@progbits
	.p2align	6, 0x0
	.amdhsa_kernel _ZN7rocprim17ROCPRIM_400000_NS6detail17trampoline_kernelINS0_14default_configENS1_20scan_config_selectorIhEEZZNS1_9scan_implILNS1_25lookback_scan_determinismE0ELb0ELb0ES3_N6thrust23THRUST_200600_302600_NS6detail15normal_iteratorINS9_7pointerIhNS9_11hip_rocprim5par_tENS9_11use_defaultESF_EEEENSB_INSC_IjSE_SF_SF_EEEEhNS9_4plusIvEEhEEDaPvRmT3_T4_T5_mT6_P12ihipStream_tbENKUlT_T0_E_clISt17integral_constantIbLb0EESY_IbLb1EEEEDaSU_SV_EUlSU_E0_NS1_11comp_targetILNS1_3genE2ELNS1_11target_archE906ELNS1_3gpuE6ELNS1_3repE0EEENS1_30default_config_static_selectorELNS0_4arch9wavefront6targetE0EEEvT1_
		.amdhsa_group_segment_fixed_size 0
		.amdhsa_private_segment_fixed_size 0
		.amdhsa_kernarg_size 32
		.amdhsa_user_sgpr_count 15
		.amdhsa_user_sgpr_dispatch_ptr 0
		.amdhsa_user_sgpr_queue_ptr 0
		.amdhsa_user_sgpr_kernarg_segment_ptr 1
		.amdhsa_user_sgpr_dispatch_id 0
		.amdhsa_user_sgpr_private_segment_size 0
		.amdhsa_wavefront_size32 1
		.amdhsa_uses_dynamic_stack 0
		.amdhsa_enable_private_segment 0
		.amdhsa_system_sgpr_workgroup_id_x 1
		.amdhsa_system_sgpr_workgroup_id_y 0
		.amdhsa_system_sgpr_workgroup_id_z 0
		.amdhsa_system_sgpr_workgroup_info 0
		.amdhsa_system_vgpr_workitem_id 0
		.amdhsa_next_free_vgpr 1
		.amdhsa_next_free_sgpr 1
		.amdhsa_reserve_vcc 0
		.amdhsa_float_round_mode_32 0
		.amdhsa_float_round_mode_16_64 0
		.amdhsa_float_denorm_mode_32 3
		.amdhsa_float_denorm_mode_16_64 3
		.amdhsa_dx10_clamp 1
		.amdhsa_ieee_mode 1
		.amdhsa_fp16_overflow 0
		.amdhsa_workgroup_processor_mode 1
		.amdhsa_memory_ordered 1
		.amdhsa_forward_progress 0
		.amdhsa_shared_vgpr_count 0
		.amdhsa_exception_fp_ieee_invalid_op 0
		.amdhsa_exception_fp_denorm_src 0
		.amdhsa_exception_fp_ieee_div_zero 0
		.amdhsa_exception_fp_ieee_overflow 0
		.amdhsa_exception_fp_ieee_underflow 0
		.amdhsa_exception_fp_ieee_inexact 0
		.amdhsa_exception_int_div_zero 0
	.end_amdhsa_kernel
	.section	.text._ZN7rocprim17ROCPRIM_400000_NS6detail17trampoline_kernelINS0_14default_configENS1_20scan_config_selectorIhEEZZNS1_9scan_implILNS1_25lookback_scan_determinismE0ELb0ELb0ES3_N6thrust23THRUST_200600_302600_NS6detail15normal_iteratorINS9_7pointerIhNS9_11hip_rocprim5par_tENS9_11use_defaultESF_EEEENSB_INSC_IjSE_SF_SF_EEEEhNS9_4plusIvEEhEEDaPvRmT3_T4_T5_mT6_P12ihipStream_tbENKUlT_T0_E_clISt17integral_constantIbLb0EESY_IbLb1EEEEDaSU_SV_EUlSU_E0_NS1_11comp_targetILNS1_3genE2ELNS1_11target_archE906ELNS1_3gpuE6ELNS1_3repE0EEENS1_30default_config_static_selectorELNS0_4arch9wavefront6targetE0EEEvT1_,"axG",@progbits,_ZN7rocprim17ROCPRIM_400000_NS6detail17trampoline_kernelINS0_14default_configENS1_20scan_config_selectorIhEEZZNS1_9scan_implILNS1_25lookback_scan_determinismE0ELb0ELb0ES3_N6thrust23THRUST_200600_302600_NS6detail15normal_iteratorINS9_7pointerIhNS9_11hip_rocprim5par_tENS9_11use_defaultESF_EEEENSB_INSC_IjSE_SF_SF_EEEEhNS9_4plusIvEEhEEDaPvRmT3_T4_T5_mT6_P12ihipStream_tbENKUlT_T0_E_clISt17integral_constantIbLb0EESY_IbLb1EEEEDaSU_SV_EUlSU_E0_NS1_11comp_targetILNS1_3genE2ELNS1_11target_archE906ELNS1_3gpuE6ELNS1_3repE0EEENS1_30default_config_static_selectorELNS0_4arch9wavefront6targetE0EEEvT1_,comdat
.Lfunc_end182:
	.size	_ZN7rocprim17ROCPRIM_400000_NS6detail17trampoline_kernelINS0_14default_configENS1_20scan_config_selectorIhEEZZNS1_9scan_implILNS1_25lookback_scan_determinismE0ELb0ELb0ES3_N6thrust23THRUST_200600_302600_NS6detail15normal_iteratorINS9_7pointerIhNS9_11hip_rocprim5par_tENS9_11use_defaultESF_EEEENSB_INSC_IjSE_SF_SF_EEEEhNS9_4plusIvEEhEEDaPvRmT3_T4_T5_mT6_P12ihipStream_tbENKUlT_T0_E_clISt17integral_constantIbLb0EESY_IbLb1EEEEDaSU_SV_EUlSU_E0_NS1_11comp_targetILNS1_3genE2ELNS1_11target_archE906ELNS1_3gpuE6ELNS1_3repE0EEENS1_30default_config_static_selectorELNS0_4arch9wavefront6targetE0EEEvT1_, .Lfunc_end182-_ZN7rocprim17ROCPRIM_400000_NS6detail17trampoline_kernelINS0_14default_configENS1_20scan_config_selectorIhEEZZNS1_9scan_implILNS1_25lookback_scan_determinismE0ELb0ELb0ES3_N6thrust23THRUST_200600_302600_NS6detail15normal_iteratorINS9_7pointerIhNS9_11hip_rocprim5par_tENS9_11use_defaultESF_EEEENSB_INSC_IjSE_SF_SF_EEEEhNS9_4plusIvEEhEEDaPvRmT3_T4_T5_mT6_P12ihipStream_tbENKUlT_T0_E_clISt17integral_constantIbLb0EESY_IbLb1EEEEDaSU_SV_EUlSU_E0_NS1_11comp_targetILNS1_3genE2ELNS1_11target_archE906ELNS1_3gpuE6ELNS1_3repE0EEENS1_30default_config_static_selectorELNS0_4arch9wavefront6targetE0EEEvT1_
                                        ; -- End function
	.section	.AMDGPU.csdata,"",@progbits
; Kernel info:
; codeLenInByte = 0
; NumSgprs: 0
; NumVgprs: 0
; ScratchSize: 0
; MemoryBound: 0
; FloatMode: 240
; IeeeMode: 1
; LDSByteSize: 0 bytes/workgroup (compile time only)
; SGPRBlocks: 0
; VGPRBlocks: 0
; NumSGPRsForWavesPerEU: 1
; NumVGPRsForWavesPerEU: 1
; Occupancy: 16
; WaveLimiterHint : 0
; COMPUTE_PGM_RSRC2:SCRATCH_EN: 0
; COMPUTE_PGM_RSRC2:USER_SGPR: 15
; COMPUTE_PGM_RSRC2:TRAP_HANDLER: 0
; COMPUTE_PGM_RSRC2:TGID_X_EN: 1
; COMPUTE_PGM_RSRC2:TGID_Y_EN: 0
; COMPUTE_PGM_RSRC2:TGID_Z_EN: 0
; COMPUTE_PGM_RSRC2:TIDIG_COMP_CNT: 0
	.section	.text._ZN7rocprim17ROCPRIM_400000_NS6detail17trampoline_kernelINS0_14default_configENS1_20scan_config_selectorIhEEZZNS1_9scan_implILNS1_25lookback_scan_determinismE0ELb0ELb0ES3_N6thrust23THRUST_200600_302600_NS6detail15normal_iteratorINS9_7pointerIhNS9_11hip_rocprim5par_tENS9_11use_defaultESF_EEEENSB_INSC_IjSE_SF_SF_EEEEhNS9_4plusIvEEhEEDaPvRmT3_T4_T5_mT6_P12ihipStream_tbENKUlT_T0_E_clISt17integral_constantIbLb0EESY_IbLb1EEEEDaSU_SV_EUlSU_E0_NS1_11comp_targetILNS1_3genE10ELNS1_11target_archE1201ELNS1_3gpuE5ELNS1_3repE0EEENS1_30default_config_static_selectorELNS0_4arch9wavefront6targetE0EEEvT1_,"axG",@progbits,_ZN7rocprim17ROCPRIM_400000_NS6detail17trampoline_kernelINS0_14default_configENS1_20scan_config_selectorIhEEZZNS1_9scan_implILNS1_25lookback_scan_determinismE0ELb0ELb0ES3_N6thrust23THRUST_200600_302600_NS6detail15normal_iteratorINS9_7pointerIhNS9_11hip_rocprim5par_tENS9_11use_defaultESF_EEEENSB_INSC_IjSE_SF_SF_EEEEhNS9_4plusIvEEhEEDaPvRmT3_T4_T5_mT6_P12ihipStream_tbENKUlT_T0_E_clISt17integral_constantIbLb0EESY_IbLb1EEEEDaSU_SV_EUlSU_E0_NS1_11comp_targetILNS1_3genE10ELNS1_11target_archE1201ELNS1_3gpuE5ELNS1_3repE0EEENS1_30default_config_static_selectorELNS0_4arch9wavefront6targetE0EEEvT1_,comdat
	.protected	_ZN7rocprim17ROCPRIM_400000_NS6detail17trampoline_kernelINS0_14default_configENS1_20scan_config_selectorIhEEZZNS1_9scan_implILNS1_25lookback_scan_determinismE0ELb0ELb0ES3_N6thrust23THRUST_200600_302600_NS6detail15normal_iteratorINS9_7pointerIhNS9_11hip_rocprim5par_tENS9_11use_defaultESF_EEEENSB_INSC_IjSE_SF_SF_EEEEhNS9_4plusIvEEhEEDaPvRmT3_T4_T5_mT6_P12ihipStream_tbENKUlT_T0_E_clISt17integral_constantIbLb0EESY_IbLb1EEEEDaSU_SV_EUlSU_E0_NS1_11comp_targetILNS1_3genE10ELNS1_11target_archE1201ELNS1_3gpuE5ELNS1_3repE0EEENS1_30default_config_static_selectorELNS0_4arch9wavefront6targetE0EEEvT1_ ; -- Begin function _ZN7rocprim17ROCPRIM_400000_NS6detail17trampoline_kernelINS0_14default_configENS1_20scan_config_selectorIhEEZZNS1_9scan_implILNS1_25lookback_scan_determinismE0ELb0ELb0ES3_N6thrust23THRUST_200600_302600_NS6detail15normal_iteratorINS9_7pointerIhNS9_11hip_rocprim5par_tENS9_11use_defaultESF_EEEENSB_INSC_IjSE_SF_SF_EEEEhNS9_4plusIvEEhEEDaPvRmT3_T4_T5_mT6_P12ihipStream_tbENKUlT_T0_E_clISt17integral_constantIbLb0EESY_IbLb1EEEEDaSU_SV_EUlSU_E0_NS1_11comp_targetILNS1_3genE10ELNS1_11target_archE1201ELNS1_3gpuE5ELNS1_3repE0EEENS1_30default_config_static_selectorELNS0_4arch9wavefront6targetE0EEEvT1_
	.globl	_ZN7rocprim17ROCPRIM_400000_NS6detail17trampoline_kernelINS0_14default_configENS1_20scan_config_selectorIhEEZZNS1_9scan_implILNS1_25lookback_scan_determinismE0ELb0ELb0ES3_N6thrust23THRUST_200600_302600_NS6detail15normal_iteratorINS9_7pointerIhNS9_11hip_rocprim5par_tENS9_11use_defaultESF_EEEENSB_INSC_IjSE_SF_SF_EEEEhNS9_4plusIvEEhEEDaPvRmT3_T4_T5_mT6_P12ihipStream_tbENKUlT_T0_E_clISt17integral_constantIbLb0EESY_IbLb1EEEEDaSU_SV_EUlSU_E0_NS1_11comp_targetILNS1_3genE10ELNS1_11target_archE1201ELNS1_3gpuE5ELNS1_3repE0EEENS1_30default_config_static_selectorELNS0_4arch9wavefront6targetE0EEEvT1_
	.p2align	8
	.type	_ZN7rocprim17ROCPRIM_400000_NS6detail17trampoline_kernelINS0_14default_configENS1_20scan_config_selectorIhEEZZNS1_9scan_implILNS1_25lookback_scan_determinismE0ELb0ELb0ES3_N6thrust23THRUST_200600_302600_NS6detail15normal_iteratorINS9_7pointerIhNS9_11hip_rocprim5par_tENS9_11use_defaultESF_EEEENSB_INSC_IjSE_SF_SF_EEEEhNS9_4plusIvEEhEEDaPvRmT3_T4_T5_mT6_P12ihipStream_tbENKUlT_T0_E_clISt17integral_constantIbLb0EESY_IbLb1EEEEDaSU_SV_EUlSU_E0_NS1_11comp_targetILNS1_3genE10ELNS1_11target_archE1201ELNS1_3gpuE5ELNS1_3repE0EEENS1_30default_config_static_selectorELNS0_4arch9wavefront6targetE0EEEvT1_,@function
_ZN7rocprim17ROCPRIM_400000_NS6detail17trampoline_kernelINS0_14default_configENS1_20scan_config_selectorIhEEZZNS1_9scan_implILNS1_25lookback_scan_determinismE0ELb0ELb0ES3_N6thrust23THRUST_200600_302600_NS6detail15normal_iteratorINS9_7pointerIhNS9_11hip_rocprim5par_tENS9_11use_defaultESF_EEEENSB_INSC_IjSE_SF_SF_EEEEhNS9_4plusIvEEhEEDaPvRmT3_T4_T5_mT6_P12ihipStream_tbENKUlT_T0_E_clISt17integral_constantIbLb0EESY_IbLb1EEEEDaSU_SV_EUlSU_E0_NS1_11comp_targetILNS1_3genE10ELNS1_11target_archE1201ELNS1_3gpuE5ELNS1_3repE0EEENS1_30default_config_static_selectorELNS0_4arch9wavefront6targetE0EEEvT1_: ; @_ZN7rocprim17ROCPRIM_400000_NS6detail17trampoline_kernelINS0_14default_configENS1_20scan_config_selectorIhEEZZNS1_9scan_implILNS1_25lookback_scan_determinismE0ELb0ELb0ES3_N6thrust23THRUST_200600_302600_NS6detail15normal_iteratorINS9_7pointerIhNS9_11hip_rocprim5par_tENS9_11use_defaultESF_EEEENSB_INSC_IjSE_SF_SF_EEEEhNS9_4plusIvEEhEEDaPvRmT3_T4_T5_mT6_P12ihipStream_tbENKUlT_T0_E_clISt17integral_constantIbLb0EESY_IbLb1EEEEDaSU_SV_EUlSU_E0_NS1_11comp_targetILNS1_3genE10ELNS1_11target_archE1201ELNS1_3gpuE5ELNS1_3repE0EEENS1_30default_config_static_selectorELNS0_4arch9wavefront6targetE0EEEvT1_
; %bb.0:
	.section	.rodata,"a",@progbits
	.p2align	6, 0x0
	.amdhsa_kernel _ZN7rocprim17ROCPRIM_400000_NS6detail17trampoline_kernelINS0_14default_configENS1_20scan_config_selectorIhEEZZNS1_9scan_implILNS1_25lookback_scan_determinismE0ELb0ELb0ES3_N6thrust23THRUST_200600_302600_NS6detail15normal_iteratorINS9_7pointerIhNS9_11hip_rocprim5par_tENS9_11use_defaultESF_EEEENSB_INSC_IjSE_SF_SF_EEEEhNS9_4plusIvEEhEEDaPvRmT3_T4_T5_mT6_P12ihipStream_tbENKUlT_T0_E_clISt17integral_constantIbLb0EESY_IbLb1EEEEDaSU_SV_EUlSU_E0_NS1_11comp_targetILNS1_3genE10ELNS1_11target_archE1201ELNS1_3gpuE5ELNS1_3repE0EEENS1_30default_config_static_selectorELNS0_4arch9wavefront6targetE0EEEvT1_
		.amdhsa_group_segment_fixed_size 0
		.amdhsa_private_segment_fixed_size 0
		.amdhsa_kernarg_size 32
		.amdhsa_user_sgpr_count 15
		.amdhsa_user_sgpr_dispatch_ptr 0
		.amdhsa_user_sgpr_queue_ptr 0
		.amdhsa_user_sgpr_kernarg_segment_ptr 1
		.amdhsa_user_sgpr_dispatch_id 0
		.amdhsa_user_sgpr_private_segment_size 0
		.amdhsa_wavefront_size32 1
		.amdhsa_uses_dynamic_stack 0
		.amdhsa_enable_private_segment 0
		.amdhsa_system_sgpr_workgroup_id_x 1
		.amdhsa_system_sgpr_workgroup_id_y 0
		.amdhsa_system_sgpr_workgroup_id_z 0
		.amdhsa_system_sgpr_workgroup_info 0
		.amdhsa_system_vgpr_workitem_id 0
		.amdhsa_next_free_vgpr 1
		.amdhsa_next_free_sgpr 1
		.amdhsa_reserve_vcc 0
		.amdhsa_float_round_mode_32 0
		.amdhsa_float_round_mode_16_64 0
		.amdhsa_float_denorm_mode_32 3
		.amdhsa_float_denorm_mode_16_64 3
		.amdhsa_dx10_clamp 1
		.amdhsa_ieee_mode 1
		.amdhsa_fp16_overflow 0
		.amdhsa_workgroup_processor_mode 1
		.amdhsa_memory_ordered 1
		.amdhsa_forward_progress 0
		.amdhsa_shared_vgpr_count 0
		.amdhsa_exception_fp_ieee_invalid_op 0
		.amdhsa_exception_fp_denorm_src 0
		.amdhsa_exception_fp_ieee_div_zero 0
		.amdhsa_exception_fp_ieee_overflow 0
		.amdhsa_exception_fp_ieee_underflow 0
		.amdhsa_exception_fp_ieee_inexact 0
		.amdhsa_exception_int_div_zero 0
	.end_amdhsa_kernel
	.section	.text._ZN7rocprim17ROCPRIM_400000_NS6detail17trampoline_kernelINS0_14default_configENS1_20scan_config_selectorIhEEZZNS1_9scan_implILNS1_25lookback_scan_determinismE0ELb0ELb0ES3_N6thrust23THRUST_200600_302600_NS6detail15normal_iteratorINS9_7pointerIhNS9_11hip_rocprim5par_tENS9_11use_defaultESF_EEEENSB_INSC_IjSE_SF_SF_EEEEhNS9_4plusIvEEhEEDaPvRmT3_T4_T5_mT6_P12ihipStream_tbENKUlT_T0_E_clISt17integral_constantIbLb0EESY_IbLb1EEEEDaSU_SV_EUlSU_E0_NS1_11comp_targetILNS1_3genE10ELNS1_11target_archE1201ELNS1_3gpuE5ELNS1_3repE0EEENS1_30default_config_static_selectorELNS0_4arch9wavefront6targetE0EEEvT1_,"axG",@progbits,_ZN7rocprim17ROCPRIM_400000_NS6detail17trampoline_kernelINS0_14default_configENS1_20scan_config_selectorIhEEZZNS1_9scan_implILNS1_25lookback_scan_determinismE0ELb0ELb0ES3_N6thrust23THRUST_200600_302600_NS6detail15normal_iteratorINS9_7pointerIhNS9_11hip_rocprim5par_tENS9_11use_defaultESF_EEEENSB_INSC_IjSE_SF_SF_EEEEhNS9_4plusIvEEhEEDaPvRmT3_T4_T5_mT6_P12ihipStream_tbENKUlT_T0_E_clISt17integral_constantIbLb0EESY_IbLb1EEEEDaSU_SV_EUlSU_E0_NS1_11comp_targetILNS1_3genE10ELNS1_11target_archE1201ELNS1_3gpuE5ELNS1_3repE0EEENS1_30default_config_static_selectorELNS0_4arch9wavefront6targetE0EEEvT1_,comdat
.Lfunc_end183:
	.size	_ZN7rocprim17ROCPRIM_400000_NS6detail17trampoline_kernelINS0_14default_configENS1_20scan_config_selectorIhEEZZNS1_9scan_implILNS1_25lookback_scan_determinismE0ELb0ELb0ES3_N6thrust23THRUST_200600_302600_NS6detail15normal_iteratorINS9_7pointerIhNS9_11hip_rocprim5par_tENS9_11use_defaultESF_EEEENSB_INSC_IjSE_SF_SF_EEEEhNS9_4plusIvEEhEEDaPvRmT3_T4_T5_mT6_P12ihipStream_tbENKUlT_T0_E_clISt17integral_constantIbLb0EESY_IbLb1EEEEDaSU_SV_EUlSU_E0_NS1_11comp_targetILNS1_3genE10ELNS1_11target_archE1201ELNS1_3gpuE5ELNS1_3repE0EEENS1_30default_config_static_selectorELNS0_4arch9wavefront6targetE0EEEvT1_, .Lfunc_end183-_ZN7rocprim17ROCPRIM_400000_NS6detail17trampoline_kernelINS0_14default_configENS1_20scan_config_selectorIhEEZZNS1_9scan_implILNS1_25lookback_scan_determinismE0ELb0ELb0ES3_N6thrust23THRUST_200600_302600_NS6detail15normal_iteratorINS9_7pointerIhNS9_11hip_rocprim5par_tENS9_11use_defaultESF_EEEENSB_INSC_IjSE_SF_SF_EEEEhNS9_4plusIvEEhEEDaPvRmT3_T4_T5_mT6_P12ihipStream_tbENKUlT_T0_E_clISt17integral_constantIbLb0EESY_IbLb1EEEEDaSU_SV_EUlSU_E0_NS1_11comp_targetILNS1_3genE10ELNS1_11target_archE1201ELNS1_3gpuE5ELNS1_3repE0EEENS1_30default_config_static_selectorELNS0_4arch9wavefront6targetE0EEEvT1_
                                        ; -- End function
	.section	.AMDGPU.csdata,"",@progbits
; Kernel info:
; codeLenInByte = 0
; NumSgprs: 0
; NumVgprs: 0
; ScratchSize: 0
; MemoryBound: 0
; FloatMode: 240
; IeeeMode: 1
; LDSByteSize: 0 bytes/workgroup (compile time only)
; SGPRBlocks: 0
; VGPRBlocks: 0
; NumSGPRsForWavesPerEU: 1
; NumVGPRsForWavesPerEU: 1
; Occupancy: 16
; WaveLimiterHint : 0
; COMPUTE_PGM_RSRC2:SCRATCH_EN: 0
; COMPUTE_PGM_RSRC2:USER_SGPR: 15
; COMPUTE_PGM_RSRC2:TRAP_HANDLER: 0
; COMPUTE_PGM_RSRC2:TGID_X_EN: 1
; COMPUTE_PGM_RSRC2:TGID_Y_EN: 0
; COMPUTE_PGM_RSRC2:TGID_Z_EN: 0
; COMPUTE_PGM_RSRC2:TIDIG_COMP_CNT: 0
	.section	.text._ZN7rocprim17ROCPRIM_400000_NS6detail17trampoline_kernelINS0_14default_configENS1_20scan_config_selectorIhEEZZNS1_9scan_implILNS1_25lookback_scan_determinismE0ELb0ELb0ES3_N6thrust23THRUST_200600_302600_NS6detail15normal_iteratorINS9_7pointerIhNS9_11hip_rocprim5par_tENS9_11use_defaultESF_EEEENSB_INSC_IjSE_SF_SF_EEEEhNS9_4plusIvEEhEEDaPvRmT3_T4_T5_mT6_P12ihipStream_tbENKUlT_T0_E_clISt17integral_constantIbLb0EESY_IbLb1EEEEDaSU_SV_EUlSU_E0_NS1_11comp_targetILNS1_3genE10ELNS1_11target_archE1200ELNS1_3gpuE4ELNS1_3repE0EEENS1_30default_config_static_selectorELNS0_4arch9wavefront6targetE0EEEvT1_,"axG",@progbits,_ZN7rocprim17ROCPRIM_400000_NS6detail17trampoline_kernelINS0_14default_configENS1_20scan_config_selectorIhEEZZNS1_9scan_implILNS1_25lookback_scan_determinismE0ELb0ELb0ES3_N6thrust23THRUST_200600_302600_NS6detail15normal_iteratorINS9_7pointerIhNS9_11hip_rocprim5par_tENS9_11use_defaultESF_EEEENSB_INSC_IjSE_SF_SF_EEEEhNS9_4plusIvEEhEEDaPvRmT3_T4_T5_mT6_P12ihipStream_tbENKUlT_T0_E_clISt17integral_constantIbLb0EESY_IbLb1EEEEDaSU_SV_EUlSU_E0_NS1_11comp_targetILNS1_3genE10ELNS1_11target_archE1200ELNS1_3gpuE4ELNS1_3repE0EEENS1_30default_config_static_selectorELNS0_4arch9wavefront6targetE0EEEvT1_,comdat
	.protected	_ZN7rocprim17ROCPRIM_400000_NS6detail17trampoline_kernelINS0_14default_configENS1_20scan_config_selectorIhEEZZNS1_9scan_implILNS1_25lookback_scan_determinismE0ELb0ELb0ES3_N6thrust23THRUST_200600_302600_NS6detail15normal_iteratorINS9_7pointerIhNS9_11hip_rocprim5par_tENS9_11use_defaultESF_EEEENSB_INSC_IjSE_SF_SF_EEEEhNS9_4plusIvEEhEEDaPvRmT3_T4_T5_mT6_P12ihipStream_tbENKUlT_T0_E_clISt17integral_constantIbLb0EESY_IbLb1EEEEDaSU_SV_EUlSU_E0_NS1_11comp_targetILNS1_3genE10ELNS1_11target_archE1200ELNS1_3gpuE4ELNS1_3repE0EEENS1_30default_config_static_selectorELNS0_4arch9wavefront6targetE0EEEvT1_ ; -- Begin function _ZN7rocprim17ROCPRIM_400000_NS6detail17trampoline_kernelINS0_14default_configENS1_20scan_config_selectorIhEEZZNS1_9scan_implILNS1_25lookback_scan_determinismE0ELb0ELb0ES3_N6thrust23THRUST_200600_302600_NS6detail15normal_iteratorINS9_7pointerIhNS9_11hip_rocprim5par_tENS9_11use_defaultESF_EEEENSB_INSC_IjSE_SF_SF_EEEEhNS9_4plusIvEEhEEDaPvRmT3_T4_T5_mT6_P12ihipStream_tbENKUlT_T0_E_clISt17integral_constantIbLb0EESY_IbLb1EEEEDaSU_SV_EUlSU_E0_NS1_11comp_targetILNS1_3genE10ELNS1_11target_archE1200ELNS1_3gpuE4ELNS1_3repE0EEENS1_30default_config_static_selectorELNS0_4arch9wavefront6targetE0EEEvT1_
	.globl	_ZN7rocprim17ROCPRIM_400000_NS6detail17trampoline_kernelINS0_14default_configENS1_20scan_config_selectorIhEEZZNS1_9scan_implILNS1_25lookback_scan_determinismE0ELb0ELb0ES3_N6thrust23THRUST_200600_302600_NS6detail15normal_iteratorINS9_7pointerIhNS9_11hip_rocprim5par_tENS9_11use_defaultESF_EEEENSB_INSC_IjSE_SF_SF_EEEEhNS9_4plusIvEEhEEDaPvRmT3_T4_T5_mT6_P12ihipStream_tbENKUlT_T0_E_clISt17integral_constantIbLb0EESY_IbLb1EEEEDaSU_SV_EUlSU_E0_NS1_11comp_targetILNS1_3genE10ELNS1_11target_archE1200ELNS1_3gpuE4ELNS1_3repE0EEENS1_30default_config_static_selectorELNS0_4arch9wavefront6targetE0EEEvT1_
	.p2align	8
	.type	_ZN7rocprim17ROCPRIM_400000_NS6detail17trampoline_kernelINS0_14default_configENS1_20scan_config_selectorIhEEZZNS1_9scan_implILNS1_25lookback_scan_determinismE0ELb0ELb0ES3_N6thrust23THRUST_200600_302600_NS6detail15normal_iteratorINS9_7pointerIhNS9_11hip_rocprim5par_tENS9_11use_defaultESF_EEEENSB_INSC_IjSE_SF_SF_EEEEhNS9_4plusIvEEhEEDaPvRmT3_T4_T5_mT6_P12ihipStream_tbENKUlT_T0_E_clISt17integral_constantIbLb0EESY_IbLb1EEEEDaSU_SV_EUlSU_E0_NS1_11comp_targetILNS1_3genE10ELNS1_11target_archE1200ELNS1_3gpuE4ELNS1_3repE0EEENS1_30default_config_static_selectorELNS0_4arch9wavefront6targetE0EEEvT1_,@function
_ZN7rocprim17ROCPRIM_400000_NS6detail17trampoline_kernelINS0_14default_configENS1_20scan_config_selectorIhEEZZNS1_9scan_implILNS1_25lookback_scan_determinismE0ELb0ELb0ES3_N6thrust23THRUST_200600_302600_NS6detail15normal_iteratorINS9_7pointerIhNS9_11hip_rocprim5par_tENS9_11use_defaultESF_EEEENSB_INSC_IjSE_SF_SF_EEEEhNS9_4plusIvEEhEEDaPvRmT3_T4_T5_mT6_P12ihipStream_tbENKUlT_T0_E_clISt17integral_constantIbLb0EESY_IbLb1EEEEDaSU_SV_EUlSU_E0_NS1_11comp_targetILNS1_3genE10ELNS1_11target_archE1200ELNS1_3gpuE4ELNS1_3repE0EEENS1_30default_config_static_selectorELNS0_4arch9wavefront6targetE0EEEvT1_: ; @_ZN7rocprim17ROCPRIM_400000_NS6detail17trampoline_kernelINS0_14default_configENS1_20scan_config_selectorIhEEZZNS1_9scan_implILNS1_25lookback_scan_determinismE0ELb0ELb0ES3_N6thrust23THRUST_200600_302600_NS6detail15normal_iteratorINS9_7pointerIhNS9_11hip_rocprim5par_tENS9_11use_defaultESF_EEEENSB_INSC_IjSE_SF_SF_EEEEhNS9_4plusIvEEhEEDaPvRmT3_T4_T5_mT6_P12ihipStream_tbENKUlT_T0_E_clISt17integral_constantIbLb0EESY_IbLb1EEEEDaSU_SV_EUlSU_E0_NS1_11comp_targetILNS1_3genE10ELNS1_11target_archE1200ELNS1_3gpuE4ELNS1_3repE0EEENS1_30default_config_static_selectorELNS0_4arch9wavefront6targetE0EEEvT1_
; %bb.0:
	.section	.rodata,"a",@progbits
	.p2align	6, 0x0
	.amdhsa_kernel _ZN7rocprim17ROCPRIM_400000_NS6detail17trampoline_kernelINS0_14default_configENS1_20scan_config_selectorIhEEZZNS1_9scan_implILNS1_25lookback_scan_determinismE0ELb0ELb0ES3_N6thrust23THRUST_200600_302600_NS6detail15normal_iteratorINS9_7pointerIhNS9_11hip_rocprim5par_tENS9_11use_defaultESF_EEEENSB_INSC_IjSE_SF_SF_EEEEhNS9_4plusIvEEhEEDaPvRmT3_T4_T5_mT6_P12ihipStream_tbENKUlT_T0_E_clISt17integral_constantIbLb0EESY_IbLb1EEEEDaSU_SV_EUlSU_E0_NS1_11comp_targetILNS1_3genE10ELNS1_11target_archE1200ELNS1_3gpuE4ELNS1_3repE0EEENS1_30default_config_static_selectorELNS0_4arch9wavefront6targetE0EEEvT1_
		.amdhsa_group_segment_fixed_size 0
		.amdhsa_private_segment_fixed_size 0
		.amdhsa_kernarg_size 32
		.amdhsa_user_sgpr_count 15
		.amdhsa_user_sgpr_dispatch_ptr 0
		.amdhsa_user_sgpr_queue_ptr 0
		.amdhsa_user_sgpr_kernarg_segment_ptr 1
		.amdhsa_user_sgpr_dispatch_id 0
		.amdhsa_user_sgpr_private_segment_size 0
		.amdhsa_wavefront_size32 1
		.amdhsa_uses_dynamic_stack 0
		.amdhsa_enable_private_segment 0
		.amdhsa_system_sgpr_workgroup_id_x 1
		.amdhsa_system_sgpr_workgroup_id_y 0
		.amdhsa_system_sgpr_workgroup_id_z 0
		.amdhsa_system_sgpr_workgroup_info 0
		.amdhsa_system_vgpr_workitem_id 0
		.amdhsa_next_free_vgpr 1
		.amdhsa_next_free_sgpr 1
		.amdhsa_reserve_vcc 0
		.amdhsa_float_round_mode_32 0
		.amdhsa_float_round_mode_16_64 0
		.amdhsa_float_denorm_mode_32 3
		.amdhsa_float_denorm_mode_16_64 3
		.amdhsa_dx10_clamp 1
		.amdhsa_ieee_mode 1
		.amdhsa_fp16_overflow 0
		.amdhsa_workgroup_processor_mode 1
		.amdhsa_memory_ordered 1
		.amdhsa_forward_progress 0
		.amdhsa_shared_vgpr_count 0
		.amdhsa_exception_fp_ieee_invalid_op 0
		.amdhsa_exception_fp_denorm_src 0
		.amdhsa_exception_fp_ieee_div_zero 0
		.amdhsa_exception_fp_ieee_overflow 0
		.amdhsa_exception_fp_ieee_underflow 0
		.amdhsa_exception_fp_ieee_inexact 0
		.amdhsa_exception_int_div_zero 0
	.end_amdhsa_kernel
	.section	.text._ZN7rocprim17ROCPRIM_400000_NS6detail17trampoline_kernelINS0_14default_configENS1_20scan_config_selectorIhEEZZNS1_9scan_implILNS1_25lookback_scan_determinismE0ELb0ELb0ES3_N6thrust23THRUST_200600_302600_NS6detail15normal_iteratorINS9_7pointerIhNS9_11hip_rocprim5par_tENS9_11use_defaultESF_EEEENSB_INSC_IjSE_SF_SF_EEEEhNS9_4plusIvEEhEEDaPvRmT3_T4_T5_mT6_P12ihipStream_tbENKUlT_T0_E_clISt17integral_constantIbLb0EESY_IbLb1EEEEDaSU_SV_EUlSU_E0_NS1_11comp_targetILNS1_3genE10ELNS1_11target_archE1200ELNS1_3gpuE4ELNS1_3repE0EEENS1_30default_config_static_selectorELNS0_4arch9wavefront6targetE0EEEvT1_,"axG",@progbits,_ZN7rocprim17ROCPRIM_400000_NS6detail17trampoline_kernelINS0_14default_configENS1_20scan_config_selectorIhEEZZNS1_9scan_implILNS1_25lookback_scan_determinismE0ELb0ELb0ES3_N6thrust23THRUST_200600_302600_NS6detail15normal_iteratorINS9_7pointerIhNS9_11hip_rocprim5par_tENS9_11use_defaultESF_EEEENSB_INSC_IjSE_SF_SF_EEEEhNS9_4plusIvEEhEEDaPvRmT3_T4_T5_mT6_P12ihipStream_tbENKUlT_T0_E_clISt17integral_constantIbLb0EESY_IbLb1EEEEDaSU_SV_EUlSU_E0_NS1_11comp_targetILNS1_3genE10ELNS1_11target_archE1200ELNS1_3gpuE4ELNS1_3repE0EEENS1_30default_config_static_selectorELNS0_4arch9wavefront6targetE0EEEvT1_,comdat
.Lfunc_end184:
	.size	_ZN7rocprim17ROCPRIM_400000_NS6detail17trampoline_kernelINS0_14default_configENS1_20scan_config_selectorIhEEZZNS1_9scan_implILNS1_25lookback_scan_determinismE0ELb0ELb0ES3_N6thrust23THRUST_200600_302600_NS6detail15normal_iteratorINS9_7pointerIhNS9_11hip_rocprim5par_tENS9_11use_defaultESF_EEEENSB_INSC_IjSE_SF_SF_EEEEhNS9_4plusIvEEhEEDaPvRmT3_T4_T5_mT6_P12ihipStream_tbENKUlT_T0_E_clISt17integral_constantIbLb0EESY_IbLb1EEEEDaSU_SV_EUlSU_E0_NS1_11comp_targetILNS1_3genE10ELNS1_11target_archE1200ELNS1_3gpuE4ELNS1_3repE0EEENS1_30default_config_static_selectorELNS0_4arch9wavefront6targetE0EEEvT1_, .Lfunc_end184-_ZN7rocprim17ROCPRIM_400000_NS6detail17trampoline_kernelINS0_14default_configENS1_20scan_config_selectorIhEEZZNS1_9scan_implILNS1_25lookback_scan_determinismE0ELb0ELb0ES3_N6thrust23THRUST_200600_302600_NS6detail15normal_iteratorINS9_7pointerIhNS9_11hip_rocprim5par_tENS9_11use_defaultESF_EEEENSB_INSC_IjSE_SF_SF_EEEEhNS9_4plusIvEEhEEDaPvRmT3_T4_T5_mT6_P12ihipStream_tbENKUlT_T0_E_clISt17integral_constantIbLb0EESY_IbLb1EEEEDaSU_SV_EUlSU_E0_NS1_11comp_targetILNS1_3genE10ELNS1_11target_archE1200ELNS1_3gpuE4ELNS1_3repE0EEENS1_30default_config_static_selectorELNS0_4arch9wavefront6targetE0EEEvT1_
                                        ; -- End function
	.section	.AMDGPU.csdata,"",@progbits
; Kernel info:
; codeLenInByte = 0
; NumSgprs: 0
; NumVgprs: 0
; ScratchSize: 0
; MemoryBound: 0
; FloatMode: 240
; IeeeMode: 1
; LDSByteSize: 0 bytes/workgroup (compile time only)
; SGPRBlocks: 0
; VGPRBlocks: 0
; NumSGPRsForWavesPerEU: 1
; NumVGPRsForWavesPerEU: 1
; Occupancy: 16
; WaveLimiterHint : 0
; COMPUTE_PGM_RSRC2:SCRATCH_EN: 0
; COMPUTE_PGM_RSRC2:USER_SGPR: 15
; COMPUTE_PGM_RSRC2:TRAP_HANDLER: 0
; COMPUTE_PGM_RSRC2:TGID_X_EN: 1
; COMPUTE_PGM_RSRC2:TGID_Y_EN: 0
; COMPUTE_PGM_RSRC2:TGID_Z_EN: 0
; COMPUTE_PGM_RSRC2:TIDIG_COMP_CNT: 0
	.section	.text._ZN7rocprim17ROCPRIM_400000_NS6detail17trampoline_kernelINS0_14default_configENS1_20scan_config_selectorIhEEZZNS1_9scan_implILNS1_25lookback_scan_determinismE0ELb0ELb0ES3_N6thrust23THRUST_200600_302600_NS6detail15normal_iteratorINS9_7pointerIhNS9_11hip_rocprim5par_tENS9_11use_defaultESF_EEEENSB_INSC_IjSE_SF_SF_EEEEhNS9_4plusIvEEhEEDaPvRmT3_T4_T5_mT6_P12ihipStream_tbENKUlT_T0_E_clISt17integral_constantIbLb0EESY_IbLb1EEEEDaSU_SV_EUlSU_E0_NS1_11comp_targetILNS1_3genE9ELNS1_11target_archE1100ELNS1_3gpuE3ELNS1_3repE0EEENS1_30default_config_static_selectorELNS0_4arch9wavefront6targetE0EEEvT1_,"axG",@progbits,_ZN7rocprim17ROCPRIM_400000_NS6detail17trampoline_kernelINS0_14default_configENS1_20scan_config_selectorIhEEZZNS1_9scan_implILNS1_25lookback_scan_determinismE0ELb0ELb0ES3_N6thrust23THRUST_200600_302600_NS6detail15normal_iteratorINS9_7pointerIhNS9_11hip_rocprim5par_tENS9_11use_defaultESF_EEEENSB_INSC_IjSE_SF_SF_EEEEhNS9_4plusIvEEhEEDaPvRmT3_T4_T5_mT6_P12ihipStream_tbENKUlT_T0_E_clISt17integral_constantIbLb0EESY_IbLb1EEEEDaSU_SV_EUlSU_E0_NS1_11comp_targetILNS1_3genE9ELNS1_11target_archE1100ELNS1_3gpuE3ELNS1_3repE0EEENS1_30default_config_static_selectorELNS0_4arch9wavefront6targetE0EEEvT1_,comdat
	.protected	_ZN7rocprim17ROCPRIM_400000_NS6detail17trampoline_kernelINS0_14default_configENS1_20scan_config_selectorIhEEZZNS1_9scan_implILNS1_25lookback_scan_determinismE0ELb0ELb0ES3_N6thrust23THRUST_200600_302600_NS6detail15normal_iteratorINS9_7pointerIhNS9_11hip_rocprim5par_tENS9_11use_defaultESF_EEEENSB_INSC_IjSE_SF_SF_EEEEhNS9_4plusIvEEhEEDaPvRmT3_T4_T5_mT6_P12ihipStream_tbENKUlT_T0_E_clISt17integral_constantIbLb0EESY_IbLb1EEEEDaSU_SV_EUlSU_E0_NS1_11comp_targetILNS1_3genE9ELNS1_11target_archE1100ELNS1_3gpuE3ELNS1_3repE0EEENS1_30default_config_static_selectorELNS0_4arch9wavefront6targetE0EEEvT1_ ; -- Begin function _ZN7rocprim17ROCPRIM_400000_NS6detail17trampoline_kernelINS0_14default_configENS1_20scan_config_selectorIhEEZZNS1_9scan_implILNS1_25lookback_scan_determinismE0ELb0ELb0ES3_N6thrust23THRUST_200600_302600_NS6detail15normal_iteratorINS9_7pointerIhNS9_11hip_rocprim5par_tENS9_11use_defaultESF_EEEENSB_INSC_IjSE_SF_SF_EEEEhNS9_4plusIvEEhEEDaPvRmT3_T4_T5_mT6_P12ihipStream_tbENKUlT_T0_E_clISt17integral_constantIbLb0EESY_IbLb1EEEEDaSU_SV_EUlSU_E0_NS1_11comp_targetILNS1_3genE9ELNS1_11target_archE1100ELNS1_3gpuE3ELNS1_3repE0EEENS1_30default_config_static_selectorELNS0_4arch9wavefront6targetE0EEEvT1_
	.globl	_ZN7rocprim17ROCPRIM_400000_NS6detail17trampoline_kernelINS0_14default_configENS1_20scan_config_selectorIhEEZZNS1_9scan_implILNS1_25lookback_scan_determinismE0ELb0ELb0ES3_N6thrust23THRUST_200600_302600_NS6detail15normal_iteratorINS9_7pointerIhNS9_11hip_rocprim5par_tENS9_11use_defaultESF_EEEENSB_INSC_IjSE_SF_SF_EEEEhNS9_4plusIvEEhEEDaPvRmT3_T4_T5_mT6_P12ihipStream_tbENKUlT_T0_E_clISt17integral_constantIbLb0EESY_IbLb1EEEEDaSU_SV_EUlSU_E0_NS1_11comp_targetILNS1_3genE9ELNS1_11target_archE1100ELNS1_3gpuE3ELNS1_3repE0EEENS1_30default_config_static_selectorELNS0_4arch9wavefront6targetE0EEEvT1_
	.p2align	8
	.type	_ZN7rocprim17ROCPRIM_400000_NS6detail17trampoline_kernelINS0_14default_configENS1_20scan_config_selectorIhEEZZNS1_9scan_implILNS1_25lookback_scan_determinismE0ELb0ELb0ES3_N6thrust23THRUST_200600_302600_NS6detail15normal_iteratorINS9_7pointerIhNS9_11hip_rocprim5par_tENS9_11use_defaultESF_EEEENSB_INSC_IjSE_SF_SF_EEEEhNS9_4plusIvEEhEEDaPvRmT3_T4_T5_mT6_P12ihipStream_tbENKUlT_T0_E_clISt17integral_constantIbLb0EESY_IbLb1EEEEDaSU_SV_EUlSU_E0_NS1_11comp_targetILNS1_3genE9ELNS1_11target_archE1100ELNS1_3gpuE3ELNS1_3repE0EEENS1_30default_config_static_selectorELNS0_4arch9wavefront6targetE0EEEvT1_,@function
_ZN7rocprim17ROCPRIM_400000_NS6detail17trampoline_kernelINS0_14default_configENS1_20scan_config_selectorIhEEZZNS1_9scan_implILNS1_25lookback_scan_determinismE0ELb0ELb0ES3_N6thrust23THRUST_200600_302600_NS6detail15normal_iteratorINS9_7pointerIhNS9_11hip_rocprim5par_tENS9_11use_defaultESF_EEEENSB_INSC_IjSE_SF_SF_EEEEhNS9_4plusIvEEhEEDaPvRmT3_T4_T5_mT6_P12ihipStream_tbENKUlT_T0_E_clISt17integral_constantIbLb0EESY_IbLb1EEEEDaSU_SV_EUlSU_E0_NS1_11comp_targetILNS1_3genE9ELNS1_11target_archE1100ELNS1_3gpuE3ELNS1_3repE0EEENS1_30default_config_static_selectorELNS0_4arch9wavefront6targetE0EEEvT1_: ; @_ZN7rocprim17ROCPRIM_400000_NS6detail17trampoline_kernelINS0_14default_configENS1_20scan_config_selectorIhEEZZNS1_9scan_implILNS1_25lookback_scan_determinismE0ELb0ELb0ES3_N6thrust23THRUST_200600_302600_NS6detail15normal_iteratorINS9_7pointerIhNS9_11hip_rocprim5par_tENS9_11use_defaultESF_EEEENSB_INSC_IjSE_SF_SF_EEEEhNS9_4plusIvEEhEEDaPvRmT3_T4_T5_mT6_P12ihipStream_tbENKUlT_T0_E_clISt17integral_constantIbLb0EESY_IbLb1EEEEDaSU_SV_EUlSU_E0_NS1_11comp_targetILNS1_3genE9ELNS1_11target_archE1100ELNS1_3gpuE3ELNS1_3repE0EEENS1_30default_config_static_selectorELNS0_4arch9wavefront6targetE0EEEvT1_
; %bb.0:
	s_load_b128 s[28:31], s[0:1], 0x0
	v_mov_b32_e32 v1, 0
	s_waitcnt lgkmcnt(0)
	global_load_u8 v1, v1, s[28:29]
	v_cmp_gt_u32_e32 vcc_lo, s30, v0
	s_waitcnt vmcnt(0)
	v_mov_b32_e32 v2, v1
	s_and_saveexec_b32 s2, vcc_lo
	s_cbranch_execz .LBB185_2
; %bb.1:
	global_load_u8 v2, v0, s[28:29]
.LBB185_2:
	s_or_b32 exec_lo, exec_lo, s2
	v_or_b32_e32 v3, 0x100, v0
	s_delay_alu instid0(VALU_DEP_1) | instskip(SKIP_1) | instid1(VALU_DEP_2)
	v_cmp_gt_u32_e64 s2, s30, v3
	v_mov_b32_e32 v3, v1
	s_and_saveexec_b32 s3, s2
	s_cbranch_execz .LBB185_4
; %bb.3:
	global_load_u8 v3, v0, s[28:29] offset:256
.LBB185_4:
	s_or_b32 exec_lo, exec_lo, s3
	v_or_b32_e32 v4, 0x200, v0
	s_delay_alu instid0(VALU_DEP_1) | instskip(SKIP_1) | instid1(VALU_DEP_2)
	v_cmp_gt_u32_e64 s3, s30, v4
	v_mov_b32_e32 v4, v1
	s_and_saveexec_b32 s4, s3
	s_cbranch_execz .LBB185_6
; %bb.5:
	global_load_u8 v4, v0, s[28:29] offset:512
.LBB185_6:
	;; [unrolled: 10-line block ×15, first 2 shown]
	s_or_b32 exec_lo, exec_lo, s17
	v_or_b32_e32 v19, 0x1000, v0
	v_mov_b32_e32 v18, v1
	s_delay_alu instid0(VALU_DEP_2) | instskip(NEXT) | instid1(VALU_DEP_1)
	v_cmp_gt_u32_e64 s17, s30, v19
	s_and_saveexec_b32 s18, s17
	s_cbranch_execz .LBB185_34
; %bb.33:
	global_load_u8 v18, v19, s[28:29]
.LBB185_34:
	s_or_b32 exec_lo, exec_lo, s18
	v_or_b32_e32 v20, 0x1100, v0
	v_mov_b32_e32 v19, v1
	s_delay_alu instid0(VALU_DEP_2) | instskip(NEXT) | instid1(VALU_DEP_1)
	v_cmp_gt_u32_e64 s18, s30, v20
	s_and_saveexec_b32 s19, s18
	s_cbranch_execz .LBB185_36
; %bb.35:
	global_load_u8 v19, v20, s[28:29]
.LBB185_36:
	s_or_b32 exec_lo, exec_lo, s19
	v_or_b32_e32 v21, 0x1200, v0
	v_mov_b32_e32 v20, v1
	s_delay_alu instid0(VALU_DEP_2) | instskip(NEXT) | instid1(VALU_DEP_1)
	v_cmp_gt_u32_e64 s19, s30, v21
	s_and_saveexec_b32 s20, s19
	s_cbranch_execz .LBB185_38
; %bb.37:
	global_load_u8 v20, v21, s[28:29]
.LBB185_38:
	s_or_b32 exec_lo, exec_lo, s20
	v_or_b32_e32 v22, 0x1300, v0
	v_mov_b32_e32 v21, v1
	s_delay_alu instid0(VALU_DEP_2) | instskip(NEXT) | instid1(VALU_DEP_1)
	v_cmp_gt_u32_e64 s20, s30, v22
	s_and_saveexec_b32 s21, s20
	s_cbranch_execz .LBB185_40
; %bb.39:
	global_load_u8 v21, v22, s[28:29]
.LBB185_40:
	s_or_b32 exec_lo, exec_lo, s21
	v_or_b32_e32 v23, 0x1400, v0
	v_mov_b32_e32 v22, v1
	s_delay_alu instid0(VALU_DEP_2) | instskip(NEXT) | instid1(VALU_DEP_1)
	v_cmp_gt_u32_e64 s21, s30, v23
	s_and_saveexec_b32 s22, s21
	s_cbranch_execz .LBB185_42
; %bb.41:
	global_load_u8 v22, v23, s[28:29]
.LBB185_42:
	s_or_b32 exec_lo, exec_lo, s22
	v_or_b32_e32 v24, 0x1500, v0
	v_mov_b32_e32 v23, v1
	s_delay_alu instid0(VALU_DEP_2) | instskip(NEXT) | instid1(VALU_DEP_1)
	v_cmp_gt_u32_e64 s22, s30, v24
	s_and_saveexec_b32 s23, s22
	s_cbranch_execz .LBB185_44
; %bb.43:
	global_load_u8 v23, v24, s[28:29]
.LBB185_44:
	s_or_b32 exec_lo, exec_lo, s23
	v_or_b32_e32 v25, 0x1600, v0
	v_mov_b32_e32 v24, v1
	s_delay_alu instid0(VALU_DEP_2) | instskip(NEXT) | instid1(VALU_DEP_1)
	v_cmp_gt_u32_e64 s23, s30, v25
	s_and_saveexec_b32 s24, s23
	s_cbranch_execz .LBB185_46
; %bb.45:
	global_load_u8 v24, v25, s[28:29]
.LBB185_46:
	s_or_b32 exec_lo, exec_lo, s24
	v_or_b32_e32 v25, 0x1700, v0
	s_delay_alu instid0(VALU_DEP_1) | instskip(NEXT) | instid1(VALU_DEP_1)
	v_cmp_gt_u32_e64 s24, s30, v25
	s_and_saveexec_b32 s25, s24
	s_cbranch_execz .LBB185_48
; %bb.47:
	global_load_u8 v1, v25, s[28:29]
.LBB185_48:
	s_or_b32 exec_lo, exec_lo, s25
	s_waitcnt vmcnt(0)
	ds_store_b8 v0, v2
	ds_store_b8 v0, v3 offset:256
	ds_store_b8 v0, v4 offset:512
	;; [unrolled: 1-line block ×15, first 2 shown]
	v_mad_u32_u24 v5, v0, 23, v0
	ds_store_b8 v0, v18 offset:4096
	ds_store_b8 v0, v19 offset:4352
	ds_store_b8 v0, v20 offset:4608
	ds_store_b8 v0, v21 offset:4864
	ds_store_b8 v0, v22 offset:5120
	ds_store_b8 v0, v23 offset:5376
	ds_store_b8 v0, v24 offset:5632
	ds_store_b8 v0, v1 offset:5888
	s_waitcnt lgkmcnt(0)
	s_barrier
	buffer_gl0_inv
	ds_load_2addr_b64 v[1:4], v5 offset1:1
	ds_load_b64 v[5:6], v5 offset:16
	v_mbcnt_lo_u32_b32 v48, -1, 0
	v_or_b32_e32 v52, 31, v0
	s_mov_b32 s26, exec_lo
	s_waitcnt lgkmcnt(0)
	s_barrier
	v_and_b32_e32 v50, 15, v48
	buffer_gl0_inv
	v_cmp_ne_u32_e64 s25, 0, v50
	v_lshrrev_b32_e32 v30, 8, v1
	v_lshrrev_b32_e32 v31, 16, v1
	;; [unrolled: 1-line block ×5, first 2 shown]
	v_add_nc_u16 v9, v30, v1
	v_lshrrev_b32_e32 v35, 24, v2
	v_lshrrev_b32_e32 v36, 8, v3
	v_lshrrev_b32_e32 v37, 16, v3
	v_lshrrev_b32_e32 v38, 24, v3
	v_add_nc_u16 v7, v9, v31
	v_lshrrev_b32_e32 v39, 8, v4
	v_lshrrev_b32_e32 v40, 16, v4
	v_lshrrev_b32_e32 v41, 24, v4
	v_lshrrev_b32_e32 v42, 8, v5
	;; [unrolled: 5-line block ×3, first 2 shown]
	v_add_nc_u16 v14, v8, v2
	v_lshrrev_b32_e32 v47, 24, v6
	s_delay_alu instid0(VALU_DEP_2) | instskip(NEXT) | instid1(VALU_DEP_1)
	v_add_nc_u16 v17, v14, v33
	v_add_nc_u16 v15, v17, v34
	s_delay_alu instid0(VALU_DEP_1) | instskip(NEXT) | instid1(VALU_DEP_1)
	v_add_nc_u16 v16, v15, v35
	v_add_nc_u16 v23, v16, v3
	s_delay_alu instid0(VALU_DEP_1) | instskip(NEXT) | instid1(VALU_DEP_1)
	;; [unrolled: 3-line block ×9, first 2 shown]
	v_add_nc_u16 v21, v19, v47
	v_and_b32_e32 v49, 0xff, v21
	s_delay_alu instid0(VALU_DEP_1) | instskip(NEXT) | instid1(VALU_DEP_1)
	v_mov_b32_dpp v49, v49 row_shr:1 row_mask:0xf bank_mask:0xf
	v_cndmask_b32_e64 v49, 0, v49, s25
	v_cmp_lt_u32_e64 s25, 1, v50
	s_delay_alu instid0(VALU_DEP_2) | instskip(NEXT) | instid1(VALU_DEP_1)
	v_add_nc_u16 v49, v49, v21
	v_and_b32_e32 v51, 0xff, v49
	s_delay_alu instid0(VALU_DEP_1) | instskip(NEXT) | instid1(VALU_DEP_1)
	v_mov_b32_dpp v51, v51 row_shr:2 row_mask:0xf bank_mask:0xf
	v_cndmask_b32_e64 v51, 0, v51, s25
	v_cmp_lt_u32_e64 s25, 3, v50
	s_delay_alu instid0(VALU_DEP_2) | instskip(NEXT) | instid1(VALU_DEP_1)
	;; [unrolled: 7-line block ×3, first 2 shown]
	v_add_nc_u16 v49, v49, v51
	v_and_b32_e32 v51, 0xff, v49
	s_delay_alu instid0(VALU_DEP_1) | instskip(NEXT) | instid1(VALU_DEP_1)
	v_mov_b32_dpp v51, v51 row_shr:8 row_mask:0xf bank_mask:0xf
	v_cndmask_b32_e64 v50, 0, v51, s25
	v_and_b32_e32 v51, 16, v48
	s_delay_alu instid0(VALU_DEP_2) | instskip(NEXT) | instid1(VALU_DEP_2)
	v_add_nc_u16 v49, v49, v50
	v_cmp_ne_u32_e64 s25, 0, v51
	s_delay_alu instid0(VALU_DEP_2) | instskip(SKIP_4) | instid1(VALU_DEP_2)
	v_and_b32_e32 v50, 0xff, v49
	ds_swizzle_b32 v50, v50 offset:swizzle(BROADCAST,32,15)
	s_waitcnt lgkmcnt(0)
	v_cndmask_b32_e64 v51, 0, v50, s25
	v_lshrrev_b32_e32 v50, 5, v0
	v_add_nc_u16 v49, v49, v51
	v_cmpx_eq_u32_e64 v52, v0
	s_cbranch_execz .LBB185_50
; %bb.49:
	ds_store_b8 v50, v49
.LBB185_50:
	s_or_b32 exec_lo, exec_lo, s26
	s_delay_alu instid0(SALU_CYCLE_1)
	s_mov_b32 s26, exec_lo
	s_waitcnt lgkmcnt(0)
	s_barrier
	buffer_gl0_inv
	v_cmpx_gt_u32_e32 8, v0
	s_cbranch_execz .LBB185_52
; %bb.51:
	ds_load_u8 v51, v0
	v_and_b32_e32 v53, 7, v48
	s_delay_alu instid0(VALU_DEP_1) | instskip(SKIP_2) | instid1(VALU_DEP_1)
	v_cmp_ne_u32_e64 s25, 0, v53
	s_waitcnt lgkmcnt(0)
	v_and_b32_e32 v52, 0xff, v51
	v_mov_b32_dpp v52, v52 row_shr:1 row_mask:0xf bank_mask:0xf
	s_delay_alu instid0(VALU_DEP_1) | instskip(SKIP_1) | instid1(VALU_DEP_2)
	v_cndmask_b32_e64 v52, 0, v52, s25
	v_cmp_lt_u32_e64 s25, 1, v53
	v_add_nc_u16 v51, v52, v51
	s_delay_alu instid0(VALU_DEP_1) | instskip(NEXT) | instid1(VALU_DEP_1)
	v_and_b32_e32 v52, 0xff, v51
	v_mov_b32_dpp v52, v52 row_shr:2 row_mask:0xf bank_mask:0xf
	s_delay_alu instid0(VALU_DEP_1) | instskip(SKIP_1) | instid1(VALU_DEP_2)
	v_cndmask_b32_e64 v52, 0, v52, s25
	v_cmp_lt_u32_e64 s25, 3, v53
	v_add_nc_u16 v51, v51, v52
	s_delay_alu instid0(VALU_DEP_1) | instskip(NEXT) | instid1(VALU_DEP_1)
	v_and_b32_e32 v52, 0xff, v51
	v_mov_b32_dpp v52, v52 row_shr:4 row_mask:0xf bank_mask:0xf
	s_delay_alu instid0(VALU_DEP_1) | instskip(NEXT) | instid1(VALU_DEP_1)
	v_cndmask_b32_e64 v52, 0, v52, s25
	v_add_nc_u16 v51, v51, v52
	ds_store_b8 v0, v51
.LBB185_52:
	s_or_b32 exec_lo, exec_lo, s26
	s_load_b64 s[26:27], s[0:1], 0x18
	s_mov_b32 s1, exec_lo
	s_waitcnt lgkmcnt(0)
	s_barrier
	buffer_gl0_inv
                                        ; implicit-def: $vgpr51
	v_cmpx_lt_u32_e32 31, v0
	s_cbranch_execz .LBB185_54
; %bb.53:
	v_add_nc_u32_e32 v50, -1, v50
	ds_load_u8 v51, v50
	s_waitcnt lgkmcnt(0)
	v_add_nc_u16 v49, v51, v49
.LBB185_54:
	s_or_b32 exec_lo, exec_lo, s1
	v_add_nc_u32_e32 v50, -1, v48
	s_delay_alu instid0(VALU_DEP_2) | instskip(SKIP_1) | instid1(VALU_DEP_2)
	v_and_b32_e32 v49, 0xff, v49
	s_mov_b32 s1, exec_lo
	v_cmp_gt_i32_e64 s0, 0, v50
	s_delay_alu instid0(VALU_DEP_1) | instskip(NEXT) | instid1(VALU_DEP_1)
	v_cndmask_b32_e64 v50, v50, v48, s0
	v_lshlrev_b32_e32 v50, 2, v50
	ds_bpermute_b32 v50, v50, v49
	v_mul_u32_u24_e32 v49, 23, v0
	v_cmpx_ne_u32_e32 0, v0
	s_cbranch_execz .LBB185_56
; %bb.55:
	v_cmp_eq_u32_e64 s0, 0, v48
	;;#ASMSTART
	;;#ASMEND
	s_waitcnt lgkmcnt(0)
	s_delay_alu instid0(VALU_DEP_1) | instskip(NEXT) | instid1(VALU_DEP_1)
	v_cndmask_b32_e64 v7, v50, v51, s0
	v_add_nc_u16 v1, v7, v1
	s_delay_alu instid0(VALU_DEP_1) | instskip(NEXT) | instid1(VALU_DEP_1)
	v_add_nc_u16 v9, v1, v30
	v_add_nc_u16 v7, v9, v31
	s_delay_alu instid0(VALU_DEP_1) | instskip(NEXT) | instid1(VALU_DEP_1)
	v_add_nc_u16 v8, v7, v32
	;; [unrolled: 3-line block ×11, first 2 shown]
	v_add_nc_u16 v19, v20, v46
	s_delay_alu instid0(VALU_DEP_1)
	v_add_nc_u16 v21, v19, v47
.LBB185_56:
	s_or_b32 exec_lo, exec_lo, s1
	v_lshlrev_b16 v2, 8, v28
	v_and_b32_e32 v3, 0xff, v26
	v_lshlrev_b16 v4, 8, v29
	v_and_b32_e32 v5, 0xff, v27
	;; [unrolled: 2-line block ×3, first 2 shown]
	v_or_b32_e32 v2, v3, v2
	v_lshlrev_b16 v6, 8, v24
	v_or_b32_e32 v3, v5, v4
	v_lshlrev_b16 v4, 8, v25
	v_or_b32_e32 v1, v1, v9
	v_and_b32_e32 v2, 0xffff, v2
	v_and_b32_e32 v5, 0xff, v23
	v_lshlrev_b32_e32 v3, 16, v3
	v_and_b32_e32 v22, 0xff, v22
	v_lshlrev_b16 v17, 8, v17
	v_and_b32_e32 v14, 0xff, v14
	v_and_b32_e32 v15, 0xff, v15
	v_or_b32_e32 v2, v2, v3
	v_lshlrev_b16 v3, 8, v16
	v_and_b32_e32 v9, 0xffff, v1
	v_lshlrev_b16 v1, 8, v8
	v_and_b32_e32 v7, 0xff, v7
	v_or_b32_e32 v4, v5, v4
	v_or_b32_e32 v5, v22, v6
	v_or_b32_e32 v6, v14, v17
	v_or_b32_e32 v3, v15, v3
	v_lshlrev_b16 v8, 8, v20
	v_and_b32_e32 v14, 0xff, v18
	v_lshlrev_b16 v15, 8, v21
	v_and_b32_e32 v16, 0xff, v19
	;; [unrolled: 2-line block ×4, first 2 shown]
	v_or_b32_e32 v1, v7, v1
	v_or_b32_e32 v7, v14, v8
	;; [unrolled: 1-line block ×5, first 2 shown]
	v_and_b32_e32 v4, 0xffff, v4
	v_lshlrev_b32_e32 v5, 16, v5
	v_and_b32_e32 v6, 0xffff, v6
	v_lshlrev_b32_e32 v3, 16, v3
	v_lshlrev_b32_e32 v12, 16, v1
	v_and_b32_e32 v7, 0xffff, v7
	v_lshlrev_b32_e32 v8, 16, v8
	v_and_b32_e32 v10, 0xffff, v10
	v_lshlrev_b32_e32 v11, 16, v11
	v_add_nc_u32_e32 v26, v0, v49
	v_or_b32_e32 v1, v4, v5
	v_or_b32_e32 v4, v6, v3
	;; [unrolled: 1-line block ×5, first 2 shown]
	s_waitcnt lgkmcnt(0)
	s_barrier
	buffer_gl0_inv
	ds_store_2addr_b64 v26, v[3:4], v[1:2] offset1:1
	ds_store_b64 v26, v[5:6] offset:16
	s_waitcnt lgkmcnt(0)
	s_barrier
	buffer_gl0_inv
	ds_load_u8 v25, v0 offset:256
	ds_load_u8 v24, v0 offset:512
	;; [unrolled: 1-line block ×23, first 2 shown]
	v_lshlrev_b32_e32 v1, 2, v0
	s_delay_alu instid0(VALU_DEP_1) | instskip(NEXT) | instid1(VALU_DEP_1)
	v_add_co_u32 v1, s0, s26, v1
	v_add_co_ci_u32_e64 v2, null, s27, 0, s0
	s_and_saveexec_b32 s0, vcc_lo
	s_cbranch_execnz .LBB185_81
; %bb.57:
	s_or_b32 exec_lo, exec_lo, s0
	s_and_saveexec_b32 s0, s2
	s_cbranch_execnz .LBB185_82
.LBB185_58:
	s_or_b32 exec_lo, exec_lo, s0
	s_and_saveexec_b32 s0, s3
	s_cbranch_execnz .LBB185_83
.LBB185_59:
	s_or_b32 exec_lo, exec_lo, s0
	s_and_saveexec_b32 s0, s4
	s_cbranch_execnz .LBB185_84
.LBB185_60:
	s_or_b32 exec_lo, exec_lo, s0
	s_and_saveexec_b32 s0, s5
	s_cbranch_execnz .LBB185_85
.LBB185_61:
	s_or_b32 exec_lo, exec_lo, s0
	s_and_saveexec_b32 s0, s6
	s_cbranch_execnz .LBB185_86
.LBB185_62:
	s_or_b32 exec_lo, exec_lo, s0
	s_and_saveexec_b32 s0, s7
	s_cbranch_execnz .LBB185_87
.LBB185_63:
	s_or_b32 exec_lo, exec_lo, s0
	s_and_saveexec_b32 s0, s8
	s_cbranch_execnz .LBB185_88
.LBB185_64:
	s_or_b32 exec_lo, exec_lo, s0
	s_and_saveexec_b32 s0, s9
	s_cbranch_execnz .LBB185_89
.LBB185_65:
	s_or_b32 exec_lo, exec_lo, s0
	s_and_saveexec_b32 s0, s10
	s_cbranch_execnz .LBB185_90
.LBB185_66:
	s_or_b32 exec_lo, exec_lo, s0
	s_and_saveexec_b32 s0, s11
	s_cbranch_execnz .LBB185_91
.LBB185_67:
	s_or_b32 exec_lo, exec_lo, s0
	s_and_saveexec_b32 s0, s12
	s_cbranch_execnz .LBB185_92
.LBB185_68:
	s_or_b32 exec_lo, exec_lo, s0
	s_and_saveexec_b32 s0, s13
	s_cbranch_execnz .LBB185_93
.LBB185_69:
	s_or_b32 exec_lo, exec_lo, s0
	s_and_saveexec_b32 s0, s14
	s_cbranch_execnz .LBB185_94
.LBB185_70:
	s_or_b32 exec_lo, exec_lo, s0
	s_and_saveexec_b32 s0, s15
	s_cbranch_execnz .LBB185_95
.LBB185_71:
	s_or_b32 exec_lo, exec_lo, s0
	s_and_saveexec_b32 s0, s16
	s_cbranch_execnz .LBB185_96
.LBB185_72:
	s_or_b32 exec_lo, exec_lo, s0
	s_and_saveexec_b32 s0, s17
	s_cbranch_execnz .LBB185_97
.LBB185_73:
	s_or_b32 exec_lo, exec_lo, s0
	s_and_saveexec_b32 s0, s18
	s_cbranch_execnz .LBB185_98
.LBB185_74:
	s_or_b32 exec_lo, exec_lo, s0
	s_and_saveexec_b32 s0, s19
	s_cbranch_execnz .LBB185_99
.LBB185_75:
	s_or_b32 exec_lo, exec_lo, s0
	s_and_saveexec_b32 s0, s20
	s_cbranch_execnz .LBB185_100
.LBB185_76:
	s_or_b32 exec_lo, exec_lo, s0
	s_and_saveexec_b32 s0, s21
	s_cbranch_execnz .LBB185_101
.LBB185_77:
	s_or_b32 exec_lo, exec_lo, s0
	s_and_saveexec_b32 s0, s22
	s_cbranch_execnz .LBB185_102
.LBB185_78:
	s_or_b32 exec_lo, exec_lo, s0
	s_and_saveexec_b32 s0, s23
	s_cbranch_execnz .LBB185_103
.LBB185_79:
	s_or_b32 exec_lo, exec_lo, s0
	s_and_saveexec_b32 s0, s24
	s_cbranch_execnz .LBB185_104
.LBB185_80:
	s_nop 0
	s_sendmsg sendmsg(MSG_DEALLOC_VGPRS)
	s_endpgm
.LBB185_81:
	ds_load_u8 v0, v0
	s_waitcnt lgkmcnt(0)
	global_store_b32 v[1:2], v0, off
	s_or_b32 exec_lo, exec_lo, s0
	s_and_saveexec_b32 s0, s2
	s_cbranch_execz .LBB185_58
.LBB185_82:
	s_waitcnt lgkmcnt(22)
	v_and_b32_e32 v0, 0xff, v25
	global_store_b32 v[1:2], v0, off offset:1024
	s_or_b32 exec_lo, exec_lo, s0
	s_and_saveexec_b32 s0, s3
	s_cbranch_execz .LBB185_59
.LBB185_83:
	s_waitcnt lgkmcnt(21)
	v_and_b32_e32 v0, 0xff, v24
	global_store_b32 v[1:2], v0, off offset:2048
	s_or_b32 exec_lo, exec_lo, s0
	s_and_saveexec_b32 s0, s4
	s_cbranch_execz .LBB185_60
.LBB185_84:
	s_waitcnt lgkmcnt(20)
	v_and_b32_e32 v0, 0xff, v23
	global_store_b32 v[1:2], v0, off offset:3072
	s_or_b32 exec_lo, exec_lo, s0
	s_and_saveexec_b32 s0, s5
	s_cbranch_execz .LBB185_61
.LBB185_85:
	s_waitcnt lgkmcnt(19)
	v_and_b32_e32 v0, 0xff, v22
	v_add_co_u32 v22, vcc_lo, 0x1000, v1
	v_add_co_ci_u32_e32 v23, vcc_lo, 0, v2, vcc_lo
	global_store_b32 v[22:23], v0, off
	s_or_b32 exec_lo, exec_lo, s0
	s_and_saveexec_b32 s0, s6
	s_cbranch_execz .LBB185_62
.LBB185_86:
	s_waitcnt lgkmcnt(18)
	v_and_b32_e32 v0, 0xff, v21
	v_add_co_u32 v21, vcc_lo, 0x1000, v1
	v_add_co_ci_u32_e32 v22, vcc_lo, 0, v2, vcc_lo
	global_store_b32 v[21:22], v0, off offset:1024
	s_or_b32 exec_lo, exec_lo, s0
	s_and_saveexec_b32 s0, s7
	s_cbranch_execz .LBB185_63
.LBB185_87:
	s_waitcnt lgkmcnt(17)
	v_and_b32_e32 v0, 0xff, v20
	v_add_co_u32 v20, vcc_lo, 0x1000, v1
	v_add_co_ci_u32_e32 v21, vcc_lo, 0, v2, vcc_lo
	global_store_b32 v[20:21], v0, off offset:2048
	s_or_b32 exec_lo, exec_lo, s0
	s_and_saveexec_b32 s0, s8
	s_cbranch_execz .LBB185_64
.LBB185_88:
	s_waitcnt lgkmcnt(16)
	v_and_b32_e32 v0, 0xff, v19
	v_add_co_u32 v19, vcc_lo, 0x1000, v1
	v_add_co_ci_u32_e32 v20, vcc_lo, 0, v2, vcc_lo
	global_store_b32 v[19:20], v0, off offset:3072
	s_or_b32 exec_lo, exec_lo, s0
	s_and_saveexec_b32 s0, s9
	s_cbranch_execz .LBB185_65
.LBB185_89:
	s_waitcnt lgkmcnt(15)
	v_and_b32_e32 v0, 0xff, v18
	v_add_co_u32 v18, vcc_lo, 0x2000, v1
	v_add_co_ci_u32_e32 v19, vcc_lo, 0, v2, vcc_lo
	global_store_b32 v[18:19], v0, off
	s_or_b32 exec_lo, exec_lo, s0
	s_and_saveexec_b32 s0, s10
	s_cbranch_execz .LBB185_66
.LBB185_90:
	s_waitcnt lgkmcnt(14)
	v_and_b32_e32 v0, 0xff, v17
	v_add_co_u32 v17, vcc_lo, 0x2000, v1
	v_add_co_ci_u32_e32 v18, vcc_lo, 0, v2, vcc_lo
	global_store_b32 v[17:18], v0, off offset:1024
	s_or_b32 exec_lo, exec_lo, s0
	s_and_saveexec_b32 s0, s11
	s_cbranch_execz .LBB185_67
.LBB185_91:
	s_waitcnt lgkmcnt(13)
	v_and_b32_e32 v0, 0xff, v16
	v_add_co_u32 v16, vcc_lo, 0x2000, v1
	v_add_co_ci_u32_e32 v17, vcc_lo, 0, v2, vcc_lo
	global_store_b32 v[16:17], v0, off offset:2048
	s_or_b32 exec_lo, exec_lo, s0
	s_and_saveexec_b32 s0, s12
	s_cbranch_execz .LBB185_68
.LBB185_92:
	s_waitcnt lgkmcnt(12)
	v_and_b32_e32 v0, 0xff, v15
	v_add_co_u32 v15, vcc_lo, 0x2000, v1
	v_add_co_ci_u32_e32 v16, vcc_lo, 0, v2, vcc_lo
	global_store_b32 v[15:16], v0, off offset:3072
	s_or_b32 exec_lo, exec_lo, s0
	s_and_saveexec_b32 s0, s13
	s_cbranch_execz .LBB185_69
.LBB185_93:
	s_waitcnt lgkmcnt(11)
	v_and_b32_e32 v0, 0xff, v14
	v_add_co_u32 v14, vcc_lo, 0x3000, v1
	v_add_co_ci_u32_e32 v15, vcc_lo, 0, v2, vcc_lo
	global_store_b32 v[14:15], v0, off
	s_or_b32 exec_lo, exec_lo, s0
	s_and_saveexec_b32 s0, s14
	s_cbranch_execz .LBB185_70
.LBB185_94:
	s_waitcnt lgkmcnt(10)
	v_and_b32_e32 v0, 0xff, v13
	v_add_co_u32 v13, vcc_lo, 0x3000, v1
	v_add_co_ci_u32_e32 v14, vcc_lo, 0, v2, vcc_lo
	global_store_b32 v[13:14], v0, off offset:1024
	s_or_b32 exec_lo, exec_lo, s0
	s_and_saveexec_b32 s0, s15
	s_cbranch_execz .LBB185_71
.LBB185_95:
	s_waitcnt lgkmcnt(9)
	v_and_b32_e32 v0, 0xff, v12
	v_add_co_u32 v12, vcc_lo, 0x3000, v1
	v_add_co_ci_u32_e32 v13, vcc_lo, 0, v2, vcc_lo
	global_store_b32 v[12:13], v0, off offset:2048
	s_or_b32 exec_lo, exec_lo, s0
	s_and_saveexec_b32 s0, s16
	s_cbranch_execz .LBB185_72
.LBB185_96:
	s_waitcnt lgkmcnt(8)
	v_and_b32_e32 v0, 0xff, v11
	v_add_co_u32 v11, vcc_lo, 0x3000, v1
	v_add_co_ci_u32_e32 v12, vcc_lo, 0, v2, vcc_lo
	global_store_b32 v[11:12], v0, off offset:3072
	s_or_b32 exec_lo, exec_lo, s0
	s_and_saveexec_b32 s0, s17
	s_cbranch_execz .LBB185_73
.LBB185_97:
	s_waitcnt lgkmcnt(7)
	v_and_b32_e32 v0, 0xff, v10
	v_add_co_u32 v10, vcc_lo, 0x4000, v1
	v_add_co_ci_u32_e32 v11, vcc_lo, 0, v2, vcc_lo
	global_store_b32 v[10:11], v0, off
	s_or_b32 exec_lo, exec_lo, s0
	s_and_saveexec_b32 s0, s18
	s_cbranch_execz .LBB185_74
.LBB185_98:
	s_waitcnt lgkmcnt(6)
	v_and_b32_e32 v0, 0xff, v9
	v_add_co_u32 v9, vcc_lo, 0x4000, v1
	v_add_co_ci_u32_e32 v10, vcc_lo, 0, v2, vcc_lo
	global_store_b32 v[9:10], v0, off offset:1024
	s_or_b32 exec_lo, exec_lo, s0
	s_and_saveexec_b32 s0, s19
	s_cbranch_execz .LBB185_75
.LBB185_99:
	s_waitcnt lgkmcnt(5)
	v_and_b32_e32 v0, 0xff, v8
	v_add_co_u32 v8, vcc_lo, 0x4000, v1
	v_add_co_ci_u32_e32 v9, vcc_lo, 0, v2, vcc_lo
	global_store_b32 v[8:9], v0, off offset:2048
	s_or_b32 exec_lo, exec_lo, s0
	s_and_saveexec_b32 s0, s20
	s_cbranch_execz .LBB185_76
.LBB185_100:
	s_waitcnt lgkmcnt(4)
	v_and_b32_e32 v0, 0xff, v7
	v_add_co_u32 v7, vcc_lo, 0x4000, v1
	v_add_co_ci_u32_e32 v8, vcc_lo, 0, v2, vcc_lo
	global_store_b32 v[7:8], v0, off offset:3072
	s_or_b32 exec_lo, exec_lo, s0
	s_and_saveexec_b32 s0, s21
	s_cbranch_execz .LBB185_77
.LBB185_101:
	s_waitcnt lgkmcnt(3)
	v_and_b32_e32 v0, 0xff, v6
	v_add_co_u32 v6, vcc_lo, 0x5000, v1
	v_add_co_ci_u32_e32 v7, vcc_lo, 0, v2, vcc_lo
	global_store_b32 v[6:7], v0, off
	s_or_b32 exec_lo, exec_lo, s0
	s_and_saveexec_b32 s0, s22
	s_cbranch_execz .LBB185_78
.LBB185_102:
	s_waitcnt lgkmcnt(2)
	v_and_b32_e32 v0, 0xff, v5
	v_add_co_u32 v5, vcc_lo, 0x5000, v1
	v_add_co_ci_u32_e32 v6, vcc_lo, 0, v2, vcc_lo
	global_store_b32 v[5:6], v0, off offset:1024
	s_or_b32 exec_lo, exec_lo, s0
	s_and_saveexec_b32 s0, s23
	s_cbranch_execz .LBB185_79
.LBB185_103:
	s_waitcnt lgkmcnt(1)
	v_and_b32_e32 v0, 0xff, v4
	v_add_co_u32 v4, vcc_lo, 0x5000, v1
	v_add_co_ci_u32_e32 v5, vcc_lo, 0, v2, vcc_lo
	global_store_b32 v[4:5], v0, off offset:2048
	s_or_b32 exec_lo, exec_lo, s0
	s_and_saveexec_b32 s0, s24
	s_cbranch_execz .LBB185_80
.LBB185_104:
	v_add_co_u32 v0, vcc_lo, 0x5000, v1
	s_waitcnt lgkmcnt(0)
	v_and_b32_e32 v3, 0xff, v3
	v_add_co_ci_u32_e32 v1, vcc_lo, 0, v2, vcc_lo
	global_store_b32 v[0:1], v3, off offset:3072
	s_nop 0
	s_sendmsg sendmsg(MSG_DEALLOC_VGPRS)
	s_endpgm
	.section	.rodata,"a",@progbits
	.p2align	6, 0x0
	.amdhsa_kernel _ZN7rocprim17ROCPRIM_400000_NS6detail17trampoline_kernelINS0_14default_configENS1_20scan_config_selectorIhEEZZNS1_9scan_implILNS1_25lookback_scan_determinismE0ELb0ELb0ES3_N6thrust23THRUST_200600_302600_NS6detail15normal_iteratorINS9_7pointerIhNS9_11hip_rocprim5par_tENS9_11use_defaultESF_EEEENSB_INSC_IjSE_SF_SF_EEEEhNS9_4plusIvEEhEEDaPvRmT3_T4_T5_mT6_P12ihipStream_tbENKUlT_T0_E_clISt17integral_constantIbLb0EESY_IbLb1EEEEDaSU_SV_EUlSU_E0_NS1_11comp_targetILNS1_3genE9ELNS1_11target_archE1100ELNS1_3gpuE3ELNS1_3repE0EEENS1_30default_config_static_selectorELNS0_4arch9wavefront6targetE0EEEvT1_
		.amdhsa_group_segment_fixed_size 6144
		.amdhsa_private_segment_fixed_size 0
		.amdhsa_kernarg_size 32
		.amdhsa_user_sgpr_count 15
		.amdhsa_user_sgpr_dispatch_ptr 0
		.amdhsa_user_sgpr_queue_ptr 0
		.amdhsa_user_sgpr_kernarg_segment_ptr 1
		.amdhsa_user_sgpr_dispatch_id 0
		.amdhsa_user_sgpr_private_segment_size 0
		.amdhsa_wavefront_size32 1
		.amdhsa_uses_dynamic_stack 0
		.amdhsa_enable_private_segment 0
		.amdhsa_system_sgpr_workgroup_id_x 1
		.amdhsa_system_sgpr_workgroup_id_y 0
		.amdhsa_system_sgpr_workgroup_id_z 0
		.amdhsa_system_sgpr_workgroup_info 0
		.amdhsa_system_vgpr_workitem_id 0
		.amdhsa_next_free_vgpr 54
		.amdhsa_next_free_sgpr 32
		.amdhsa_reserve_vcc 1
		.amdhsa_float_round_mode_32 0
		.amdhsa_float_round_mode_16_64 0
		.amdhsa_float_denorm_mode_32 3
		.amdhsa_float_denorm_mode_16_64 3
		.amdhsa_dx10_clamp 1
		.amdhsa_ieee_mode 1
		.amdhsa_fp16_overflow 0
		.amdhsa_workgroup_processor_mode 1
		.amdhsa_memory_ordered 1
		.amdhsa_forward_progress 0
		.amdhsa_shared_vgpr_count 0
		.amdhsa_exception_fp_ieee_invalid_op 0
		.amdhsa_exception_fp_denorm_src 0
		.amdhsa_exception_fp_ieee_div_zero 0
		.amdhsa_exception_fp_ieee_overflow 0
		.amdhsa_exception_fp_ieee_underflow 0
		.amdhsa_exception_fp_ieee_inexact 0
		.amdhsa_exception_int_div_zero 0
	.end_amdhsa_kernel
	.section	.text._ZN7rocprim17ROCPRIM_400000_NS6detail17trampoline_kernelINS0_14default_configENS1_20scan_config_selectorIhEEZZNS1_9scan_implILNS1_25lookback_scan_determinismE0ELb0ELb0ES3_N6thrust23THRUST_200600_302600_NS6detail15normal_iteratorINS9_7pointerIhNS9_11hip_rocprim5par_tENS9_11use_defaultESF_EEEENSB_INSC_IjSE_SF_SF_EEEEhNS9_4plusIvEEhEEDaPvRmT3_T4_T5_mT6_P12ihipStream_tbENKUlT_T0_E_clISt17integral_constantIbLb0EESY_IbLb1EEEEDaSU_SV_EUlSU_E0_NS1_11comp_targetILNS1_3genE9ELNS1_11target_archE1100ELNS1_3gpuE3ELNS1_3repE0EEENS1_30default_config_static_selectorELNS0_4arch9wavefront6targetE0EEEvT1_,"axG",@progbits,_ZN7rocprim17ROCPRIM_400000_NS6detail17trampoline_kernelINS0_14default_configENS1_20scan_config_selectorIhEEZZNS1_9scan_implILNS1_25lookback_scan_determinismE0ELb0ELb0ES3_N6thrust23THRUST_200600_302600_NS6detail15normal_iteratorINS9_7pointerIhNS9_11hip_rocprim5par_tENS9_11use_defaultESF_EEEENSB_INSC_IjSE_SF_SF_EEEEhNS9_4plusIvEEhEEDaPvRmT3_T4_T5_mT6_P12ihipStream_tbENKUlT_T0_E_clISt17integral_constantIbLb0EESY_IbLb1EEEEDaSU_SV_EUlSU_E0_NS1_11comp_targetILNS1_3genE9ELNS1_11target_archE1100ELNS1_3gpuE3ELNS1_3repE0EEENS1_30default_config_static_selectorELNS0_4arch9wavefront6targetE0EEEvT1_,comdat
.Lfunc_end185:
	.size	_ZN7rocprim17ROCPRIM_400000_NS6detail17trampoline_kernelINS0_14default_configENS1_20scan_config_selectorIhEEZZNS1_9scan_implILNS1_25lookback_scan_determinismE0ELb0ELb0ES3_N6thrust23THRUST_200600_302600_NS6detail15normal_iteratorINS9_7pointerIhNS9_11hip_rocprim5par_tENS9_11use_defaultESF_EEEENSB_INSC_IjSE_SF_SF_EEEEhNS9_4plusIvEEhEEDaPvRmT3_T4_T5_mT6_P12ihipStream_tbENKUlT_T0_E_clISt17integral_constantIbLb0EESY_IbLb1EEEEDaSU_SV_EUlSU_E0_NS1_11comp_targetILNS1_3genE9ELNS1_11target_archE1100ELNS1_3gpuE3ELNS1_3repE0EEENS1_30default_config_static_selectorELNS0_4arch9wavefront6targetE0EEEvT1_, .Lfunc_end185-_ZN7rocprim17ROCPRIM_400000_NS6detail17trampoline_kernelINS0_14default_configENS1_20scan_config_selectorIhEEZZNS1_9scan_implILNS1_25lookback_scan_determinismE0ELb0ELb0ES3_N6thrust23THRUST_200600_302600_NS6detail15normal_iteratorINS9_7pointerIhNS9_11hip_rocprim5par_tENS9_11use_defaultESF_EEEENSB_INSC_IjSE_SF_SF_EEEEhNS9_4plusIvEEhEEDaPvRmT3_T4_T5_mT6_P12ihipStream_tbENKUlT_T0_E_clISt17integral_constantIbLb0EESY_IbLb1EEEEDaSU_SV_EUlSU_E0_NS1_11comp_targetILNS1_3genE9ELNS1_11target_archE1100ELNS1_3gpuE3ELNS1_3repE0EEENS1_30default_config_static_selectorELNS0_4arch9wavefront6targetE0EEEvT1_
                                        ; -- End function
	.section	.AMDGPU.csdata,"",@progbits
; Kernel info:
; codeLenInByte = 4484
; NumSgprs: 34
; NumVgprs: 54
; ScratchSize: 0
; MemoryBound: 0
; FloatMode: 240
; IeeeMode: 1
; LDSByteSize: 6144 bytes/workgroup (compile time only)
; SGPRBlocks: 4
; VGPRBlocks: 6
; NumSGPRsForWavesPerEU: 34
; NumVGPRsForWavesPerEU: 54
; Occupancy: 16
; WaveLimiterHint : 0
; COMPUTE_PGM_RSRC2:SCRATCH_EN: 0
; COMPUTE_PGM_RSRC2:USER_SGPR: 15
; COMPUTE_PGM_RSRC2:TRAP_HANDLER: 0
; COMPUTE_PGM_RSRC2:TGID_X_EN: 1
; COMPUTE_PGM_RSRC2:TGID_Y_EN: 0
; COMPUTE_PGM_RSRC2:TGID_Z_EN: 0
; COMPUTE_PGM_RSRC2:TIDIG_COMP_CNT: 0
	.section	.text._ZN7rocprim17ROCPRIM_400000_NS6detail17trampoline_kernelINS0_14default_configENS1_20scan_config_selectorIhEEZZNS1_9scan_implILNS1_25lookback_scan_determinismE0ELb0ELb0ES3_N6thrust23THRUST_200600_302600_NS6detail15normal_iteratorINS9_7pointerIhNS9_11hip_rocprim5par_tENS9_11use_defaultESF_EEEENSB_INSC_IjSE_SF_SF_EEEEhNS9_4plusIvEEhEEDaPvRmT3_T4_T5_mT6_P12ihipStream_tbENKUlT_T0_E_clISt17integral_constantIbLb0EESY_IbLb1EEEEDaSU_SV_EUlSU_E0_NS1_11comp_targetILNS1_3genE8ELNS1_11target_archE1030ELNS1_3gpuE2ELNS1_3repE0EEENS1_30default_config_static_selectorELNS0_4arch9wavefront6targetE0EEEvT1_,"axG",@progbits,_ZN7rocprim17ROCPRIM_400000_NS6detail17trampoline_kernelINS0_14default_configENS1_20scan_config_selectorIhEEZZNS1_9scan_implILNS1_25lookback_scan_determinismE0ELb0ELb0ES3_N6thrust23THRUST_200600_302600_NS6detail15normal_iteratorINS9_7pointerIhNS9_11hip_rocprim5par_tENS9_11use_defaultESF_EEEENSB_INSC_IjSE_SF_SF_EEEEhNS9_4plusIvEEhEEDaPvRmT3_T4_T5_mT6_P12ihipStream_tbENKUlT_T0_E_clISt17integral_constantIbLb0EESY_IbLb1EEEEDaSU_SV_EUlSU_E0_NS1_11comp_targetILNS1_3genE8ELNS1_11target_archE1030ELNS1_3gpuE2ELNS1_3repE0EEENS1_30default_config_static_selectorELNS0_4arch9wavefront6targetE0EEEvT1_,comdat
	.protected	_ZN7rocprim17ROCPRIM_400000_NS6detail17trampoline_kernelINS0_14default_configENS1_20scan_config_selectorIhEEZZNS1_9scan_implILNS1_25lookback_scan_determinismE0ELb0ELb0ES3_N6thrust23THRUST_200600_302600_NS6detail15normal_iteratorINS9_7pointerIhNS9_11hip_rocprim5par_tENS9_11use_defaultESF_EEEENSB_INSC_IjSE_SF_SF_EEEEhNS9_4plusIvEEhEEDaPvRmT3_T4_T5_mT6_P12ihipStream_tbENKUlT_T0_E_clISt17integral_constantIbLb0EESY_IbLb1EEEEDaSU_SV_EUlSU_E0_NS1_11comp_targetILNS1_3genE8ELNS1_11target_archE1030ELNS1_3gpuE2ELNS1_3repE0EEENS1_30default_config_static_selectorELNS0_4arch9wavefront6targetE0EEEvT1_ ; -- Begin function _ZN7rocprim17ROCPRIM_400000_NS6detail17trampoline_kernelINS0_14default_configENS1_20scan_config_selectorIhEEZZNS1_9scan_implILNS1_25lookback_scan_determinismE0ELb0ELb0ES3_N6thrust23THRUST_200600_302600_NS6detail15normal_iteratorINS9_7pointerIhNS9_11hip_rocprim5par_tENS9_11use_defaultESF_EEEENSB_INSC_IjSE_SF_SF_EEEEhNS9_4plusIvEEhEEDaPvRmT3_T4_T5_mT6_P12ihipStream_tbENKUlT_T0_E_clISt17integral_constantIbLb0EESY_IbLb1EEEEDaSU_SV_EUlSU_E0_NS1_11comp_targetILNS1_3genE8ELNS1_11target_archE1030ELNS1_3gpuE2ELNS1_3repE0EEENS1_30default_config_static_selectorELNS0_4arch9wavefront6targetE0EEEvT1_
	.globl	_ZN7rocprim17ROCPRIM_400000_NS6detail17trampoline_kernelINS0_14default_configENS1_20scan_config_selectorIhEEZZNS1_9scan_implILNS1_25lookback_scan_determinismE0ELb0ELb0ES3_N6thrust23THRUST_200600_302600_NS6detail15normal_iteratorINS9_7pointerIhNS9_11hip_rocprim5par_tENS9_11use_defaultESF_EEEENSB_INSC_IjSE_SF_SF_EEEEhNS9_4plusIvEEhEEDaPvRmT3_T4_T5_mT6_P12ihipStream_tbENKUlT_T0_E_clISt17integral_constantIbLb0EESY_IbLb1EEEEDaSU_SV_EUlSU_E0_NS1_11comp_targetILNS1_3genE8ELNS1_11target_archE1030ELNS1_3gpuE2ELNS1_3repE0EEENS1_30default_config_static_selectorELNS0_4arch9wavefront6targetE0EEEvT1_
	.p2align	8
	.type	_ZN7rocprim17ROCPRIM_400000_NS6detail17trampoline_kernelINS0_14default_configENS1_20scan_config_selectorIhEEZZNS1_9scan_implILNS1_25lookback_scan_determinismE0ELb0ELb0ES3_N6thrust23THRUST_200600_302600_NS6detail15normal_iteratorINS9_7pointerIhNS9_11hip_rocprim5par_tENS9_11use_defaultESF_EEEENSB_INSC_IjSE_SF_SF_EEEEhNS9_4plusIvEEhEEDaPvRmT3_T4_T5_mT6_P12ihipStream_tbENKUlT_T0_E_clISt17integral_constantIbLb0EESY_IbLb1EEEEDaSU_SV_EUlSU_E0_NS1_11comp_targetILNS1_3genE8ELNS1_11target_archE1030ELNS1_3gpuE2ELNS1_3repE0EEENS1_30default_config_static_selectorELNS0_4arch9wavefront6targetE0EEEvT1_,@function
_ZN7rocprim17ROCPRIM_400000_NS6detail17trampoline_kernelINS0_14default_configENS1_20scan_config_selectorIhEEZZNS1_9scan_implILNS1_25lookback_scan_determinismE0ELb0ELb0ES3_N6thrust23THRUST_200600_302600_NS6detail15normal_iteratorINS9_7pointerIhNS9_11hip_rocprim5par_tENS9_11use_defaultESF_EEEENSB_INSC_IjSE_SF_SF_EEEEhNS9_4plusIvEEhEEDaPvRmT3_T4_T5_mT6_P12ihipStream_tbENKUlT_T0_E_clISt17integral_constantIbLb0EESY_IbLb1EEEEDaSU_SV_EUlSU_E0_NS1_11comp_targetILNS1_3genE8ELNS1_11target_archE1030ELNS1_3gpuE2ELNS1_3repE0EEENS1_30default_config_static_selectorELNS0_4arch9wavefront6targetE0EEEvT1_: ; @_ZN7rocprim17ROCPRIM_400000_NS6detail17trampoline_kernelINS0_14default_configENS1_20scan_config_selectorIhEEZZNS1_9scan_implILNS1_25lookback_scan_determinismE0ELb0ELb0ES3_N6thrust23THRUST_200600_302600_NS6detail15normal_iteratorINS9_7pointerIhNS9_11hip_rocprim5par_tENS9_11use_defaultESF_EEEENSB_INSC_IjSE_SF_SF_EEEEhNS9_4plusIvEEhEEDaPvRmT3_T4_T5_mT6_P12ihipStream_tbENKUlT_T0_E_clISt17integral_constantIbLb0EESY_IbLb1EEEEDaSU_SV_EUlSU_E0_NS1_11comp_targetILNS1_3genE8ELNS1_11target_archE1030ELNS1_3gpuE2ELNS1_3repE0EEENS1_30default_config_static_selectorELNS0_4arch9wavefront6targetE0EEEvT1_
; %bb.0:
	.section	.rodata,"a",@progbits
	.p2align	6, 0x0
	.amdhsa_kernel _ZN7rocprim17ROCPRIM_400000_NS6detail17trampoline_kernelINS0_14default_configENS1_20scan_config_selectorIhEEZZNS1_9scan_implILNS1_25lookback_scan_determinismE0ELb0ELb0ES3_N6thrust23THRUST_200600_302600_NS6detail15normal_iteratorINS9_7pointerIhNS9_11hip_rocprim5par_tENS9_11use_defaultESF_EEEENSB_INSC_IjSE_SF_SF_EEEEhNS9_4plusIvEEhEEDaPvRmT3_T4_T5_mT6_P12ihipStream_tbENKUlT_T0_E_clISt17integral_constantIbLb0EESY_IbLb1EEEEDaSU_SV_EUlSU_E0_NS1_11comp_targetILNS1_3genE8ELNS1_11target_archE1030ELNS1_3gpuE2ELNS1_3repE0EEENS1_30default_config_static_selectorELNS0_4arch9wavefront6targetE0EEEvT1_
		.amdhsa_group_segment_fixed_size 0
		.amdhsa_private_segment_fixed_size 0
		.amdhsa_kernarg_size 32
		.amdhsa_user_sgpr_count 15
		.amdhsa_user_sgpr_dispatch_ptr 0
		.amdhsa_user_sgpr_queue_ptr 0
		.amdhsa_user_sgpr_kernarg_segment_ptr 1
		.amdhsa_user_sgpr_dispatch_id 0
		.amdhsa_user_sgpr_private_segment_size 0
		.amdhsa_wavefront_size32 1
		.amdhsa_uses_dynamic_stack 0
		.amdhsa_enable_private_segment 0
		.amdhsa_system_sgpr_workgroup_id_x 1
		.amdhsa_system_sgpr_workgroup_id_y 0
		.amdhsa_system_sgpr_workgroup_id_z 0
		.amdhsa_system_sgpr_workgroup_info 0
		.amdhsa_system_vgpr_workitem_id 0
		.amdhsa_next_free_vgpr 1
		.amdhsa_next_free_sgpr 1
		.amdhsa_reserve_vcc 0
		.amdhsa_float_round_mode_32 0
		.amdhsa_float_round_mode_16_64 0
		.amdhsa_float_denorm_mode_32 3
		.amdhsa_float_denorm_mode_16_64 3
		.amdhsa_dx10_clamp 1
		.amdhsa_ieee_mode 1
		.amdhsa_fp16_overflow 0
		.amdhsa_workgroup_processor_mode 1
		.amdhsa_memory_ordered 1
		.amdhsa_forward_progress 0
		.amdhsa_shared_vgpr_count 0
		.amdhsa_exception_fp_ieee_invalid_op 0
		.amdhsa_exception_fp_denorm_src 0
		.amdhsa_exception_fp_ieee_div_zero 0
		.amdhsa_exception_fp_ieee_overflow 0
		.amdhsa_exception_fp_ieee_underflow 0
		.amdhsa_exception_fp_ieee_inexact 0
		.amdhsa_exception_int_div_zero 0
	.end_amdhsa_kernel
	.section	.text._ZN7rocprim17ROCPRIM_400000_NS6detail17trampoline_kernelINS0_14default_configENS1_20scan_config_selectorIhEEZZNS1_9scan_implILNS1_25lookback_scan_determinismE0ELb0ELb0ES3_N6thrust23THRUST_200600_302600_NS6detail15normal_iteratorINS9_7pointerIhNS9_11hip_rocprim5par_tENS9_11use_defaultESF_EEEENSB_INSC_IjSE_SF_SF_EEEEhNS9_4plusIvEEhEEDaPvRmT3_T4_T5_mT6_P12ihipStream_tbENKUlT_T0_E_clISt17integral_constantIbLb0EESY_IbLb1EEEEDaSU_SV_EUlSU_E0_NS1_11comp_targetILNS1_3genE8ELNS1_11target_archE1030ELNS1_3gpuE2ELNS1_3repE0EEENS1_30default_config_static_selectorELNS0_4arch9wavefront6targetE0EEEvT1_,"axG",@progbits,_ZN7rocprim17ROCPRIM_400000_NS6detail17trampoline_kernelINS0_14default_configENS1_20scan_config_selectorIhEEZZNS1_9scan_implILNS1_25lookback_scan_determinismE0ELb0ELb0ES3_N6thrust23THRUST_200600_302600_NS6detail15normal_iteratorINS9_7pointerIhNS9_11hip_rocprim5par_tENS9_11use_defaultESF_EEEENSB_INSC_IjSE_SF_SF_EEEEhNS9_4plusIvEEhEEDaPvRmT3_T4_T5_mT6_P12ihipStream_tbENKUlT_T0_E_clISt17integral_constantIbLb0EESY_IbLb1EEEEDaSU_SV_EUlSU_E0_NS1_11comp_targetILNS1_3genE8ELNS1_11target_archE1030ELNS1_3gpuE2ELNS1_3repE0EEENS1_30default_config_static_selectorELNS0_4arch9wavefront6targetE0EEEvT1_,comdat
.Lfunc_end186:
	.size	_ZN7rocprim17ROCPRIM_400000_NS6detail17trampoline_kernelINS0_14default_configENS1_20scan_config_selectorIhEEZZNS1_9scan_implILNS1_25lookback_scan_determinismE0ELb0ELb0ES3_N6thrust23THRUST_200600_302600_NS6detail15normal_iteratorINS9_7pointerIhNS9_11hip_rocprim5par_tENS9_11use_defaultESF_EEEENSB_INSC_IjSE_SF_SF_EEEEhNS9_4plusIvEEhEEDaPvRmT3_T4_T5_mT6_P12ihipStream_tbENKUlT_T0_E_clISt17integral_constantIbLb0EESY_IbLb1EEEEDaSU_SV_EUlSU_E0_NS1_11comp_targetILNS1_3genE8ELNS1_11target_archE1030ELNS1_3gpuE2ELNS1_3repE0EEENS1_30default_config_static_selectorELNS0_4arch9wavefront6targetE0EEEvT1_, .Lfunc_end186-_ZN7rocprim17ROCPRIM_400000_NS6detail17trampoline_kernelINS0_14default_configENS1_20scan_config_selectorIhEEZZNS1_9scan_implILNS1_25lookback_scan_determinismE0ELb0ELb0ES3_N6thrust23THRUST_200600_302600_NS6detail15normal_iteratorINS9_7pointerIhNS9_11hip_rocprim5par_tENS9_11use_defaultESF_EEEENSB_INSC_IjSE_SF_SF_EEEEhNS9_4plusIvEEhEEDaPvRmT3_T4_T5_mT6_P12ihipStream_tbENKUlT_T0_E_clISt17integral_constantIbLb0EESY_IbLb1EEEEDaSU_SV_EUlSU_E0_NS1_11comp_targetILNS1_3genE8ELNS1_11target_archE1030ELNS1_3gpuE2ELNS1_3repE0EEENS1_30default_config_static_selectorELNS0_4arch9wavefront6targetE0EEEvT1_
                                        ; -- End function
	.section	.AMDGPU.csdata,"",@progbits
; Kernel info:
; codeLenInByte = 0
; NumSgprs: 0
; NumVgprs: 0
; ScratchSize: 0
; MemoryBound: 0
; FloatMode: 240
; IeeeMode: 1
; LDSByteSize: 0 bytes/workgroup (compile time only)
; SGPRBlocks: 0
; VGPRBlocks: 0
; NumSGPRsForWavesPerEU: 1
; NumVGPRsForWavesPerEU: 1
; Occupancy: 16
; WaveLimiterHint : 0
; COMPUTE_PGM_RSRC2:SCRATCH_EN: 0
; COMPUTE_PGM_RSRC2:USER_SGPR: 15
; COMPUTE_PGM_RSRC2:TRAP_HANDLER: 0
; COMPUTE_PGM_RSRC2:TGID_X_EN: 1
; COMPUTE_PGM_RSRC2:TGID_Y_EN: 0
; COMPUTE_PGM_RSRC2:TGID_Z_EN: 0
; COMPUTE_PGM_RSRC2:TIDIG_COMP_CNT: 0
	.section	.text._ZN6thrust23THRUST_200600_302600_NS11hip_rocprim9__copy_if14copy_if_kernelILj16ENS0_6detail15normal_iteratorINS0_10device_ptrI10large_dataEEEENS5_INS0_7pointerIhNS1_5par_tENS0_11use_defaultESC_EEEENS5_INSA_IjSB_SC_SC_EEEES9_EEvT0_T1_T2_mT3_,"axG",@progbits,_ZN6thrust23THRUST_200600_302600_NS11hip_rocprim9__copy_if14copy_if_kernelILj16ENS0_6detail15normal_iteratorINS0_10device_ptrI10large_dataEEEENS5_INS0_7pointerIhNS1_5par_tENS0_11use_defaultESC_EEEENS5_INSA_IjSB_SC_SC_EEEES9_EEvT0_T1_T2_mT3_,comdat
	.protected	_ZN6thrust23THRUST_200600_302600_NS11hip_rocprim9__copy_if14copy_if_kernelILj16ENS0_6detail15normal_iteratorINS0_10device_ptrI10large_dataEEEENS5_INS0_7pointerIhNS1_5par_tENS0_11use_defaultESC_EEEENS5_INSA_IjSB_SC_SC_EEEES9_EEvT0_T1_T2_mT3_ ; -- Begin function _ZN6thrust23THRUST_200600_302600_NS11hip_rocprim9__copy_if14copy_if_kernelILj16ENS0_6detail15normal_iteratorINS0_10device_ptrI10large_dataEEEENS5_INS0_7pointerIhNS1_5par_tENS0_11use_defaultESC_EEEENS5_INSA_IjSB_SC_SC_EEEES9_EEvT0_T1_T2_mT3_
	.globl	_ZN6thrust23THRUST_200600_302600_NS11hip_rocprim9__copy_if14copy_if_kernelILj16ENS0_6detail15normal_iteratorINS0_10device_ptrI10large_dataEEEENS5_INS0_7pointerIhNS1_5par_tENS0_11use_defaultESC_EEEENS5_INSA_IjSB_SC_SC_EEEES9_EEvT0_T1_T2_mT3_
	.p2align	8
	.type	_ZN6thrust23THRUST_200600_302600_NS11hip_rocprim9__copy_if14copy_if_kernelILj16ENS0_6detail15normal_iteratorINS0_10device_ptrI10large_dataEEEENS5_INS0_7pointerIhNS1_5par_tENS0_11use_defaultESC_EEEENS5_INSA_IjSB_SC_SC_EEEES9_EEvT0_T1_T2_mT3_,@function
_ZN6thrust23THRUST_200600_302600_NS11hip_rocprim9__copy_if14copy_if_kernelILj16ENS0_6detail15normal_iteratorINS0_10device_ptrI10large_dataEEEENS5_INS0_7pointerIhNS1_5par_tENS0_11use_defaultESC_EEEENS5_INSA_IjSB_SC_SC_EEEES9_EEvT0_T1_T2_mT3_: ; @_ZN6thrust23THRUST_200600_302600_NS11hip_rocprim9__copy_if14copy_if_kernelILj16ENS0_6detail15normal_iteratorINS0_10device_ptrI10large_dataEEEENS5_INS0_7pointerIhNS1_5par_tENS0_11use_defaultESC_EEEENS5_INSA_IjSB_SC_SC_EEEES9_EEvT0_T1_T2_mT3_
; %bb.0:
	s_clause 0x2
	s_load_b32 s2, s[0:1], 0x34
	s_load_b256 s[4:11], s[0:1], 0x0
	s_load_b64 s[0:1], s[0:1], 0x20
	v_mov_b32_e32 v1, 0
	s_waitcnt lgkmcnt(0)
	s_and_b32 s2, s2, 0xffff
	s_delay_alu instid0(SALU_CYCLE_1) | instskip(SKIP_2) | instid1(VALU_DEP_1)
	s_mul_i32 s15, s15, s2
	s_mov_b32 s2, exec_lo
	v_add_lshl_u32 v0, s15, v0, 4
	v_cmpx_gt_u64_e64 s[10:11], v[0:1]
	s_cbranch_execz .LBB187_3
; %bb.1:
	v_add_co_u32 v2, s3, s6, v0
	s_delay_alu instid0(VALU_DEP_1)
	v_add_co_ci_u32_e64 v3, null, s7, 0, s3
	global_load_u8 v2, v[2:3], off
	s_waitcnt vmcnt(0)
	v_cmp_ne_u16_e32 vcc_lo, 0, v2
	s_and_b32 exec_lo, exec_lo, vcc_lo
	s_cbranch_execz .LBB187_3
; %bb.2:
	v_lshlrev_b64 v[2:3], 2, v[0:1]
	s_delay_alu instid0(VALU_DEP_1) | instskip(NEXT) | instid1(VALU_DEP_2)
	v_add_co_u32 v2, vcc_lo, s8, v2
	v_add_co_ci_u32_e32 v3, vcc_lo, s9, v3, vcc_lo
	global_load_b32 v4, v[2:3], off
	v_lshlrev_b64 v[2:3], 9, v[0:1]
	s_delay_alu instid0(VALU_DEP_1) | instskip(NEXT) | instid1(VALU_DEP_2)
	v_add_co_u32 v2, vcc_lo, s4, v2
	v_add_co_ci_u32_e32 v3, vcc_lo, s5, v3, vcc_lo
	global_load_u8 v5, v[2:3], off
	s_waitcnt vmcnt(1)
	v_dual_mov_b32 v3, 0 :: v_dual_add_nc_u32 v2, -1, v4
	s_delay_alu instid0(VALU_DEP_1) | instskip(NEXT) | instid1(VALU_DEP_1)
	v_lshlrev_b64 v[2:3], 9, v[2:3]
	v_add_co_u32 v2, vcc_lo, s0, v2
	s_delay_alu instid0(VALU_DEP_2)
	v_add_co_ci_u32_e32 v3, vcc_lo, s1, v3, vcc_lo
	s_waitcnt vmcnt(0)
	global_store_b8 v[2:3], v5, off
.LBB187_3:
	s_or_b32 exec_lo, exec_lo, s2
	v_or_b32_e32 v2, 1, v0
	v_mov_b32_e32 v3, v1
	s_mov_b32 s2, exec_lo
	s_delay_alu instid0(VALU_DEP_1)
	v_cmpx_gt_u64_e64 s[10:11], v[2:3]
	s_cbranch_execz .LBB187_6
; %bb.4:
	v_add_co_u32 v2, s3, s6, v0
	s_delay_alu instid0(VALU_DEP_1)
	v_add_co_ci_u32_e64 v3, null, s7, 0, s3
	global_load_u8 v2, v[2:3], off offset:1
	s_waitcnt vmcnt(0)
	v_cmp_ne_u16_e32 vcc_lo, 0, v2
	s_and_b32 exec_lo, exec_lo, vcc_lo
	s_cbranch_execz .LBB187_6
; %bb.5:
	v_lshlrev_b64 v[2:3], 2, v[0:1]
	s_delay_alu instid0(VALU_DEP_1) | instskip(NEXT) | instid1(VALU_DEP_2)
	v_add_co_u32 v2, vcc_lo, s8, v2
	v_add_co_ci_u32_e32 v3, vcc_lo, s9, v3, vcc_lo
	global_load_b32 v4, v[2:3], off offset:4
	v_lshlrev_b64 v[2:3], 9, v[0:1]
	s_delay_alu instid0(VALU_DEP_1) | instskip(NEXT) | instid1(VALU_DEP_2)
	v_add_co_u32 v2, vcc_lo, s4, v2
	v_add_co_ci_u32_e32 v3, vcc_lo, s5, v3, vcc_lo
	global_load_u8 v5, v[2:3], off offset:512
	s_waitcnt vmcnt(1)
	v_dual_mov_b32 v3, 0 :: v_dual_add_nc_u32 v2, -1, v4
	s_delay_alu instid0(VALU_DEP_1) | instskip(NEXT) | instid1(VALU_DEP_1)
	v_lshlrev_b64 v[2:3], 9, v[2:3]
	v_add_co_u32 v2, vcc_lo, s0, v2
	s_delay_alu instid0(VALU_DEP_2)
	v_add_co_ci_u32_e32 v3, vcc_lo, s1, v3, vcc_lo
	s_waitcnt vmcnt(0)
	global_store_b8 v[2:3], v5, off
.LBB187_6:
	s_or_b32 exec_lo, exec_lo, s2
	v_or_b32_e32 v2, 2, v0
	v_mov_b32_e32 v3, v1
	s_mov_b32 s2, exec_lo
	s_delay_alu instid0(VALU_DEP_1)
	v_cmpx_gt_u64_e64 s[10:11], v[2:3]
	s_cbranch_execz .LBB187_9
; %bb.7:
	v_add_co_u32 v2, s3, s6, v0
	s_delay_alu instid0(VALU_DEP_1)
	v_add_co_ci_u32_e64 v3, null, s7, 0, s3
	global_load_u8 v2, v[2:3], off offset:2
	s_waitcnt vmcnt(0)
	v_cmp_ne_u16_e32 vcc_lo, 0, v2
	s_and_b32 exec_lo, exec_lo, vcc_lo
	s_cbranch_execz .LBB187_9
; %bb.8:
	v_lshlrev_b64 v[2:3], 2, v[0:1]
	s_delay_alu instid0(VALU_DEP_1) | instskip(NEXT) | instid1(VALU_DEP_2)
	v_add_co_u32 v2, vcc_lo, s8, v2
	v_add_co_ci_u32_e32 v3, vcc_lo, s9, v3, vcc_lo
	global_load_b32 v4, v[2:3], off offset:8
	v_lshlrev_b64 v[2:3], 9, v[0:1]
	s_delay_alu instid0(VALU_DEP_1) | instskip(NEXT) | instid1(VALU_DEP_2)
	v_add_co_u32 v2, vcc_lo, s4, v2
	v_add_co_ci_u32_e32 v3, vcc_lo, s5, v3, vcc_lo
	global_load_u8 v5, v[2:3], off offset:1024
	s_waitcnt vmcnt(1)
	v_dual_mov_b32 v3, 0 :: v_dual_add_nc_u32 v2, -1, v4
	s_delay_alu instid0(VALU_DEP_1) | instskip(NEXT) | instid1(VALU_DEP_1)
	v_lshlrev_b64 v[2:3], 9, v[2:3]
	v_add_co_u32 v2, vcc_lo, s0, v2
	s_delay_alu instid0(VALU_DEP_2)
	v_add_co_ci_u32_e32 v3, vcc_lo, s1, v3, vcc_lo
	s_waitcnt vmcnt(0)
	global_store_b8 v[2:3], v5, off
.LBB187_9:
	;; [unrolled: 37-line block ×7, first 2 shown]
	s_or_b32 exec_lo, exec_lo, s2
	v_or_b32_e32 v2, 8, v0
	v_mov_b32_e32 v3, v1
	s_mov_b32 s2, exec_lo
	s_delay_alu instid0(VALU_DEP_1)
	v_cmpx_gt_u64_e64 s[10:11], v[2:3]
	s_cbranch_execz .LBB187_27
; %bb.25:
	v_add_co_u32 v4, s3, s6, v0
	s_delay_alu instid0(VALU_DEP_1)
	v_add_co_ci_u32_e64 v5, null, s7, 0, s3
	global_load_u8 v4, v[4:5], off offset:8
	s_waitcnt vmcnt(0)
	v_cmp_ne_u16_e32 vcc_lo, 0, v4
	s_and_b32 exec_lo, exec_lo, vcc_lo
	s_cbranch_execz .LBB187_27
; %bb.26:
	v_lshlrev_b64 v[4:5], 2, v[0:1]
	v_lshlrev_b64 v[2:3], 9, v[2:3]
	s_delay_alu instid0(VALU_DEP_2) | instskip(NEXT) | instid1(VALU_DEP_3)
	v_add_co_u32 v4, vcc_lo, s8, v4
	v_add_co_ci_u32_e32 v5, vcc_lo, s9, v5, vcc_lo
	s_delay_alu instid0(VALU_DEP_3) | instskip(NEXT) | instid1(VALU_DEP_4)
	v_add_co_u32 v2, vcc_lo, s4, v2
	v_add_co_ci_u32_e32 v3, vcc_lo, s5, v3, vcc_lo
	global_load_b32 v4, v[4:5], off offset:32
	global_load_u8 v5, v[2:3], off
	s_waitcnt vmcnt(1)
	v_dual_mov_b32 v3, 0 :: v_dual_add_nc_u32 v2, -1, v4
	s_delay_alu instid0(VALU_DEP_1) | instskip(NEXT) | instid1(VALU_DEP_1)
	v_lshlrev_b64 v[2:3], 9, v[2:3]
	v_add_co_u32 v2, vcc_lo, s0, v2
	s_delay_alu instid0(VALU_DEP_2)
	v_add_co_ci_u32_e32 v3, vcc_lo, s1, v3, vcc_lo
	s_waitcnt vmcnt(0)
	global_store_b8 v[2:3], v5, off
.LBB187_27:
	s_or_b32 exec_lo, exec_lo, s2
	v_or_b32_e32 v2, 9, v0
	v_mov_b32_e32 v3, v1
	s_mov_b32 s2, exec_lo
	s_delay_alu instid0(VALU_DEP_1)
	v_cmpx_gt_u64_e64 s[10:11], v[2:3]
	s_cbranch_execz .LBB187_30
; %bb.28:
	v_add_co_u32 v4, s3, s6, v0
	s_delay_alu instid0(VALU_DEP_1)
	v_add_co_ci_u32_e64 v5, null, s7, 0, s3
	global_load_u8 v4, v[4:5], off offset:9
	s_waitcnt vmcnt(0)
	v_cmp_ne_u16_e32 vcc_lo, 0, v4
	s_and_b32 exec_lo, exec_lo, vcc_lo
	s_cbranch_execz .LBB187_30
; %bb.29:
	v_lshlrev_b64 v[4:5], 2, v[0:1]
	v_lshlrev_b64 v[2:3], 9, v[2:3]
	s_delay_alu instid0(VALU_DEP_2) | instskip(NEXT) | instid1(VALU_DEP_3)
	v_add_co_u32 v4, vcc_lo, s8, v4
	v_add_co_ci_u32_e32 v5, vcc_lo, s9, v5, vcc_lo
	s_delay_alu instid0(VALU_DEP_3) | instskip(NEXT) | instid1(VALU_DEP_4)
	v_add_co_u32 v2, vcc_lo, s4, v2
	v_add_co_ci_u32_e32 v3, vcc_lo, s5, v3, vcc_lo
	global_load_b32 v4, v[4:5], off offset:36
	global_load_u8 v5, v[2:3], off
	s_waitcnt vmcnt(1)
	v_dual_mov_b32 v3, 0 :: v_dual_add_nc_u32 v2, -1, v4
	s_delay_alu instid0(VALU_DEP_1) | instskip(NEXT) | instid1(VALU_DEP_1)
	v_lshlrev_b64 v[2:3], 9, v[2:3]
	v_add_co_u32 v2, vcc_lo, s0, v2
	s_delay_alu instid0(VALU_DEP_2)
	v_add_co_ci_u32_e32 v3, vcc_lo, s1, v3, vcc_lo
	s_waitcnt vmcnt(0)
	global_store_b8 v[2:3], v5, off
.LBB187_30:
	;; [unrolled: 37-line block ×7, first 2 shown]
	s_or_b32 exec_lo, exec_lo, s2
	v_or_b32_e32 v2, 15, v0
	v_mov_b32_e32 v3, v1
	s_mov_b32 s2, exec_lo
	s_delay_alu instid0(VALU_DEP_1)
	v_cmpx_gt_u64_e64 s[10:11], v[2:3]
	s_cbranch_execz .LBB187_48
; %bb.46:
	v_add_co_u32 v4, s2, s6, v0
	s_delay_alu instid0(VALU_DEP_1)
	v_add_co_ci_u32_e64 v5, null, s7, 0, s2
	global_load_u8 v4, v[4:5], off offset:15
	s_waitcnt vmcnt(0)
	v_cmp_ne_u16_e32 vcc_lo, 0, v4
	s_and_b32 exec_lo, exec_lo, vcc_lo
	s_cbranch_execz .LBB187_48
; %bb.47:
	v_lshlrev_b64 v[0:1], 2, v[0:1]
	s_delay_alu instid0(VALU_DEP_1) | instskip(NEXT) | instid1(VALU_DEP_2)
	v_add_co_u32 v0, vcc_lo, s8, v0
	v_add_co_ci_u32_e32 v1, vcc_lo, s9, v1, vcc_lo
	global_load_b32 v4, v[0:1], off offset:60
	v_lshlrev_b64 v[0:1], 9, v[2:3]
	s_delay_alu instid0(VALU_DEP_1) | instskip(NEXT) | instid1(VALU_DEP_2)
	v_add_co_u32 v0, vcc_lo, s4, v0
	v_add_co_ci_u32_e32 v1, vcc_lo, s5, v1, vcc_lo
	global_load_u8 v2, v[0:1], off
	s_waitcnt vmcnt(1)
	v_dual_mov_b32 v1, 0 :: v_dual_add_nc_u32 v0, -1, v4
	s_delay_alu instid0(VALU_DEP_1) | instskip(NEXT) | instid1(VALU_DEP_1)
	v_lshlrev_b64 v[0:1], 9, v[0:1]
	v_add_co_u32 v0, vcc_lo, s0, v0
	s_delay_alu instid0(VALU_DEP_2)
	v_add_co_ci_u32_e32 v1, vcc_lo, s1, v1, vcc_lo
	s_waitcnt vmcnt(0)
	global_store_b8 v[0:1], v2, off
.LBB187_48:
	s_nop 0
	s_sendmsg sendmsg(MSG_DEALLOC_VGPRS)
	s_endpgm
	.section	.rodata,"a",@progbits
	.p2align	6, 0x0
	.amdhsa_kernel _ZN6thrust23THRUST_200600_302600_NS11hip_rocprim9__copy_if14copy_if_kernelILj16ENS0_6detail15normal_iteratorINS0_10device_ptrI10large_dataEEEENS5_INS0_7pointerIhNS1_5par_tENS0_11use_defaultESC_EEEENS5_INSA_IjSB_SC_SC_EEEES9_EEvT0_T1_T2_mT3_
		.amdhsa_group_segment_fixed_size 0
		.amdhsa_private_segment_fixed_size 0
		.amdhsa_kernarg_size 296
		.amdhsa_user_sgpr_count 15
		.amdhsa_user_sgpr_dispatch_ptr 0
		.amdhsa_user_sgpr_queue_ptr 0
		.amdhsa_user_sgpr_kernarg_segment_ptr 1
		.amdhsa_user_sgpr_dispatch_id 0
		.amdhsa_user_sgpr_private_segment_size 0
		.amdhsa_wavefront_size32 1
		.amdhsa_uses_dynamic_stack 0
		.amdhsa_enable_private_segment 0
		.amdhsa_system_sgpr_workgroup_id_x 1
		.amdhsa_system_sgpr_workgroup_id_y 0
		.amdhsa_system_sgpr_workgroup_id_z 0
		.amdhsa_system_sgpr_workgroup_info 0
		.amdhsa_system_vgpr_workitem_id 0
		.amdhsa_next_free_vgpr 6
		.amdhsa_next_free_sgpr 16
		.amdhsa_reserve_vcc 1
		.amdhsa_float_round_mode_32 0
		.amdhsa_float_round_mode_16_64 0
		.amdhsa_float_denorm_mode_32 3
		.amdhsa_float_denorm_mode_16_64 3
		.amdhsa_dx10_clamp 1
		.amdhsa_ieee_mode 1
		.amdhsa_fp16_overflow 0
		.amdhsa_workgroup_processor_mode 1
		.amdhsa_memory_ordered 1
		.amdhsa_forward_progress 0
		.amdhsa_shared_vgpr_count 0
		.amdhsa_exception_fp_ieee_invalid_op 0
		.amdhsa_exception_fp_denorm_src 0
		.amdhsa_exception_fp_ieee_div_zero 0
		.amdhsa_exception_fp_ieee_overflow 0
		.amdhsa_exception_fp_ieee_underflow 0
		.amdhsa_exception_fp_ieee_inexact 0
		.amdhsa_exception_int_div_zero 0
	.end_amdhsa_kernel
	.section	.text._ZN6thrust23THRUST_200600_302600_NS11hip_rocprim9__copy_if14copy_if_kernelILj16ENS0_6detail15normal_iteratorINS0_10device_ptrI10large_dataEEEENS5_INS0_7pointerIhNS1_5par_tENS0_11use_defaultESC_EEEENS5_INSA_IjSB_SC_SC_EEEES9_EEvT0_T1_T2_mT3_,"axG",@progbits,_ZN6thrust23THRUST_200600_302600_NS11hip_rocprim9__copy_if14copy_if_kernelILj16ENS0_6detail15normal_iteratorINS0_10device_ptrI10large_dataEEEENS5_INS0_7pointerIhNS1_5par_tENS0_11use_defaultESC_EEEENS5_INSA_IjSB_SC_SC_EEEES9_EEvT0_T1_T2_mT3_,comdat
.Lfunc_end187:
	.size	_ZN6thrust23THRUST_200600_302600_NS11hip_rocprim9__copy_if14copy_if_kernelILj16ENS0_6detail15normal_iteratorINS0_10device_ptrI10large_dataEEEENS5_INS0_7pointerIhNS1_5par_tENS0_11use_defaultESC_EEEENS5_INSA_IjSB_SC_SC_EEEES9_EEvT0_T1_T2_mT3_, .Lfunc_end187-_ZN6thrust23THRUST_200600_302600_NS11hip_rocprim9__copy_if14copy_if_kernelILj16ENS0_6detail15normal_iteratorINS0_10device_ptrI10large_dataEEEENS5_INS0_7pointerIhNS1_5par_tENS0_11use_defaultESC_EEEENS5_INSA_IjSB_SC_SC_EEEES9_EEvT0_T1_T2_mT3_
                                        ; -- End function
	.section	.AMDGPU.csdata,"",@progbits
; Kernel info:
; codeLenInByte = 3128
; NumSgprs: 18
; NumVgprs: 6
; ScratchSize: 0
; MemoryBound: 0
; FloatMode: 240
; IeeeMode: 1
; LDSByteSize: 0 bytes/workgroup (compile time only)
; SGPRBlocks: 2
; VGPRBlocks: 0
; NumSGPRsForWavesPerEU: 18
; NumVGPRsForWavesPerEU: 6
; Occupancy: 16
; WaveLimiterHint : 1
; COMPUTE_PGM_RSRC2:SCRATCH_EN: 0
; COMPUTE_PGM_RSRC2:USER_SGPR: 15
; COMPUTE_PGM_RSRC2:TRAP_HANDLER: 0
; COMPUTE_PGM_RSRC2:TGID_X_EN: 1
; COMPUTE_PGM_RSRC2:TGID_Y_EN: 0
; COMPUTE_PGM_RSRC2:TGID_Z_EN: 0
; COMPUTE_PGM_RSRC2:TIDIG_COMP_CNT: 0
	.section	.text._ZN7rocprim17ROCPRIM_400000_NS6detail31init_lookback_scan_state_kernelINS1_19lookback_scan_stateImLb0ELb1EEENS1_16block_id_wrapperIjLb0EEEEEvT_jT0_jPNS7_10value_typeE,"axG",@progbits,_ZN7rocprim17ROCPRIM_400000_NS6detail31init_lookback_scan_state_kernelINS1_19lookback_scan_stateImLb0ELb1EEENS1_16block_id_wrapperIjLb0EEEEEvT_jT0_jPNS7_10value_typeE,comdat
	.protected	_ZN7rocprim17ROCPRIM_400000_NS6detail31init_lookback_scan_state_kernelINS1_19lookback_scan_stateImLb0ELb1EEENS1_16block_id_wrapperIjLb0EEEEEvT_jT0_jPNS7_10value_typeE ; -- Begin function _ZN7rocprim17ROCPRIM_400000_NS6detail31init_lookback_scan_state_kernelINS1_19lookback_scan_stateImLb0ELb1EEENS1_16block_id_wrapperIjLb0EEEEEvT_jT0_jPNS7_10value_typeE
	.globl	_ZN7rocprim17ROCPRIM_400000_NS6detail31init_lookback_scan_state_kernelINS1_19lookback_scan_stateImLb0ELb1EEENS1_16block_id_wrapperIjLb0EEEEEvT_jT0_jPNS7_10value_typeE
	.p2align	8
	.type	_ZN7rocprim17ROCPRIM_400000_NS6detail31init_lookback_scan_state_kernelINS1_19lookback_scan_stateImLb0ELb1EEENS1_16block_id_wrapperIjLb0EEEEEvT_jT0_jPNS7_10value_typeE,@function
_ZN7rocprim17ROCPRIM_400000_NS6detail31init_lookback_scan_state_kernelINS1_19lookback_scan_stateImLb0ELb1EEENS1_16block_id_wrapperIjLb0EEEEEvT_jT0_jPNS7_10value_typeE: ; @_ZN7rocprim17ROCPRIM_400000_NS6detail31init_lookback_scan_state_kernelINS1_19lookback_scan_stateImLb0ELb1EEENS1_16block_id_wrapperIjLb0EEEEEvT_jT0_jPNS7_10value_typeE
; %bb.0:
	s_clause 0x3
	s_load_b32 s7, s[0:1], 0x2c
	s_load_b64 s[4:5], s[0:1], 0x18
	s_load_b64 s[2:3], s[0:1], 0x0
	s_load_b32 s6, s[0:1], 0x8
	s_waitcnt lgkmcnt(0)
	s_and_b32 s7, s7, 0xffff
	s_cmp_eq_u64 s[4:5], 0
	v_mad_u64_u32 v[1:2], null, s15, s7, v[0:1]
	s_cbranch_scc1 .LBB188_8
; %bb.1:
	s_load_b32 s0, s[0:1], 0x10
	s_waitcnt lgkmcnt(0)
	s_cmp_lt_u32 s0, s6
	s_cselect_b32 s1, s0, 0
	s_delay_alu instid0(VALU_DEP_1) | instid1(SALU_CYCLE_1)
	v_cmp_eq_u32_e32 vcc_lo, s1, v1
	s_mov_b32 s1, 0
	s_and_saveexec_b32 s7, vcc_lo
	s_cbranch_execz .LBB188_7
; %bb.2:
	s_add_i32 s0, s0, 32
	s_mov_b32 s8, exec_lo
	s_lshl_b64 s[0:1], s[0:1], 4
	v_mov_b32_e32 v6, 0
	s_add_u32 s0, s2, s0
	s_addc_u32 s1, s3, s1
	s_delay_alu instid0(SALU_CYCLE_1) | instskip(SKIP_2) | instid1(VALU_DEP_1)
	v_dual_mov_b32 v3, s1 :: v_dual_mov_b32 v2, s0
	;;#ASMSTART
	global_load_dwordx4 v[2:5], v[2:3] off glc	
s_waitcnt vmcnt(0)
	;;#ASMEND
	v_and_b32_e32 v5, 0xff, v4
	v_cmpx_eq_u64_e32 0, v[5:6]
	s_cbranch_execz .LBB188_6
; %bb.3:
	v_dual_mov_b32 v8, s1 :: v_dual_mov_b32 v7, s0
	s_mov_b32 s0, 0
.LBB188_4:                              ; =>This Inner Loop Header: Depth=1
	;;#ASMSTART
	global_load_dwordx4 v[2:5], v[7:8] off glc	
s_waitcnt vmcnt(0)
	;;#ASMEND
	v_and_b32_e32 v5, 0xff, v4
	s_delay_alu instid0(VALU_DEP_1) | instskip(SKIP_1) | instid1(SALU_CYCLE_1)
	v_cmp_ne_u64_e32 vcc_lo, 0, v[5:6]
	s_or_b32 s0, vcc_lo, s0
	s_and_not1_b32 exec_lo, exec_lo, s0
	s_cbranch_execnz .LBB188_4
; %bb.5:
	s_or_b32 exec_lo, exec_lo, s0
.LBB188_6:
	s_delay_alu instid0(SALU_CYCLE_1)
	s_or_b32 exec_lo, exec_lo, s8
	v_mov_b32_e32 v0, 0
	global_store_b64 v0, v[2:3], s[4:5]
.LBB188_7:
	s_or_b32 exec_lo, exec_lo, s7
.LBB188_8:
	s_delay_alu instid0(SALU_CYCLE_1) | instskip(NEXT) | instid1(VALU_DEP_1)
	s_mov_b32 s0, exec_lo
	v_cmpx_gt_u32_e64 s6, v1
	s_cbranch_execz .LBB188_10
; %bb.9:
	v_dual_mov_b32 v3, 0 :: v_dual_add_nc_u32 v2, 32, v1
	s_delay_alu instid0(VALU_DEP_1) | instskip(SKIP_2) | instid1(VALU_DEP_3)
	v_lshlrev_b64 v[5:6], 4, v[2:3]
	v_mov_b32_e32 v2, v3
	v_mov_b32_e32 v4, v3
	v_add_co_u32 v7, vcc_lo, s2, v5
	s_delay_alu instid0(VALU_DEP_4)
	v_add_co_ci_u32_e32 v8, vcc_lo, s3, v6, vcc_lo
	v_mov_b32_e32 v5, v3
	global_store_b128 v[7:8], v[2:5], off
.LBB188_10:
	s_or_b32 exec_lo, exec_lo, s0
	s_delay_alu instid0(SALU_CYCLE_1)
	s_mov_b32 s0, exec_lo
	v_cmpx_gt_u32_e32 32, v1
	s_cbranch_execz .LBB188_12
; %bb.11:
	v_dual_mov_b32 v2, 0 :: v_dual_mov_b32 v3, 0xff
	s_delay_alu instid0(VALU_DEP_1) | instskip(SKIP_1) | instid1(VALU_DEP_2)
	v_lshlrev_b64 v[4:5], 4, v[1:2]
	v_mov_b32_e32 v1, v2
	v_add_co_u32 v6, vcc_lo, s2, v4
	s_delay_alu instid0(VALU_DEP_3)
	v_add_co_ci_u32_e32 v7, vcc_lo, s3, v5, vcc_lo
	v_mov_b32_e32 v4, v2
	global_store_b128 v[6:7], v[1:4], off
.LBB188_12:
	s_nop 0
	s_sendmsg sendmsg(MSG_DEALLOC_VGPRS)
	s_endpgm
	.section	.rodata,"a",@progbits
	.p2align	6, 0x0
	.amdhsa_kernel _ZN7rocprim17ROCPRIM_400000_NS6detail31init_lookback_scan_state_kernelINS1_19lookback_scan_stateImLb0ELb1EEENS1_16block_id_wrapperIjLb0EEEEEvT_jT0_jPNS7_10value_typeE
		.amdhsa_group_segment_fixed_size 0
		.amdhsa_private_segment_fixed_size 0
		.amdhsa_kernarg_size 288
		.amdhsa_user_sgpr_count 15
		.amdhsa_user_sgpr_dispatch_ptr 0
		.amdhsa_user_sgpr_queue_ptr 0
		.amdhsa_user_sgpr_kernarg_segment_ptr 1
		.amdhsa_user_sgpr_dispatch_id 0
		.amdhsa_user_sgpr_private_segment_size 0
		.amdhsa_wavefront_size32 1
		.amdhsa_uses_dynamic_stack 0
		.amdhsa_enable_private_segment 0
		.amdhsa_system_sgpr_workgroup_id_x 1
		.amdhsa_system_sgpr_workgroup_id_y 0
		.amdhsa_system_sgpr_workgroup_id_z 0
		.amdhsa_system_sgpr_workgroup_info 0
		.amdhsa_system_vgpr_workitem_id 0
		.amdhsa_next_free_vgpr 9
		.amdhsa_next_free_sgpr 16
		.amdhsa_reserve_vcc 1
		.amdhsa_float_round_mode_32 0
		.amdhsa_float_round_mode_16_64 0
		.amdhsa_float_denorm_mode_32 3
		.amdhsa_float_denorm_mode_16_64 3
		.amdhsa_dx10_clamp 1
		.amdhsa_ieee_mode 1
		.amdhsa_fp16_overflow 0
		.amdhsa_workgroup_processor_mode 1
		.amdhsa_memory_ordered 1
		.amdhsa_forward_progress 0
		.amdhsa_shared_vgpr_count 0
		.amdhsa_exception_fp_ieee_invalid_op 0
		.amdhsa_exception_fp_denorm_src 0
		.amdhsa_exception_fp_ieee_div_zero 0
		.amdhsa_exception_fp_ieee_overflow 0
		.amdhsa_exception_fp_ieee_underflow 0
		.amdhsa_exception_fp_ieee_inexact 0
		.amdhsa_exception_int_div_zero 0
	.end_amdhsa_kernel
	.section	.text._ZN7rocprim17ROCPRIM_400000_NS6detail31init_lookback_scan_state_kernelINS1_19lookback_scan_stateImLb0ELb1EEENS1_16block_id_wrapperIjLb0EEEEEvT_jT0_jPNS7_10value_typeE,"axG",@progbits,_ZN7rocprim17ROCPRIM_400000_NS6detail31init_lookback_scan_state_kernelINS1_19lookback_scan_stateImLb0ELb1EEENS1_16block_id_wrapperIjLb0EEEEEvT_jT0_jPNS7_10value_typeE,comdat
.Lfunc_end188:
	.size	_ZN7rocprim17ROCPRIM_400000_NS6detail31init_lookback_scan_state_kernelINS1_19lookback_scan_stateImLb0ELb1EEENS1_16block_id_wrapperIjLb0EEEEEvT_jT0_jPNS7_10value_typeE, .Lfunc_end188-_ZN7rocprim17ROCPRIM_400000_NS6detail31init_lookback_scan_state_kernelINS1_19lookback_scan_stateImLb0ELb1EEENS1_16block_id_wrapperIjLb0EEEEEvT_jT0_jPNS7_10value_typeE
                                        ; -- End function
	.section	.AMDGPU.csdata,"",@progbits
; Kernel info:
; codeLenInByte = 468
; NumSgprs: 18
; NumVgprs: 9
; ScratchSize: 0
; MemoryBound: 0
; FloatMode: 240
; IeeeMode: 1
; LDSByteSize: 0 bytes/workgroup (compile time only)
; SGPRBlocks: 2
; VGPRBlocks: 1
; NumSGPRsForWavesPerEU: 18
; NumVGPRsForWavesPerEU: 9
; Occupancy: 16
; WaveLimiterHint : 0
; COMPUTE_PGM_RSRC2:SCRATCH_EN: 0
; COMPUTE_PGM_RSRC2:USER_SGPR: 15
; COMPUTE_PGM_RSRC2:TRAP_HANDLER: 0
; COMPUTE_PGM_RSRC2:TGID_X_EN: 1
; COMPUTE_PGM_RSRC2:TGID_Y_EN: 0
; COMPUTE_PGM_RSRC2:TGID_Z_EN: 0
; COMPUTE_PGM_RSRC2:TIDIG_COMP_CNT: 0
	.section	.text._ZN7rocprim17ROCPRIM_400000_NS6detail17trampoline_kernelINS0_14default_configENS1_25partition_config_selectorILNS1_17partition_subalgoE6EdNS0_10empty_typeEbEEZZNS1_14partition_implILS5_6ELb0ES3_mN6thrust23THRUST_200600_302600_NS6detail15normal_iteratorINSA_10device_ptrIdEEEEPS6_SG_NS0_5tupleIJSF_S6_EEENSH_IJSG_SG_EEES6_PlJ7is_evenIdEEEE10hipError_tPvRmT3_T4_T5_T6_T7_T9_mT8_P12ihipStream_tbDpT10_ENKUlT_T0_E_clISt17integral_constantIbLb0EES16_EEDaS11_S12_EUlS11_E_NS1_11comp_targetILNS1_3genE0ELNS1_11target_archE4294967295ELNS1_3gpuE0ELNS1_3repE0EEENS1_30default_config_static_selectorELNS0_4arch9wavefront6targetE0EEEvT1_,"axG",@progbits,_ZN7rocprim17ROCPRIM_400000_NS6detail17trampoline_kernelINS0_14default_configENS1_25partition_config_selectorILNS1_17partition_subalgoE6EdNS0_10empty_typeEbEEZZNS1_14partition_implILS5_6ELb0ES3_mN6thrust23THRUST_200600_302600_NS6detail15normal_iteratorINSA_10device_ptrIdEEEEPS6_SG_NS0_5tupleIJSF_S6_EEENSH_IJSG_SG_EEES6_PlJ7is_evenIdEEEE10hipError_tPvRmT3_T4_T5_T6_T7_T9_mT8_P12ihipStream_tbDpT10_ENKUlT_T0_E_clISt17integral_constantIbLb0EES16_EEDaS11_S12_EUlS11_E_NS1_11comp_targetILNS1_3genE0ELNS1_11target_archE4294967295ELNS1_3gpuE0ELNS1_3repE0EEENS1_30default_config_static_selectorELNS0_4arch9wavefront6targetE0EEEvT1_,comdat
	.protected	_ZN7rocprim17ROCPRIM_400000_NS6detail17trampoline_kernelINS0_14default_configENS1_25partition_config_selectorILNS1_17partition_subalgoE6EdNS0_10empty_typeEbEEZZNS1_14partition_implILS5_6ELb0ES3_mN6thrust23THRUST_200600_302600_NS6detail15normal_iteratorINSA_10device_ptrIdEEEEPS6_SG_NS0_5tupleIJSF_S6_EEENSH_IJSG_SG_EEES6_PlJ7is_evenIdEEEE10hipError_tPvRmT3_T4_T5_T6_T7_T9_mT8_P12ihipStream_tbDpT10_ENKUlT_T0_E_clISt17integral_constantIbLb0EES16_EEDaS11_S12_EUlS11_E_NS1_11comp_targetILNS1_3genE0ELNS1_11target_archE4294967295ELNS1_3gpuE0ELNS1_3repE0EEENS1_30default_config_static_selectorELNS0_4arch9wavefront6targetE0EEEvT1_ ; -- Begin function _ZN7rocprim17ROCPRIM_400000_NS6detail17trampoline_kernelINS0_14default_configENS1_25partition_config_selectorILNS1_17partition_subalgoE6EdNS0_10empty_typeEbEEZZNS1_14partition_implILS5_6ELb0ES3_mN6thrust23THRUST_200600_302600_NS6detail15normal_iteratorINSA_10device_ptrIdEEEEPS6_SG_NS0_5tupleIJSF_S6_EEENSH_IJSG_SG_EEES6_PlJ7is_evenIdEEEE10hipError_tPvRmT3_T4_T5_T6_T7_T9_mT8_P12ihipStream_tbDpT10_ENKUlT_T0_E_clISt17integral_constantIbLb0EES16_EEDaS11_S12_EUlS11_E_NS1_11comp_targetILNS1_3genE0ELNS1_11target_archE4294967295ELNS1_3gpuE0ELNS1_3repE0EEENS1_30default_config_static_selectorELNS0_4arch9wavefront6targetE0EEEvT1_
	.globl	_ZN7rocprim17ROCPRIM_400000_NS6detail17trampoline_kernelINS0_14default_configENS1_25partition_config_selectorILNS1_17partition_subalgoE6EdNS0_10empty_typeEbEEZZNS1_14partition_implILS5_6ELb0ES3_mN6thrust23THRUST_200600_302600_NS6detail15normal_iteratorINSA_10device_ptrIdEEEEPS6_SG_NS0_5tupleIJSF_S6_EEENSH_IJSG_SG_EEES6_PlJ7is_evenIdEEEE10hipError_tPvRmT3_T4_T5_T6_T7_T9_mT8_P12ihipStream_tbDpT10_ENKUlT_T0_E_clISt17integral_constantIbLb0EES16_EEDaS11_S12_EUlS11_E_NS1_11comp_targetILNS1_3genE0ELNS1_11target_archE4294967295ELNS1_3gpuE0ELNS1_3repE0EEENS1_30default_config_static_selectorELNS0_4arch9wavefront6targetE0EEEvT1_
	.p2align	8
	.type	_ZN7rocprim17ROCPRIM_400000_NS6detail17trampoline_kernelINS0_14default_configENS1_25partition_config_selectorILNS1_17partition_subalgoE6EdNS0_10empty_typeEbEEZZNS1_14partition_implILS5_6ELb0ES3_mN6thrust23THRUST_200600_302600_NS6detail15normal_iteratorINSA_10device_ptrIdEEEEPS6_SG_NS0_5tupleIJSF_S6_EEENSH_IJSG_SG_EEES6_PlJ7is_evenIdEEEE10hipError_tPvRmT3_T4_T5_T6_T7_T9_mT8_P12ihipStream_tbDpT10_ENKUlT_T0_E_clISt17integral_constantIbLb0EES16_EEDaS11_S12_EUlS11_E_NS1_11comp_targetILNS1_3genE0ELNS1_11target_archE4294967295ELNS1_3gpuE0ELNS1_3repE0EEENS1_30default_config_static_selectorELNS0_4arch9wavefront6targetE0EEEvT1_,@function
_ZN7rocprim17ROCPRIM_400000_NS6detail17trampoline_kernelINS0_14default_configENS1_25partition_config_selectorILNS1_17partition_subalgoE6EdNS0_10empty_typeEbEEZZNS1_14partition_implILS5_6ELb0ES3_mN6thrust23THRUST_200600_302600_NS6detail15normal_iteratorINSA_10device_ptrIdEEEEPS6_SG_NS0_5tupleIJSF_S6_EEENSH_IJSG_SG_EEES6_PlJ7is_evenIdEEEE10hipError_tPvRmT3_T4_T5_T6_T7_T9_mT8_P12ihipStream_tbDpT10_ENKUlT_T0_E_clISt17integral_constantIbLb0EES16_EEDaS11_S12_EUlS11_E_NS1_11comp_targetILNS1_3genE0ELNS1_11target_archE4294967295ELNS1_3gpuE0ELNS1_3repE0EEENS1_30default_config_static_selectorELNS0_4arch9wavefront6targetE0EEEvT1_: ; @_ZN7rocprim17ROCPRIM_400000_NS6detail17trampoline_kernelINS0_14default_configENS1_25partition_config_selectorILNS1_17partition_subalgoE6EdNS0_10empty_typeEbEEZZNS1_14partition_implILS5_6ELb0ES3_mN6thrust23THRUST_200600_302600_NS6detail15normal_iteratorINSA_10device_ptrIdEEEEPS6_SG_NS0_5tupleIJSF_S6_EEENSH_IJSG_SG_EEES6_PlJ7is_evenIdEEEE10hipError_tPvRmT3_T4_T5_T6_T7_T9_mT8_P12ihipStream_tbDpT10_ENKUlT_T0_E_clISt17integral_constantIbLb0EES16_EEDaS11_S12_EUlS11_E_NS1_11comp_targetILNS1_3genE0ELNS1_11target_archE4294967295ELNS1_3gpuE0ELNS1_3repE0EEENS1_30default_config_static_selectorELNS0_4arch9wavefront6targetE0EEEvT1_
; %bb.0:
	.section	.rodata,"a",@progbits
	.p2align	6, 0x0
	.amdhsa_kernel _ZN7rocprim17ROCPRIM_400000_NS6detail17trampoline_kernelINS0_14default_configENS1_25partition_config_selectorILNS1_17partition_subalgoE6EdNS0_10empty_typeEbEEZZNS1_14partition_implILS5_6ELb0ES3_mN6thrust23THRUST_200600_302600_NS6detail15normal_iteratorINSA_10device_ptrIdEEEEPS6_SG_NS0_5tupleIJSF_S6_EEENSH_IJSG_SG_EEES6_PlJ7is_evenIdEEEE10hipError_tPvRmT3_T4_T5_T6_T7_T9_mT8_P12ihipStream_tbDpT10_ENKUlT_T0_E_clISt17integral_constantIbLb0EES16_EEDaS11_S12_EUlS11_E_NS1_11comp_targetILNS1_3genE0ELNS1_11target_archE4294967295ELNS1_3gpuE0ELNS1_3repE0EEENS1_30default_config_static_selectorELNS0_4arch9wavefront6targetE0EEEvT1_
		.amdhsa_group_segment_fixed_size 0
		.amdhsa_private_segment_fixed_size 0
		.amdhsa_kernarg_size 112
		.amdhsa_user_sgpr_count 15
		.amdhsa_user_sgpr_dispatch_ptr 0
		.amdhsa_user_sgpr_queue_ptr 0
		.amdhsa_user_sgpr_kernarg_segment_ptr 1
		.amdhsa_user_sgpr_dispatch_id 0
		.amdhsa_user_sgpr_private_segment_size 0
		.amdhsa_wavefront_size32 1
		.amdhsa_uses_dynamic_stack 0
		.amdhsa_enable_private_segment 0
		.amdhsa_system_sgpr_workgroup_id_x 1
		.amdhsa_system_sgpr_workgroup_id_y 0
		.amdhsa_system_sgpr_workgroup_id_z 0
		.amdhsa_system_sgpr_workgroup_info 0
		.amdhsa_system_vgpr_workitem_id 0
		.amdhsa_next_free_vgpr 1
		.amdhsa_next_free_sgpr 1
		.amdhsa_reserve_vcc 0
		.amdhsa_float_round_mode_32 0
		.amdhsa_float_round_mode_16_64 0
		.amdhsa_float_denorm_mode_32 3
		.amdhsa_float_denorm_mode_16_64 3
		.amdhsa_dx10_clamp 1
		.amdhsa_ieee_mode 1
		.amdhsa_fp16_overflow 0
		.amdhsa_workgroup_processor_mode 1
		.amdhsa_memory_ordered 1
		.amdhsa_forward_progress 0
		.amdhsa_shared_vgpr_count 0
		.amdhsa_exception_fp_ieee_invalid_op 0
		.amdhsa_exception_fp_denorm_src 0
		.amdhsa_exception_fp_ieee_div_zero 0
		.amdhsa_exception_fp_ieee_overflow 0
		.amdhsa_exception_fp_ieee_underflow 0
		.amdhsa_exception_fp_ieee_inexact 0
		.amdhsa_exception_int_div_zero 0
	.end_amdhsa_kernel
	.section	.text._ZN7rocprim17ROCPRIM_400000_NS6detail17trampoline_kernelINS0_14default_configENS1_25partition_config_selectorILNS1_17partition_subalgoE6EdNS0_10empty_typeEbEEZZNS1_14partition_implILS5_6ELb0ES3_mN6thrust23THRUST_200600_302600_NS6detail15normal_iteratorINSA_10device_ptrIdEEEEPS6_SG_NS0_5tupleIJSF_S6_EEENSH_IJSG_SG_EEES6_PlJ7is_evenIdEEEE10hipError_tPvRmT3_T4_T5_T6_T7_T9_mT8_P12ihipStream_tbDpT10_ENKUlT_T0_E_clISt17integral_constantIbLb0EES16_EEDaS11_S12_EUlS11_E_NS1_11comp_targetILNS1_3genE0ELNS1_11target_archE4294967295ELNS1_3gpuE0ELNS1_3repE0EEENS1_30default_config_static_selectorELNS0_4arch9wavefront6targetE0EEEvT1_,"axG",@progbits,_ZN7rocprim17ROCPRIM_400000_NS6detail17trampoline_kernelINS0_14default_configENS1_25partition_config_selectorILNS1_17partition_subalgoE6EdNS0_10empty_typeEbEEZZNS1_14partition_implILS5_6ELb0ES3_mN6thrust23THRUST_200600_302600_NS6detail15normal_iteratorINSA_10device_ptrIdEEEEPS6_SG_NS0_5tupleIJSF_S6_EEENSH_IJSG_SG_EEES6_PlJ7is_evenIdEEEE10hipError_tPvRmT3_T4_T5_T6_T7_T9_mT8_P12ihipStream_tbDpT10_ENKUlT_T0_E_clISt17integral_constantIbLb0EES16_EEDaS11_S12_EUlS11_E_NS1_11comp_targetILNS1_3genE0ELNS1_11target_archE4294967295ELNS1_3gpuE0ELNS1_3repE0EEENS1_30default_config_static_selectorELNS0_4arch9wavefront6targetE0EEEvT1_,comdat
.Lfunc_end189:
	.size	_ZN7rocprim17ROCPRIM_400000_NS6detail17trampoline_kernelINS0_14default_configENS1_25partition_config_selectorILNS1_17partition_subalgoE6EdNS0_10empty_typeEbEEZZNS1_14partition_implILS5_6ELb0ES3_mN6thrust23THRUST_200600_302600_NS6detail15normal_iteratorINSA_10device_ptrIdEEEEPS6_SG_NS0_5tupleIJSF_S6_EEENSH_IJSG_SG_EEES6_PlJ7is_evenIdEEEE10hipError_tPvRmT3_T4_T5_T6_T7_T9_mT8_P12ihipStream_tbDpT10_ENKUlT_T0_E_clISt17integral_constantIbLb0EES16_EEDaS11_S12_EUlS11_E_NS1_11comp_targetILNS1_3genE0ELNS1_11target_archE4294967295ELNS1_3gpuE0ELNS1_3repE0EEENS1_30default_config_static_selectorELNS0_4arch9wavefront6targetE0EEEvT1_, .Lfunc_end189-_ZN7rocprim17ROCPRIM_400000_NS6detail17trampoline_kernelINS0_14default_configENS1_25partition_config_selectorILNS1_17partition_subalgoE6EdNS0_10empty_typeEbEEZZNS1_14partition_implILS5_6ELb0ES3_mN6thrust23THRUST_200600_302600_NS6detail15normal_iteratorINSA_10device_ptrIdEEEEPS6_SG_NS0_5tupleIJSF_S6_EEENSH_IJSG_SG_EEES6_PlJ7is_evenIdEEEE10hipError_tPvRmT3_T4_T5_T6_T7_T9_mT8_P12ihipStream_tbDpT10_ENKUlT_T0_E_clISt17integral_constantIbLb0EES16_EEDaS11_S12_EUlS11_E_NS1_11comp_targetILNS1_3genE0ELNS1_11target_archE4294967295ELNS1_3gpuE0ELNS1_3repE0EEENS1_30default_config_static_selectorELNS0_4arch9wavefront6targetE0EEEvT1_
                                        ; -- End function
	.section	.AMDGPU.csdata,"",@progbits
; Kernel info:
; codeLenInByte = 0
; NumSgprs: 0
; NumVgprs: 0
; ScratchSize: 0
; MemoryBound: 0
; FloatMode: 240
; IeeeMode: 1
; LDSByteSize: 0 bytes/workgroup (compile time only)
; SGPRBlocks: 0
; VGPRBlocks: 0
; NumSGPRsForWavesPerEU: 1
; NumVGPRsForWavesPerEU: 1
; Occupancy: 16
; WaveLimiterHint : 0
; COMPUTE_PGM_RSRC2:SCRATCH_EN: 0
; COMPUTE_PGM_RSRC2:USER_SGPR: 15
; COMPUTE_PGM_RSRC2:TRAP_HANDLER: 0
; COMPUTE_PGM_RSRC2:TGID_X_EN: 1
; COMPUTE_PGM_RSRC2:TGID_Y_EN: 0
; COMPUTE_PGM_RSRC2:TGID_Z_EN: 0
; COMPUTE_PGM_RSRC2:TIDIG_COMP_CNT: 0
	.section	.text._ZN7rocprim17ROCPRIM_400000_NS6detail17trampoline_kernelINS0_14default_configENS1_25partition_config_selectorILNS1_17partition_subalgoE6EdNS0_10empty_typeEbEEZZNS1_14partition_implILS5_6ELb0ES3_mN6thrust23THRUST_200600_302600_NS6detail15normal_iteratorINSA_10device_ptrIdEEEEPS6_SG_NS0_5tupleIJSF_S6_EEENSH_IJSG_SG_EEES6_PlJ7is_evenIdEEEE10hipError_tPvRmT3_T4_T5_T6_T7_T9_mT8_P12ihipStream_tbDpT10_ENKUlT_T0_E_clISt17integral_constantIbLb0EES16_EEDaS11_S12_EUlS11_E_NS1_11comp_targetILNS1_3genE5ELNS1_11target_archE942ELNS1_3gpuE9ELNS1_3repE0EEENS1_30default_config_static_selectorELNS0_4arch9wavefront6targetE0EEEvT1_,"axG",@progbits,_ZN7rocprim17ROCPRIM_400000_NS6detail17trampoline_kernelINS0_14default_configENS1_25partition_config_selectorILNS1_17partition_subalgoE6EdNS0_10empty_typeEbEEZZNS1_14partition_implILS5_6ELb0ES3_mN6thrust23THRUST_200600_302600_NS6detail15normal_iteratorINSA_10device_ptrIdEEEEPS6_SG_NS0_5tupleIJSF_S6_EEENSH_IJSG_SG_EEES6_PlJ7is_evenIdEEEE10hipError_tPvRmT3_T4_T5_T6_T7_T9_mT8_P12ihipStream_tbDpT10_ENKUlT_T0_E_clISt17integral_constantIbLb0EES16_EEDaS11_S12_EUlS11_E_NS1_11comp_targetILNS1_3genE5ELNS1_11target_archE942ELNS1_3gpuE9ELNS1_3repE0EEENS1_30default_config_static_selectorELNS0_4arch9wavefront6targetE0EEEvT1_,comdat
	.protected	_ZN7rocprim17ROCPRIM_400000_NS6detail17trampoline_kernelINS0_14default_configENS1_25partition_config_selectorILNS1_17partition_subalgoE6EdNS0_10empty_typeEbEEZZNS1_14partition_implILS5_6ELb0ES3_mN6thrust23THRUST_200600_302600_NS6detail15normal_iteratorINSA_10device_ptrIdEEEEPS6_SG_NS0_5tupleIJSF_S6_EEENSH_IJSG_SG_EEES6_PlJ7is_evenIdEEEE10hipError_tPvRmT3_T4_T5_T6_T7_T9_mT8_P12ihipStream_tbDpT10_ENKUlT_T0_E_clISt17integral_constantIbLb0EES16_EEDaS11_S12_EUlS11_E_NS1_11comp_targetILNS1_3genE5ELNS1_11target_archE942ELNS1_3gpuE9ELNS1_3repE0EEENS1_30default_config_static_selectorELNS0_4arch9wavefront6targetE0EEEvT1_ ; -- Begin function _ZN7rocprim17ROCPRIM_400000_NS6detail17trampoline_kernelINS0_14default_configENS1_25partition_config_selectorILNS1_17partition_subalgoE6EdNS0_10empty_typeEbEEZZNS1_14partition_implILS5_6ELb0ES3_mN6thrust23THRUST_200600_302600_NS6detail15normal_iteratorINSA_10device_ptrIdEEEEPS6_SG_NS0_5tupleIJSF_S6_EEENSH_IJSG_SG_EEES6_PlJ7is_evenIdEEEE10hipError_tPvRmT3_T4_T5_T6_T7_T9_mT8_P12ihipStream_tbDpT10_ENKUlT_T0_E_clISt17integral_constantIbLb0EES16_EEDaS11_S12_EUlS11_E_NS1_11comp_targetILNS1_3genE5ELNS1_11target_archE942ELNS1_3gpuE9ELNS1_3repE0EEENS1_30default_config_static_selectorELNS0_4arch9wavefront6targetE0EEEvT1_
	.globl	_ZN7rocprim17ROCPRIM_400000_NS6detail17trampoline_kernelINS0_14default_configENS1_25partition_config_selectorILNS1_17partition_subalgoE6EdNS0_10empty_typeEbEEZZNS1_14partition_implILS5_6ELb0ES3_mN6thrust23THRUST_200600_302600_NS6detail15normal_iteratorINSA_10device_ptrIdEEEEPS6_SG_NS0_5tupleIJSF_S6_EEENSH_IJSG_SG_EEES6_PlJ7is_evenIdEEEE10hipError_tPvRmT3_T4_T5_T6_T7_T9_mT8_P12ihipStream_tbDpT10_ENKUlT_T0_E_clISt17integral_constantIbLb0EES16_EEDaS11_S12_EUlS11_E_NS1_11comp_targetILNS1_3genE5ELNS1_11target_archE942ELNS1_3gpuE9ELNS1_3repE0EEENS1_30default_config_static_selectorELNS0_4arch9wavefront6targetE0EEEvT1_
	.p2align	8
	.type	_ZN7rocprim17ROCPRIM_400000_NS6detail17trampoline_kernelINS0_14default_configENS1_25partition_config_selectorILNS1_17partition_subalgoE6EdNS0_10empty_typeEbEEZZNS1_14partition_implILS5_6ELb0ES3_mN6thrust23THRUST_200600_302600_NS6detail15normal_iteratorINSA_10device_ptrIdEEEEPS6_SG_NS0_5tupleIJSF_S6_EEENSH_IJSG_SG_EEES6_PlJ7is_evenIdEEEE10hipError_tPvRmT3_T4_T5_T6_T7_T9_mT8_P12ihipStream_tbDpT10_ENKUlT_T0_E_clISt17integral_constantIbLb0EES16_EEDaS11_S12_EUlS11_E_NS1_11comp_targetILNS1_3genE5ELNS1_11target_archE942ELNS1_3gpuE9ELNS1_3repE0EEENS1_30default_config_static_selectorELNS0_4arch9wavefront6targetE0EEEvT1_,@function
_ZN7rocprim17ROCPRIM_400000_NS6detail17trampoline_kernelINS0_14default_configENS1_25partition_config_selectorILNS1_17partition_subalgoE6EdNS0_10empty_typeEbEEZZNS1_14partition_implILS5_6ELb0ES3_mN6thrust23THRUST_200600_302600_NS6detail15normal_iteratorINSA_10device_ptrIdEEEEPS6_SG_NS0_5tupleIJSF_S6_EEENSH_IJSG_SG_EEES6_PlJ7is_evenIdEEEE10hipError_tPvRmT3_T4_T5_T6_T7_T9_mT8_P12ihipStream_tbDpT10_ENKUlT_T0_E_clISt17integral_constantIbLb0EES16_EEDaS11_S12_EUlS11_E_NS1_11comp_targetILNS1_3genE5ELNS1_11target_archE942ELNS1_3gpuE9ELNS1_3repE0EEENS1_30default_config_static_selectorELNS0_4arch9wavefront6targetE0EEEvT1_: ; @_ZN7rocprim17ROCPRIM_400000_NS6detail17trampoline_kernelINS0_14default_configENS1_25partition_config_selectorILNS1_17partition_subalgoE6EdNS0_10empty_typeEbEEZZNS1_14partition_implILS5_6ELb0ES3_mN6thrust23THRUST_200600_302600_NS6detail15normal_iteratorINSA_10device_ptrIdEEEEPS6_SG_NS0_5tupleIJSF_S6_EEENSH_IJSG_SG_EEES6_PlJ7is_evenIdEEEE10hipError_tPvRmT3_T4_T5_T6_T7_T9_mT8_P12ihipStream_tbDpT10_ENKUlT_T0_E_clISt17integral_constantIbLb0EES16_EEDaS11_S12_EUlS11_E_NS1_11comp_targetILNS1_3genE5ELNS1_11target_archE942ELNS1_3gpuE9ELNS1_3repE0EEENS1_30default_config_static_selectorELNS0_4arch9wavefront6targetE0EEEvT1_
; %bb.0:
	.section	.rodata,"a",@progbits
	.p2align	6, 0x0
	.amdhsa_kernel _ZN7rocprim17ROCPRIM_400000_NS6detail17trampoline_kernelINS0_14default_configENS1_25partition_config_selectorILNS1_17partition_subalgoE6EdNS0_10empty_typeEbEEZZNS1_14partition_implILS5_6ELb0ES3_mN6thrust23THRUST_200600_302600_NS6detail15normal_iteratorINSA_10device_ptrIdEEEEPS6_SG_NS0_5tupleIJSF_S6_EEENSH_IJSG_SG_EEES6_PlJ7is_evenIdEEEE10hipError_tPvRmT3_T4_T5_T6_T7_T9_mT8_P12ihipStream_tbDpT10_ENKUlT_T0_E_clISt17integral_constantIbLb0EES16_EEDaS11_S12_EUlS11_E_NS1_11comp_targetILNS1_3genE5ELNS1_11target_archE942ELNS1_3gpuE9ELNS1_3repE0EEENS1_30default_config_static_selectorELNS0_4arch9wavefront6targetE0EEEvT1_
		.amdhsa_group_segment_fixed_size 0
		.amdhsa_private_segment_fixed_size 0
		.amdhsa_kernarg_size 112
		.amdhsa_user_sgpr_count 15
		.amdhsa_user_sgpr_dispatch_ptr 0
		.amdhsa_user_sgpr_queue_ptr 0
		.amdhsa_user_sgpr_kernarg_segment_ptr 1
		.amdhsa_user_sgpr_dispatch_id 0
		.amdhsa_user_sgpr_private_segment_size 0
		.amdhsa_wavefront_size32 1
		.amdhsa_uses_dynamic_stack 0
		.amdhsa_enable_private_segment 0
		.amdhsa_system_sgpr_workgroup_id_x 1
		.amdhsa_system_sgpr_workgroup_id_y 0
		.amdhsa_system_sgpr_workgroup_id_z 0
		.amdhsa_system_sgpr_workgroup_info 0
		.amdhsa_system_vgpr_workitem_id 0
		.amdhsa_next_free_vgpr 1
		.amdhsa_next_free_sgpr 1
		.amdhsa_reserve_vcc 0
		.amdhsa_float_round_mode_32 0
		.amdhsa_float_round_mode_16_64 0
		.amdhsa_float_denorm_mode_32 3
		.amdhsa_float_denorm_mode_16_64 3
		.amdhsa_dx10_clamp 1
		.amdhsa_ieee_mode 1
		.amdhsa_fp16_overflow 0
		.amdhsa_workgroup_processor_mode 1
		.amdhsa_memory_ordered 1
		.amdhsa_forward_progress 0
		.amdhsa_shared_vgpr_count 0
		.amdhsa_exception_fp_ieee_invalid_op 0
		.amdhsa_exception_fp_denorm_src 0
		.amdhsa_exception_fp_ieee_div_zero 0
		.amdhsa_exception_fp_ieee_overflow 0
		.amdhsa_exception_fp_ieee_underflow 0
		.amdhsa_exception_fp_ieee_inexact 0
		.amdhsa_exception_int_div_zero 0
	.end_amdhsa_kernel
	.section	.text._ZN7rocprim17ROCPRIM_400000_NS6detail17trampoline_kernelINS0_14default_configENS1_25partition_config_selectorILNS1_17partition_subalgoE6EdNS0_10empty_typeEbEEZZNS1_14partition_implILS5_6ELb0ES3_mN6thrust23THRUST_200600_302600_NS6detail15normal_iteratorINSA_10device_ptrIdEEEEPS6_SG_NS0_5tupleIJSF_S6_EEENSH_IJSG_SG_EEES6_PlJ7is_evenIdEEEE10hipError_tPvRmT3_T4_T5_T6_T7_T9_mT8_P12ihipStream_tbDpT10_ENKUlT_T0_E_clISt17integral_constantIbLb0EES16_EEDaS11_S12_EUlS11_E_NS1_11comp_targetILNS1_3genE5ELNS1_11target_archE942ELNS1_3gpuE9ELNS1_3repE0EEENS1_30default_config_static_selectorELNS0_4arch9wavefront6targetE0EEEvT1_,"axG",@progbits,_ZN7rocprim17ROCPRIM_400000_NS6detail17trampoline_kernelINS0_14default_configENS1_25partition_config_selectorILNS1_17partition_subalgoE6EdNS0_10empty_typeEbEEZZNS1_14partition_implILS5_6ELb0ES3_mN6thrust23THRUST_200600_302600_NS6detail15normal_iteratorINSA_10device_ptrIdEEEEPS6_SG_NS0_5tupleIJSF_S6_EEENSH_IJSG_SG_EEES6_PlJ7is_evenIdEEEE10hipError_tPvRmT3_T4_T5_T6_T7_T9_mT8_P12ihipStream_tbDpT10_ENKUlT_T0_E_clISt17integral_constantIbLb0EES16_EEDaS11_S12_EUlS11_E_NS1_11comp_targetILNS1_3genE5ELNS1_11target_archE942ELNS1_3gpuE9ELNS1_3repE0EEENS1_30default_config_static_selectorELNS0_4arch9wavefront6targetE0EEEvT1_,comdat
.Lfunc_end190:
	.size	_ZN7rocprim17ROCPRIM_400000_NS6detail17trampoline_kernelINS0_14default_configENS1_25partition_config_selectorILNS1_17partition_subalgoE6EdNS0_10empty_typeEbEEZZNS1_14partition_implILS5_6ELb0ES3_mN6thrust23THRUST_200600_302600_NS6detail15normal_iteratorINSA_10device_ptrIdEEEEPS6_SG_NS0_5tupleIJSF_S6_EEENSH_IJSG_SG_EEES6_PlJ7is_evenIdEEEE10hipError_tPvRmT3_T4_T5_T6_T7_T9_mT8_P12ihipStream_tbDpT10_ENKUlT_T0_E_clISt17integral_constantIbLb0EES16_EEDaS11_S12_EUlS11_E_NS1_11comp_targetILNS1_3genE5ELNS1_11target_archE942ELNS1_3gpuE9ELNS1_3repE0EEENS1_30default_config_static_selectorELNS0_4arch9wavefront6targetE0EEEvT1_, .Lfunc_end190-_ZN7rocprim17ROCPRIM_400000_NS6detail17trampoline_kernelINS0_14default_configENS1_25partition_config_selectorILNS1_17partition_subalgoE6EdNS0_10empty_typeEbEEZZNS1_14partition_implILS5_6ELb0ES3_mN6thrust23THRUST_200600_302600_NS6detail15normal_iteratorINSA_10device_ptrIdEEEEPS6_SG_NS0_5tupleIJSF_S6_EEENSH_IJSG_SG_EEES6_PlJ7is_evenIdEEEE10hipError_tPvRmT3_T4_T5_T6_T7_T9_mT8_P12ihipStream_tbDpT10_ENKUlT_T0_E_clISt17integral_constantIbLb0EES16_EEDaS11_S12_EUlS11_E_NS1_11comp_targetILNS1_3genE5ELNS1_11target_archE942ELNS1_3gpuE9ELNS1_3repE0EEENS1_30default_config_static_selectorELNS0_4arch9wavefront6targetE0EEEvT1_
                                        ; -- End function
	.section	.AMDGPU.csdata,"",@progbits
; Kernel info:
; codeLenInByte = 0
; NumSgprs: 0
; NumVgprs: 0
; ScratchSize: 0
; MemoryBound: 0
; FloatMode: 240
; IeeeMode: 1
; LDSByteSize: 0 bytes/workgroup (compile time only)
; SGPRBlocks: 0
; VGPRBlocks: 0
; NumSGPRsForWavesPerEU: 1
; NumVGPRsForWavesPerEU: 1
; Occupancy: 16
; WaveLimiterHint : 0
; COMPUTE_PGM_RSRC2:SCRATCH_EN: 0
; COMPUTE_PGM_RSRC2:USER_SGPR: 15
; COMPUTE_PGM_RSRC2:TRAP_HANDLER: 0
; COMPUTE_PGM_RSRC2:TGID_X_EN: 1
; COMPUTE_PGM_RSRC2:TGID_Y_EN: 0
; COMPUTE_PGM_RSRC2:TGID_Z_EN: 0
; COMPUTE_PGM_RSRC2:TIDIG_COMP_CNT: 0
	.section	.text._ZN7rocprim17ROCPRIM_400000_NS6detail17trampoline_kernelINS0_14default_configENS1_25partition_config_selectorILNS1_17partition_subalgoE6EdNS0_10empty_typeEbEEZZNS1_14partition_implILS5_6ELb0ES3_mN6thrust23THRUST_200600_302600_NS6detail15normal_iteratorINSA_10device_ptrIdEEEEPS6_SG_NS0_5tupleIJSF_S6_EEENSH_IJSG_SG_EEES6_PlJ7is_evenIdEEEE10hipError_tPvRmT3_T4_T5_T6_T7_T9_mT8_P12ihipStream_tbDpT10_ENKUlT_T0_E_clISt17integral_constantIbLb0EES16_EEDaS11_S12_EUlS11_E_NS1_11comp_targetILNS1_3genE4ELNS1_11target_archE910ELNS1_3gpuE8ELNS1_3repE0EEENS1_30default_config_static_selectorELNS0_4arch9wavefront6targetE0EEEvT1_,"axG",@progbits,_ZN7rocprim17ROCPRIM_400000_NS6detail17trampoline_kernelINS0_14default_configENS1_25partition_config_selectorILNS1_17partition_subalgoE6EdNS0_10empty_typeEbEEZZNS1_14partition_implILS5_6ELb0ES3_mN6thrust23THRUST_200600_302600_NS6detail15normal_iteratorINSA_10device_ptrIdEEEEPS6_SG_NS0_5tupleIJSF_S6_EEENSH_IJSG_SG_EEES6_PlJ7is_evenIdEEEE10hipError_tPvRmT3_T4_T5_T6_T7_T9_mT8_P12ihipStream_tbDpT10_ENKUlT_T0_E_clISt17integral_constantIbLb0EES16_EEDaS11_S12_EUlS11_E_NS1_11comp_targetILNS1_3genE4ELNS1_11target_archE910ELNS1_3gpuE8ELNS1_3repE0EEENS1_30default_config_static_selectorELNS0_4arch9wavefront6targetE0EEEvT1_,comdat
	.protected	_ZN7rocprim17ROCPRIM_400000_NS6detail17trampoline_kernelINS0_14default_configENS1_25partition_config_selectorILNS1_17partition_subalgoE6EdNS0_10empty_typeEbEEZZNS1_14partition_implILS5_6ELb0ES3_mN6thrust23THRUST_200600_302600_NS6detail15normal_iteratorINSA_10device_ptrIdEEEEPS6_SG_NS0_5tupleIJSF_S6_EEENSH_IJSG_SG_EEES6_PlJ7is_evenIdEEEE10hipError_tPvRmT3_T4_T5_T6_T7_T9_mT8_P12ihipStream_tbDpT10_ENKUlT_T0_E_clISt17integral_constantIbLb0EES16_EEDaS11_S12_EUlS11_E_NS1_11comp_targetILNS1_3genE4ELNS1_11target_archE910ELNS1_3gpuE8ELNS1_3repE0EEENS1_30default_config_static_selectorELNS0_4arch9wavefront6targetE0EEEvT1_ ; -- Begin function _ZN7rocprim17ROCPRIM_400000_NS6detail17trampoline_kernelINS0_14default_configENS1_25partition_config_selectorILNS1_17partition_subalgoE6EdNS0_10empty_typeEbEEZZNS1_14partition_implILS5_6ELb0ES3_mN6thrust23THRUST_200600_302600_NS6detail15normal_iteratorINSA_10device_ptrIdEEEEPS6_SG_NS0_5tupleIJSF_S6_EEENSH_IJSG_SG_EEES6_PlJ7is_evenIdEEEE10hipError_tPvRmT3_T4_T5_T6_T7_T9_mT8_P12ihipStream_tbDpT10_ENKUlT_T0_E_clISt17integral_constantIbLb0EES16_EEDaS11_S12_EUlS11_E_NS1_11comp_targetILNS1_3genE4ELNS1_11target_archE910ELNS1_3gpuE8ELNS1_3repE0EEENS1_30default_config_static_selectorELNS0_4arch9wavefront6targetE0EEEvT1_
	.globl	_ZN7rocprim17ROCPRIM_400000_NS6detail17trampoline_kernelINS0_14default_configENS1_25partition_config_selectorILNS1_17partition_subalgoE6EdNS0_10empty_typeEbEEZZNS1_14partition_implILS5_6ELb0ES3_mN6thrust23THRUST_200600_302600_NS6detail15normal_iteratorINSA_10device_ptrIdEEEEPS6_SG_NS0_5tupleIJSF_S6_EEENSH_IJSG_SG_EEES6_PlJ7is_evenIdEEEE10hipError_tPvRmT3_T4_T5_T6_T7_T9_mT8_P12ihipStream_tbDpT10_ENKUlT_T0_E_clISt17integral_constantIbLb0EES16_EEDaS11_S12_EUlS11_E_NS1_11comp_targetILNS1_3genE4ELNS1_11target_archE910ELNS1_3gpuE8ELNS1_3repE0EEENS1_30default_config_static_selectorELNS0_4arch9wavefront6targetE0EEEvT1_
	.p2align	8
	.type	_ZN7rocprim17ROCPRIM_400000_NS6detail17trampoline_kernelINS0_14default_configENS1_25partition_config_selectorILNS1_17partition_subalgoE6EdNS0_10empty_typeEbEEZZNS1_14partition_implILS5_6ELb0ES3_mN6thrust23THRUST_200600_302600_NS6detail15normal_iteratorINSA_10device_ptrIdEEEEPS6_SG_NS0_5tupleIJSF_S6_EEENSH_IJSG_SG_EEES6_PlJ7is_evenIdEEEE10hipError_tPvRmT3_T4_T5_T6_T7_T9_mT8_P12ihipStream_tbDpT10_ENKUlT_T0_E_clISt17integral_constantIbLb0EES16_EEDaS11_S12_EUlS11_E_NS1_11comp_targetILNS1_3genE4ELNS1_11target_archE910ELNS1_3gpuE8ELNS1_3repE0EEENS1_30default_config_static_selectorELNS0_4arch9wavefront6targetE0EEEvT1_,@function
_ZN7rocprim17ROCPRIM_400000_NS6detail17trampoline_kernelINS0_14default_configENS1_25partition_config_selectorILNS1_17partition_subalgoE6EdNS0_10empty_typeEbEEZZNS1_14partition_implILS5_6ELb0ES3_mN6thrust23THRUST_200600_302600_NS6detail15normal_iteratorINSA_10device_ptrIdEEEEPS6_SG_NS0_5tupleIJSF_S6_EEENSH_IJSG_SG_EEES6_PlJ7is_evenIdEEEE10hipError_tPvRmT3_T4_T5_T6_T7_T9_mT8_P12ihipStream_tbDpT10_ENKUlT_T0_E_clISt17integral_constantIbLb0EES16_EEDaS11_S12_EUlS11_E_NS1_11comp_targetILNS1_3genE4ELNS1_11target_archE910ELNS1_3gpuE8ELNS1_3repE0EEENS1_30default_config_static_selectorELNS0_4arch9wavefront6targetE0EEEvT1_: ; @_ZN7rocprim17ROCPRIM_400000_NS6detail17trampoline_kernelINS0_14default_configENS1_25partition_config_selectorILNS1_17partition_subalgoE6EdNS0_10empty_typeEbEEZZNS1_14partition_implILS5_6ELb0ES3_mN6thrust23THRUST_200600_302600_NS6detail15normal_iteratorINSA_10device_ptrIdEEEEPS6_SG_NS0_5tupleIJSF_S6_EEENSH_IJSG_SG_EEES6_PlJ7is_evenIdEEEE10hipError_tPvRmT3_T4_T5_T6_T7_T9_mT8_P12ihipStream_tbDpT10_ENKUlT_T0_E_clISt17integral_constantIbLb0EES16_EEDaS11_S12_EUlS11_E_NS1_11comp_targetILNS1_3genE4ELNS1_11target_archE910ELNS1_3gpuE8ELNS1_3repE0EEENS1_30default_config_static_selectorELNS0_4arch9wavefront6targetE0EEEvT1_
; %bb.0:
	.section	.rodata,"a",@progbits
	.p2align	6, 0x0
	.amdhsa_kernel _ZN7rocprim17ROCPRIM_400000_NS6detail17trampoline_kernelINS0_14default_configENS1_25partition_config_selectorILNS1_17partition_subalgoE6EdNS0_10empty_typeEbEEZZNS1_14partition_implILS5_6ELb0ES3_mN6thrust23THRUST_200600_302600_NS6detail15normal_iteratorINSA_10device_ptrIdEEEEPS6_SG_NS0_5tupleIJSF_S6_EEENSH_IJSG_SG_EEES6_PlJ7is_evenIdEEEE10hipError_tPvRmT3_T4_T5_T6_T7_T9_mT8_P12ihipStream_tbDpT10_ENKUlT_T0_E_clISt17integral_constantIbLb0EES16_EEDaS11_S12_EUlS11_E_NS1_11comp_targetILNS1_3genE4ELNS1_11target_archE910ELNS1_3gpuE8ELNS1_3repE0EEENS1_30default_config_static_selectorELNS0_4arch9wavefront6targetE0EEEvT1_
		.amdhsa_group_segment_fixed_size 0
		.amdhsa_private_segment_fixed_size 0
		.amdhsa_kernarg_size 112
		.amdhsa_user_sgpr_count 15
		.amdhsa_user_sgpr_dispatch_ptr 0
		.amdhsa_user_sgpr_queue_ptr 0
		.amdhsa_user_sgpr_kernarg_segment_ptr 1
		.amdhsa_user_sgpr_dispatch_id 0
		.amdhsa_user_sgpr_private_segment_size 0
		.amdhsa_wavefront_size32 1
		.amdhsa_uses_dynamic_stack 0
		.amdhsa_enable_private_segment 0
		.amdhsa_system_sgpr_workgroup_id_x 1
		.amdhsa_system_sgpr_workgroup_id_y 0
		.amdhsa_system_sgpr_workgroup_id_z 0
		.amdhsa_system_sgpr_workgroup_info 0
		.amdhsa_system_vgpr_workitem_id 0
		.amdhsa_next_free_vgpr 1
		.amdhsa_next_free_sgpr 1
		.amdhsa_reserve_vcc 0
		.amdhsa_float_round_mode_32 0
		.amdhsa_float_round_mode_16_64 0
		.amdhsa_float_denorm_mode_32 3
		.amdhsa_float_denorm_mode_16_64 3
		.amdhsa_dx10_clamp 1
		.amdhsa_ieee_mode 1
		.amdhsa_fp16_overflow 0
		.amdhsa_workgroup_processor_mode 1
		.amdhsa_memory_ordered 1
		.amdhsa_forward_progress 0
		.amdhsa_shared_vgpr_count 0
		.amdhsa_exception_fp_ieee_invalid_op 0
		.amdhsa_exception_fp_denorm_src 0
		.amdhsa_exception_fp_ieee_div_zero 0
		.amdhsa_exception_fp_ieee_overflow 0
		.amdhsa_exception_fp_ieee_underflow 0
		.amdhsa_exception_fp_ieee_inexact 0
		.amdhsa_exception_int_div_zero 0
	.end_amdhsa_kernel
	.section	.text._ZN7rocprim17ROCPRIM_400000_NS6detail17trampoline_kernelINS0_14default_configENS1_25partition_config_selectorILNS1_17partition_subalgoE6EdNS0_10empty_typeEbEEZZNS1_14partition_implILS5_6ELb0ES3_mN6thrust23THRUST_200600_302600_NS6detail15normal_iteratorINSA_10device_ptrIdEEEEPS6_SG_NS0_5tupleIJSF_S6_EEENSH_IJSG_SG_EEES6_PlJ7is_evenIdEEEE10hipError_tPvRmT3_T4_T5_T6_T7_T9_mT8_P12ihipStream_tbDpT10_ENKUlT_T0_E_clISt17integral_constantIbLb0EES16_EEDaS11_S12_EUlS11_E_NS1_11comp_targetILNS1_3genE4ELNS1_11target_archE910ELNS1_3gpuE8ELNS1_3repE0EEENS1_30default_config_static_selectorELNS0_4arch9wavefront6targetE0EEEvT1_,"axG",@progbits,_ZN7rocprim17ROCPRIM_400000_NS6detail17trampoline_kernelINS0_14default_configENS1_25partition_config_selectorILNS1_17partition_subalgoE6EdNS0_10empty_typeEbEEZZNS1_14partition_implILS5_6ELb0ES3_mN6thrust23THRUST_200600_302600_NS6detail15normal_iteratorINSA_10device_ptrIdEEEEPS6_SG_NS0_5tupleIJSF_S6_EEENSH_IJSG_SG_EEES6_PlJ7is_evenIdEEEE10hipError_tPvRmT3_T4_T5_T6_T7_T9_mT8_P12ihipStream_tbDpT10_ENKUlT_T0_E_clISt17integral_constantIbLb0EES16_EEDaS11_S12_EUlS11_E_NS1_11comp_targetILNS1_3genE4ELNS1_11target_archE910ELNS1_3gpuE8ELNS1_3repE0EEENS1_30default_config_static_selectorELNS0_4arch9wavefront6targetE0EEEvT1_,comdat
.Lfunc_end191:
	.size	_ZN7rocprim17ROCPRIM_400000_NS6detail17trampoline_kernelINS0_14default_configENS1_25partition_config_selectorILNS1_17partition_subalgoE6EdNS0_10empty_typeEbEEZZNS1_14partition_implILS5_6ELb0ES3_mN6thrust23THRUST_200600_302600_NS6detail15normal_iteratorINSA_10device_ptrIdEEEEPS6_SG_NS0_5tupleIJSF_S6_EEENSH_IJSG_SG_EEES6_PlJ7is_evenIdEEEE10hipError_tPvRmT3_T4_T5_T6_T7_T9_mT8_P12ihipStream_tbDpT10_ENKUlT_T0_E_clISt17integral_constantIbLb0EES16_EEDaS11_S12_EUlS11_E_NS1_11comp_targetILNS1_3genE4ELNS1_11target_archE910ELNS1_3gpuE8ELNS1_3repE0EEENS1_30default_config_static_selectorELNS0_4arch9wavefront6targetE0EEEvT1_, .Lfunc_end191-_ZN7rocprim17ROCPRIM_400000_NS6detail17trampoline_kernelINS0_14default_configENS1_25partition_config_selectorILNS1_17partition_subalgoE6EdNS0_10empty_typeEbEEZZNS1_14partition_implILS5_6ELb0ES3_mN6thrust23THRUST_200600_302600_NS6detail15normal_iteratorINSA_10device_ptrIdEEEEPS6_SG_NS0_5tupleIJSF_S6_EEENSH_IJSG_SG_EEES6_PlJ7is_evenIdEEEE10hipError_tPvRmT3_T4_T5_T6_T7_T9_mT8_P12ihipStream_tbDpT10_ENKUlT_T0_E_clISt17integral_constantIbLb0EES16_EEDaS11_S12_EUlS11_E_NS1_11comp_targetILNS1_3genE4ELNS1_11target_archE910ELNS1_3gpuE8ELNS1_3repE0EEENS1_30default_config_static_selectorELNS0_4arch9wavefront6targetE0EEEvT1_
                                        ; -- End function
	.section	.AMDGPU.csdata,"",@progbits
; Kernel info:
; codeLenInByte = 0
; NumSgprs: 0
; NumVgprs: 0
; ScratchSize: 0
; MemoryBound: 0
; FloatMode: 240
; IeeeMode: 1
; LDSByteSize: 0 bytes/workgroup (compile time only)
; SGPRBlocks: 0
; VGPRBlocks: 0
; NumSGPRsForWavesPerEU: 1
; NumVGPRsForWavesPerEU: 1
; Occupancy: 16
; WaveLimiterHint : 0
; COMPUTE_PGM_RSRC2:SCRATCH_EN: 0
; COMPUTE_PGM_RSRC2:USER_SGPR: 15
; COMPUTE_PGM_RSRC2:TRAP_HANDLER: 0
; COMPUTE_PGM_RSRC2:TGID_X_EN: 1
; COMPUTE_PGM_RSRC2:TGID_Y_EN: 0
; COMPUTE_PGM_RSRC2:TGID_Z_EN: 0
; COMPUTE_PGM_RSRC2:TIDIG_COMP_CNT: 0
	.section	.text._ZN7rocprim17ROCPRIM_400000_NS6detail17trampoline_kernelINS0_14default_configENS1_25partition_config_selectorILNS1_17partition_subalgoE6EdNS0_10empty_typeEbEEZZNS1_14partition_implILS5_6ELb0ES3_mN6thrust23THRUST_200600_302600_NS6detail15normal_iteratorINSA_10device_ptrIdEEEEPS6_SG_NS0_5tupleIJSF_S6_EEENSH_IJSG_SG_EEES6_PlJ7is_evenIdEEEE10hipError_tPvRmT3_T4_T5_T6_T7_T9_mT8_P12ihipStream_tbDpT10_ENKUlT_T0_E_clISt17integral_constantIbLb0EES16_EEDaS11_S12_EUlS11_E_NS1_11comp_targetILNS1_3genE3ELNS1_11target_archE908ELNS1_3gpuE7ELNS1_3repE0EEENS1_30default_config_static_selectorELNS0_4arch9wavefront6targetE0EEEvT1_,"axG",@progbits,_ZN7rocprim17ROCPRIM_400000_NS6detail17trampoline_kernelINS0_14default_configENS1_25partition_config_selectorILNS1_17partition_subalgoE6EdNS0_10empty_typeEbEEZZNS1_14partition_implILS5_6ELb0ES3_mN6thrust23THRUST_200600_302600_NS6detail15normal_iteratorINSA_10device_ptrIdEEEEPS6_SG_NS0_5tupleIJSF_S6_EEENSH_IJSG_SG_EEES6_PlJ7is_evenIdEEEE10hipError_tPvRmT3_T4_T5_T6_T7_T9_mT8_P12ihipStream_tbDpT10_ENKUlT_T0_E_clISt17integral_constantIbLb0EES16_EEDaS11_S12_EUlS11_E_NS1_11comp_targetILNS1_3genE3ELNS1_11target_archE908ELNS1_3gpuE7ELNS1_3repE0EEENS1_30default_config_static_selectorELNS0_4arch9wavefront6targetE0EEEvT1_,comdat
	.protected	_ZN7rocprim17ROCPRIM_400000_NS6detail17trampoline_kernelINS0_14default_configENS1_25partition_config_selectorILNS1_17partition_subalgoE6EdNS0_10empty_typeEbEEZZNS1_14partition_implILS5_6ELb0ES3_mN6thrust23THRUST_200600_302600_NS6detail15normal_iteratorINSA_10device_ptrIdEEEEPS6_SG_NS0_5tupleIJSF_S6_EEENSH_IJSG_SG_EEES6_PlJ7is_evenIdEEEE10hipError_tPvRmT3_T4_T5_T6_T7_T9_mT8_P12ihipStream_tbDpT10_ENKUlT_T0_E_clISt17integral_constantIbLb0EES16_EEDaS11_S12_EUlS11_E_NS1_11comp_targetILNS1_3genE3ELNS1_11target_archE908ELNS1_3gpuE7ELNS1_3repE0EEENS1_30default_config_static_selectorELNS0_4arch9wavefront6targetE0EEEvT1_ ; -- Begin function _ZN7rocprim17ROCPRIM_400000_NS6detail17trampoline_kernelINS0_14default_configENS1_25partition_config_selectorILNS1_17partition_subalgoE6EdNS0_10empty_typeEbEEZZNS1_14partition_implILS5_6ELb0ES3_mN6thrust23THRUST_200600_302600_NS6detail15normal_iteratorINSA_10device_ptrIdEEEEPS6_SG_NS0_5tupleIJSF_S6_EEENSH_IJSG_SG_EEES6_PlJ7is_evenIdEEEE10hipError_tPvRmT3_T4_T5_T6_T7_T9_mT8_P12ihipStream_tbDpT10_ENKUlT_T0_E_clISt17integral_constantIbLb0EES16_EEDaS11_S12_EUlS11_E_NS1_11comp_targetILNS1_3genE3ELNS1_11target_archE908ELNS1_3gpuE7ELNS1_3repE0EEENS1_30default_config_static_selectorELNS0_4arch9wavefront6targetE0EEEvT1_
	.globl	_ZN7rocprim17ROCPRIM_400000_NS6detail17trampoline_kernelINS0_14default_configENS1_25partition_config_selectorILNS1_17partition_subalgoE6EdNS0_10empty_typeEbEEZZNS1_14partition_implILS5_6ELb0ES3_mN6thrust23THRUST_200600_302600_NS6detail15normal_iteratorINSA_10device_ptrIdEEEEPS6_SG_NS0_5tupleIJSF_S6_EEENSH_IJSG_SG_EEES6_PlJ7is_evenIdEEEE10hipError_tPvRmT3_T4_T5_T6_T7_T9_mT8_P12ihipStream_tbDpT10_ENKUlT_T0_E_clISt17integral_constantIbLb0EES16_EEDaS11_S12_EUlS11_E_NS1_11comp_targetILNS1_3genE3ELNS1_11target_archE908ELNS1_3gpuE7ELNS1_3repE0EEENS1_30default_config_static_selectorELNS0_4arch9wavefront6targetE0EEEvT1_
	.p2align	8
	.type	_ZN7rocprim17ROCPRIM_400000_NS6detail17trampoline_kernelINS0_14default_configENS1_25partition_config_selectorILNS1_17partition_subalgoE6EdNS0_10empty_typeEbEEZZNS1_14partition_implILS5_6ELb0ES3_mN6thrust23THRUST_200600_302600_NS6detail15normal_iteratorINSA_10device_ptrIdEEEEPS6_SG_NS0_5tupleIJSF_S6_EEENSH_IJSG_SG_EEES6_PlJ7is_evenIdEEEE10hipError_tPvRmT3_T4_T5_T6_T7_T9_mT8_P12ihipStream_tbDpT10_ENKUlT_T0_E_clISt17integral_constantIbLb0EES16_EEDaS11_S12_EUlS11_E_NS1_11comp_targetILNS1_3genE3ELNS1_11target_archE908ELNS1_3gpuE7ELNS1_3repE0EEENS1_30default_config_static_selectorELNS0_4arch9wavefront6targetE0EEEvT1_,@function
_ZN7rocprim17ROCPRIM_400000_NS6detail17trampoline_kernelINS0_14default_configENS1_25partition_config_selectorILNS1_17partition_subalgoE6EdNS0_10empty_typeEbEEZZNS1_14partition_implILS5_6ELb0ES3_mN6thrust23THRUST_200600_302600_NS6detail15normal_iteratorINSA_10device_ptrIdEEEEPS6_SG_NS0_5tupleIJSF_S6_EEENSH_IJSG_SG_EEES6_PlJ7is_evenIdEEEE10hipError_tPvRmT3_T4_T5_T6_T7_T9_mT8_P12ihipStream_tbDpT10_ENKUlT_T0_E_clISt17integral_constantIbLb0EES16_EEDaS11_S12_EUlS11_E_NS1_11comp_targetILNS1_3genE3ELNS1_11target_archE908ELNS1_3gpuE7ELNS1_3repE0EEENS1_30default_config_static_selectorELNS0_4arch9wavefront6targetE0EEEvT1_: ; @_ZN7rocprim17ROCPRIM_400000_NS6detail17trampoline_kernelINS0_14default_configENS1_25partition_config_selectorILNS1_17partition_subalgoE6EdNS0_10empty_typeEbEEZZNS1_14partition_implILS5_6ELb0ES3_mN6thrust23THRUST_200600_302600_NS6detail15normal_iteratorINSA_10device_ptrIdEEEEPS6_SG_NS0_5tupleIJSF_S6_EEENSH_IJSG_SG_EEES6_PlJ7is_evenIdEEEE10hipError_tPvRmT3_T4_T5_T6_T7_T9_mT8_P12ihipStream_tbDpT10_ENKUlT_T0_E_clISt17integral_constantIbLb0EES16_EEDaS11_S12_EUlS11_E_NS1_11comp_targetILNS1_3genE3ELNS1_11target_archE908ELNS1_3gpuE7ELNS1_3repE0EEENS1_30default_config_static_selectorELNS0_4arch9wavefront6targetE0EEEvT1_
; %bb.0:
	.section	.rodata,"a",@progbits
	.p2align	6, 0x0
	.amdhsa_kernel _ZN7rocprim17ROCPRIM_400000_NS6detail17trampoline_kernelINS0_14default_configENS1_25partition_config_selectorILNS1_17partition_subalgoE6EdNS0_10empty_typeEbEEZZNS1_14partition_implILS5_6ELb0ES3_mN6thrust23THRUST_200600_302600_NS6detail15normal_iteratorINSA_10device_ptrIdEEEEPS6_SG_NS0_5tupleIJSF_S6_EEENSH_IJSG_SG_EEES6_PlJ7is_evenIdEEEE10hipError_tPvRmT3_T4_T5_T6_T7_T9_mT8_P12ihipStream_tbDpT10_ENKUlT_T0_E_clISt17integral_constantIbLb0EES16_EEDaS11_S12_EUlS11_E_NS1_11comp_targetILNS1_3genE3ELNS1_11target_archE908ELNS1_3gpuE7ELNS1_3repE0EEENS1_30default_config_static_selectorELNS0_4arch9wavefront6targetE0EEEvT1_
		.amdhsa_group_segment_fixed_size 0
		.amdhsa_private_segment_fixed_size 0
		.amdhsa_kernarg_size 112
		.amdhsa_user_sgpr_count 15
		.amdhsa_user_sgpr_dispatch_ptr 0
		.amdhsa_user_sgpr_queue_ptr 0
		.amdhsa_user_sgpr_kernarg_segment_ptr 1
		.amdhsa_user_sgpr_dispatch_id 0
		.amdhsa_user_sgpr_private_segment_size 0
		.amdhsa_wavefront_size32 1
		.amdhsa_uses_dynamic_stack 0
		.amdhsa_enable_private_segment 0
		.amdhsa_system_sgpr_workgroup_id_x 1
		.amdhsa_system_sgpr_workgroup_id_y 0
		.amdhsa_system_sgpr_workgroup_id_z 0
		.amdhsa_system_sgpr_workgroup_info 0
		.amdhsa_system_vgpr_workitem_id 0
		.amdhsa_next_free_vgpr 1
		.amdhsa_next_free_sgpr 1
		.amdhsa_reserve_vcc 0
		.amdhsa_float_round_mode_32 0
		.amdhsa_float_round_mode_16_64 0
		.amdhsa_float_denorm_mode_32 3
		.amdhsa_float_denorm_mode_16_64 3
		.amdhsa_dx10_clamp 1
		.amdhsa_ieee_mode 1
		.amdhsa_fp16_overflow 0
		.amdhsa_workgroup_processor_mode 1
		.amdhsa_memory_ordered 1
		.amdhsa_forward_progress 0
		.amdhsa_shared_vgpr_count 0
		.amdhsa_exception_fp_ieee_invalid_op 0
		.amdhsa_exception_fp_denorm_src 0
		.amdhsa_exception_fp_ieee_div_zero 0
		.amdhsa_exception_fp_ieee_overflow 0
		.amdhsa_exception_fp_ieee_underflow 0
		.amdhsa_exception_fp_ieee_inexact 0
		.amdhsa_exception_int_div_zero 0
	.end_amdhsa_kernel
	.section	.text._ZN7rocprim17ROCPRIM_400000_NS6detail17trampoline_kernelINS0_14default_configENS1_25partition_config_selectorILNS1_17partition_subalgoE6EdNS0_10empty_typeEbEEZZNS1_14partition_implILS5_6ELb0ES3_mN6thrust23THRUST_200600_302600_NS6detail15normal_iteratorINSA_10device_ptrIdEEEEPS6_SG_NS0_5tupleIJSF_S6_EEENSH_IJSG_SG_EEES6_PlJ7is_evenIdEEEE10hipError_tPvRmT3_T4_T5_T6_T7_T9_mT8_P12ihipStream_tbDpT10_ENKUlT_T0_E_clISt17integral_constantIbLb0EES16_EEDaS11_S12_EUlS11_E_NS1_11comp_targetILNS1_3genE3ELNS1_11target_archE908ELNS1_3gpuE7ELNS1_3repE0EEENS1_30default_config_static_selectorELNS0_4arch9wavefront6targetE0EEEvT1_,"axG",@progbits,_ZN7rocprim17ROCPRIM_400000_NS6detail17trampoline_kernelINS0_14default_configENS1_25partition_config_selectorILNS1_17partition_subalgoE6EdNS0_10empty_typeEbEEZZNS1_14partition_implILS5_6ELb0ES3_mN6thrust23THRUST_200600_302600_NS6detail15normal_iteratorINSA_10device_ptrIdEEEEPS6_SG_NS0_5tupleIJSF_S6_EEENSH_IJSG_SG_EEES6_PlJ7is_evenIdEEEE10hipError_tPvRmT3_T4_T5_T6_T7_T9_mT8_P12ihipStream_tbDpT10_ENKUlT_T0_E_clISt17integral_constantIbLb0EES16_EEDaS11_S12_EUlS11_E_NS1_11comp_targetILNS1_3genE3ELNS1_11target_archE908ELNS1_3gpuE7ELNS1_3repE0EEENS1_30default_config_static_selectorELNS0_4arch9wavefront6targetE0EEEvT1_,comdat
.Lfunc_end192:
	.size	_ZN7rocprim17ROCPRIM_400000_NS6detail17trampoline_kernelINS0_14default_configENS1_25partition_config_selectorILNS1_17partition_subalgoE6EdNS0_10empty_typeEbEEZZNS1_14partition_implILS5_6ELb0ES3_mN6thrust23THRUST_200600_302600_NS6detail15normal_iteratorINSA_10device_ptrIdEEEEPS6_SG_NS0_5tupleIJSF_S6_EEENSH_IJSG_SG_EEES6_PlJ7is_evenIdEEEE10hipError_tPvRmT3_T4_T5_T6_T7_T9_mT8_P12ihipStream_tbDpT10_ENKUlT_T0_E_clISt17integral_constantIbLb0EES16_EEDaS11_S12_EUlS11_E_NS1_11comp_targetILNS1_3genE3ELNS1_11target_archE908ELNS1_3gpuE7ELNS1_3repE0EEENS1_30default_config_static_selectorELNS0_4arch9wavefront6targetE0EEEvT1_, .Lfunc_end192-_ZN7rocprim17ROCPRIM_400000_NS6detail17trampoline_kernelINS0_14default_configENS1_25partition_config_selectorILNS1_17partition_subalgoE6EdNS0_10empty_typeEbEEZZNS1_14partition_implILS5_6ELb0ES3_mN6thrust23THRUST_200600_302600_NS6detail15normal_iteratorINSA_10device_ptrIdEEEEPS6_SG_NS0_5tupleIJSF_S6_EEENSH_IJSG_SG_EEES6_PlJ7is_evenIdEEEE10hipError_tPvRmT3_T4_T5_T6_T7_T9_mT8_P12ihipStream_tbDpT10_ENKUlT_T0_E_clISt17integral_constantIbLb0EES16_EEDaS11_S12_EUlS11_E_NS1_11comp_targetILNS1_3genE3ELNS1_11target_archE908ELNS1_3gpuE7ELNS1_3repE0EEENS1_30default_config_static_selectorELNS0_4arch9wavefront6targetE0EEEvT1_
                                        ; -- End function
	.section	.AMDGPU.csdata,"",@progbits
; Kernel info:
; codeLenInByte = 0
; NumSgprs: 0
; NumVgprs: 0
; ScratchSize: 0
; MemoryBound: 0
; FloatMode: 240
; IeeeMode: 1
; LDSByteSize: 0 bytes/workgroup (compile time only)
; SGPRBlocks: 0
; VGPRBlocks: 0
; NumSGPRsForWavesPerEU: 1
; NumVGPRsForWavesPerEU: 1
; Occupancy: 16
; WaveLimiterHint : 0
; COMPUTE_PGM_RSRC2:SCRATCH_EN: 0
; COMPUTE_PGM_RSRC2:USER_SGPR: 15
; COMPUTE_PGM_RSRC2:TRAP_HANDLER: 0
; COMPUTE_PGM_RSRC2:TGID_X_EN: 1
; COMPUTE_PGM_RSRC2:TGID_Y_EN: 0
; COMPUTE_PGM_RSRC2:TGID_Z_EN: 0
; COMPUTE_PGM_RSRC2:TIDIG_COMP_CNT: 0
	.section	.text._ZN7rocprim17ROCPRIM_400000_NS6detail17trampoline_kernelINS0_14default_configENS1_25partition_config_selectorILNS1_17partition_subalgoE6EdNS0_10empty_typeEbEEZZNS1_14partition_implILS5_6ELb0ES3_mN6thrust23THRUST_200600_302600_NS6detail15normal_iteratorINSA_10device_ptrIdEEEEPS6_SG_NS0_5tupleIJSF_S6_EEENSH_IJSG_SG_EEES6_PlJ7is_evenIdEEEE10hipError_tPvRmT3_T4_T5_T6_T7_T9_mT8_P12ihipStream_tbDpT10_ENKUlT_T0_E_clISt17integral_constantIbLb0EES16_EEDaS11_S12_EUlS11_E_NS1_11comp_targetILNS1_3genE2ELNS1_11target_archE906ELNS1_3gpuE6ELNS1_3repE0EEENS1_30default_config_static_selectorELNS0_4arch9wavefront6targetE0EEEvT1_,"axG",@progbits,_ZN7rocprim17ROCPRIM_400000_NS6detail17trampoline_kernelINS0_14default_configENS1_25partition_config_selectorILNS1_17partition_subalgoE6EdNS0_10empty_typeEbEEZZNS1_14partition_implILS5_6ELb0ES3_mN6thrust23THRUST_200600_302600_NS6detail15normal_iteratorINSA_10device_ptrIdEEEEPS6_SG_NS0_5tupleIJSF_S6_EEENSH_IJSG_SG_EEES6_PlJ7is_evenIdEEEE10hipError_tPvRmT3_T4_T5_T6_T7_T9_mT8_P12ihipStream_tbDpT10_ENKUlT_T0_E_clISt17integral_constantIbLb0EES16_EEDaS11_S12_EUlS11_E_NS1_11comp_targetILNS1_3genE2ELNS1_11target_archE906ELNS1_3gpuE6ELNS1_3repE0EEENS1_30default_config_static_selectorELNS0_4arch9wavefront6targetE0EEEvT1_,comdat
	.protected	_ZN7rocprim17ROCPRIM_400000_NS6detail17trampoline_kernelINS0_14default_configENS1_25partition_config_selectorILNS1_17partition_subalgoE6EdNS0_10empty_typeEbEEZZNS1_14partition_implILS5_6ELb0ES3_mN6thrust23THRUST_200600_302600_NS6detail15normal_iteratorINSA_10device_ptrIdEEEEPS6_SG_NS0_5tupleIJSF_S6_EEENSH_IJSG_SG_EEES6_PlJ7is_evenIdEEEE10hipError_tPvRmT3_T4_T5_T6_T7_T9_mT8_P12ihipStream_tbDpT10_ENKUlT_T0_E_clISt17integral_constantIbLb0EES16_EEDaS11_S12_EUlS11_E_NS1_11comp_targetILNS1_3genE2ELNS1_11target_archE906ELNS1_3gpuE6ELNS1_3repE0EEENS1_30default_config_static_selectorELNS0_4arch9wavefront6targetE0EEEvT1_ ; -- Begin function _ZN7rocprim17ROCPRIM_400000_NS6detail17trampoline_kernelINS0_14default_configENS1_25partition_config_selectorILNS1_17partition_subalgoE6EdNS0_10empty_typeEbEEZZNS1_14partition_implILS5_6ELb0ES3_mN6thrust23THRUST_200600_302600_NS6detail15normal_iteratorINSA_10device_ptrIdEEEEPS6_SG_NS0_5tupleIJSF_S6_EEENSH_IJSG_SG_EEES6_PlJ7is_evenIdEEEE10hipError_tPvRmT3_T4_T5_T6_T7_T9_mT8_P12ihipStream_tbDpT10_ENKUlT_T0_E_clISt17integral_constantIbLb0EES16_EEDaS11_S12_EUlS11_E_NS1_11comp_targetILNS1_3genE2ELNS1_11target_archE906ELNS1_3gpuE6ELNS1_3repE0EEENS1_30default_config_static_selectorELNS0_4arch9wavefront6targetE0EEEvT1_
	.globl	_ZN7rocprim17ROCPRIM_400000_NS6detail17trampoline_kernelINS0_14default_configENS1_25partition_config_selectorILNS1_17partition_subalgoE6EdNS0_10empty_typeEbEEZZNS1_14partition_implILS5_6ELb0ES3_mN6thrust23THRUST_200600_302600_NS6detail15normal_iteratorINSA_10device_ptrIdEEEEPS6_SG_NS0_5tupleIJSF_S6_EEENSH_IJSG_SG_EEES6_PlJ7is_evenIdEEEE10hipError_tPvRmT3_T4_T5_T6_T7_T9_mT8_P12ihipStream_tbDpT10_ENKUlT_T0_E_clISt17integral_constantIbLb0EES16_EEDaS11_S12_EUlS11_E_NS1_11comp_targetILNS1_3genE2ELNS1_11target_archE906ELNS1_3gpuE6ELNS1_3repE0EEENS1_30default_config_static_selectorELNS0_4arch9wavefront6targetE0EEEvT1_
	.p2align	8
	.type	_ZN7rocprim17ROCPRIM_400000_NS6detail17trampoline_kernelINS0_14default_configENS1_25partition_config_selectorILNS1_17partition_subalgoE6EdNS0_10empty_typeEbEEZZNS1_14partition_implILS5_6ELb0ES3_mN6thrust23THRUST_200600_302600_NS6detail15normal_iteratorINSA_10device_ptrIdEEEEPS6_SG_NS0_5tupleIJSF_S6_EEENSH_IJSG_SG_EEES6_PlJ7is_evenIdEEEE10hipError_tPvRmT3_T4_T5_T6_T7_T9_mT8_P12ihipStream_tbDpT10_ENKUlT_T0_E_clISt17integral_constantIbLb0EES16_EEDaS11_S12_EUlS11_E_NS1_11comp_targetILNS1_3genE2ELNS1_11target_archE906ELNS1_3gpuE6ELNS1_3repE0EEENS1_30default_config_static_selectorELNS0_4arch9wavefront6targetE0EEEvT1_,@function
_ZN7rocprim17ROCPRIM_400000_NS6detail17trampoline_kernelINS0_14default_configENS1_25partition_config_selectorILNS1_17partition_subalgoE6EdNS0_10empty_typeEbEEZZNS1_14partition_implILS5_6ELb0ES3_mN6thrust23THRUST_200600_302600_NS6detail15normal_iteratorINSA_10device_ptrIdEEEEPS6_SG_NS0_5tupleIJSF_S6_EEENSH_IJSG_SG_EEES6_PlJ7is_evenIdEEEE10hipError_tPvRmT3_T4_T5_T6_T7_T9_mT8_P12ihipStream_tbDpT10_ENKUlT_T0_E_clISt17integral_constantIbLb0EES16_EEDaS11_S12_EUlS11_E_NS1_11comp_targetILNS1_3genE2ELNS1_11target_archE906ELNS1_3gpuE6ELNS1_3repE0EEENS1_30default_config_static_selectorELNS0_4arch9wavefront6targetE0EEEvT1_: ; @_ZN7rocprim17ROCPRIM_400000_NS6detail17trampoline_kernelINS0_14default_configENS1_25partition_config_selectorILNS1_17partition_subalgoE6EdNS0_10empty_typeEbEEZZNS1_14partition_implILS5_6ELb0ES3_mN6thrust23THRUST_200600_302600_NS6detail15normal_iteratorINSA_10device_ptrIdEEEEPS6_SG_NS0_5tupleIJSF_S6_EEENSH_IJSG_SG_EEES6_PlJ7is_evenIdEEEE10hipError_tPvRmT3_T4_T5_T6_T7_T9_mT8_P12ihipStream_tbDpT10_ENKUlT_T0_E_clISt17integral_constantIbLb0EES16_EEDaS11_S12_EUlS11_E_NS1_11comp_targetILNS1_3genE2ELNS1_11target_archE906ELNS1_3gpuE6ELNS1_3repE0EEENS1_30default_config_static_selectorELNS0_4arch9wavefront6targetE0EEEvT1_
; %bb.0:
	.section	.rodata,"a",@progbits
	.p2align	6, 0x0
	.amdhsa_kernel _ZN7rocprim17ROCPRIM_400000_NS6detail17trampoline_kernelINS0_14default_configENS1_25partition_config_selectorILNS1_17partition_subalgoE6EdNS0_10empty_typeEbEEZZNS1_14partition_implILS5_6ELb0ES3_mN6thrust23THRUST_200600_302600_NS6detail15normal_iteratorINSA_10device_ptrIdEEEEPS6_SG_NS0_5tupleIJSF_S6_EEENSH_IJSG_SG_EEES6_PlJ7is_evenIdEEEE10hipError_tPvRmT3_T4_T5_T6_T7_T9_mT8_P12ihipStream_tbDpT10_ENKUlT_T0_E_clISt17integral_constantIbLb0EES16_EEDaS11_S12_EUlS11_E_NS1_11comp_targetILNS1_3genE2ELNS1_11target_archE906ELNS1_3gpuE6ELNS1_3repE0EEENS1_30default_config_static_selectorELNS0_4arch9wavefront6targetE0EEEvT1_
		.amdhsa_group_segment_fixed_size 0
		.amdhsa_private_segment_fixed_size 0
		.amdhsa_kernarg_size 112
		.amdhsa_user_sgpr_count 15
		.amdhsa_user_sgpr_dispatch_ptr 0
		.amdhsa_user_sgpr_queue_ptr 0
		.amdhsa_user_sgpr_kernarg_segment_ptr 1
		.amdhsa_user_sgpr_dispatch_id 0
		.amdhsa_user_sgpr_private_segment_size 0
		.amdhsa_wavefront_size32 1
		.amdhsa_uses_dynamic_stack 0
		.amdhsa_enable_private_segment 0
		.amdhsa_system_sgpr_workgroup_id_x 1
		.amdhsa_system_sgpr_workgroup_id_y 0
		.amdhsa_system_sgpr_workgroup_id_z 0
		.amdhsa_system_sgpr_workgroup_info 0
		.amdhsa_system_vgpr_workitem_id 0
		.amdhsa_next_free_vgpr 1
		.amdhsa_next_free_sgpr 1
		.amdhsa_reserve_vcc 0
		.amdhsa_float_round_mode_32 0
		.amdhsa_float_round_mode_16_64 0
		.amdhsa_float_denorm_mode_32 3
		.amdhsa_float_denorm_mode_16_64 3
		.amdhsa_dx10_clamp 1
		.amdhsa_ieee_mode 1
		.amdhsa_fp16_overflow 0
		.amdhsa_workgroup_processor_mode 1
		.amdhsa_memory_ordered 1
		.amdhsa_forward_progress 0
		.amdhsa_shared_vgpr_count 0
		.amdhsa_exception_fp_ieee_invalid_op 0
		.amdhsa_exception_fp_denorm_src 0
		.amdhsa_exception_fp_ieee_div_zero 0
		.amdhsa_exception_fp_ieee_overflow 0
		.amdhsa_exception_fp_ieee_underflow 0
		.amdhsa_exception_fp_ieee_inexact 0
		.amdhsa_exception_int_div_zero 0
	.end_amdhsa_kernel
	.section	.text._ZN7rocprim17ROCPRIM_400000_NS6detail17trampoline_kernelINS0_14default_configENS1_25partition_config_selectorILNS1_17partition_subalgoE6EdNS0_10empty_typeEbEEZZNS1_14partition_implILS5_6ELb0ES3_mN6thrust23THRUST_200600_302600_NS6detail15normal_iteratorINSA_10device_ptrIdEEEEPS6_SG_NS0_5tupleIJSF_S6_EEENSH_IJSG_SG_EEES6_PlJ7is_evenIdEEEE10hipError_tPvRmT3_T4_T5_T6_T7_T9_mT8_P12ihipStream_tbDpT10_ENKUlT_T0_E_clISt17integral_constantIbLb0EES16_EEDaS11_S12_EUlS11_E_NS1_11comp_targetILNS1_3genE2ELNS1_11target_archE906ELNS1_3gpuE6ELNS1_3repE0EEENS1_30default_config_static_selectorELNS0_4arch9wavefront6targetE0EEEvT1_,"axG",@progbits,_ZN7rocprim17ROCPRIM_400000_NS6detail17trampoline_kernelINS0_14default_configENS1_25partition_config_selectorILNS1_17partition_subalgoE6EdNS0_10empty_typeEbEEZZNS1_14partition_implILS5_6ELb0ES3_mN6thrust23THRUST_200600_302600_NS6detail15normal_iteratorINSA_10device_ptrIdEEEEPS6_SG_NS0_5tupleIJSF_S6_EEENSH_IJSG_SG_EEES6_PlJ7is_evenIdEEEE10hipError_tPvRmT3_T4_T5_T6_T7_T9_mT8_P12ihipStream_tbDpT10_ENKUlT_T0_E_clISt17integral_constantIbLb0EES16_EEDaS11_S12_EUlS11_E_NS1_11comp_targetILNS1_3genE2ELNS1_11target_archE906ELNS1_3gpuE6ELNS1_3repE0EEENS1_30default_config_static_selectorELNS0_4arch9wavefront6targetE0EEEvT1_,comdat
.Lfunc_end193:
	.size	_ZN7rocprim17ROCPRIM_400000_NS6detail17trampoline_kernelINS0_14default_configENS1_25partition_config_selectorILNS1_17partition_subalgoE6EdNS0_10empty_typeEbEEZZNS1_14partition_implILS5_6ELb0ES3_mN6thrust23THRUST_200600_302600_NS6detail15normal_iteratorINSA_10device_ptrIdEEEEPS6_SG_NS0_5tupleIJSF_S6_EEENSH_IJSG_SG_EEES6_PlJ7is_evenIdEEEE10hipError_tPvRmT3_T4_T5_T6_T7_T9_mT8_P12ihipStream_tbDpT10_ENKUlT_T0_E_clISt17integral_constantIbLb0EES16_EEDaS11_S12_EUlS11_E_NS1_11comp_targetILNS1_3genE2ELNS1_11target_archE906ELNS1_3gpuE6ELNS1_3repE0EEENS1_30default_config_static_selectorELNS0_4arch9wavefront6targetE0EEEvT1_, .Lfunc_end193-_ZN7rocprim17ROCPRIM_400000_NS6detail17trampoline_kernelINS0_14default_configENS1_25partition_config_selectorILNS1_17partition_subalgoE6EdNS0_10empty_typeEbEEZZNS1_14partition_implILS5_6ELb0ES3_mN6thrust23THRUST_200600_302600_NS6detail15normal_iteratorINSA_10device_ptrIdEEEEPS6_SG_NS0_5tupleIJSF_S6_EEENSH_IJSG_SG_EEES6_PlJ7is_evenIdEEEE10hipError_tPvRmT3_T4_T5_T6_T7_T9_mT8_P12ihipStream_tbDpT10_ENKUlT_T0_E_clISt17integral_constantIbLb0EES16_EEDaS11_S12_EUlS11_E_NS1_11comp_targetILNS1_3genE2ELNS1_11target_archE906ELNS1_3gpuE6ELNS1_3repE0EEENS1_30default_config_static_selectorELNS0_4arch9wavefront6targetE0EEEvT1_
                                        ; -- End function
	.section	.AMDGPU.csdata,"",@progbits
; Kernel info:
; codeLenInByte = 0
; NumSgprs: 0
; NumVgprs: 0
; ScratchSize: 0
; MemoryBound: 0
; FloatMode: 240
; IeeeMode: 1
; LDSByteSize: 0 bytes/workgroup (compile time only)
; SGPRBlocks: 0
; VGPRBlocks: 0
; NumSGPRsForWavesPerEU: 1
; NumVGPRsForWavesPerEU: 1
; Occupancy: 16
; WaveLimiterHint : 0
; COMPUTE_PGM_RSRC2:SCRATCH_EN: 0
; COMPUTE_PGM_RSRC2:USER_SGPR: 15
; COMPUTE_PGM_RSRC2:TRAP_HANDLER: 0
; COMPUTE_PGM_RSRC2:TGID_X_EN: 1
; COMPUTE_PGM_RSRC2:TGID_Y_EN: 0
; COMPUTE_PGM_RSRC2:TGID_Z_EN: 0
; COMPUTE_PGM_RSRC2:TIDIG_COMP_CNT: 0
	.section	.text._ZN7rocprim17ROCPRIM_400000_NS6detail17trampoline_kernelINS0_14default_configENS1_25partition_config_selectorILNS1_17partition_subalgoE6EdNS0_10empty_typeEbEEZZNS1_14partition_implILS5_6ELb0ES3_mN6thrust23THRUST_200600_302600_NS6detail15normal_iteratorINSA_10device_ptrIdEEEEPS6_SG_NS0_5tupleIJSF_S6_EEENSH_IJSG_SG_EEES6_PlJ7is_evenIdEEEE10hipError_tPvRmT3_T4_T5_T6_T7_T9_mT8_P12ihipStream_tbDpT10_ENKUlT_T0_E_clISt17integral_constantIbLb0EES16_EEDaS11_S12_EUlS11_E_NS1_11comp_targetILNS1_3genE10ELNS1_11target_archE1200ELNS1_3gpuE4ELNS1_3repE0EEENS1_30default_config_static_selectorELNS0_4arch9wavefront6targetE0EEEvT1_,"axG",@progbits,_ZN7rocprim17ROCPRIM_400000_NS6detail17trampoline_kernelINS0_14default_configENS1_25partition_config_selectorILNS1_17partition_subalgoE6EdNS0_10empty_typeEbEEZZNS1_14partition_implILS5_6ELb0ES3_mN6thrust23THRUST_200600_302600_NS6detail15normal_iteratorINSA_10device_ptrIdEEEEPS6_SG_NS0_5tupleIJSF_S6_EEENSH_IJSG_SG_EEES6_PlJ7is_evenIdEEEE10hipError_tPvRmT3_T4_T5_T6_T7_T9_mT8_P12ihipStream_tbDpT10_ENKUlT_T0_E_clISt17integral_constantIbLb0EES16_EEDaS11_S12_EUlS11_E_NS1_11comp_targetILNS1_3genE10ELNS1_11target_archE1200ELNS1_3gpuE4ELNS1_3repE0EEENS1_30default_config_static_selectorELNS0_4arch9wavefront6targetE0EEEvT1_,comdat
	.protected	_ZN7rocprim17ROCPRIM_400000_NS6detail17trampoline_kernelINS0_14default_configENS1_25partition_config_selectorILNS1_17partition_subalgoE6EdNS0_10empty_typeEbEEZZNS1_14partition_implILS5_6ELb0ES3_mN6thrust23THRUST_200600_302600_NS6detail15normal_iteratorINSA_10device_ptrIdEEEEPS6_SG_NS0_5tupleIJSF_S6_EEENSH_IJSG_SG_EEES6_PlJ7is_evenIdEEEE10hipError_tPvRmT3_T4_T5_T6_T7_T9_mT8_P12ihipStream_tbDpT10_ENKUlT_T0_E_clISt17integral_constantIbLb0EES16_EEDaS11_S12_EUlS11_E_NS1_11comp_targetILNS1_3genE10ELNS1_11target_archE1200ELNS1_3gpuE4ELNS1_3repE0EEENS1_30default_config_static_selectorELNS0_4arch9wavefront6targetE0EEEvT1_ ; -- Begin function _ZN7rocprim17ROCPRIM_400000_NS6detail17trampoline_kernelINS0_14default_configENS1_25partition_config_selectorILNS1_17partition_subalgoE6EdNS0_10empty_typeEbEEZZNS1_14partition_implILS5_6ELb0ES3_mN6thrust23THRUST_200600_302600_NS6detail15normal_iteratorINSA_10device_ptrIdEEEEPS6_SG_NS0_5tupleIJSF_S6_EEENSH_IJSG_SG_EEES6_PlJ7is_evenIdEEEE10hipError_tPvRmT3_T4_T5_T6_T7_T9_mT8_P12ihipStream_tbDpT10_ENKUlT_T0_E_clISt17integral_constantIbLb0EES16_EEDaS11_S12_EUlS11_E_NS1_11comp_targetILNS1_3genE10ELNS1_11target_archE1200ELNS1_3gpuE4ELNS1_3repE0EEENS1_30default_config_static_selectorELNS0_4arch9wavefront6targetE0EEEvT1_
	.globl	_ZN7rocprim17ROCPRIM_400000_NS6detail17trampoline_kernelINS0_14default_configENS1_25partition_config_selectorILNS1_17partition_subalgoE6EdNS0_10empty_typeEbEEZZNS1_14partition_implILS5_6ELb0ES3_mN6thrust23THRUST_200600_302600_NS6detail15normal_iteratorINSA_10device_ptrIdEEEEPS6_SG_NS0_5tupleIJSF_S6_EEENSH_IJSG_SG_EEES6_PlJ7is_evenIdEEEE10hipError_tPvRmT3_T4_T5_T6_T7_T9_mT8_P12ihipStream_tbDpT10_ENKUlT_T0_E_clISt17integral_constantIbLb0EES16_EEDaS11_S12_EUlS11_E_NS1_11comp_targetILNS1_3genE10ELNS1_11target_archE1200ELNS1_3gpuE4ELNS1_3repE0EEENS1_30default_config_static_selectorELNS0_4arch9wavefront6targetE0EEEvT1_
	.p2align	8
	.type	_ZN7rocprim17ROCPRIM_400000_NS6detail17trampoline_kernelINS0_14default_configENS1_25partition_config_selectorILNS1_17partition_subalgoE6EdNS0_10empty_typeEbEEZZNS1_14partition_implILS5_6ELb0ES3_mN6thrust23THRUST_200600_302600_NS6detail15normal_iteratorINSA_10device_ptrIdEEEEPS6_SG_NS0_5tupleIJSF_S6_EEENSH_IJSG_SG_EEES6_PlJ7is_evenIdEEEE10hipError_tPvRmT3_T4_T5_T6_T7_T9_mT8_P12ihipStream_tbDpT10_ENKUlT_T0_E_clISt17integral_constantIbLb0EES16_EEDaS11_S12_EUlS11_E_NS1_11comp_targetILNS1_3genE10ELNS1_11target_archE1200ELNS1_3gpuE4ELNS1_3repE0EEENS1_30default_config_static_selectorELNS0_4arch9wavefront6targetE0EEEvT1_,@function
_ZN7rocprim17ROCPRIM_400000_NS6detail17trampoline_kernelINS0_14default_configENS1_25partition_config_selectorILNS1_17partition_subalgoE6EdNS0_10empty_typeEbEEZZNS1_14partition_implILS5_6ELb0ES3_mN6thrust23THRUST_200600_302600_NS6detail15normal_iteratorINSA_10device_ptrIdEEEEPS6_SG_NS0_5tupleIJSF_S6_EEENSH_IJSG_SG_EEES6_PlJ7is_evenIdEEEE10hipError_tPvRmT3_T4_T5_T6_T7_T9_mT8_P12ihipStream_tbDpT10_ENKUlT_T0_E_clISt17integral_constantIbLb0EES16_EEDaS11_S12_EUlS11_E_NS1_11comp_targetILNS1_3genE10ELNS1_11target_archE1200ELNS1_3gpuE4ELNS1_3repE0EEENS1_30default_config_static_selectorELNS0_4arch9wavefront6targetE0EEEvT1_: ; @_ZN7rocprim17ROCPRIM_400000_NS6detail17trampoline_kernelINS0_14default_configENS1_25partition_config_selectorILNS1_17partition_subalgoE6EdNS0_10empty_typeEbEEZZNS1_14partition_implILS5_6ELb0ES3_mN6thrust23THRUST_200600_302600_NS6detail15normal_iteratorINSA_10device_ptrIdEEEEPS6_SG_NS0_5tupleIJSF_S6_EEENSH_IJSG_SG_EEES6_PlJ7is_evenIdEEEE10hipError_tPvRmT3_T4_T5_T6_T7_T9_mT8_P12ihipStream_tbDpT10_ENKUlT_T0_E_clISt17integral_constantIbLb0EES16_EEDaS11_S12_EUlS11_E_NS1_11comp_targetILNS1_3genE10ELNS1_11target_archE1200ELNS1_3gpuE4ELNS1_3repE0EEENS1_30default_config_static_selectorELNS0_4arch9wavefront6targetE0EEEvT1_
; %bb.0:
	.section	.rodata,"a",@progbits
	.p2align	6, 0x0
	.amdhsa_kernel _ZN7rocprim17ROCPRIM_400000_NS6detail17trampoline_kernelINS0_14default_configENS1_25partition_config_selectorILNS1_17partition_subalgoE6EdNS0_10empty_typeEbEEZZNS1_14partition_implILS5_6ELb0ES3_mN6thrust23THRUST_200600_302600_NS6detail15normal_iteratorINSA_10device_ptrIdEEEEPS6_SG_NS0_5tupleIJSF_S6_EEENSH_IJSG_SG_EEES6_PlJ7is_evenIdEEEE10hipError_tPvRmT3_T4_T5_T6_T7_T9_mT8_P12ihipStream_tbDpT10_ENKUlT_T0_E_clISt17integral_constantIbLb0EES16_EEDaS11_S12_EUlS11_E_NS1_11comp_targetILNS1_3genE10ELNS1_11target_archE1200ELNS1_3gpuE4ELNS1_3repE0EEENS1_30default_config_static_selectorELNS0_4arch9wavefront6targetE0EEEvT1_
		.amdhsa_group_segment_fixed_size 0
		.amdhsa_private_segment_fixed_size 0
		.amdhsa_kernarg_size 112
		.amdhsa_user_sgpr_count 15
		.amdhsa_user_sgpr_dispatch_ptr 0
		.amdhsa_user_sgpr_queue_ptr 0
		.amdhsa_user_sgpr_kernarg_segment_ptr 1
		.amdhsa_user_sgpr_dispatch_id 0
		.amdhsa_user_sgpr_private_segment_size 0
		.amdhsa_wavefront_size32 1
		.amdhsa_uses_dynamic_stack 0
		.amdhsa_enable_private_segment 0
		.amdhsa_system_sgpr_workgroup_id_x 1
		.amdhsa_system_sgpr_workgroup_id_y 0
		.amdhsa_system_sgpr_workgroup_id_z 0
		.amdhsa_system_sgpr_workgroup_info 0
		.amdhsa_system_vgpr_workitem_id 0
		.amdhsa_next_free_vgpr 1
		.amdhsa_next_free_sgpr 1
		.amdhsa_reserve_vcc 0
		.amdhsa_float_round_mode_32 0
		.amdhsa_float_round_mode_16_64 0
		.amdhsa_float_denorm_mode_32 3
		.amdhsa_float_denorm_mode_16_64 3
		.amdhsa_dx10_clamp 1
		.amdhsa_ieee_mode 1
		.amdhsa_fp16_overflow 0
		.amdhsa_workgroup_processor_mode 1
		.amdhsa_memory_ordered 1
		.amdhsa_forward_progress 0
		.amdhsa_shared_vgpr_count 0
		.amdhsa_exception_fp_ieee_invalid_op 0
		.amdhsa_exception_fp_denorm_src 0
		.amdhsa_exception_fp_ieee_div_zero 0
		.amdhsa_exception_fp_ieee_overflow 0
		.amdhsa_exception_fp_ieee_underflow 0
		.amdhsa_exception_fp_ieee_inexact 0
		.amdhsa_exception_int_div_zero 0
	.end_amdhsa_kernel
	.section	.text._ZN7rocprim17ROCPRIM_400000_NS6detail17trampoline_kernelINS0_14default_configENS1_25partition_config_selectorILNS1_17partition_subalgoE6EdNS0_10empty_typeEbEEZZNS1_14partition_implILS5_6ELb0ES3_mN6thrust23THRUST_200600_302600_NS6detail15normal_iteratorINSA_10device_ptrIdEEEEPS6_SG_NS0_5tupleIJSF_S6_EEENSH_IJSG_SG_EEES6_PlJ7is_evenIdEEEE10hipError_tPvRmT3_T4_T5_T6_T7_T9_mT8_P12ihipStream_tbDpT10_ENKUlT_T0_E_clISt17integral_constantIbLb0EES16_EEDaS11_S12_EUlS11_E_NS1_11comp_targetILNS1_3genE10ELNS1_11target_archE1200ELNS1_3gpuE4ELNS1_3repE0EEENS1_30default_config_static_selectorELNS0_4arch9wavefront6targetE0EEEvT1_,"axG",@progbits,_ZN7rocprim17ROCPRIM_400000_NS6detail17trampoline_kernelINS0_14default_configENS1_25partition_config_selectorILNS1_17partition_subalgoE6EdNS0_10empty_typeEbEEZZNS1_14partition_implILS5_6ELb0ES3_mN6thrust23THRUST_200600_302600_NS6detail15normal_iteratorINSA_10device_ptrIdEEEEPS6_SG_NS0_5tupleIJSF_S6_EEENSH_IJSG_SG_EEES6_PlJ7is_evenIdEEEE10hipError_tPvRmT3_T4_T5_T6_T7_T9_mT8_P12ihipStream_tbDpT10_ENKUlT_T0_E_clISt17integral_constantIbLb0EES16_EEDaS11_S12_EUlS11_E_NS1_11comp_targetILNS1_3genE10ELNS1_11target_archE1200ELNS1_3gpuE4ELNS1_3repE0EEENS1_30default_config_static_selectorELNS0_4arch9wavefront6targetE0EEEvT1_,comdat
.Lfunc_end194:
	.size	_ZN7rocprim17ROCPRIM_400000_NS6detail17trampoline_kernelINS0_14default_configENS1_25partition_config_selectorILNS1_17partition_subalgoE6EdNS0_10empty_typeEbEEZZNS1_14partition_implILS5_6ELb0ES3_mN6thrust23THRUST_200600_302600_NS6detail15normal_iteratorINSA_10device_ptrIdEEEEPS6_SG_NS0_5tupleIJSF_S6_EEENSH_IJSG_SG_EEES6_PlJ7is_evenIdEEEE10hipError_tPvRmT3_T4_T5_T6_T7_T9_mT8_P12ihipStream_tbDpT10_ENKUlT_T0_E_clISt17integral_constantIbLb0EES16_EEDaS11_S12_EUlS11_E_NS1_11comp_targetILNS1_3genE10ELNS1_11target_archE1200ELNS1_3gpuE4ELNS1_3repE0EEENS1_30default_config_static_selectorELNS0_4arch9wavefront6targetE0EEEvT1_, .Lfunc_end194-_ZN7rocprim17ROCPRIM_400000_NS6detail17trampoline_kernelINS0_14default_configENS1_25partition_config_selectorILNS1_17partition_subalgoE6EdNS0_10empty_typeEbEEZZNS1_14partition_implILS5_6ELb0ES3_mN6thrust23THRUST_200600_302600_NS6detail15normal_iteratorINSA_10device_ptrIdEEEEPS6_SG_NS0_5tupleIJSF_S6_EEENSH_IJSG_SG_EEES6_PlJ7is_evenIdEEEE10hipError_tPvRmT3_T4_T5_T6_T7_T9_mT8_P12ihipStream_tbDpT10_ENKUlT_T0_E_clISt17integral_constantIbLb0EES16_EEDaS11_S12_EUlS11_E_NS1_11comp_targetILNS1_3genE10ELNS1_11target_archE1200ELNS1_3gpuE4ELNS1_3repE0EEENS1_30default_config_static_selectorELNS0_4arch9wavefront6targetE0EEEvT1_
                                        ; -- End function
	.section	.AMDGPU.csdata,"",@progbits
; Kernel info:
; codeLenInByte = 0
; NumSgprs: 0
; NumVgprs: 0
; ScratchSize: 0
; MemoryBound: 0
; FloatMode: 240
; IeeeMode: 1
; LDSByteSize: 0 bytes/workgroup (compile time only)
; SGPRBlocks: 0
; VGPRBlocks: 0
; NumSGPRsForWavesPerEU: 1
; NumVGPRsForWavesPerEU: 1
; Occupancy: 16
; WaveLimiterHint : 0
; COMPUTE_PGM_RSRC2:SCRATCH_EN: 0
; COMPUTE_PGM_RSRC2:USER_SGPR: 15
; COMPUTE_PGM_RSRC2:TRAP_HANDLER: 0
; COMPUTE_PGM_RSRC2:TGID_X_EN: 1
; COMPUTE_PGM_RSRC2:TGID_Y_EN: 0
; COMPUTE_PGM_RSRC2:TGID_Z_EN: 0
; COMPUTE_PGM_RSRC2:TIDIG_COMP_CNT: 0
	.section	.text._ZN7rocprim17ROCPRIM_400000_NS6detail17trampoline_kernelINS0_14default_configENS1_25partition_config_selectorILNS1_17partition_subalgoE6EdNS0_10empty_typeEbEEZZNS1_14partition_implILS5_6ELb0ES3_mN6thrust23THRUST_200600_302600_NS6detail15normal_iteratorINSA_10device_ptrIdEEEEPS6_SG_NS0_5tupleIJSF_S6_EEENSH_IJSG_SG_EEES6_PlJ7is_evenIdEEEE10hipError_tPvRmT3_T4_T5_T6_T7_T9_mT8_P12ihipStream_tbDpT10_ENKUlT_T0_E_clISt17integral_constantIbLb0EES16_EEDaS11_S12_EUlS11_E_NS1_11comp_targetILNS1_3genE9ELNS1_11target_archE1100ELNS1_3gpuE3ELNS1_3repE0EEENS1_30default_config_static_selectorELNS0_4arch9wavefront6targetE0EEEvT1_,"axG",@progbits,_ZN7rocprim17ROCPRIM_400000_NS6detail17trampoline_kernelINS0_14default_configENS1_25partition_config_selectorILNS1_17partition_subalgoE6EdNS0_10empty_typeEbEEZZNS1_14partition_implILS5_6ELb0ES3_mN6thrust23THRUST_200600_302600_NS6detail15normal_iteratorINSA_10device_ptrIdEEEEPS6_SG_NS0_5tupleIJSF_S6_EEENSH_IJSG_SG_EEES6_PlJ7is_evenIdEEEE10hipError_tPvRmT3_T4_T5_T6_T7_T9_mT8_P12ihipStream_tbDpT10_ENKUlT_T0_E_clISt17integral_constantIbLb0EES16_EEDaS11_S12_EUlS11_E_NS1_11comp_targetILNS1_3genE9ELNS1_11target_archE1100ELNS1_3gpuE3ELNS1_3repE0EEENS1_30default_config_static_selectorELNS0_4arch9wavefront6targetE0EEEvT1_,comdat
	.protected	_ZN7rocprim17ROCPRIM_400000_NS6detail17trampoline_kernelINS0_14default_configENS1_25partition_config_selectorILNS1_17partition_subalgoE6EdNS0_10empty_typeEbEEZZNS1_14partition_implILS5_6ELb0ES3_mN6thrust23THRUST_200600_302600_NS6detail15normal_iteratorINSA_10device_ptrIdEEEEPS6_SG_NS0_5tupleIJSF_S6_EEENSH_IJSG_SG_EEES6_PlJ7is_evenIdEEEE10hipError_tPvRmT3_T4_T5_T6_T7_T9_mT8_P12ihipStream_tbDpT10_ENKUlT_T0_E_clISt17integral_constantIbLb0EES16_EEDaS11_S12_EUlS11_E_NS1_11comp_targetILNS1_3genE9ELNS1_11target_archE1100ELNS1_3gpuE3ELNS1_3repE0EEENS1_30default_config_static_selectorELNS0_4arch9wavefront6targetE0EEEvT1_ ; -- Begin function _ZN7rocprim17ROCPRIM_400000_NS6detail17trampoline_kernelINS0_14default_configENS1_25partition_config_selectorILNS1_17partition_subalgoE6EdNS0_10empty_typeEbEEZZNS1_14partition_implILS5_6ELb0ES3_mN6thrust23THRUST_200600_302600_NS6detail15normal_iteratorINSA_10device_ptrIdEEEEPS6_SG_NS0_5tupleIJSF_S6_EEENSH_IJSG_SG_EEES6_PlJ7is_evenIdEEEE10hipError_tPvRmT3_T4_T5_T6_T7_T9_mT8_P12ihipStream_tbDpT10_ENKUlT_T0_E_clISt17integral_constantIbLb0EES16_EEDaS11_S12_EUlS11_E_NS1_11comp_targetILNS1_3genE9ELNS1_11target_archE1100ELNS1_3gpuE3ELNS1_3repE0EEENS1_30default_config_static_selectorELNS0_4arch9wavefront6targetE0EEEvT1_
	.globl	_ZN7rocprim17ROCPRIM_400000_NS6detail17trampoline_kernelINS0_14default_configENS1_25partition_config_selectorILNS1_17partition_subalgoE6EdNS0_10empty_typeEbEEZZNS1_14partition_implILS5_6ELb0ES3_mN6thrust23THRUST_200600_302600_NS6detail15normal_iteratorINSA_10device_ptrIdEEEEPS6_SG_NS0_5tupleIJSF_S6_EEENSH_IJSG_SG_EEES6_PlJ7is_evenIdEEEE10hipError_tPvRmT3_T4_T5_T6_T7_T9_mT8_P12ihipStream_tbDpT10_ENKUlT_T0_E_clISt17integral_constantIbLb0EES16_EEDaS11_S12_EUlS11_E_NS1_11comp_targetILNS1_3genE9ELNS1_11target_archE1100ELNS1_3gpuE3ELNS1_3repE0EEENS1_30default_config_static_selectorELNS0_4arch9wavefront6targetE0EEEvT1_
	.p2align	8
	.type	_ZN7rocprim17ROCPRIM_400000_NS6detail17trampoline_kernelINS0_14default_configENS1_25partition_config_selectorILNS1_17partition_subalgoE6EdNS0_10empty_typeEbEEZZNS1_14partition_implILS5_6ELb0ES3_mN6thrust23THRUST_200600_302600_NS6detail15normal_iteratorINSA_10device_ptrIdEEEEPS6_SG_NS0_5tupleIJSF_S6_EEENSH_IJSG_SG_EEES6_PlJ7is_evenIdEEEE10hipError_tPvRmT3_T4_T5_T6_T7_T9_mT8_P12ihipStream_tbDpT10_ENKUlT_T0_E_clISt17integral_constantIbLb0EES16_EEDaS11_S12_EUlS11_E_NS1_11comp_targetILNS1_3genE9ELNS1_11target_archE1100ELNS1_3gpuE3ELNS1_3repE0EEENS1_30default_config_static_selectorELNS0_4arch9wavefront6targetE0EEEvT1_,@function
_ZN7rocprim17ROCPRIM_400000_NS6detail17trampoline_kernelINS0_14default_configENS1_25partition_config_selectorILNS1_17partition_subalgoE6EdNS0_10empty_typeEbEEZZNS1_14partition_implILS5_6ELb0ES3_mN6thrust23THRUST_200600_302600_NS6detail15normal_iteratorINSA_10device_ptrIdEEEEPS6_SG_NS0_5tupleIJSF_S6_EEENSH_IJSG_SG_EEES6_PlJ7is_evenIdEEEE10hipError_tPvRmT3_T4_T5_T6_T7_T9_mT8_P12ihipStream_tbDpT10_ENKUlT_T0_E_clISt17integral_constantIbLb0EES16_EEDaS11_S12_EUlS11_E_NS1_11comp_targetILNS1_3genE9ELNS1_11target_archE1100ELNS1_3gpuE3ELNS1_3repE0EEENS1_30default_config_static_selectorELNS0_4arch9wavefront6targetE0EEEvT1_: ; @_ZN7rocprim17ROCPRIM_400000_NS6detail17trampoline_kernelINS0_14default_configENS1_25partition_config_selectorILNS1_17partition_subalgoE6EdNS0_10empty_typeEbEEZZNS1_14partition_implILS5_6ELb0ES3_mN6thrust23THRUST_200600_302600_NS6detail15normal_iteratorINSA_10device_ptrIdEEEEPS6_SG_NS0_5tupleIJSF_S6_EEENSH_IJSG_SG_EEES6_PlJ7is_evenIdEEEE10hipError_tPvRmT3_T4_T5_T6_T7_T9_mT8_P12ihipStream_tbDpT10_ENKUlT_T0_E_clISt17integral_constantIbLb0EES16_EEDaS11_S12_EUlS11_E_NS1_11comp_targetILNS1_3genE9ELNS1_11target_archE1100ELNS1_3gpuE3ELNS1_3repE0EEENS1_30default_config_static_selectorELNS0_4arch9wavefront6targetE0EEEvT1_
; %bb.0:
	s_clause 0x3
	s_load_b128 s[16:19], s[0:1], 0x8
	s_load_b128 s[8:11], s[0:1], 0x40
	s_load_b32 s12, s[0:1], 0x68
	s_load_b64 s[4:5], s[0:1], 0x50
	s_waitcnt lgkmcnt(0)
	s_lshl_b64 s[2:3], s[18:19], 3
	s_load_b64 s[6:7], s[10:11], 0x0
	s_mul_i32 s10, s12, 0x900
	s_add_u32 s14, s16, s2
	s_addc_u32 s16, s17, s3
	s_add_i32 s2, s10, s18
	s_add_i32 s12, s12, -1
	s_sub_i32 s2, s4, s2
	s_add_u32 s10, s18, s10
	s_addc_u32 s11, s19, 0
	s_cmp_eq_u32 s15, s12
	v_cmp_ge_u64_e64 s3, s[10:11], s[4:5]
	s_cselect_b32 s12, -1, 0
	s_mov_b32 s5, 0
	s_mul_i32 s4, s15, 0x900
	s_delay_alu instid0(SALU_CYCLE_1) | instskip(NEXT) | instid1(VALU_DEP_1)
	s_lshl_b64 s[4:5], s[4:5], 3
	s_and_b32 s3, s12, s3
	s_delay_alu instid0(SALU_CYCLE_1)
	s_xor_b32 s13, s3, -1
	s_add_u32 s3, s14, s4
	s_addc_u32 s4, s16, s5
	s_and_b32 vcc_lo, exec_lo, s13
	s_mov_b32 s5, -1
	s_cbranch_vccz .LBB195_2
; %bb.1:
	v_lshlrev_b32_e32 v13, 3, v0
	s_delay_alu instid0(VALU_DEP_1) | instskip(NEXT) | instid1(VALU_DEP_1)
	v_add_co_u32 v1, s5, s3, v13
	v_add_co_ci_u32_e64 v2, null, s4, 0, s5
	s_mov_b32 s5, 0
	s_delay_alu instid0(VALU_DEP_2) | instskip(NEXT) | instid1(VALU_DEP_2)
	v_add_co_u32 v3, vcc_lo, 0x1000, v1
	v_add_co_ci_u32_e32 v4, vcc_lo, 0, v2, vcc_lo
	v_add_co_u32 v5, vcc_lo, 0x2000, v1
	v_add_co_ci_u32_e32 v6, vcc_lo, 0, v2, vcc_lo
	;; [unrolled: 2-line block ×3, first 2 shown]
	s_clause 0x5
	flat_load_b64 v[9:10], v[1:2]
	flat_load_b64 v[1:2], v[1:2] offset:3072
	flat_load_b64 v[3:4], v[3:4] offset:2048
	;; [unrolled: 1-line block ×3, first 2 shown]
	flat_load_b64 v[11:12], v[7:8]
	flat_load_b64 v[7:8], v[7:8] offset:3072
	s_waitcnt vmcnt(4) lgkmcnt(0)
	ds_store_2addr_stride64_b64 v13, v[9:10], v[1:2] offset1:6
	s_waitcnt vmcnt(2)
	ds_store_2addr_stride64_b64 v13, v[3:4], v[5:6] offset0:12 offset1:18
	s_waitcnt vmcnt(0)
	ds_store_2addr_stride64_b64 v13, v[11:12], v[7:8] offset0:24 offset1:30
	s_waitcnt lgkmcnt(0)
	s_barrier
.LBB195_2:
	s_and_not1_b32 vcc_lo, exec_lo, s5
	s_addk_i32 s2, 0x900
	s_cbranch_vccnz .LBB195_16
; %bb.3:
	s_mov_b32 s5, exec_lo
                                        ; implicit-def: $vgpr1_vgpr2_vgpr3_vgpr4_vgpr5_vgpr6_vgpr7_vgpr8_vgpr9_vgpr10_vgpr11_vgpr12_vgpr13_vgpr14_vgpr15_vgpr16
	v_cmpx_gt_u32_e64 s2, v0
	s_cbranch_execz .LBB195_5
; %bb.4:
	v_lshlrev_b32_e32 v1, 3, v0
	s_delay_alu instid0(VALU_DEP_1) | instskip(NEXT) | instid1(VALU_DEP_1)
	v_add_co_u32 v1, s10, s3, v1
	v_add_co_ci_u32_e64 v2, null, s4, 0, s10
	flat_load_b64 v[1:2], v[1:2]
.LBB195_5:
	s_or_b32 exec_lo, exec_lo, s5
	v_add_nc_u32_e32 v13, 0x180, v0
	s_mov_b32 s5, exec_lo
	s_delay_alu instid0(VALU_DEP_1)
	v_cmpx_gt_u32_e64 s2, v13
	s_cbranch_execz .LBB195_7
; %bb.6:
	v_lshlrev_b32_e32 v3, 3, v0
	s_delay_alu instid0(VALU_DEP_1) | instskip(NEXT) | instid1(VALU_DEP_1)
	v_add_co_u32 v3, s10, s3, v3
	v_add_co_ci_u32_e64 v4, null, s4, 0, s10
	flat_load_b64 v[3:4], v[3:4] offset:3072
.LBB195_7:
	s_or_b32 exec_lo, exec_lo, s5
	v_add_nc_u32_e32 v13, 0x300, v0
	s_mov_b32 s5, exec_lo
	s_delay_alu instid0(VALU_DEP_1)
	v_cmpx_gt_u32_e64 s2, v13
	s_cbranch_execz .LBB195_9
; %bb.8:
	v_lshlrev_b32_e32 v5, 3, v13
	s_delay_alu instid0(VALU_DEP_1) | instskip(NEXT) | instid1(VALU_DEP_1)
	v_add_co_u32 v5, s10, s3, v5
	v_add_co_ci_u32_e64 v6, null, s4, 0, s10
	flat_load_b64 v[5:6], v[5:6]
.LBB195_9:
	s_or_b32 exec_lo, exec_lo, s5
	v_add_nc_u32_e32 v13, 0x480, v0
	s_mov_b32 s5, exec_lo
	s_delay_alu instid0(VALU_DEP_1)
	v_cmpx_gt_u32_e64 s2, v13
	s_cbranch_execz .LBB195_11
; %bb.10:
	v_lshlrev_b32_e32 v7, 3, v13
	s_delay_alu instid0(VALU_DEP_1) | instskip(NEXT) | instid1(VALU_DEP_1)
	v_add_co_u32 v7, s10, s3, v7
	v_add_co_ci_u32_e64 v8, null, s4, 0, s10
	flat_load_b64 v[7:8], v[7:8]
.LBB195_11:
	s_or_b32 exec_lo, exec_lo, s5
	v_or_b32_e32 v13, 0x600, v0
	s_mov_b32 s5, exec_lo
	s_delay_alu instid0(VALU_DEP_1)
	v_cmpx_gt_u32_e64 s2, v13
	s_cbranch_execz .LBB195_13
; %bb.12:
	v_lshlrev_b32_e32 v9, 3, v13
	s_delay_alu instid0(VALU_DEP_1) | instskip(NEXT) | instid1(VALU_DEP_1)
	v_add_co_u32 v9, s10, s3, v9
	v_add_co_ci_u32_e64 v10, null, s4, 0, s10
	flat_load_b64 v[9:10], v[9:10]
.LBB195_13:
	s_or_b32 exec_lo, exec_lo, s5
	v_add_nc_u32_e32 v13, 0x780, v0
	s_mov_b32 s5, exec_lo
	s_delay_alu instid0(VALU_DEP_1)
	v_cmpx_gt_u32_e64 s2, v13
	s_cbranch_execz .LBB195_15
; %bb.14:
	v_lshlrev_b32_e32 v11, 3, v13
	s_delay_alu instid0(VALU_DEP_1) | instskip(NEXT) | instid1(VALU_DEP_1)
	v_add_co_u32 v11, s3, s3, v11
	v_add_co_ci_u32_e64 v12, null, s4, 0, s3
	flat_load_b64 v[11:12], v[11:12]
.LBB195_15:
	s_or_b32 exec_lo, exec_lo, s5
	v_lshlrev_b32_e32 v13, 3, v0
	s_waitcnt vmcnt(0) lgkmcnt(0)
	ds_store_2addr_stride64_b64 v13, v[1:2], v[3:4] offset1:6
	ds_store_2addr_stride64_b64 v13, v[5:6], v[7:8] offset0:12 offset1:18
	ds_store_2addr_stride64_b64 v13, v[9:10], v[11:12] offset0:24 offset1:30
	s_waitcnt lgkmcnt(0)
	s_barrier
.LBB195_16:
	v_mul_u32_u24_e32 v13, 6, v0
	s_waitcnt lgkmcnt(0)
	buffer_gl0_inv
	s_and_not1_b32 vcc_lo, exec_lo, s13
	v_lshlrev_b32_e32 v35, 3, v13
	ds_load_b128 v[9:12], v35
	ds_load_b128 v[5:8], v35 offset:16
	ds_load_b128 v[1:4], v35 offset:32
	s_waitcnt lgkmcnt(0)
	s_barrier
	buffer_gl0_inv
	v_cvt_u32_f64_e32 v14, v[9:10]
	v_cvt_u32_f64_e32 v15, v[11:12]
	;; [unrolled: 1-line block ×6, first 2 shown]
	v_xor_b32_e32 v16, -1, v14
	v_xor_b32_e32 v18, -1, v15
	v_xor_b32_e32 v17, -1, v17
	v_xor_b32_e32 v19, -1, v19
	v_xor_b32_e32 v14, -1, v20
	v_xor_b32_e32 v15, -1, v21
	s_cbranch_vccnz .LBB195_18
; %bb.17:
	v_and_b32_e32 v20, 1, v18
	v_and_b32_e32 v21, 1, v19
	;; [unrolled: 1-line block ×5, first 2 shown]
	v_lshlrev_b16 v20, 8, v20
	v_lshlrev_b16 v21, 8, v21
	v_and_b32_e32 v31, 1, v15
	s_delay_alu instid0(VALU_DEP_3) | instskip(NEXT) | instid1(VALU_DEP_3)
	v_or_b32_e32 v20, v22, v20
	v_or_b32_e32 v21, v23, v21
	s_delay_alu instid0(VALU_DEP_2) | instskip(NEXT) | instid1(VALU_DEP_2)
	v_and_b32_e32 v20, 0xffff, v20
	v_lshlrev_b32_e32 v21, 16, v21
	s_delay_alu instid0(VALU_DEP_1)
	v_or_b32_e32 v34, v20, v21
	s_load_b64 s[10:11], s[0:1], 0x60
	s_cbranch_execz .LBB195_19
	s_branch .LBB195_20
.LBB195_18:
                                        ; implicit-def: $vgpr31
                                        ; implicit-def: $vgpr32
                                        ; implicit-def: $vgpr34
	s_load_b64 s[10:11], s[0:1], 0x60
.LBB195_19:
	v_or_b32_e32 v20, 1, v13
	v_add_nc_u32_e32 v21, 3, v13
	v_add_nc_u32_e32 v22, 2, v13
	s_delay_alu instid0(VALU_DEP_3) | instskip(SKIP_1) | instid1(VALU_DEP_4)
	v_cmp_gt_u32_e32 vcc_lo, s2, v20
	v_cndmask_b32_e64 v20, 0, 1, vcc_lo
	v_cmp_gt_u32_e32 vcc_lo, s2, v21
	s_delay_alu instid0(VALU_DEP_2)
	v_and_b32_e32 v18, v20, v18
	v_cndmask_b32_e64 v21, 0, 1, vcc_lo
	v_cmp_gt_u32_e32 vcc_lo, s2, v13
	v_add_nc_u32_e32 v20, 4, v13
	v_add_nc_u32_e32 v13, 5, v13
	v_lshlrev_b16 v18, 8, v18
	v_and_b32_e32 v19, v21, v19
	v_cndmask_b32_e64 v23, 0, 1, vcc_lo
	v_cmp_gt_u32_e32 vcc_lo, s2, v22
	s_delay_alu instid0(VALU_DEP_3) | instskip(NEXT) | instid1(VALU_DEP_3)
	v_lshlrev_b16 v19, 8, v19
	v_and_b32_e32 v16, v23, v16
	v_cndmask_b32_e64 v22, 0, 1, vcc_lo
	v_cmp_gt_u32_e32 vcc_lo, s2, v20
	s_delay_alu instid0(VALU_DEP_3) | instskip(NEXT) | instid1(VALU_DEP_3)
	v_or_b32_e32 v16, v16, v18
	v_and_b32_e32 v17, v22, v17
	v_cndmask_b32_e64 v18, 0, 1, vcc_lo
	v_cmp_gt_u32_e32 vcc_lo, s2, v13
	s_delay_alu instid0(VALU_DEP_4) | instskip(NEXT) | instid1(VALU_DEP_4)
	v_and_b32_e32 v16, 0xffff, v16
	v_or_b32_e32 v17, v17, v19
	s_delay_alu instid0(VALU_DEP_4) | instskip(SKIP_1) | instid1(VALU_DEP_3)
	v_and_b32_e32 v32, v18, v14
	v_cndmask_b32_e64 v13, 0, 1, vcc_lo
	v_lshlrev_b32_e32 v17, 16, v17
	s_delay_alu instid0(VALU_DEP_2) | instskip(NEXT) | instid1(VALU_DEP_2)
	v_and_b32_e32 v31, v13, v15
	v_or_b32_e32 v34, v16, v17
.LBB195_20:
	s_delay_alu instid0(VALU_DEP_1)
	v_dual_mov_b32 v14, 0 :: v_dual_and_b32 v39, 0xff, v34
	v_bfe_u32 v38, v34, 8, 8
	v_bfe_u32 v37, v34, 16, 8
	v_lshrrev_b32_e32 v33, 24, v34
	v_and_b32_e32 v36, 0xff, v32
	v_mbcnt_lo_u32_b32 v40, -1, 0
	v_add_co_u32 v13, s2, v38, v39
	s_delay_alu instid0(VALU_DEP_1) | instskip(SKIP_1) | instid1(VALU_DEP_3)
	v_add_co_ci_u32_e64 v15, null, 0, 0, s2
	v_and_b32_e32 v16, 0xff, v31
	v_add_co_u32 v13, vcc_lo, v13, v37
	s_delay_alu instid0(VALU_DEP_3) | instskip(SKIP_1) | instid1(VALU_DEP_3)
	v_add_co_ci_u32_e32 v15, vcc_lo, 0, v15, vcc_lo
	v_and_b32_e32 v41, 15, v40
	v_add_co_u32 v13, vcc_lo, v13, v33
	s_delay_alu instid0(VALU_DEP_3) | instskip(NEXT) | instid1(VALU_DEP_3)
	v_add_co_ci_u32_e32 v15, vcc_lo, 0, v15, vcc_lo
	v_cmp_ne_u32_e64 s2, 0, v41
	s_delay_alu instid0(VALU_DEP_3) | instskip(NEXT) | instid1(VALU_DEP_3)
	v_add_co_u32 v13, vcc_lo, v13, v36
	v_add_co_ci_u32_e32 v15, vcc_lo, 0, v15, vcc_lo
	s_cmp_lg_u32 s15, 0
	s_delay_alu instid0(VALU_DEP_2) | instskip(NEXT) | instid1(VALU_DEP_2)
	v_add_co_u32 v21, vcc_lo, v13, v16
	v_add_co_ci_u32_e32 v22, vcc_lo, 0, v15, vcc_lo
	s_mov_b32 s3, -1
	s_cbranch_scc0 .LBB195_84
; %bb.21:
	s_delay_alu instid0(VALU_DEP_2)
	v_mov_b32_e32 v15, v21
	v_mov_b32_dpp v13, v21 row_shr:1 row_mask:0xf bank_mask:0xf
	v_mov_b32_dpp v18, v14 row_shr:1 row_mask:0xf bank_mask:0xf
	v_dual_mov_b32 v17, v21 :: v_dual_mov_b32 v16, v22
	s_and_saveexec_b32 s3, s2
; %bb.22:
	s_delay_alu instid0(VALU_DEP_3) | instskip(SKIP_1) | instid1(VALU_DEP_2)
	v_add_co_u32 v17, vcc_lo, v21, v13
	v_add_co_ci_u32_e32 v14, vcc_lo, 0, v22, vcc_lo
	v_add_co_u32 v13, vcc_lo, 0, v17
	s_delay_alu instid0(VALU_DEP_2) | instskip(NEXT) | instid1(VALU_DEP_1)
	v_add_co_ci_u32_e32 v14, vcc_lo, v18, v14, vcc_lo
	v_dual_mov_b32 v16, v14 :: v_dual_mov_b32 v15, v13
; %bb.23:
	s_or_b32 exec_lo, exec_lo, s3
	v_mov_b32_dpp v13, v17 row_shr:2 row_mask:0xf bank_mask:0xf
	v_mov_b32_dpp v18, v14 row_shr:2 row_mask:0xf bank_mask:0xf
	v_cmp_lt_u32_e32 vcc_lo, 1, v41
	s_and_saveexec_b32 s4, vcc_lo
; %bb.24:
	s_delay_alu instid0(VALU_DEP_3) | instskip(NEXT) | instid1(VALU_DEP_1)
	v_add_co_u32 v17, s3, v15, v13
	v_add_co_ci_u32_e64 v14, s3, 0, v16, s3
	s_delay_alu instid0(VALU_DEP_2) | instskip(NEXT) | instid1(VALU_DEP_1)
	v_add_co_u32 v13, s3, 0, v17
	v_add_co_ci_u32_e64 v14, s3, v18, v14, s3
	s_delay_alu instid0(VALU_DEP_1)
	v_dual_mov_b32 v16, v14 :: v_dual_mov_b32 v15, v13
; %bb.25:
	s_or_b32 exec_lo, exec_lo, s4
	v_mov_b32_dpp v13, v17 row_shr:4 row_mask:0xf bank_mask:0xf
	v_mov_b32_dpp v18, v14 row_shr:4 row_mask:0xf bank_mask:0xf
	v_cmp_lt_u32_e64 s3, 3, v41
	s_delay_alu instid0(VALU_DEP_1)
	s_and_saveexec_b32 s5, s3
; %bb.26:
	s_delay_alu instid0(VALU_DEP_3) | instskip(NEXT) | instid1(VALU_DEP_1)
	v_add_co_u32 v17, s4, v15, v13
	v_add_co_ci_u32_e64 v14, s4, 0, v16, s4
	s_delay_alu instid0(VALU_DEP_2) | instskip(NEXT) | instid1(VALU_DEP_1)
	v_add_co_u32 v13, s4, 0, v17
	v_add_co_ci_u32_e64 v14, s4, v18, v14, s4
	s_delay_alu instid0(VALU_DEP_1)
	v_dual_mov_b32 v16, v14 :: v_dual_mov_b32 v15, v13
; %bb.27:
	s_or_b32 exec_lo, exec_lo, s5
	v_mov_b32_dpp v18, v17 row_shr:8 row_mask:0xf bank_mask:0xf
	v_mov_b32_dpp v13, v14 row_shr:8 row_mask:0xf bank_mask:0xf
	v_cmp_lt_u32_e64 s4, 7, v41
	s_delay_alu instid0(VALU_DEP_1)
	s_and_saveexec_b32 s14, s4
; %bb.28:
	s_delay_alu instid0(VALU_DEP_3) | instskip(NEXT) | instid1(VALU_DEP_1)
	v_add_co_u32 v17, s5, v15, v18
	v_add_co_ci_u32_e64 v14, s5, 0, v16, s5
	s_delay_alu instid0(VALU_DEP_2) | instskip(NEXT) | instid1(VALU_DEP_1)
	v_add_co_u32 v15, s5, 0, v17
	v_add_co_ci_u32_e64 v16, s5, v13, v14, s5
	s_delay_alu instid0(VALU_DEP_1)
	v_mov_b32_e32 v14, v16
; %bb.29:
	s_or_b32 exec_lo, exec_lo, s14
	ds_swizzle_b32 v13, v17 offset:swizzle(BROADCAST,32,15)
	ds_swizzle_b32 v18, v14 offset:swizzle(BROADCAST,32,15)
	v_and_b32_e32 v19, 16, v40
	s_mov_b32 s14, exec_lo
	s_delay_alu instid0(VALU_DEP_1)
	v_cmpx_ne_u32_e32 0, v19
	s_cbranch_execz .LBB195_31
; %bb.30:
	s_waitcnt lgkmcnt(0)
	v_add_co_u32 v17, s5, v15, v13
	s_delay_alu instid0(VALU_DEP_1) | instskip(NEXT) | instid1(VALU_DEP_2)
	v_add_co_ci_u32_e64 v14, s5, 0, v16, s5
	v_add_co_u32 v13, s5, 0, v17
	s_delay_alu instid0(VALU_DEP_1) | instskip(NEXT) | instid1(VALU_DEP_1)
	v_add_co_ci_u32_e64 v14, s5, v18, v14, s5
	v_dual_mov_b32 v16, v14 :: v_dual_mov_b32 v15, v13
.LBB195_31:
	s_or_b32 exec_lo, exec_lo, s14
	s_waitcnt lgkmcnt(0)
	v_and_b32_e32 v13, 0x1e0, v0
	s_mov_b32 s14, exec_lo
	s_delay_alu instid0(VALU_DEP_1) | instskip(NEXT) | instid1(VALU_DEP_1)
	v_min_u32_e32 v13, 0x160, v13
	v_or_b32_e32 v18, 31, v13
	v_lshrrev_b32_e32 v13, 5, v0
	s_delay_alu instid0(VALU_DEP_2)
	v_cmpx_eq_u32_e64 v18, v0
	s_cbranch_execz .LBB195_33
; %bb.32:
	s_delay_alu instid0(VALU_DEP_2)
	v_lshlrev_b32_e32 v18, 3, v13
	ds_store_b64 v18, v[15:16]
.LBB195_33:
	s_or_b32 exec_lo, exec_lo, s14
	s_delay_alu instid0(SALU_CYCLE_1)
	s_mov_b32 s14, exec_lo
	s_waitcnt lgkmcnt(0)
	s_barrier
	buffer_gl0_inv
	v_cmpx_gt_u32_e32 12, v0
	s_cbranch_execz .LBB195_43
; %bb.34:
	v_lshlrev_b32_e32 v18, 3, v0
	ds_load_b64 v[15:16], v18
	s_waitcnt lgkmcnt(0)
	v_mov_b32_e32 v19, v15
	v_mov_b32_dpp v23, v15 row_shr:1 row_mask:0xf bank_mask:0xf
	v_mov_b32_dpp v20, v16 row_shr:1 row_mask:0xf bank_mask:0xf
	s_and_saveexec_b32 s16, s2
; %bb.35:
	s_delay_alu instid0(VALU_DEP_2) | instskip(NEXT) | instid1(VALU_DEP_1)
	v_add_co_u32 v19, s5, v15, v23
	v_add_co_ci_u32_e64 v16, s5, 0, v16, s5
	s_delay_alu instid0(VALU_DEP_2) | instskip(NEXT) | instid1(VALU_DEP_1)
	v_add_co_u32 v15, s5, 0, v19
	v_add_co_ci_u32_e64 v16, s5, v20, v16, s5
; %bb.36:
	s_or_b32 exec_lo, exec_lo, s16
	v_mov_b32_dpp v23, v19 row_shr:2 row_mask:0xf bank_mask:0xf
	s_delay_alu instid0(VALU_DEP_2)
	v_mov_b32_dpp v20, v16 row_shr:2 row_mask:0xf bank_mask:0xf
	s_and_saveexec_b32 s5, vcc_lo
; %bb.37:
	s_delay_alu instid0(VALU_DEP_2) | instskip(SKIP_1) | instid1(VALU_DEP_2)
	v_add_co_u32 v19, vcc_lo, v15, v23
	v_add_co_ci_u32_e32 v16, vcc_lo, 0, v16, vcc_lo
	v_add_co_u32 v15, vcc_lo, 0, v19
	s_delay_alu instid0(VALU_DEP_2)
	v_add_co_ci_u32_e32 v16, vcc_lo, v20, v16, vcc_lo
; %bb.38:
	s_or_b32 exec_lo, exec_lo, s5
	v_mov_b32_dpp v23, v19 row_shr:4 row_mask:0xf bank_mask:0xf
	s_delay_alu instid0(VALU_DEP_2)
	v_mov_b32_dpp v20, v16 row_shr:4 row_mask:0xf bank_mask:0xf
	s_and_saveexec_b32 s5, s3
; %bb.39:
	s_delay_alu instid0(VALU_DEP_2) | instskip(SKIP_1) | instid1(VALU_DEP_2)
	v_add_co_u32 v19, vcc_lo, v15, v23
	v_add_co_ci_u32_e32 v16, vcc_lo, 0, v16, vcc_lo
	v_add_co_u32 v15, vcc_lo, 0, v19
	s_delay_alu instid0(VALU_DEP_2)
	v_add_co_ci_u32_e32 v16, vcc_lo, v20, v16, vcc_lo
; %bb.40:
	s_or_b32 exec_lo, exec_lo, s5
	v_mov_b32_dpp v20, v19 row_shr:8 row_mask:0xf bank_mask:0xf
	s_delay_alu instid0(VALU_DEP_2)
	v_mov_b32_dpp v19, v16 row_shr:8 row_mask:0xf bank_mask:0xf
	s_and_saveexec_b32 s3, s4
; %bb.41:
	s_delay_alu instid0(VALU_DEP_2) | instskip(SKIP_1) | instid1(VALU_DEP_2)
	v_add_co_u32 v15, vcc_lo, v15, v20
	v_add_co_ci_u32_e32 v16, vcc_lo, 0, v16, vcc_lo
	v_add_co_u32 v15, vcc_lo, v15, 0
	s_delay_alu instid0(VALU_DEP_2)
	v_add_co_ci_u32_e32 v16, vcc_lo, v16, v19, vcc_lo
; %bb.42:
	s_or_b32 exec_lo, exec_lo, s3
	ds_store_b64 v18, v[15:16]
.LBB195_43:
	s_or_b32 exec_lo, exec_lo, s14
	v_cmp_gt_u32_e32 vcc_lo, 32, v0
	s_mov_b32 s4, exec_lo
	s_waitcnt lgkmcnt(0)
	s_barrier
	buffer_gl0_inv
                                        ; implicit-def: $vgpr23_vgpr24
	v_cmpx_lt_u32_e32 31, v0
	s_cbranch_execz .LBB195_45
; %bb.44:
	v_lshl_add_u32 v13, v13, 3, -8
	ds_load_b64 v[23:24], v13
	s_waitcnt lgkmcnt(0)
	v_add_co_u32 v17, s3, v17, v23
	s_delay_alu instid0(VALU_DEP_1)
	v_add_co_ci_u32_e64 v14, s3, v14, v24, s3
.LBB195_45:
	s_or_b32 exec_lo, exec_lo, s4
	v_add_nc_u32_e32 v13, -1, v40
	s_delay_alu instid0(VALU_DEP_1) | instskip(NEXT) | instid1(VALU_DEP_1)
	v_cmp_gt_i32_e64 s3, 0, v13
	v_cndmask_b32_e64 v13, v13, v40, s3
	v_cmp_eq_u32_e64 s3, 0, v40
	s_delay_alu instid0(VALU_DEP_2)
	v_lshlrev_b32_e32 v13, 2, v13
	ds_bpermute_b32 v29, v13, v17
	ds_bpermute_b32 v30, v13, v14
	s_and_saveexec_b32 s4, vcc_lo
	s_cbranch_execz .LBB195_83
; %bb.46:
	v_mov_b32_e32 v16, 0
	ds_load_b64 v[13:14], v16 offset:88
	s_and_saveexec_b32 s5, s3
	s_cbranch_execz .LBB195_48
; %bb.47:
	s_add_i32 s16, s15, 32
	s_mov_b32 s17, 0
	s_delay_alu instid0(SALU_CYCLE_1) | instskip(NEXT) | instid1(SALU_CYCLE_1)
	s_lshl_b64 s[16:17], s[16:17], 4
	s_add_u32 s16, s10, s16
	s_addc_u32 s17, s11, s17
	s_delay_alu instid0(SALU_CYCLE_1)
	v_dual_mov_b32 v15, 1 :: v_dual_mov_b32 v18, s17
	v_mov_b32_e32 v17, s16
	s_waitcnt lgkmcnt(0)
	;;#ASMSTART
	global_store_dwordx4 v[17:18], v[13:16] off	
s_waitcnt vmcnt(0)
	;;#ASMEND
.LBB195_48:
	s_or_b32 exec_lo, exec_lo, s5
	v_xad_u32 v25, v40, -1, s15
	s_mov_b32 s14, 0
	s_mov_b32 s5, exec_lo
	s_delay_alu instid0(VALU_DEP_1) | instskip(NEXT) | instid1(VALU_DEP_1)
	v_add_nc_u32_e32 v15, 32, v25
	v_lshlrev_b64 v[15:16], 4, v[15:16]
	s_delay_alu instid0(VALU_DEP_1) | instskip(NEXT) | instid1(VALU_DEP_2)
	v_add_co_u32 v15, vcc_lo, s10, v15
	v_add_co_ci_u32_e32 v16, vcc_lo, s11, v16, vcc_lo
	;;#ASMSTART
	global_load_dwordx4 v[17:20], v[15:16] off glc	
s_waitcnt vmcnt(0)
	;;#ASMEND
	v_and_b32_e32 v20, 0xff, v18
	v_and_b32_e32 v26, 0xff00, v18
	v_or3_b32 v17, v17, 0, 0
	v_and_b32_e32 v27, 0xff000000, v18
	v_and_b32_e32 v18, 0xff0000, v18
	s_delay_alu instid0(VALU_DEP_4) | instskip(SKIP_2) | instid1(VALU_DEP_3)
	v_or3_b32 v20, 0, v20, v26
	v_and_b32_e32 v26, 0xff, v19
	v_or3_b32 v17, v17, 0, 0
	v_or3_b32 v18, v20, v18, v27
	s_delay_alu instid0(VALU_DEP_3)
	v_cmpx_eq_u16_e32 0, v26
	s_cbranch_execz .LBB195_51
.LBB195_49:                             ; =>This Inner Loop Header: Depth=1
	;;#ASMSTART
	global_load_dwordx4 v[17:20], v[15:16] off glc	
s_waitcnt vmcnt(0)
	;;#ASMEND
	v_and_b32_e32 v20, 0xff, v19
	s_delay_alu instid0(VALU_DEP_1) | instskip(SKIP_1) | instid1(SALU_CYCLE_1)
	v_cmp_ne_u16_e32 vcc_lo, 0, v20
	s_or_b32 s14, vcc_lo, s14
	s_and_not1_b32 exec_lo, exec_lo, s14
	s_cbranch_execnz .LBB195_49
; %bb.50:
	s_or_b32 exec_lo, exec_lo, s14
.LBB195_51:
	s_delay_alu instid0(SALU_CYCLE_1)
	s_or_b32 exec_lo, exec_lo, s5
	v_cmp_ne_u32_e32 vcc_lo, 31, v40
	v_and_b32_e32 v16, 0xff, v19
	v_lshlrev_b32_e64 v43, v40, -1
	s_mov_b32 s5, exec_lo
	v_add_co_ci_u32_e32 v15, vcc_lo, 0, v40, vcc_lo
	s_delay_alu instid0(VALU_DEP_3) | instskip(SKIP_1) | instid1(VALU_DEP_3)
	v_cmp_eq_u16_e32 vcc_lo, 2, v16
	v_mov_b32_e32 v16, v17
	v_lshlrev_b32_e32 v42, 2, v15
	v_and_or_b32 v15, vcc_lo, v43, 0x80000000
	ds_bpermute_b32 v26, v42, v17
	ds_bpermute_b32 v20, v42, v18
	v_ctz_i32_b32_e32 v15, v15
	s_delay_alu instid0(VALU_DEP_1)
	v_cmpx_lt_u32_e64 v40, v15
	s_cbranch_execz .LBB195_53
; %bb.52:
	s_waitcnt lgkmcnt(1)
	v_add_co_u32 v16, vcc_lo, v17, v26
	v_add_co_ci_u32_e32 v18, vcc_lo, 0, v18, vcc_lo
	s_delay_alu instid0(VALU_DEP_2) | instskip(SKIP_1) | instid1(VALU_DEP_2)
	v_add_co_u32 v17, vcc_lo, 0, v16
	s_waitcnt lgkmcnt(0)
	v_add_co_ci_u32_e32 v18, vcc_lo, v20, v18, vcc_lo
.LBB195_53:
	s_or_b32 exec_lo, exec_lo, s5
	v_cmp_gt_u32_e32 vcc_lo, 30, v40
	v_add_nc_u32_e32 v45, 2, v40
	s_mov_b32 s5, exec_lo
	s_waitcnt lgkmcnt(0)
	v_cndmask_b32_e64 v20, 0, 1, vcc_lo
	s_delay_alu instid0(VALU_DEP_1) | instskip(NEXT) | instid1(VALU_DEP_1)
	v_lshlrev_b32_e32 v20, 1, v20
	v_add_lshl_u32 v44, v20, v40, 2
	ds_bpermute_b32 v26, v44, v16
	ds_bpermute_b32 v20, v44, v18
	v_cmpx_le_u32_e64 v45, v15
	s_cbranch_execz .LBB195_55
; %bb.54:
	s_waitcnt lgkmcnt(1)
	v_add_co_u32 v16, vcc_lo, v17, v26
	v_add_co_ci_u32_e32 v18, vcc_lo, 0, v18, vcc_lo
	s_delay_alu instid0(VALU_DEP_2) | instskip(SKIP_1) | instid1(VALU_DEP_2)
	v_add_co_u32 v17, vcc_lo, 0, v16
	s_waitcnt lgkmcnt(0)
	v_add_co_ci_u32_e32 v18, vcc_lo, v20, v18, vcc_lo
.LBB195_55:
	s_or_b32 exec_lo, exec_lo, s5
	v_cmp_gt_u32_e32 vcc_lo, 28, v40
	v_add_nc_u32_e32 v47, 4, v40
	s_mov_b32 s5, exec_lo
	s_waitcnt lgkmcnt(0)
	v_cndmask_b32_e64 v20, 0, 1, vcc_lo
	s_delay_alu instid0(VALU_DEP_1) | instskip(NEXT) | instid1(VALU_DEP_1)
	v_lshlrev_b32_e32 v20, 2, v20
	v_add_lshl_u32 v46, v20, v40, 2
	ds_bpermute_b32 v26, v46, v16
	ds_bpermute_b32 v20, v46, v18
	v_cmpx_le_u32_e64 v47, v15
	;; [unrolled: 22-line block ×4, first 2 shown]
	s_cbranch_execz .LBB195_61
; %bb.60:
	s_waitcnt lgkmcnt(1)
	v_add_co_u32 v15, vcc_lo, v17, v20
	v_add_co_ci_u32_e32 v18, vcc_lo, 0, v18, vcc_lo
	s_delay_alu instid0(VALU_DEP_2) | instskip(SKIP_1) | instid1(VALU_DEP_2)
	v_add_co_u32 v17, vcc_lo, v15, 0
	s_waitcnt lgkmcnt(0)
	v_add_co_ci_u32_e32 v18, vcc_lo, v18, v16, vcc_lo
.LBB195_61:
	s_or_b32 exec_lo, exec_lo, s5
	v_mov_b32_e32 v26, 0
	s_branch .LBB195_63
.LBB195_62:                             ;   in Loop: Header=BB195_63 Depth=1
	s_or_b32 exec_lo, exec_lo, s5
	v_add_co_u32 v17, vcc_lo, v17, v15
	v_subrev_nc_u32_e32 v25, 32, v25
	v_add_co_ci_u32_e32 v18, vcc_lo, v18, v16, vcc_lo
.LBB195_63:                             ; =>This Loop Header: Depth=1
                                        ;     Child Loop BB195_66 Depth 2
	v_and_b32_e32 v15, 0xff, v19
	s_delay_alu instid0(VALU_DEP_1) | instskip(SKIP_2) | instid1(VALU_DEP_1)
	v_cmp_ne_u16_e32 vcc_lo, 2, v15
	v_cndmask_b32_e64 v15, 0, 1, vcc_lo
	;;#ASMSTART
	;;#ASMEND
	v_cmp_ne_u32_e32 vcc_lo, 0, v15
	s_waitcnt lgkmcnt(0)
	v_dual_mov_b32 v15, v17 :: v_dual_mov_b32 v16, v18
	s_cmp_lg_u32 vcc_lo, exec_lo
	s_cbranch_scc1 .LBB195_78
; %bb.64:                               ;   in Loop: Header=BB195_63 Depth=1
	v_lshlrev_b64 v[17:18], 4, v[25:26]
	s_mov_b32 s5, exec_lo
	s_delay_alu instid0(VALU_DEP_1) | instskip(NEXT) | instid1(VALU_DEP_2)
	v_add_co_u32 v27, vcc_lo, s10, v17
	v_add_co_ci_u32_e32 v28, vcc_lo, s11, v18, vcc_lo
	;;#ASMSTART
	global_load_dwordx4 v[17:20], v[27:28] off glc	
s_waitcnt vmcnt(0)
	;;#ASMEND
	v_and_b32_e32 v20, 0xff, v18
	v_and_b32_e32 v52, 0xff00, v18
	v_or3_b32 v17, v17, 0, 0
	v_and_b32_e32 v53, 0xff000000, v18
	v_and_b32_e32 v18, 0xff0000, v18
	s_delay_alu instid0(VALU_DEP_4) | instskip(SKIP_2) | instid1(VALU_DEP_3)
	v_or3_b32 v20, 0, v20, v52
	v_and_b32_e32 v52, 0xff, v19
	v_or3_b32 v17, v17, 0, 0
	v_or3_b32 v18, v20, v18, v53
	s_delay_alu instid0(VALU_DEP_3)
	v_cmpx_eq_u16_e32 0, v52
	s_cbranch_execz .LBB195_68
; %bb.65:                               ;   in Loop: Header=BB195_63 Depth=1
	s_mov_b32 s14, 0
.LBB195_66:                             ;   Parent Loop BB195_63 Depth=1
                                        ; =>  This Inner Loop Header: Depth=2
	;;#ASMSTART
	global_load_dwordx4 v[17:20], v[27:28] off glc	
s_waitcnt vmcnt(0)
	;;#ASMEND
	v_and_b32_e32 v20, 0xff, v19
	s_delay_alu instid0(VALU_DEP_1) | instskip(SKIP_1) | instid1(SALU_CYCLE_1)
	v_cmp_ne_u16_e32 vcc_lo, 0, v20
	s_or_b32 s14, vcc_lo, s14
	s_and_not1_b32 exec_lo, exec_lo, s14
	s_cbranch_execnz .LBB195_66
; %bb.67:                               ;   in Loop: Header=BB195_63 Depth=1
	s_or_b32 exec_lo, exec_lo, s14
.LBB195_68:                             ;   in Loop: Header=BB195_63 Depth=1
	s_delay_alu instid0(SALU_CYCLE_1)
	s_or_b32 exec_lo, exec_lo, s5
	v_dual_mov_b32 v27, v17 :: v_dual_and_b32 v20, 0xff, v19
	ds_bpermute_b32 v52, v42, v17
	ds_bpermute_b32 v28, v42, v18
	s_mov_b32 s5, exec_lo
	v_cmp_eq_u16_e32 vcc_lo, 2, v20
	v_and_or_b32 v20, vcc_lo, v43, 0x80000000
	s_delay_alu instid0(VALU_DEP_1) | instskip(NEXT) | instid1(VALU_DEP_1)
	v_ctz_i32_b32_e32 v20, v20
	v_cmpx_lt_u32_e64 v40, v20
	s_cbranch_execz .LBB195_70
; %bb.69:                               ;   in Loop: Header=BB195_63 Depth=1
	s_waitcnt lgkmcnt(1)
	v_add_co_u32 v27, vcc_lo, v17, v52
	v_add_co_ci_u32_e32 v18, vcc_lo, 0, v18, vcc_lo
	s_delay_alu instid0(VALU_DEP_2) | instskip(SKIP_1) | instid1(VALU_DEP_2)
	v_add_co_u32 v17, vcc_lo, 0, v27
	s_waitcnt lgkmcnt(0)
	v_add_co_ci_u32_e32 v18, vcc_lo, v28, v18, vcc_lo
.LBB195_70:                             ;   in Loop: Header=BB195_63 Depth=1
	s_or_b32 exec_lo, exec_lo, s5
	s_waitcnt lgkmcnt(1)
	ds_bpermute_b32 v52, v44, v27
	s_waitcnt lgkmcnt(1)
	ds_bpermute_b32 v28, v44, v18
	s_mov_b32 s5, exec_lo
	v_cmpx_le_u32_e64 v45, v20
	s_cbranch_execz .LBB195_72
; %bb.71:                               ;   in Loop: Header=BB195_63 Depth=1
	s_waitcnt lgkmcnt(1)
	v_add_co_u32 v27, vcc_lo, v17, v52
	v_add_co_ci_u32_e32 v18, vcc_lo, 0, v18, vcc_lo
	s_delay_alu instid0(VALU_DEP_2) | instskip(SKIP_1) | instid1(VALU_DEP_2)
	v_add_co_u32 v17, vcc_lo, 0, v27
	s_waitcnt lgkmcnt(0)
	v_add_co_ci_u32_e32 v18, vcc_lo, v28, v18, vcc_lo
.LBB195_72:                             ;   in Loop: Header=BB195_63 Depth=1
	s_or_b32 exec_lo, exec_lo, s5
	s_waitcnt lgkmcnt(1)
	ds_bpermute_b32 v52, v46, v27
	s_waitcnt lgkmcnt(1)
	ds_bpermute_b32 v28, v46, v18
	s_mov_b32 s5, exec_lo
	v_cmpx_le_u32_e64 v47, v20
	;; [unrolled: 17-line block ×3, first 2 shown]
	s_cbranch_execz .LBB195_76
; %bb.75:                               ;   in Loop: Header=BB195_63 Depth=1
	s_waitcnt lgkmcnt(1)
	v_add_co_u32 v27, vcc_lo, v17, v52
	v_add_co_ci_u32_e32 v18, vcc_lo, 0, v18, vcc_lo
	s_delay_alu instid0(VALU_DEP_2) | instskip(SKIP_1) | instid1(VALU_DEP_2)
	v_add_co_u32 v17, vcc_lo, 0, v27
	s_waitcnt lgkmcnt(0)
	v_add_co_ci_u32_e32 v18, vcc_lo, v28, v18, vcc_lo
.LBB195_76:                             ;   in Loop: Header=BB195_63 Depth=1
	s_or_b32 exec_lo, exec_lo, s5
	s_waitcnt lgkmcnt(0)
	ds_bpermute_b32 v28, v50, v27
	ds_bpermute_b32 v27, v50, v18
	s_mov_b32 s5, exec_lo
	v_cmpx_le_u32_e64 v51, v20
	s_cbranch_execz .LBB195_62
; %bb.77:                               ;   in Loop: Header=BB195_63 Depth=1
	s_waitcnt lgkmcnt(1)
	v_add_co_u32 v17, vcc_lo, v17, v28
	v_add_co_ci_u32_e32 v18, vcc_lo, 0, v18, vcc_lo
	s_delay_alu instid0(VALU_DEP_2) | instskip(SKIP_1) | instid1(VALU_DEP_2)
	v_add_co_u32 v17, vcc_lo, v17, 0
	s_waitcnt lgkmcnt(0)
	v_add_co_ci_u32_e32 v18, vcc_lo, v18, v27, vcc_lo
	s_branch .LBB195_62
.LBB195_78:                             ;   in Loop: Header=BB195_63 Depth=1
                                        ; implicit-def: $vgpr17_vgpr18
	s_cbranch_execz .LBB195_63
; %bb.79:
	s_and_saveexec_b32 s5, s3
	s_cbranch_execz .LBB195_81
; %bb.80:
	s_add_i32 s14, s15, 32
	s_mov_b32 s15, 0
	v_add_co_u32 v17, vcc_lo, v15, v13
	s_lshl_b64 s[14:15], s[14:15], 4
	v_dual_mov_b32 v19, 2 :: v_dual_mov_b32 v20, 0
	s_add_u32 s14, s10, s14
	s_addc_u32 s15, s11, s15
	v_add_co_ci_u32_e32 v18, vcc_lo, v16, v14, vcc_lo
	v_dual_mov_b32 v26, s15 :: v_dual_mov_b32 v25, s14
	;;#ASMSTART
	global_store_dwordx4 v[25:26], v[17:20] off	
s_waitcnt vmcnt(0)
	;;#ASMEND
	ds_store_b128 v20, v[13:16] offset:18432
.LBB195_81:
	s_or_b32 exec_lo, exec_lo, s5
	v_cmp_eq_u32_e32 vcc_lo, 0, v0
	s_and_b32 exec_lo, exec_lo, vcc_lo
	s_cbranch_execz .LBB195_83
; %bb.82:
	v_mov_b32_e32 v13, 0
	ds_store_b64 v13, v[15:16] offset:88
.LBB195_83:
	s_or_b32 exec_lo, exec_lo, s4
	s_waitcnt lgkmcnt(1)
	v_cndmask_b32_e64 v16, v29, v23, s3
	v_cmp_ne_u32_e32 vcc_lo, 0, v0
	v_mov_b32_e32 v15, 0
	s_waitcnt lgkmcnt(0)
	s_barrier
	buffer_gl0_inv
	v_cndmask_b32_e32 v16, 0, v16, vcc_lo
	ds_load_b64 v[13:14], v15 offset:88
	v_cndmask_b32_e64 v17, v30, v24, s3
	s_waitcnt lgkmcnt(0)
	s_barrier
	buffer_gl0_inv
	v_cndmask_b32_e32 v17, 0, v17, vcc_lo
	v_add_co_u32 v29, vcc_lo, v13, v16
	s_delay_alu instid0(VALU_DEP_2) | instskip(SKIP_3) | instid1(VALU_DEP_2)
	v_add_co_ci_u32_e32 v30, vcc_lo, v14, v17, vcc_lo
	ds_load_b128 v[13:16], v15 offset:18432
	v_add_co_u32 v27, vcc_lo, v29, v39
	v_add_co_ci_u32_e32 v28, vcc_lo, 0, v30, vcc_lo
	v_add_co_u32 v25, vcc_lo, v27, v38
	s_delay_alu instid0(VALU_DEP_2) | instskip(NEXT) | instid1(VALU_DEP_2)
	v_add_co_ci_u32_e32 v26, vcc_lo, 0, v28, vcc_lo
	v_add_co_u32 v23, vcc_lo, v25, v37
	s_delay_alu instid0(VALU_DEP_2) | instskip(NEXT) | instid1(VALU_DEP_2)
	;; [unrolled: 3-line block ×3, first 2 shown]
	v_add_co_ci_u32_e32 v20, vcc_lo, 0, v24, vcc_lo
	v_add_co_u32 v17, vcc_lo, v19, v36
	s_delay_alu instid0(VALU_DEP_2)
	v_add_co_ci_u32_e32 v18, vcc_lo, 0, v20, vcc_lo
	s_load_b64 s[4:5], s[0:1], 0x28
	s_branch .LBB195_112
.LBB195_84:
                                        ; implicit-def: $vgpr17_vgpr18
                                        ; implicit-def: $vgpr19_vgpr20
                                        ; implicit-def: $vgpr23_vgpr24
                                        ; implicit-def: $vgpr25_vgpr26
                                        ; implicit-def: $vgpr27_vgpr28
                                        ; implicit-def: $vgpr29_vgpr30
                                        ; implicit-def: $vgpr15_vgpr16
	s_load_b64 s[4:5], s[0:1], 0x28
	s_and_b32 vcc_lo, exec_lo, s3
	s_cbranch_vccz .LBB195_112
; %bb.85:
	s_waitcnt lgkmcnt(0)
	v_dual_mov_b32 v14, 0 :: v_dual_mov_b32 v15, v21
	v_mov_b32_dpp v16, v21 row_shr:1 row_mask:0xf bank_mask:0xf
	s_delay_alu instid0(VALU_DEP_2)
	v_mov_b32_dpp v13, v14 row_shr:1 row_mask:0xf bank_mask:0xf
	s_and_saveexec_b32 s0, s2
; %bb.86:
	s_delay_alu instid0(VALU_DEP_2) | instskip(SKIP_1) | instid1(VALU_DEP_2)
	v_add_co_u32 v15, vcc_lo, v21, v16
	v_add_co_ci_u32_e32 v14, vcc_lo, 0, v22, vcc_lo
	v_add_co_u32 v21, vcc_lo, 0, v15
	s_delay_alu instid0(VALU_DEP_2) | instskip(NEXT) | instid1(VALU_DEP_1)
	v_add_co_ci_u32_e32 v22, vcc_lo, v13, v14, vcc_lo
	v_mov_b32_e32 v14, v22
; %bb.87:
	s_or_b32 exec_lo, exec_lo, s0
	v_mov_b32_dpp v13, v15 row_shr:2 row_mask:0xf bank_mask:0xf
	s_delay_alu instid0(VALU_DEP_2)
	v_mov_b32_dpp v16, v14 row_shr:2 row_mask:0xf bank_mask:0xf
	v_cmp_lt_u32_e32 vcc_lo, 1, v41
	s_and_saveexec_b32 s1, vcc_lo
; %bb.88:
	s_delay_alu instid0(VALU_DEP_3) | instskip(NEXT) | instid1(VALU_DEP_1)
	v_add_co_u32 v15, s0, v21, v13
	v_add_co_ci_u32_e64 v14, s0, 0, v22, s0
	s_delay_alu instid0(VALU_DEP_2) | instskip(NEXT) | instid1(VALU_DEP_1)
	v_add_co_u32 v13, s0, 0, v15
	v_add_co_ci_u32_e64 v14, s0, v16, v14, s0
	s_delay_alu instid0(VALU_DEP_1)
	v_dual_mov_b32 v22, v14 :: v_dual_mov_b32 v21, v13
; %bb.89:
	s_or_b32 exec_lo, exec_lo, s1
	v_mov_b32_dpp v13, v15 row_shr:4 row_mask:0xf bank_mask:0xf
	v_mov_b32_dpp v16, v14 row_shr:4 row_mask:0xf bank_mask:0xf
	v_cmp_lt_u32_e64 s0, 3, v41
	s_delay_alu instid0(VALU_DEP_1)
	s_and_saveexec_b32 s3, s0
; %bb.90:
	s_delay_alu instid0(VALU_DEP_3) | instskip(NEXT) | instid1(VALU_DEP_1)
	v_add_co_u32 v15, s1, v21, v13
	v_add_co_ci_u32_e64 v14, s1, 0, v22, s1
	s_delay_alu instid0(VALU_DEP_2) | instskip(NEXT) | instid1(VALU_DEP_1)
	v_add_co_u32 v13, s1, 0, v15
	v_add_co_ci_u32_e64 v14, s1, v16, v14, s1
	s_delay_alu instid0(VALU_DEP_1)
	v_dual_mov_b32 v22, v14 :: v_dual_mov_b32 v21, v13
; %bb.91:
	s_or_b32 exec_lo, exec_lo, s3
	v_mov_b32_dpp v16, v15 row_shr:8 row_mask:0xf bank_mask:0xf
	v_mov_b32_dpp v13, v14 row_shr:8 row_mask:0xf bank_mask:0xf
	v_cmp_lt_u32_e64 s1, 7, v41
	s_delay_alu instid0(VALU_DEP_1)
	s_and_saveexec_b32 s14, s1
; %bb.92:
	s_delay_alu instid0(VALU_DEP_3) | instskip(NEXT) | instid1(VALU_DEP_1)
	v_add_co_u32 v15, s3, v21, v16
	v_add_co_ci_u32_e64 v14, s3, 0, v22, s3
	s_delay_alu instid0(VALU_DEP_2) | instskip(NEXT) | instid1(VALU_DEP_1)
	v_add_co_u32 v21, s3, 0, v15
	v_add_co_ci_u32_e64 v22, s3, v13, v14, s3
	s_delay_alu instid0(VALU_DEP_1)
	v_mov_b32_e32 v14, v22
; %bb.93:
	s_or_b32 exec_lo, exec_lo, s14
	ds_swizzle_b32 v15, v15 offset:swizzle(BROADCAST,32,15)
	ds_swizzle_b32 v13, v14 offset:swizzle(BROADCAST,32,15)
	v_and_b32_e32 v14, 16, v40
	s_mov_b32 s14, exec_lo
	s_delay_alu instid0(VALU_DEP_1)
	v_cmpx_ne_u32_e32 0, v14
	s_cbranch_execz .LBB195_95
; %bb.94:
	s_waitcnt lgkmcnt(1)
	v_add_co_u32 v14, s3, v21, v15
	s_delay_alu instid0(VALU_DEP_1) | instskip(NEXT) | instid1(VALU_DEP_2)
	v_add_co_ci_u32_e64 v15, s3, 0, v22, s3
	v_add_co_u32 v21, s3, v14, 0
	s_waitcnt lgkmcnt(0)
	s_delay_alu instid0(VALU_DEP_2)
	v_add_co_ci_u32_e64 v22, s3, v15, v13, s3
.LBB195_95:
	s_or_b32 exec_lo, exec_lo, s14
	s_waitcnt lgkmcnt(0)
	v_and_b32_e32 v13, 0x1e0, v0
	v_lshrrev_b32_e32 v15, 5, v0
	s_mov_b32 s14, exec_lo
	s_delay_alu instid0(VALU_DEP_2) | instskip(NEXT) | instid1(VALU_DEP_1)
	v_min_u32_e32 v13, 0x160, v13
	v_or_b32_e32 v13, 31, v13
	s_delay_alu instid0(VALU_DEP_1)
	v_cmpx_eq_u32_e64 v13, v0
	s_cbranch_execz .LBB195_97
; %bb.96:
	v_lshlrev_b32_e32 v13, 3, v15
	ds_store_b64 v13, v[21:22]
.LBB195_97:
	s_or_b32 exec_lo, exec_lo, s14
	s_delay_alu instid0(SALU_CYCLE_1)
	s_mov_b32 s14, exec_lo
	s_waitcnt lgkmcnt(0)
	s_barrier
	buffer_gl0_inv
	v_cmpx_gt_u32_e32 12, v0
	s_cbranch_execz .LBB195_107
; %bb.98:
	v_mad_i32_i24 v13, 0xffffffd8, v0, v35
	ds_load_b64 v[13:14], v13
	s_waitcnt lgkmcnt(0)
	v_mov_b32_dpp v18, v13 row_shr:1 row_mask:0xf bank_mask:0xf
	v_mov_b32_dpp v17, v14 row_shr:1 row_mask:0xf bank_mask:0xf
	v_mov_b32_e32 v16, v13
	s_and_saveexec_b32 s3, s2
; %bb.99:
	s_delay_alu instid0(VALU_DEP_3) | instskip(NEXT) | instid1(VALU_DEP_1)
	v_add_co_u32 v16, s2, v13, v18
	v_add_co_ci_u32_e64 v14, s2, 0, v14, s2
	s_delay_alu instid0(VALU_DEP_2) | instskip(NEXT) | instid1(VALU_DEP_1)
	v_add_co_u32 v13, s2, 0, v16
	v_add_co_ci_u32_e64 v14, s2, v17, v14, s2
; %bb.100:
	s_or_b32 exec_lo, exec_lo, s3
	v_mov_b32_dpp v18, v16 row_shr:2 row_mask:0xf bank_mask:0xf
	s_delay_alu instid0(VALU_DEP_2)
	v_mov_b32_dpp v17, v14 row_shr:2 row_mask:0xf bank_mask:0xf
	s_and_saveexec_b32 s2, vcc_lo
; %bb.101:
	s_delay_alu instid0(VALU_DEP_2) | instskip(SKIP_1) | instid1(VALU_DEP_2)
	v_add_co_u32 v16, vcc_lo, v13, v18
	v_add_co_ci_u32_e32 v14, vcc_lo, 0, v14, vcc_lo
	v_add_co_u32 v13, vcc_lo, 0, v16
	s_delay_alu instid0(VALU_DEP_2)
	v_add_co_ci_u32_e32 v14, vcc_lo, v17, v14, vcc_lo
; %bb.102:
	s_or_b32 exec_lo, exec_lo, s2
	v_mov_b32_dpp v18, v16 row_shr:4 row_mask:0xf bank_mask:0xf
	s_delay_alu instid0(VALU_DEP_2)
	v_mov_b32_dpp v17, v14 row_shr:4 row_mask:0xf bank_mask:0xf
	s_and_saveexec_b32 s2, s0
; %bb.103:
	s_delay_alu instid0(VALU_DEP_2) | instskip(SKIP_1) | instid1(VALU_DEP_2)
	v_add_co_u32 v16, vcc_lo, v13, v18
	v_add_co_ci_u32_e32 v14, vcc_lo, 0, v14, vcc_lo
	v_add_co_u32 v13, vcc_lo, 0, v16
	s_delay_alu instid0(VALU_DEP_2)
	v_add_co_ci_u32_e32 v14, vcc_lo, v17, v14, vcc_lo
; %bb.104:
	s_or_b32 exec_lo, exec_lo, s2
	v_mul_i32_i24_e32 v17, 0xffffffd8, v0
	v_mov_b32_dpp v18, v16 row_shr:8 row_mask:0xf bank_mask:0xf
	s_delay_alu instid0(VALU_DEP_3)
	v_mov_b32_dpp v16, v14 row_shr:8 row_mask:0xf bank_mask:0xf
	s_and_saveexec_b32 s0, s1
; %bb.105:
	s_delay_alu instid0(VALU_DEP_2) | instskip(SKIP_1) | instid1(VALU_DEP_2)
	v_add_co_u32 v13, vcc_lo, v13, v18
	v_add_co_ci_u32_e32 v14, vcc_lo, 0, v14, vcc_lo
	v_add_co_u32 v13, vcc_lo, v13, 0
	s_delay_alu instid0(VALU_DEP_2)
	v_add_co_ci_u32_e32 v14, vcc_lo, v14, v16, vcc_lo
; %bb.106:
	s_or_b32 exec_lo, exec_lo, s0
	v_add_nc_u32_e32 v16, v35, v17
	ds_store_b64 v16, v[13:14]
.LBB195_107:
	s_or_b32 exec_lo, exec_lo, s14
	v_mov_b32_e32 v17, 0
	v_mov_b32_e32 v18, 0
	s_mov_b32 s0, exec_lo
	s_waitcnt lgkmcnt(0)
	s_barrier
	buffer_gl0_inv
	v_cmpx_lt_u32_e32 31, v0
	s_cbranch_execz .LBB195_109
; %bb.108:
	v_lshl_add_u32 v13, v15, 3, -8
	ds_load_b64 v[17:18], v13
.LBB195_109:
	s_or_b32 exec_lo, exec_lo, s0
	v_dual_mov_b32 v16, 0 :: v_dual_add_nc_u32 v13, -1, v40
	s_delay_alu instid0(VALU_DEP_1) | instskip(SKIP_4) | instid1(VALU_DEP_3)
	v_cmp_gt_i32_e32 vcc_lo, 0, v13
	v_cndmask_b32_e32 v13, v13, v40, vcc_lo
	s_waitcnt lgkmcnt(0)
	v_add_co_u32 v14, vcc_lo, v17, v21
	v_add_co_ci_u32_e32 v15, vcc_lo, v18, v22, vcc_lo
	v_lshlrev_b32_e32 v13, 2, v13
	v_cmp_eq_u32_e32 vcc_lo, 0, v0
	ds_bpermute_b32 v19, v13, v14
	ds_bpermute_b32 v20, v13, v15
	ds_load_b64 v[13:14], v16 offset:88
	s_and_saveexec_b32 s0, vcc_lo
	s_cbranch_execz .LBB195_111
; %bb.110:
	s_add_u32 s2, s10, 0x200
	s_addc_u32 s3, s11, 0
	s_delay_alu instid0(SALU_CYCLE_1)
	v_dual_mov_b32 v15, 2 :: v_dual_mov_b32 v22, s3
	v_mov_b32_e32 v21, s2
	s_waitcnt lgkmcnt(0)
	;;#ASMSTART
	global_store_dwordx4 v[21:22], v[13:16] off	
s_waitcnt vmcnt(0)
	;;#ASMEND
.LBB195_111:
	s_or_b32 exec_lo, exec_lo, s0
	v_cmp_eq_u32_e64 s0, 0, v40
	s_waitcnt lgkmcnt(0)
	s_barrier
	buffer_gl0_inv
	v_cndmask_b32_e64 v15, v19, v17, s0
	v_cndmask_b32_e64 v16, v20, v18, s0
	s_delay_alu instid0(VALU_DEP_2) | instskip(NEXT) | instid1(VALU_DEP_2)
	v_cndmask_b32_e64 v29, v15, 0, vcc_lo
	v_cndmask_b32_e64 v30, v16, 0, vcc_lo
	v_mov_b32_e32 v15, 0
	v_mov_b32_e32 v16, 0
	s_delay_alu instid0(VALU_DEP_4) | instskip(NEXT) | instid1(VALU_DEP_4)
	v_add_co_u32 v27, vcc_lo, v29, v39
	v_add_co_ci_u32_e32 v28, vcc_lo, 0, v30, vcc_lo
	s_delay_alu instid0(VALU_DEP_2) | instskip(NEXT) | instid1(VALU_DEP_2)
	v_add_co_u32 v25, vcc_lo, v27, v38
	v_add_co_ci_u32_e32 v26, vcc_lo, 0, v28, vcc_lo
	s_delay_alu instid0(VALU_DEP_2) | instskip(NEXT) | instid1(VALU_DEP_2)
	;; [unrolled: 3-line block ×4, first 2 shown]
	v_add_co_u32 v17, vcc_lo, v19, v36
	v_add_co_ci_u32_e32 v18, vcc_lo, 0, v20, vcc_lo
.LBB195_112:
	s_waitcnt lgkmcnt(0)
	v_cmp_gt_u64_e32 vcc_lo, 0x181, v[13:14]
	v_lshrrev_b32_e32 v36, 8, v34
	v_lshrrev_b32_e32 v35, 16, v34
	s_mov_b32 s0, -1
	s_cbranch_vccnz .LBB195_116
; %bb.113:
	s_and_b32 vcc_lo, exec_lo, s0
	s_cbranch_vccnz .LBB195_135
.LBB195_114:
	v_cmp_eq_u32_e32 vcc_lo, 0, v0
	s_and_b32 s0, vcc_lo, s12
	s_delay_alu instid0(SALU_CYCLE_1)
	s_and_saveexec_b32 s1, s0
	s_cbranch_execnz .LBB195_151
.LBB195_115:
	s_nop 0
	s_sendmsg sendmsg(MSG_DEALLOC_VGPRS)
	s_endpgm
.LBB195_116:
	v_add_co_u32 v21, vcc_lo, v15, v13
	v_add_co_ci_u32_e32 v22, vcc_lo, v16, v14, vcc_lo
	s_lshl_b64 s[0:1], s[6:7], 3
	s_delay_alu instid0(SALU_CYCLE_1) | instskip(NEXT) | instid1(VALU_DEP_1)
	s_add_u32 s0, s4, s0
	v_cmp_lt_u64_e32 vcc_lo, v[29:30], v[21:22]
	s_addc_u32 s1, s5, s1
	s_or_b32 s3, s13, vcc_lo
	s_delay_alu instid0(SALU_CYCLE_1)
	s_and_saveexec_b32 s2, s3
	s_cbranch_execz .LBB195_119
; %bb.117:
	v_and_b32_e32 v37, 1, v34
	s_delay_alu instid0(VALU_DEP_1)
	v_cmp_eq_u32_e32 vcc_lo, 1, v37
	s_and_b32 exec_lo, exec_lo, vcc_lo
	s_cbranch_execz .LBB195_119
; %bb.118:
	v_lshlrev_b64 v[37:38], 3, v[29:30]
	s_delay_alu instid0(VALU_DEP_1) | instskip(NEXT) | instid1(VALU_DEP_2)
	v_add_co_u32 v37, vcc_lo, s0, v37
	v_add_co_ci_u32_e32 v38, vcc_lo, s1, v38, vcc_lo
	global_store_b64 v[37:38], v[9:10], off
.LBB195_119:
	s_or_b32 exec_lo, exec_lo, s2
	v_cmp_lt_u64_e32 vcc_lo, v[27:28], v[21:22]
	s_or_b32 s3, s13, vcc_lo
	s_delay_alu instid0(SALU_CYCLE_1)
	s_and_saveexec_b32 s2, s3
	s_cbranch_execz .LBB195_122
; %bb.120:
	v_and_b32_e32 v30, 1, v36
	s_delay_alu instid0(VALU_DEP_1)
	v_cmp_eq_u32_e32 vcc_lo, 1, v30
	s_and_b32 exec_lo, exec_lo, vcc_lo
	s_cbranch_execz .LBB195_122
; %bb.121:
	v_lshlrev_b64 v[37:38], 3, v[27:28]
	s_delay_alu instid0(VALU_DEP_1) | instskip(NEXT) | instid1(VALU_DEP_2)
	v_add_co_u32 v37, vcc_lo, s0, v37
	v_add_co_ci_u32_e32 v38, vcc_lo, s1, v38, vcc_lo
	global_store_b64 v[37:38], v[11:12], off
.LBB195_122:
	s_or_b32 exec_lo, exec_lo, s2
	v_cmp_lt_u64_e32 vcc_lo, v[25:26], v[21:22]
	;; [unrolled: 19-line block ×5, first 2 shown]
	s_or_b32 s3, s13, vcc_lo
	s_delay_alu instid0(SALU_CYCLE_1)
	s_and_saveexec_b32 s2, s3
	s_cbranch_execz .LBB195_134
; %bb.132:
	v_and_b32_e32 v20, 1, v31
	s_delay_alu instid0(VALU_DEP_1)
	v_cmp_eq_u32_e32 vcc_lo, 1, v20
	s_and_b32 exec_lo, exec_lo, vcc_lo
	s_cbranch_execz .LBB195_134
; %bb.133:
	v_lshlrev_b64 v[20:21], 3, v[17:18]
	s_delay_alu instid0(VALU_DEP_1) | instskip(NEXT) | instid1(VALU_DEP_2)
	v_add_co_u32 v20, vcc_lo, s0, v20
	v_add_co_ci_u32_e32 v21, vcc_lo, s1, v21, vcc_lo
	global_store_b64 v[20:21], v[3:4], off
.LBB195_134:
	s_or_b32 exec_lo, exec_lo, s2
	s_branch .LBB195_114
.LBB195_135:
	v_and_b32_e32 v18, 1, v34
	s_mov_b32 s0, exec_lo
	s_delay_alu instid0(VALU_DEP_1)
	v_cmpx_eq_u32_e32 1, v18
	s_cbranch_execz .LBB195_137
; %bb.136:
	v_sub_nc_u32_e32 v18, v29, v15
	s_delay_alu instid0(VALU_DEP_1)
	v_lshlrev_b32_e32 v18, 3, v18
	ds_store_b64 v18, v[9:10]
.LBB195_137:
	s_or_b32 exec_lo, exec_lo, s0
	v_and_b32_e32 v9, 1, v36
	s_mov_b32 s0, exec_lo
	s_delay_alu instid0(VALU_DEP_1)
	v_cmpx_eq_u32_e32 1, v9
	s_cbranch_execz .LBB195_139
; %bb.138:
	v_sub_nc_u32_e32 v9, v27, v15
	s_delay_alu instid0(VALU_DEP_1)
	v_lshlrev_b32_e32 v9, 3, v9
	ds_store_b64 v9, v[11:12]
.LBB195_139:
	s_or_b32 exec_lo, exec_lo, s0
	;; [unrolled: 12-line block ×6, first 2 shown]
	v_mov_b32_e32 v3, 0
	s_mov_b32 s1, exec_lo
	s_waitcnt lgkmcnt(0)
	s_waitcnt_vscnt null, 0x0
	s_barrier
	buffer_gl0_inv
	v_mov_b32_e32 v1, v3
	s_delay_alu instid0(VALU_DEP_1)
	v_cmpx_gt_u64_e64 v[13:14], v[0:1]
	s_cbranch_execz .LBB195_150
; %bb.148:
	v_lshlrev_b64 v[4:5], 3, v[15:16]
	s_lshl_b64 s[2:3], s[6:7], 3
	v_add_nc_u32_e32 v2, 0x180, v0
	s_delay_alu instid0(VALU_DEP_2) | instskip(NEXT) | instid1(VALU_DEP_3)
	v_add_co_u32 v4, vcc_lo, s4, v4
	v_add_co_ci_u32_e32 v5, vcc_lo, s5, v5, vcc_lo
	s_delay_alu instid0(VALU_DEP_2) | instskip(NEXT) | instid1(VALU_DEP_2)
	v_add_co_u32 v6, vcc_lo, v4, s2
	v_add_co_ci_u32_e32 v7, vcc_lo, s3, v5, vcc_lo
	v_dual_mov_b32 v5, v1 :: v_dual_mov_b32 v4, v0
	s_mov_b32 s2, 0
	.p2align	6
.LBB195_149:                            ; =>This Inner Loop Header: Depth=1
	s_delay_alu instid0(VALU_DEP_1) | instskip(NEXT) | instid1(VALU_DEP_2)
	v_lshlrev_b32_e32 v1, 3, v4
	v_lshlrev_b64 v[10:11], 3, v[4:5]
	v_dual_mov_b32 v5, v3 :: v_dual_mov_b32 v4, v2
	v_cmp_le_u64_e32 vcc_lo, v[13:14], v[2:3]
	v_add_nc_u32_e32 v2, 0x180, v2
	ds_load_b64 v[8:9], v1
	v_add_co_u32 v10, s0, v6, v10
	s_delay_alu instid0(VALU_DEP_1)
	v_add_co_ci_u32_e64 v11, s0, v7, v11, s0
	s_or_b32 s2, vcc_lo, s2
	s_waitcnt lgkmcnt(0)
	global_store_b64 v[10:11], v[8:9], off
	s_and_not1_b32 exec_lo, exec_lo, s2
	s_cbranch_execnz .LBB195_149
.LBB195_150:
	s_or_b32 exec_lo, exec_lo, s1
	v_cmp_eq_u32_e32 vcc_lo, 0, v0
	s_and_b32 s0, vcc_lo, s12
	s_delay_alu instid0(SALU_CYCLE_1)
	s_and_saveexec_b32 s1, s0
	s_cbranch_execz .LBB195_115
.LBB195_151:
	v_add_co_u32 v0, vcc_lo, v15, v13
	v_add_co_ci_u32_e32 v1, vcc_lo, v16, v14, vcc_lo
	v_mov_b32_e32 v2, 0
	s_delay_alu instid0(VALU_DEP_3) | instskip(NEXT) | instid1(VALU_DEP_3)
	v_add_co_u32 v0, vcc_lo, v0, s6
	v_add_co_ci_u32_e32 v1, vcc_lo, s7, v1, vcc_lo
	global_store_b64 v2, v[0:1], s[8:9]
	s_nop 0
	s_sendmsg sendmsg(MSG_DEALLOC_VGPRS)
	s_endpgm
	.section	.rodata,"a",@progbits
	.p2align	6, 0x0
	.amdhsa_kernel _ZN7rocprim17ROCPRIM_400000_NS6detail17trampoline_kernelINS0_14default_configENS1_25partition_config_selectorILNS1_17partition_subalgoE6EdNS0_10empty_typeEbEEZZNS1_14partition_implILS5_6ELb0ES3_mN6thrust23THRUST_200600_302600_NS6detail15normal_iteratorINSA_10device_ptrIdEEEEPS6_SG_NS0_5tupleIJSF_S6_EEENSH_IJSG_SG_EEES6_PlJ7is_evenIdEEEE10hipError_tPvRmT3_T4_T5_T6_T7_T9_mT8_P12ihipStream_tbDpT10_ENKUlT_T0_E_clISt17integral_constantIbLb0EES16_EEDaS11_S12_EUlS11_E_NS1_11comp_targetILNS1_3genE9ELNS1_11target_archE1100ELNS1_3gpuE3ELNS1_3repE0EEENS1_30default_config_static_selectorELNS0_4arch9wavefront6targetE0EEEvT1_
		.amdhsa_group_segment_fixed_size 18448
		.amdhsa_private_segment_fixed_size 0
		.amdhsa_kernarg_size 112
		.amdhsa_user_sgpr_count 15
		.amdhsa_user_sgpr_dispatch_ptr 0
		.amdhsa_user_sgpr_queue_ptr 0
		.amdhsa_user_sgpr_kernarg_segment_ptr 1
		.amdhsa_user_sgpr_dispatch_id 0
		.amdhsa_user_sgpr_private_segment_size 0
		.amdhsa_wavefront_size32 1
		.amdhsa_uses_dynamic_stack 0
		.amdhsa_enable_private_segment 0
		.amdhsa_system_sgpr_workgroup_id_x 1
		.amdhsa_system_sgpr_workgroup_id_y 0
		.amdhsa_system_sgpr_workgroup_id_z 0
		.amdhsa_system_sgpr_workgroup_info 0
		.amdhsa_system_vgpr_workitem_id 0
		.amdhsa_next_free_vgpr 54
		.amdhsa_next_free_sgpr 20
		.amdhsa_reserve_vcc 1
		.amdhsa_float_round_mode_32 0
		.amdhsa_float_round_mode_16_64 0
		.amdhsa_float_denorm_mode_32 3
		.amdhsa_float_denorm_mode_16_64 3
		.amdhsa_dx10_clamp 1
		.amdhsa_ieee_mode 1
		.amdhsa_fp16_overflow 0
		.amdhsa_workgroup_processor_mode 1
		.amdhsa_memory_ordered 1
		.amdhsa_forward_progress 0
		.amdhsa_shared_vgpr_count 0
		.amdhsa_exception_fp_ieee_invalid_op 0
		.amdhsa_exception_fp_denorm_src 0
		.amdhsa_exception_fp_ieee_div_zero 0
		.amdhsa_exception_fp_ieee_overflow 0
		.amdhsa_exception_fp_ieee_underflow 0
		.amdhsa_exception_fp_ieee_inexact 0
		.amdhsa_exception_int_div_zero 0
	.end_amdhsa_kernel
	.section	.text._ZN7rocprim17ROCPRIM_400000_NS6detail17trampoline_kernelINS0_14default_configENS1_25partition_config_selectorILNS1_17partition_subalgoE6EdNS0_10empty_typeEbEEZZNS1_14partition_implILS5_6ELb0ES3_mN6thrust23THRUST_200600_302600_NS6detail15normal_iteratorINSA_10device_ptrIdEEEEPS6_SG_NS0_5tupleIJSF_S6_EEENSH_IJSG_SG_EEES6_PlJ7is_evenIdEEEE10hipError_tPvRmT3_T4_T5_T6_T7_T9_mT8_P12ihipStream_tbDpT10_ENKUlT_T0_E_clISt17integral_constantIbLb0EES16_EEDaS11_S12_EUlS11_E_NS1_11comp_targetILNS1_3genE9ELNS1_11target_archE1100ELNS1_3gpuE3ELNS1_3repE0EEENS1_30default_config_static_selectorELNS0_4arch9wavefront6targetE0EEEvT1_,"axG",@progbits,_ZN7rocprim17ROCPRIM_400000_NS6detail17trampoline_kernelINS0_14default_configENS1_25partition_config_selectorILNS1_17partition_subalgoE6EdNS0_10empty_typeEbEEZZNS1_14partition_implILS5_6ELb0ES3_mN6thrust23THRUST_200600_302600_NS6detail15normal_iteratorINSA_10device_ptrIdEEEEPS6_SG_NS0_5tupleIJSF_S6_EEENSH_IJSG_SG_EEES6_PlJ7is_evenIdEEEE10hipError_tPvRmT3_T4_T5_T6_T7_T9_mT8_P12ihipStream_tbDpT10_ENKUlT_T0_E_clISt17integral_constantIbLb0EES16_EEDaS11_S12_EUlS11_E_NS1_11comp_targetILNS1_3genE9ELNS1_11target_archE1100ELNS1_3gpuE3ELNS1_3repE0EEENS1_30default_config_static_selectorELNS0_4arch9wavefront6targetE0EEEvT1_,comdat
.Lfunc_end195:
	.size	_ZN7rocprim17ROCPRIM_400000_NS6detail17trampoline_kernelINS0_14default_configENS1_25partition_config_selectorILNS1_17partition_subalgoE6EdNS0_10empty_typeEbEEZZNS1_14partition_implILS5_6ELb0ES3_mN6thrust23THRUST_200600_302600_NS6detail15normal_iteratorINSA_10device_ptrIdEEEEPS6_SG_NS0_5tupleIJSF_S6_EEENSH_IJSG_SG_EEES6_PlJ7is_evenIdEEEE10hipError_tPvRmT3_T4_T5_T6_T7_T9_mT8_P12ihipStream_tbDpT10_ENKUlT_T0_E_clISt17integral_constantIbLb0EES16_EEDaS11_S12_EUlS11_E_NS1_11comp_targetILNS1_3genE9ELNS1_11target_archE1100ELNS1_3gpuE3ELNS1_3repE0EEENS1_30default_config_static_selectorELNS0_4arch9wavefront6targetE0EEEvT1_, .Lfunc_end195-_ZN7rocprim17ROCPRIM_400000_NS6detail17trampoline_kernelINS0_14default_configENS1_25partition_config_selectorILNS1_17partition_subalgoE6EdNS0_10empty_typeEbEEZZNS1_14partition_implILS5_6ELb0ES3_mN6thrust23THRUST_200600_302600_NS6detail15normal_iteratorINSA_10device_ptrIdEEEEPS6_SG_NS0_5tupleIJSF_S6_EEENSH_IJSG_SG_EEES6_PlJ7is_evenIdEEEE10hipError_tPvRmT3_T4_T5_T6_T7_T9_mT8_P12ihipStream_tbDpT10_ENKUlT_T0_E_clISt17integral_constantIbLb0EES16_EEDaS11_S12_EUlS11_E_NS1_11comp_targetILNS1_3genE9ELNS1_11target_archE1100ELNS1_3gpuE3ELNS1_3repE0EEENS1_30default_config_static_selectorELNS0_4arch9wavefront6targetE0EEEvT1_
                                        ; -- End function
	.section	.AMDGPU.csdata,"",@progbits
; Kernel info:
; codeLenInByte = 6548
; NumSgprs: 22
; NumVgprs: 54
; ScratchSize: 0
; MemoryBound: 0
; FloatMode: 240
; IeeeMode: 1
; LDSByteSize: 18448 bytes/workgroup (compile time only)
; SGPRBlocks: 2
; VGPRBlocks: 6
; NumSGPRsForWavesPerEU: 22
; NumVGPRsForWavesPerEU: 54
; Occupancy: 15
; WaveLimiterHint : 1
; COMPUTE_PGM_RSRC2:SCRATCH_EN: 0
; COMPUTE_PGM_RSRC2:USER_SGPR: 15
; COMPUTE_PGM_RSRC2:TRAP_HANDLER: 0
; COMPUTE_PGM_RSRC2:TGID_X_EN: 1
; COMPUTE_PGM_RSRC2:TGID_Y_EN: 0
; COMPUTE_PGM_RSRC2:TGID_Z_EN: 0
; COMPUTE_PGM_RSRC2:TIDIG_COMP_CNT: 0
	.section	.text._ZN7rocprim17ROCPRIM_400000_NS6detail17trampoline_kernelINS0_14default_configENS1_25partition_config_selectorILNS1_17partition_subalgoE6EdNS0_10empty_typeEbEEZZNS1_14partition_implILS5_6ELb0ES3_mN6thrust23THRUST_200600_302600_NS6detail15normal_iteratorINSA_10device_ptrIdEEEEPS6_SG_NS0_5tupleIJSF_S6_EEENSH_IJSG_SG_EEES6_PlJ7is_evenIdEEEE10hipError_tPvRmT3_T4_T5_T6_T7_T9_mT8_P12ihipStream_tbDpT10_ENKUlT_T0_E_clISt17integral_constantIbLb0EES16_EEDaS11_S12_EUlS11_E_NS1_11comp_targetILNS1_3genE8ELNS1_11target_archE1030ELNS1_3gpuE2ELNS1_3repE0EEENS1_30default_config_static_selectorELNS0_4arch9wavefront6targetE0EEEvT1_,"axG",@progbits,_ZN7rocprim17ROCPRIM_400000_NS6detail17trampoline_kernelINS0_14default_configENS1_25partition_config_selectorILNS1_17partition_subalgoE6EdNS0_10empty_typeEbEEZZNS1_14partition_implILS5_6ELb0ES3_mN6thrust23THRUST_200600_302600_NS6detail15normal_iteratorINSA_10device_ptrIdEEEEPS6_SG_NS0_5tupleIJSF_S6_EEENSH_IJSG_SG_EEES6_PlJ7is_evenIdEEEE10hipError_tPvRmT3_T4_T5_T6_T7_T9_mT8_P12ihipStream_tbDpT10_ENKUlT_T0_E_clISt17integral_constantIbLb0EES16_EEDaS11_S12_EUlS11_E_NS1_11comp_targetILNS1_3genE8ELNS1_11target_archE1030ELNS1_3gpuE2ELNS1_3repE0EEENS1_30default_config_static_selectorELNS0_4arch9wavefront6targetE0EEEvT1_,comdat
	.protected	_ZN7rocprim17ROCPRIM_400000_NS6detail17trampoline_kernelINS0_14default_configENS1_25partition_config_selectorILNS1_17partition_subalgoE6EdNS0_10empty_typeEbEEZZNS1_14partition_implILS5_6ELb0ES3_mN6thrust23THRUST_200600_302600_NS6detail15normal_iteratorINSA_10device_ptrIdEEEEPS6_SG_NS0_5tupleIJSF_S6_EEENSH_IJSG_SG_EEES6_PlJ7is_evenIdEEEE10hipError_tPvRmT3_T4_T5_T6_T7_T9_mT8_P12ihipStream_tbDpT10_ENKUlT_T0_E_clISt17integral_constantIbLb0EES16_EEDaS11_S12_EUlS11_E_NS1_11comp_targetILNS1_3genE8ELNS1_11target_archE1030ELNS1_3gpuE2ELNS1_3repE0EEENS1_30default_config_static_selectorELNS0_4arch9wavefront6targetE0EEEvT1_ ; -- Begin function _ZN7rocprim17ROCPRIM_400000_NS6detail17trampoline_kernelINS0_14default_configENS1_25partition_config_selectorILNS1_17partition_subalgoE6EdNS0_10empty_typeEbEEZZNS1_14partition_implILS5_6ELb0ES3_mN6thrust23THRUST_200600_302600_NS6detail15normal_iteratorINSA_10device_ptrIdEEEEPS6_SG_NS0_5tupleIJSF_S6_EEENSH_IJSG_SG_EEES6_PlJ7is_evenIdEEEE10hipError_tPvRmT3_T4_T5_T6_T7_T9_mT8_P12ihipStream_tbDpT10_ENKUlT_T0_E_clISt17integral_constantIbLb0EES16_EEDaS11_S12_EUlS11_E_NS1_11comp_targetILNS1_3genE8ELNS1_11target_archE1030ELNS1_3gpuE2ELNS1_3repE0EEENS1_30default_config_static_selectorELNS0_4arch9wavefront6targetE0EEEvT1_
	.globl	_ZN7rocprim17ROCPRIM_400000_NS6detail17trampoline_kernelINS0_14default_configENS1_25partition_config_selectorILNS1_17partition_subalgoE6EdNS0_10empty_typeEbEEZZNS1_14partition_implILS5_6ELb0ES3_mN6thrust23THRUST_200600_302600_NS6detail15normal_iteratorINSA_10device_ptrIdEEEEPS6_SG_NS0_5tupleIJSF_S6_EEENSH_IJSG_SG_EEES6_PlJ7is_evenIdEEEE10hipError_tPvRmT3_T4_T5_T6_T7_T9_mT8_P12ihipStream_tbDpT10_ENKUlT_T0_E_clISt17integral_constantIbLb0EES16_EEDaS11_S12_EUlS11_E_NS1_11comp_targetILNS1_3genE8ELNS1_11target_archE1030ELNS1_3gpuE2ELNS1_3repE0EEENS1_30default_config_static_selectorELNS0_4arch9wavefront6targetE0EEEvT1_
	.p2align	8
	.type	_ZN7rocprim17ROCPRIM_400000_NS6detail17trampoline_kernelINS0_14default_configENS1_25partition_config_selectorILNS1_17partition_subalgoE6EdNS0_10empty_typeEbEEZZNS1_14partition_implILS5_6ELb0ES3_mN6thrust23THRUST_200600_302600_NS6detail15normal_iteratorINSA_10device_ptrIdEEEEPS6_SG_NS0_5tupleIJSF_S6_EEENSH_IJSG_SG_EEES6_PlJ7is_evenIdEEEE10hipError_tPvRmT3_T4_T5_T6_T7_T9_mT8_P12ihipStream_tbDpT10_ENKUlT_T0_E_clISt17integral_constantIbLb0EES16_EEDaS11_S12_EUlS11_E_NS1_11comp_targetILNS1_3genE8ELNS1_11target_archE1030ELNS1_3gpuE2ELNS1_3repE0EEENS1_30default_config_static_selectorELNS0_4arch9wavefront6targetE0EEEvT1_,@function
_ZN7rocprim17ROCPRIM_400000_NS6detail17trampoline_kernelINS0_14default_configENS1_25partition_config_selectorILNS1_17partition_subalgoE6EdNS0_10empty_typeEbEEZZNS1_14partition_implILS5_6ELb0ES3_mN6thrust23THRUST_200600_302600_NS6detail15normal_iteratorINSA_10device_ptrIdEEEEPS6_SG_NS0_5tupleIJSF_S6_EEENSH_IJSG_SG_EEES6_PlJ7is_evenIdEEEE10hipError_tPvRmT3_T4_T5_T6_T7_T9_mT8_P12ihipStream_tbDpT10_ENKUlT_T0_E_clISt17integral_constantIbLb0EES16_EEDaS11_S12_EUlS11_E_NS1_11comp_targetILNS1_3genE8ELNS1_11target_archE1030ELNS1_3gpuE2ELNS1_3repE0EEENS1_30default_config_static_selectorELNS0_4arch9wavefront6targetE0EEEvT1_: ; @_ZN7rocprim17ROCPRIM_400000_NS6detail17trampoline_kernelINS0_14default_configENS1_25partition_config_selectorILNS1_17partition_subalgoE6EdNS0_10empty_typeEbEEZZNS1_14partition_implILS5_6ELb0ES3_mN6thrust23THRUST_200600_302600_NS6detail15normal_iteratorINSA_10device_ptrIdEEEEPS6_SG_NS0_5tupleIJSF_S6_EEENSH_IJSG_SG_EEES6_PlJ7is_evenIdEEEE10hipError_tPvRmT3_T4_T5_T6_T7_T9_mT8_P12ihipStream_tbDpT10_ENKUlT_T0_E_clISt17integral_constantIbLb0EES16_EEDaS11_S12_EUlS11_E_NS1_11comp_targetILNS1_3genE8ELNS1_11target_archE1030ELNS1_3gpuE2ELNS1_3repE0EEENS1_30default_config_static_selectorELNS0_4arch9wavefront6targetE0EEEvT1_
; %bb.0:
	.section	.rodata,"a",@progbits
	.p2align	6, 0x0
	.amdhsa_kernel _ZN7rocprim17ROCPRIM_400000_NS6detail17trampoline_kernelINS0_14default_configENS1_25partition_config_selectorILNS1_17partition_subalgoE6EdNS0_10empty_typeEbEEZZNS1_14partition_implILS5_6ELb0ES3_mN6thrust23THRUST_200600_302600_NS6detail15normal_iteratorINSA_10device_ptrIdEEEEPS6_SG_NS0_5tupleIJSF_S6_EEENSH_IJSG_SG_EEES6_PlJ7is_evenIdEEEE10hipError_tPvRmT3_T4_T5_T6_T7_T9_mT8_P12ihipStream_tbDpT10_ENKUlT_T0_E_clISt17integral_constantIbLb0EES16_EEDaS11_S12_EUlS11_E_NS1_11comp_targetILNS1_3genE8ELNS1_11target_archE1030ELNS1_3gpuE2ELNS1_3repE0EEENS1_30default_config_static_selectorELNS0_4arch9wavefront6targetE0EEEvT1_
		.amdhsa_group_segment_fixed_size 0
		.amdhsa_private_segment_fixed_size 0
		.amdhsa_kernarg_size 112
		.amdhsa_user_sgpr_count 15
		.amdhsa_user_sgpr_dispatch_ptr 0
		.amdhsa_user_sgpr_queue_ptr 0
		.amdhsa_user_sgpr_kernarg_segment_ptr 1
		.amdhsa_user_sgpr_dispatch_id 0
		.amdhsa_user_sgpr_private_segment_size 0
		.amdhsa_wavefront_size32 1
		.amdhsa_uses_dynamic_stack 0
		.amdhsa_enable_private_segment 0
		.amdhsa_system_sgpr_workgroup_id_x 1
		.amdhsa_system_sgpr_workgroup_id_y 0
		.amdhsa_system_sgpr_workgroup_id_z 0
		.amdhsa_system_sgpr_workgroup_info 0
		.amdhsa_system_vgpr_workitem_id 0
		.amdhsa_next_free_vgpr 1
		.amdhsa_next_free_sgpr 1
		.amdhsa_reserve_vcc 0
		.amdhsa_float_round_mode_32 0
		.amdhsa_float_round_mode_16_64 0
		.amdhsa_float_denorm_mode_32 3
		.amdhsa_float_denorm_mode_16_64 3
		.amdhsa_dx10_clamp 1
		.amdhsa_ieee_mode 1
		.amdhsa_fp16_overflow 0
		.amdhsa_workgroup_processor_mode 1
		.amdhsa_memory_ordered 1
		.amdhsa_forward_progress 0
		.amdhsa_shared_vgpr_count 0
		.amdhsa_exception_fp_ieee_invalid_op 0
		.amdhsa_exception_fp_denorm_src 0
		.amdhsa_exception_fp_ieee_div_zero 0
		.amdhsa_exception_fp_ieee_overflow 0
		.amdhsa_exception_fp_ieee_underflow 0
		.amdhsa_exception_fp_ieee_inexact 0
		.amdhsa_exception_int_div_zero 0
	.end_amdhsa_kernel
	.section	.text._ZN7rocprim17ROCPRIM_400000_NS6detail17trampoline_kernelINS0_14default_configENS1_25partition_config_selectorILNS1_17partition_subalgoE6EdNS0_10empty_typeEbEEZZNS1_14partition_implILS5_6ELb0ES3_mN6thrust23THRUST_200600_302600_NS6detail15normal_iteratorINSA_10device_ptrIdEEEEPS6_SG_NS0_5tupleIJSF_S6_EEENSH_IJSG_SG_EEES6_PlJ7is_evenIdEEEE10hipError_tPvRmT3_T4_T5_T6_T7_T9_mT8_P12ihipStream_tbDpT10_ENKUlT_T0_E_clISt17integral_constantIbLb0EES16_EEDaS11_S12_EUlS11_E_NS1_11comp_targetILNS1_3genE8ELNS1_11target_archE1030ELNS1_3gpuE2ELNS1_3repE0EEENS1_30default_config_static_selectorELNS0_4arch9wavefront6targetE0EEEvT1_,"axG",@progbits,_ZN7rocprim17ROCPRIM_400000_NS6detail17trampoline_kernelINS0_14default_configENS1_25partition_config_selectorILNS1_17partition_subalgoE6EdNS0_10empty_typeEbEEZZNS1_14partition_implILS5_6ELb0ES3_mN6thrust23THRUST_200600_302600_NS6detail15normal_iteratorINSA_10device_ptrIdEEEEPS6_SG_NS0_5tupleIJSF_S6_EEENSH_IJSG_SG_EEES6_PlJ7is_evenIdEEEE10hipError_tPvRmT3_T4_T5_T6_T7_T9_mT8_P12ihipStream_tbDpT10_ENKUlT_T0_E_clISt17integral_constantIbLb0EES16_EEDaS11_S12_EUlS11_E_NS1_11comp_targetILNS1_3genE8ELNS1_11target_archE1030ELNS1_3gpuE2ELNS1_3repE0EEENS1_30default_config_static_selectorELNS0_4arch9wavefront6targetE0EEEvT1_,comdat
.Lfunc_end196:
	.size	_ZN7rocprim17ROCPRIM_400000_NS6detail17trampoline_kernelINS0_14default_configENS1_25partition_config_selectorILNS1_17partition_subalgoE6EdNS0_10empty_typeEbEEZZNS1_14partition_implILS5_6ELb0ES3_mN6thrust23THRUST_200600_302600_NS6detail15normal_iteratorINSA_10device_ptrIdEEEEPS6_SG_NS0_5tupleIJSF_S6_EEENSH_IJSG_SG_EEES6_PlJ7is_evenIdEEEE10hipError_tPvRmT3_T4_T5_T6_T7_T9_mT8_P12ihipStream_tbDpT10_ENKUlT_T0_E_clISt17integral_constantIbLb0EES16_EEDaS11_S12_EUlS11_E_NS1_11comp_targetILNS1_3genE8ELNS1_11target_archE1030ELNS1_3gpuE2ELNS1_3repE0EEENS1_30default_config_static_selectorELNS0_4arch9wavefront6targetE0EEEvT1_, .Lfunc_end196-_ZN7rocprim17ROCPRIM_400000_NS6detail17trampoline_kernelINS0_14default_configENS1_25partition_config_selectorILNS1_17partition_subalgoE6EdNS0_10empty_typeEbEEZZNS1_14partition_implILS5_6ELb0ES3_mN6thrust23THRUST_200600_302600_NS6detail15normal_iteratorINSA_10device_ptrIdEEEEPS6_SG_NS0_5tupleIJSF_S6_EEENSH_IJSG_SG_EEES6_PlJ7is_evenIdEEEE10hipError_tPvRmT3_T4_T5_T6_T7_T9_mT8_P12ihipStream_tbDpT10_ENKUlT_T0_E_clISt17integral_constantIbLb0EES16_EEDaS11_S12_EUlS11_E_NS1_11comp_targetILNS1_3genE8ELNS1_11target_archE1030ELNS1_3gpuE2ELNS1_3repE0EEENS1_30default_config_static_selectorELNS0_4arch9wavefront6targetE0EEEvT1_
                                        ; -- End function
	.section	.AMDGPU.csdata,"",@progbits
; Kernel info:
; codeLenInByte = 0
; NumSgprs: 0
; NumVgprs: 0
; ScratchSize: 0
; MemoryBound: 0
; FloatMode: 240
; IeeeMode: 1
; LDSByteSize: 0 bytes/workgroup (compile time only)
; SGPRBlocks: 0
; VGPRBlocks: 0
; NumSGPRsForWavesPerEU: 1
; NumVGPRsForWavesPerEU: 1
; Occupancy: 16
; WaveLimiterHint : 0
; COMPUTE_PGM_RSRC2:SCRATCH_EN: 0
; COMPUTE_PGM_RSRC2:USER_SGPR: 15
; COMPUTE_PGM_RSRC2:TRAP_HANDLER: 0
; COMPUTE_PGM_RSRC2:TGID_X_EN: 1
; COMPUTE_PGM_RSRC2:TGID_Y_EN: 0
; COMPUTE_PGM_RSRC2:TGID_Z_EN: 0
; COMPUTE_PGM_RSRC2:TIDIG_COMP_CNT: 0
	.section	.text._ZN7rocprim17ROCPRIM_400000_NS6detail17trampoline_kernelINS0_14default_configENS1_25transform_config_selectorImLb1EEEZNS1_14transform_implILb1ES3_S5_PmPlNS0_8identityIvEEEE10hipError_tT2_T3_mT4_P12ihipStream_tbEUlT_E_NS1_11comp_targetILNS1_3genE0ELNS1_11target_archE4294967295ELNS1_3gpuE0ELNS1_3repE0EEENS1_30default_config_static_selectorELNS0_4arch9wavefront6targetE0EEEvT1_,"axG",@progbits,_ZN7rocprim17ROCPRIM_400000_NS6detail17trampoline_kernelINS0_14default_configENS1_25transform_config_selectorImLb1EEEZNS1_14transform_implILb1ES3_S5_PmPlNS0_8identityIvEEEE10hipError_tT2_T3_mT4_P12ihipStream_tbEUlT_E_NS1_11comp_targetILNS1_3genE0ELNS1_11target_archE4294967295ELNS1_3gpuE0ELNS1_3repE0EEENS1_30default_config_static_selectorELNS0_4arch9wavefront6targetE0EEEvT1_,comdat
	.protected	_ZN7rocprim17ROCPRIM_400000_NS6detail17trampoline_kernelINS0_14default_configENS1_25transform_config_selectorImLb1EEEZNS1_14transform_implILb1ES3_S5_PmPlNS0_8identityIvEEEE10hipError_tT2_T3_mT4_P12ihipStream_tbEUlT_E_NS1_11comp_targetILNS1_3genE0ELNS1_11target_archE4294967295ELNS1_3gpuE0ELNS1_3repE0EEENS1_30default_config_static_selectorELNS0_4arch9wavefront6targetE0EEEvT1_ ; -- Begin function _ZN7rocprim17ROCPRIM_400000_NS6detail17trampoline_kernelINS0_14default_configENS1_25transform_config_selectorImLb1EEEZNS1_14transform_implILb1ES3_S5_PmPlNS0_8identityIvEEEE10hipError_tT2_T3_mT4_P12ihipStream_tbEUlT_E_NS1_11comp_targetILNS1_3genE0ELNS1_11target_archE4294967295ELNS1_3gpuE0ELNS1_3repE0EEENS1_30default_config_static_selectorELNS0_4arch9wavefront6targetE0EEEvT1_
	.globl	_ZN7rocprim17ROCPRIM_400000_NS6detail17trampoline_kernelINS0_14default_configENS1_25transform_config_selectorImLb1EEEZNS1_14transform_implILb1ES3_S5_PmPlNS0_8identityIvEEEE10hipError_tT2_T3_mT4_P12ihipStream_tbEUlT_E_NS1_11comp_targetILNS1_3genE0ELNS1_11target_archE4294967295ELNS1_3gpuE0ELNS1_3repE0EEENS1_30default_config_static_selectorELNS0_4arch9wavefront6targetE0EEEvT1_
	.p2align	8
	.type	_ZN7rocprim17ROCPRIM_400000_NS6detail17trampoline_kernelINS0_14default_configENS1_25transform_config_selectorImLb1EEEZNS1_14transform_implILb1ES3_S5_PmPlNS0_8identityIvEEEE10hipError_tT2_T3_mT4_P12ihipStream_tbEUlT_E_NS1_11comp_targetILNS1_3genE0ELNS1_11target_archE4294967295ELNS1_3gpuE0ELNS1_3repE0EEENS1_30default_config_static_selectorELNS0_4arch9wavefront6targetE0EEEvT1_,@function
_ZN7rocprim17ROCPRIM_400000_NS6detail17trampoline_kernelINS0_14default_configENS1_25transform_config_selectorImLb1EEEZNS1_14transform_implILb1ES3_S5_PmPlNS0_8identityIvEEEE10hipError_tT2_T3_mT4_P12ihipStream_tbEUlT_E_NS1_11comp_targetILNS1_3genE0ELNS1_11target_archE4294967295ELNS1_3gpuE0ELNS1_3repE0EEENS1_30default_config_static_selectorELNS0_4arch9wavefront6targetE0EEEvT1_: ; @_ZN7rocprim17ROCPRIM_400000_NS6detail17trampoline_kernelINS0_14default_configENS1_25transform_config_selectorImLb1EEEZNS1_14transform_implILb1ES3_S5_PmPlNS0_8identityIvEEEE10hipError_tT2_T3_mT4_P12ihipStream_tbEUlT_E_NS1_11comp_targetILNS1_3genE0ELNS1_11target_archE4294967295ELNS1_3gpuE0ELNS1_3repE0EEENS1_30default_config_static_selectorELNS0_4arch9wavefront6targetE0EEEvT1_
; %bb.0:
	.section	.rodata,"a",@progbits
	.p2align	6, 0x0
	.amdhsa_kernel _ZN7rocprim17ROCPRIM_400000_NS6detail17trampoline_kernelINS0_14default_configENS1_25transform_config_selectorImLb1EEEZNS1_14transform_implILb1ES3_S5_PmPlNS0_8identityIvEEEE10hipError_tT2_T3_mT4_P12ihipStream_tbEUlT_E_NS1_11comp_targetILNS1_3genE0ELNS1_11target_archE4294967295ELNS1_3gpuE0ELNS1_3repE0EEENS1_30default_config_static_selectorELNS0_4arch9wavefront6targetE0EEEvT1_
		.amdhsa_group_segment_fixed_size 0
		.amdhsa_private_segment_fixed_size 0
		.amdhsa_kernarg_size 40
		.amdhsa_user_sgpr_count 15
		.amdhsa_user_sgpr_dispatch_ptr 0
		.amdhsa_user_sgpr_queue_ptr 0
		.amdhsa_user_sgpr_kernarg_segment_ptr 1
		.amdhsa_user_sgpr_dispatch_id 0
		.amdhsa_user_sgpr_private_segment_size 0
		.amdhsa_wavefront_size32 1
		.amdhsa_uses_dynamic_stack 0
		.amdhsa_enable_private_segment 0
		.amdhsa_system_sgpr_workgroup_id_x 1
		.amdhsa_system_sgpr_workgroup_id_y 0
		.amdhsa_system_sgpr_workgroup_id_z 0
		.amdhsa_system_sgpr_workgroup_info 0
		.amdhsa_system_vgpr_workitem_id 0
		.amdhsa_next_free_vgpr 1
		.amdhsa_next_free_sgpr 1
		.amdhsa_reserve_vcc 0
		.amdhsa_float_round_mode_32 0
		.amdhsa_float_round_mode_16_64 0
		.amdhsa_float_denorm_mode_32 3
		.amdhsa_float_denorm_mode_16_64 3
		.amdhsa_dx10_clamp 1
		.amdhsa_ieee_mode 1
		.amdhsa_fp16_overflow 0
		.amdhsa_workgroup_processor_mode 1
		.amdhsa_memory_ordered 1
		.amdhsa_forward_progress 0
		.amdhsa_shared_vgpr_count 0
		.amdhsa_exception_fp_ieee_invalid_op 0
		.amdhsa_exception_fp_denorm_src 0
		.amdhsa_exception_fp_ieee_div_zero 0
		.amdhsa_exception_fp_ieee_overflow 0
		.amdhsa_exception_fp_ieee_underflow 0
		.amdhsa_exception_fp_ieee_inexact 0
		.amdhsa_exception_int_div_zero 0
	.end_amdhsa_kernel
	.section	.text._ZN7rocprim17ROCPRIM_400000_NS6detail17trampoline_kernelINS0_14default_configENS1_25transform_config_selectorImLb1EEEZNS1_14transform_implILb1ES3_S5_PmPlNS0_8identityIvEEEE10hipError_tT2_T3_mT4_P12ihipStream_tbEUlT_E_NS1_11comp_targetILNS1_3genE0ELNS1_11target_archE4294967295ELNS1_3gpuE0ELNS1_3repE0EEENS1_30default_config_static_selectorELNS0_4arch9wavefront6targetE0EEEvT1_,"axG",@progbits,_ZN7rocprim17ROCPRIM_400000_NS6detail17trampoline_kernelINS0_14default_configENS1_25transform_config_selectorImLb1EEEZNS1_14transform_implILb1ES3_S5_PmPlNS0_8identityIvEEEE10hipError_tT2_T3_mT4_P12ihipStream_tbEUlT_E_NS1_11comp_targetILNS1_3genE0ELNS1_11target_archE4294967295ELNS1_3gpuE0ELNS1_3repE0EEENS1_30default_config_static_selectorELNS0_4arch9wavefront6targetE0EEEvT1_,comdat
.Lfunc_end197:
	.size	_ZN7rocprim17ROCPRIM_400000_NS6detail17trampoline_kernelINS0_14default_configENS1_25transform_config_selectorImLb1EEEZNS1_14transform_implILb1ES3_S5_PmPlNS0_8identityIvEEEE10hipError_tT2_T3_mT4_P12ihipStream_tbEUlT_E_NS1_11comp_targetILNS1_3genE0ELNS1_11target_archE4294967295ELNS1_3gpuE0ELNS1_3repE0EEENS1_30default_config_static_selectorELNS0_4arch9wavefront6targetE0EEEvT1_, .Lfunc_end197-_ZN7rocprim17ROCPRIM_400000_NS6detail17trampoline_kernelINS0_14default_configENS1_25transform_config_selectorImLb1EEEZNS1_14transform_implILb1ES3_S5_PmPlNS0_8identityIvEEEE10hipError_tT2_T3_mT4_P12ihipStream_tbEUlT_E_NS1_11comp_targetILNS1_3genE0ELNS1_11target_archE4294967295ELNS1_3gpuE0ELNS1_3repE0EEENS1_30default_config_static_selectorELNS0_4arch9wavefront6targetE0EEEvT1_
                                        ; -- End function
	.section	.AMDGPU.csdata,"",@progbits
; Kernel info:
; codeLenInByte = 0
; NumSgprs: 0
; NumVgprs: 0
; ScratchSize: 0
; MemoryBound: 0
; FloatMode: 240
; IeeeMode: 1
; LDSByteSize: 0 bytes/workgroup (compile time only)
; SGPRBlocks: 0
; VGPRBlocks: 0
; NumSGPRsForWavesPerEU: 1
; NumVGPRsForWavesPerEU: 1
; Occupancy: 16
; WaveLimiterHint : 0
; COMPUTE_PGM_RSRC2:SCRATCH_EN: 0
; COMPUTE_PGM_RSRC2:USER_SGPR: 15
; COMPUTE_PGM_RSRC2:TRAP_HANDLER: 0
; COMPUTE_PGM_RSRC2:TGID_X_EN: 1
; COMPUTE_PGM_RSRC2:TGID_Y_EN: 0
; COMPUTE_PGM_RSRC2:TGID_Z_EN: 0
; COMPUTE_PGM_RSRC2:TIDIG_COMP_CNT: 0
	.section	.text._ZN7rocprim17ROCPRIM_400000_NS6detail17trampoline_kernelINS0_14default_configENS1_25transform_config_selectorImLb1EEEZNS1_14transform_implILb1ES3_S5_PmPlNS0_8identityIvEEEE10hipError_tT2_T3_mT4_P12ihipStream_tbEUlT_E_NS1_11comp_targetILNS1_3genE10ELNS1_11target_archE1201ELNS1_3gpuE5ELNS1_3repE0EEENS1_30default_config_static_selectorELNS0_4arch9wavefront6targetE0EEEvT1_,"axG",@progbits,_ZN7rocprim17ROCPRIM_400000_NS6detail17trampoline_kernelINS0_14default_configENS1_25transform_config_selectorImLb1EEEZNS1_14transform_implILb1ES3_S5_PmPlNS0_8identityIvEEEE10hipError_tT2_T3_mT4_P12ihipStream_tbEUlT_E_NS1_11comp_targetILNS1_3genE10ELNS1_11target_archE1201ELNS1_3gpuE5ELNS1_3repE0EEENS1_30default_config_static_selectorELNS0_4arch9wavefront6targetE0EEEvT1_,comdat
	.protected	_ZN7rocprim17ROCPRIM_400000_NS6detail17trampoline_kernelINS0_14default_configENS1_25transform_config_selectorImLb1EEEZNS1_14transform_implILb1ES3_S5_PmPlNS0_8identityIvEEEE10hipError_tT2_T3_mT4_P12ihipStream_tbEUlT_E_NS1_11comp_targetILNS1_3genE10ELNS1_11target_archE1201ELNS1_3gpuE5ELNS1_3repE0EEENS1_30default_config_static_selectorELNS0_4arch9wavefront6targetE0EEEvT1_ ; -- Begin function _ZN7rocprim17ROCPRIM_400000_NS6detail17trampoline_kernelINS0_14default_configENS1_25transform_config_selectorImLb1EEEZNS1_14transform_implILb1ES3_S5_PmPlNS0_8identityIvEEEE10hipError_tT2_T3_mT4_P12ihipStream_tbEUlT_E_NS1_11comp_targetILNS1_3genE10ELNS1_11target_archE1201ELNS1_3gpuE5ELNS1_3repE0EEENS1_30default_config_static_selectorELNS0_4arch9wavefront6targetE0EEEvT1_
	.globl	_ZN7rocprim17ROCPRIM_400000_NS6detail17trampoline_kernelINS0_14default_configENS1_25transform_config_selectorImLb1EEEZNS1_14transform_implILb1ES3_S5_PmPlNS0_8identityIvEEEE10hipError_tT2_T3_mT4_P12ihipStream_tbEUlT_E_NS1_11comp_targetILNS1_3genE10ELNS1_11target_archE1201ELNS1_3gpuE5ELNS1_3repE0EEENS1_30default_config_static_selectorELNS0_4arch9wavefront6targetE0EEEvT1_
	.p2align	8
	.type	_ZN7rocprim17ROCPRIM_400000_NS6detail17trampoline_kernelINS0_14default_configENS1_25transform_config_selectorImLb1EEEZNS1_14transform_implILb1ES3_S5_PmPlNS0_8identityIvEEEE10hipError_tT2_T3_mT4_P12ihipStream_tbEUlT_E_NS1_11comp_targetILNS1_3genE10ELNS1_11target_archE1201ELNS1_3gpuE5ELNS1_3repE0EEENS1_30default_config_static_selectorELNS0_4arch9wavefront6targetE0EEEvT1_,@function
_ZN7rocprim17ROCPRIM_400000_NS6detail17trampoline_kernelINS0_14default_configENS1_25transform_config_selectorImLb1EEEZNS1_14transform_implILb1ES3_S5_PmPlNS0_8identityIvEEEE10hipError_tT2_T3_mT4_P12ihipStream_tbEUlT_E_NS1_11comp_targetILNS1_3genE10ELNS1_11target_archE1201ELNS1_3gpuE5ELNS1_3repE0EEENS1_30default_config_static_selectorELNS0_4arch9wavefront6targetE0EEEvT1_: ; @_ZN7rocprim17ROCPRIM_400000_NS6detail17trampoline_kernelINS0_14default_configENS1_25transform_config_selectorImLb1EEEZNS1_14transform_implILb1ES3_S5_PmPlNS0_8identityIvEEEE10hipError_tT2_T3_mT4_P12ihipStream_tbEUlT_E_NS1_11comp_targetILNS1_3genE10ELNS1_11target_archE1201ELNS1_3gpuE5ELNS1_3repE0EEENS1_30default_config_static_selectorELNS0_4arch9wavefront6targetE0EEEvT1_
; %bb.0:
	.section	.rodata,"a",@progbits
	.p2align	6, 0x0
	.amdhsa_kernel _ZN7rocprim17ROCPRIM_400000_NS6detail17trampoline_kernelINS0_14default_configENS1_25transform_config_selectorImLb1EEEZNS1_14transform_implILb1ES3_S5_PmPlNS0_8identityIvEEEE10hipError_tT2_T3_mT4_P12ihipStream_tbEUlT_E_NS1_11comp_targetILNS1_3genE10ELNS1_11target_archE1201ELNS1_3gpuE5ELNS1_3repE0EEENS1_30default_config_static_selectorELNS0_4arch9wavefront6targetE0EEEvT1_
		.amdhsa_group_segment_fixed_size 0
		.amdhsa_private_segment_fixed_size 0
		.amdhsa_kernarg_size 40
		.amdhsa_user_sgpr_count 15
		.amdhsa_user_sgpr_dispatch_ptr 0
		.amdhsa_user_sgpr_queue_ptr 0
		.amdhsa_user_sgpr_kernarg_segment_ptr 1
		.amdhsa_user_sgpr_dispatch_id 0
		.amdhsa_user_sgpr_private_segment_size 0
		.amdhsa_wavefront_size32 1
		.amdhsa_uses_dynamic_stack 0
		.amdhsa_enable_private_segment 0
		.amdhsa_system_sgpr_workgroup_id_x 1
		.amdhsa_system_sgpr_workgroup_id_y 0
		.amdhsa_system_sgpr_workgroup_id_z 0
		.amdhsa_system_sgpr_workgroup_info 0
		.amdhsa_system_vgpr_workitem_id 0
		.amdhsa_next_free_vgpr 1
		.amdhsa_next_free_sgpr 1
		.amdhsa_reserve_vcc 0
		.amdhsa_float_round_mode_32 0
		.amdhsa_float_round_mode_16_64 0
		.amdhsa_float_denorm_mode_32 3
		.amdhsa_float_denorm_mode_16_64 3
		.amdhsa_dx10_clamp 1
		.amdhsa_ieee_mode 1
		.amdhsa_fp16_overflow 0
		.amdhsa_workgroup_processor_mode 1
		.amdhsa_memory_ordered 1
		.amdhsa_forward_progress 0
		.amdhsa_shared_vgpr_count 0
		.amdhsa_exception_fp_ieee_invalid_op 0
		.amdhsa_exception_fp_denorm_src 0
		.amdhsa_exception_fp_ieee_div_zero 0
		.amdhsa_exception_fp_ieee_overflow 0
		.amdhsa_exception_fp_ieee_underflow 0
		.amdhsa_exception_fp_ieee_inexact 0
		.amdhsa_exception_int_div_zero 0
	.end_amdhsa_kernel
	.section	.text._ZN7rocprim17ROCPRIM_400000_NS6detail17trampoline_kernelINS0_14default_configENS1_25transform_config_selectorImLb1EEEZNS1_14transform_implILb1ES3_S5_PmPlNS0_8identityIvEEEE10hipError_tT2_T3_mT4_P12ihipStream_tbEUlT_E_NS1_11comp_targetILNS1_3genE10ELNS1_11target_archE1201ELNS1_3gpuE5ELNS1_3repE0EEENS1_30default_config_static_selectorELNS0_4arch9wavefront6targetE0EEEvT1_,"axG",@progbits,_ZN7rocprim17ROCPRIM_400000_NS6detail17trampoline_kernelINS0_14default_configENS1_25transform_config_selectorImLb1EEEZNS1_14transform_implILb1ES3_S5_PmPlNS0_8identityIvEEEE10hipError_tT2_T3_mT4_P12ihipStream_tbEUlT_E_NS1_11comp_targetILNS1_3genE10ELNS1_11target_archE1201ELNS1_3gpuE5ELNS1_3repE0EEENS1_30default_config_static_selectorELNS0_4arch9wavefront6targetE0EEEvT1_,comdat
.Lfunc_end198:
	.size	_ZN7rocprim17ROCPRIM_400000_NS6detail17trampoline_kernelINS0_14default_configENS1_25transform_config_selectorImLb1EEEZNS1_14transform_implILb1ES3_S5_PmPlNS0_8identityIvEEEE10hipError_tT2_T3_mT4_P12ihipStream_tbEUlT_E_NS1_11comp_targetILNS1_3genE10ELNS1_11target_archE1201ELNS1_3gpuE5ELNS1_3repE0EEENS1_30default_config_static_selectorELNS0_4arch9wavefront6targetE0EEEvT1_, .Lfunc_end198-_ZN7rocprim17ROCPRIM_400000_NS6detail17trampoline_kernelINS0_14default_configENS1_25transform_config_selectorImLb1EEEZNS1_14transform_implILb1ES3_S5_PmPlNS0_8identityIvEEEE10hipError_tT2_T3_mT4_P12ihipStream_tbEUlT_E_NS1_11comp_targetILNS1_3genE10ELNS1_11target_archE1201ELNS1_3gpuE5ELNS1_3repE0EEENS1_30default_config_static_selectorELNS0_4arch9wavefront6targetE0EEEvT1_
                                        ; -- End function
	.section	.AMDGPU.csdata,"",@progbits
; Kernel info:
; codeLenInByte = 0
; NumSgprs: 0
; NumVgprs: 0
; ScratchSize: 0
; MemoryBound: 0
; FloatMode: 240
; IeeeMode: 1
; LDSByteSize: 0 bytes/workgroup (compile time only)
; SGPRBlocks: 0
; VGPRBlocks: 0
; NumSGPRsForWavesPerEU: 1
; NumVGPRsForWavesPerEU: 1
; Occupancy: 16
; WaveLimiterHint : 0
; COMPUTE_PGM_RSRC2:SCRATCH_EN: 0
; COMPUTE_PGM_RSRC2:USER_SGPR: 15
; COMPUTE_PGM_RSRC2:TRAP_HANDLER: 0
; COMPUTE_PGM_RSRC2:TGID_X_EN: 1
; COMPUTE_PGM_RSRC2:TGID_Y_EN: 0
; COMPUTE_PGM_RSRC2:TGID_Z_EN: 0
; COMPUTE_PGM_RSRC2:TIDIG_COMP_CNT: 0
	.section	.text._ZN7rocprim17ROCPRIM_400000_NS6detail17trampoline_kernelINS0_14default_configENS1_25transform_config_selectorImLb1EEEZNS1_14transform_implILb1ES3_S5_PmPlNS0_8identityIvEEEE10hipError_tT2_T3_mT4_P12ihipStream_tbEUlT_E_NS1_11comp_targetILNS1_3genE5ELNS1_11target_archE942ELNS1_3gpuE9ELNS1_3repE0EEENS1_30default_config_static_selectorELNS0_4arch9wavefront6targetE0EEEvT1_,"axG",@progbits,_ZN7rocprim17ROCPRIM_400000_NS6detail17trampoline_kernelINS0_14default_configENS1_25transform_config_selectorImLb1EEEZNS1_14transform_implILb1ES3_S5_PmPlNS0_8identityIvEEEE10hipError_tT2_T3_mT4_P12ihipStream_tbEUlT_E_NS1_11comp_targetILNS1_3genE5ELNS1_11target_archE942ELNS1_3gpuE9ELNS1_3repE0EEENS1_30default_config_static_selectorELNS0_4arch9wavefront6targetE0EEEvT1_,comdat
	.protected	_ZN7rocprim17ROCPRIM_400000_NS6detail17trampoline_kernelINS0_14default_configENS1_25transform_config_selectorImLb1EEEZNS1_14transform_implILb1ES3_S5_PmPlNS0_8identityIvEEEE10hipError_tT2_T3_mT4_P12ihipStream_tbEUlT_E_NS1_11comp_targetILNS1_3genE5ELNS1_11target_archE942ELNS1_3gpuE9ELNS1_3repE0EEENS1_30default_config_static_selectorELNS0_4arch9wavefront6targetE0EEEvT1_ ; -- Begin function _ZN7rocprim17ROCPRIM_400000_NS6detail17trampoline_kernelINS0_14default_configENS1_25transform_config_selectorImLb1EEEZNS1_14transform_implILb1ES3_S5_PmPlNS0_8identityIvEEEE10hipError_tT2_T3_mT4_P12ihipStream_tbEUlT_E_NS1_11comp_targetILNS1_3genE5ELNS1_11target_archE942ELNS1_3gpuE9ELNS1_3repE0EEENS1_30default_config_static_selectorELNS0_4arch9wavefront6targetE0EEEvT1_
	.globl	_ZN7rocprim17ROCPRIM_400000_NS6detail17trampoline_kernelINS0_14default_configENS1_25transform_config_selectorImLb1EEEZNS1_14transform_implILb1ES3_S5_PmPlNS0_8identityIvEEEE10hipError_tT2_T3_mT4_P12ihipStream_tbEUlT_E_NS1_11comp_targetILNS1_3genE5ELNS1_11target_archE942ELNS1_3gpuE9ELNS1_3repE0EEENS1_30default_config_static_selectorELNS0_4arch9wavefront6targetE0EEEvT1_
	.p2align	8
	.type	_ZN7rocprim17ROCPRIM_400000_NS6detail17trampoline_kernelINS0_14default_configENS1_25transform_config_selectorImLb1EEEZNS1_14transform_implILb1ES3_S5_PmPlNS0_8identityIvEEEE10hipError_tT2_T3_mT4_P12ihipStream_tbEUlT_E_NS1_11comp_targetILNS1_3genE5ELNS1_11target_archE942ELNS1_3gpuE9ELNS1_3repE0EEENS1_30default_config_static_selectorELNS0_4arch9wavefront6targetE0EEEvT1_,@function
_ZN7rocprim17ROCPRIM_400000_NS6detail17trampoline_kernelINS0_14default_configENS1_25transform_config_selectorImLb1EEEZNS1_14transform_implILb1ES3_S5_PmPlNS0_8identityIvEEEE10hipError_tT2_T3_mT4_P12ihipStream_tbEUlT_E_NS1_11comp_targetILNS1_3genE5ELNS1_11target_archE942ELNS1_3gpuE9ELNS1_3repE0EEENS1_30default_config_static_selectorELNS0_4arch9wavefront6targetE0EEEvT1_: ; @_ZN7rocprim17ROCPRIM_400000_NS6detail17trampoline_kernelINS0_14default_configENS1_25transform_config_selectorImLb1EEEZNS1_14transform_implILb1ES3_S5_PmPlNS0_8identityIvEEEE10hipError_tT2_T3_mT4_P12ihipStream_tbEUlT_E_NS1_11comp_targetILNS1_3genE5ELNS1_11target_archE942ELNS1_3gpuE9ELNS1_3repE0EEENS1_30default_config_static_selectorELNS0_4arch9wavefront6targetE0EEEvT1_
; %bb.0:
	.section	.rodata,"a",@progbits
	.p2align	6, 0x0
	.amdhsa_kernel _ZN7rocprim17ROCPRIM_400000_NS6detail17trampoline_kernelINS0_14default_configENS1_25transform_config_selectorImLb1EEEZNS1_14transform_implILb1ES3_S5_PmPlNS0_8identityIvEEEE10hipError_tT2_T3_mT4_P12ihipStream_tbEUlT_E_NS1_11comp_targetILNS1_3genE5ELNS1_11target_archE942ELNS1_3gpuE9ELNS1_3repE0EEENS1_30default_config_static_selectorELNS0_4arch9wavefront6targetE0EEEvT1_
		.amdhsa_group_segment_fixed_size 0
		.amdhsa_private_segment_fixed_size 0
		.amdhsa_kernarg_size 40
		.amdhsa_user_sgpr_count 15
		.amdhsa_user_sgpr_dispatch_ptr 0
		.amdhsa_user_sgpr_queue_ptr 0
		.amdhsa_user_sgpr_kernarg_segment_ptr 1
		.amdhsa_user_sgpr_dispatch_id 0
		.amdhsa_user_sgpr_private_segment_size 0
		.amdhsa_wavefront_size32 1
		.amdhsa_uses_dynamic_stack 0
		.amdhsa_enable_private_segment 0
		.amdhsa_system_sgpr_workgroup_id_x 1
		.amdhsa_system_sgpr_workgroup_id_y 0
		.amdhsa_system_sgpr_workgroup_id_z 0
		.amdhsa_system_sgpr_workgroup_info 0
		.amdhsa_system_vgpr_workitem_id 0
		.amdhsa_next_free_vgpr 1
		.amdhsa_next_free_sgpr 1
		.amdhsa_reserve_vcc 0
		.amdhsa_float_round_mode_32 0
		.amdhsa_float_round_mode_16_64 0
		.amdhsa_float_denorm_mode_32 3
		.amdhsa_float_denorm_mode_16_64 3
		.amdhsa_dx10_clamp 1
		.amdhsa_ieee_mode 1
		.amdhsa_fp16_overflow 0
		.amdhsa_workgroup_processor_mode 1
		.amdhsa_memory_ordered 1
		.amdhsa_forward_progress 0
		.amdhsa_shared_vgpr_count 0
		.amdhsa_exception_fp_ieee_invalid_op 0
		.amdhsa_exception_fp_denorm_src 0
		.amdhsa_exception_fp_ieee_div_zero 0
		.amdhsa_exception_fp_ieee_overflow 0
		.amdhsa_exception_fp_ieee_underflow 0
		.amdhsa_exception_fp_ieee_inexact 0
		.amdhsa_exception_int_div_zero 0
	.end_amdhsa_kernel
	.section	.text._ZN7rocprim17ROCPRIM_400000_NS6detail17trampoline_kernelINS0_14default_configENS1_25transform_config_selectorImLb1EEEZNS1_14transform_implILb1ES3_S5_PmPlNS0_8identityIvEEEE10hipError_tT2_T3_mT4_P12ihipStream_tbEUlT_E_NS1_11comp_targetILNS1_3genE5ELNS1_11target_archE942ELNS1_3gpuE9ELNS1_3repE0EEENS1_30default_config_static_selectorELNS0_4arch9wavefront6targetE0EEEvT1_,"axG",@progbits,_ZN7rocprim17ROCPRIM_400000_NS6detail17trampoline_kernelINS0_14default_configENS1_25transform_config_selectorImLb1EEEZNS1_14transform_implILb1ES3_S5_PmPlNS0_8identityIvEEEE10hipError_tT2_T3_mT4_P12ihipStream_tbEUlT_E_NS1_11comp_targetILNS1_3genE5ELNS1_11target_archE942ELNS1_3gpuE9ELNS1_3repE0EEENS1_30default_config_static_selectorELNS0_4arch9wavefront6targetE0EEEvT1_,comdat
.Lfunc_end199:
	.size	_ZN7rocprim17ROCPRIM_400000_NS6detail17trampoline_kernelINS0_14default_configENS1_25transform_config_selectorImLb1EEEZNS1_14transform_implILb1ES3_S5_PmPlNS0_8identityIvEEEE10hipError_tT2_T3_mT4_P12ihipStream_tbEUlT_E_NS1_11comp_targetILNS1_3genE5ELNS1_11target_archE942ELNS1_3gpuE9ELNS1_3repE0EEENS1_30default_config_static_selectorELNS0_4arch9wavefront6targetE0EEEvT1_, .Lfunc_end199-_ZN7rocprim17ROCPRIM_400000_NS6detail17trampoline_kernelINS0_14default_configENS1_25transform_config_selectorImLb1EEEZNS1_14transform_implILb1ES3_S5_PmPlNS0_8identityIvEEEE10hipError_tT2_T3_mT4_P12ihipStream_tbEUlT_E_NS1_11comp_targetILNS1_3genE5ELNS1_11target_archE942ELNS1_3gpuE9ELNS1_3repE0EEENS1_30default_config_static_selectorELNS0_4arch9wavefront6targetE0EEEvT1_
                                        ; -- End function
	.section	.AMDGPU.csdata,"",@progbits
; Kernel info:
; codeLenInByte = 0
; NumSgprs: 0
; NumVgprs: 0
; ScratchSize: 0
; MemoryBound: 0
; FloatMode: 240
; IeeeMode: 1
; LDSByteSize: 0 bytes/workgroup (compile time only)
; SGPRBlocks: 0
; VGPRBlocks: 0
; NumSGPRsForWavesPerEU: 1
; NumVGPRsForWavesPerEU: 1
; Occupancy: 16
; WaveLimiterHint : 0
; COMPUTE_PGM_RSRC2:SCRATCH_EN: 0
; COMPUTE_PGM_RSRC2:USER_SGPR: 15
; COMPUTE_PGM_RSRC2:TRAP_HANDLER: 0
; COMPUTE_PGM_RSRC2:TGID_X_EN: 1
; COMPUTE_PGM_RSRC2:TGID_Y_EN: 0
; COMPUTE_PGM_RSRC2:TGID_Z_EN: 0
; COMPUTE_PGM_RSRC2:TIDIG_COMP_CNT: 0
	.section	.text._ZN7rocprim17ROCPRIM_400000_NS6detail17trampoline_kernelINS0_14default_configENS1_25transform_config_selectorImLb1EEEZNS1_14transform_implILb1ES3_S5_PmPlNS0_8identityIvEEEE10hipError_tT2_T3_mT4_P12ihipStream_tbEUlT_E_NS1_11comp_targetILNS1_3genE4ELNS1_11target_archE910ELNS1_3gpuE8ELNS1_3repE0EEENS1_30default_config_static_selectorELNS0_4arch9wavefront6targetE0EEEvT1_,"axG",@progbits,_ZN7rocprim17ROCPRIM_400000_NS6detail17trampoline_kernelINS0_14default_configENS1_25transform_config_selectorImLb1EEEZNS1_14transform_implILb1ES3_S5_PmPlNS0_8identityIvEEEE10hipError_tT2_T3_mT4_P12ihipStream_tbEUlT_E_NS1_11comp_targetILNS1_3genE4ELNS1_11target_archE910ELNS1_3gpuE8ELNS1_3repE0EEENS1_30default_config_static_selectorELNS0_4arch9wavefront6targetE0EEEvT1_,comdat
	.protected	_ZN7rocprim17ROCPRIM_400000_NS6detail17trampoline_kernelINS0_14default_configENS1_25transform_config_selectorImLb1EEEZNS1_14transform_implILb1ES3_S5_PmPlNS0_8identityIvEEEE10hipError_tT2_T3_mT4_P12ihipStream_tbEUlT_E_NS1_11comp_targetILNS1_3genE4ELNS1_11target_archE910ELNS1_3gpuE8ELNS1_3repE0EEENS1_30default_config_static_selectorELNS0_4arch9wavefront6targetE0EEEvT1_ ; -- Begin function _ZN7rocprim17ROCPRIM_400000_NS6detail17trampoline_kernelINS0_14default_configENS1_25transform_config_selectorImLb1EEEZNS1_14transform_implILb1ES3_S5_PmPlNS0_8identityIvEEEE10hipError_tT2_T3_mT4_P12ihipStream_tbEUlT_E_NS1_11comp_targetILNS1_3genE4ELNS1_11target_archE910ELNS1_3gpuE8ELNS1_3repE0EEENS1_30default_config_static_selectorELNS0_4arch9wavefront6targetE0EEEvT1_
	.globl	_ZN7rocprim17ROCPRIM_400000_NS6detail17trampoline_kernelINS0_14default_configENS1_25transform_config_selectorImLb1EEEZNS1_14transform_implILb1ES3_S5_PmPlNS0_8identityIvEEEE10hipError_tT2_T3_mT4_P12ihipStream_tbEUlT_E_NS1_11comp_targetILNS1_3genE4ELNS1_11target_archE910ELNS1_3gpuE8ELNS1_3repE0EEENS1_30default_config_static_selectorELNS0_4arch9wavefront6targetE0EEEvT1_
	.p2align	8
	.type	_ZN7rocprim17ROCPRIM_400000_NS6detail17trampoline_kernelINS0_14default_configENS1_25transform_config_selectorImLb1EEEZNS1_14transform_implILb1ES3_S5_PmPlNS0_8identityIvEEEE10hipError_tT2_T3_mT4_P12ihipStream_tbEUlT_E_NS1_11comp_targetILNS1_3genE4ELNS1_11target_archE910ELNS1_3gpuE8ELNS1_3repE0EEENS1_30default_config_static_selectorELNS0_4arch9wavefront6targetE0EEEvT1_,@function
_ZN7rocprim17ROCPRIM_400000_NS6detail17trampoline_kernelINS0_14default_configENS1_25transform_config_selectorImLb1EEEZNS1_14transform_implILb1ES3_S5_PmPlNS0_8identityIvEEEE10hipError_tT2_T3_mT4_P12ihipStream_tbEUlT_E_NS1_11comp_targetILNS1_3genE4ELNS1_11target_archE910ELNS1_3gpuE8ELNS1_3repE0EEENS1_30default_config_static_selectorELNS0_4arch9wavefront6targetE0EEEvT1_: ; @_ZN7rocprim17ROCPRIM_400000_NS6detail17trampoline_kernelINS0_14default_configENS1_25transform_config_selectorImLb1EEEZNS1_14transform_implILb1ES3_S5_PmPlNS0_8identityIvEEEE10hipError_tT2_T3_mT4_P12ihipStream_tbEUlT_E_NS1_11comp_targetILNS1_3genE4ELNS1_11target_archE910ELNS1_3gpuE8ELNS1_3repE0EEENS1_30default_config_static_selectorELNS0_4arch9wavefront6targetE0EEEvT1_
; %bb.0:
	.section	.rodata,"a",@progbits
	.p2align	6, 0x0
	.amdhsa_kernel _ZN7rocprim17ROCPRIM_400000_NS6detail17trampoline_kernelINS0_14default_configENS1_25transform_config_selectorImLb1EEEZNS1_14transform_implILb1ES3_S5_PmPlNS0_8identityIvEEEE10hipError_tT2_T3_mT4_P12ihipStream_tbEUlT_E_NS1_11comp_targetILNS1_3genE4ELNS1_11target_archE910ELNS1_3gpuE8ELNS1_3repE0EEENS1_30default_config_static_selectorELNS0_4arch9wavefront6targetE0EEEvT1_
		.amdhsa_group_segment_fixed_size 0
		.amdhsa_private_segment_fixed_size 0
		.amdhsa_kernarg_size 40
		.amdhsa_user_sgpr_count 15
		.amdhsa_user_sgpr_dispatch_ptr 0
		.amdhsa_user_sgpr_queue_ptr 0
		.amdhsa_user_sgpr_kernarg_segment_ptr 1
		.amdhsa_user_sgpr_dispatch_id 0
		.amdhsa_user_sgpr_private_segment_size 0
		.amdhsa_wavefront_size32 1
		.amdhsa_uses_dynamic_stack 0
		.amdhsa_enable_private_segment 0
		.amdhsa_system_sgpr_workgroup_id_x 1
		.amdhsa_system_sgpr_workgroup_id_y 0
		.amdhsa_system_sgpr_workgroup_id_z 0
		.amdhsa_system_sgpr_workgroup_info 0
		.amdhsa_system_vgpr_workitem_id 0
		.amdhsa_next_free_vgpr 1
		.amdhsa_next_free_sgpr 1
		.amdhsa_reserve_vcc 0
		.amdhsa_float_round_mode_32 0
		.amdhsa_float_round_mode_16_64 0
		.amdhsa_float_denorm_mode_32 3
		.amdhsa_float_denorm_mode_16_64 3
		.amdhsa_dx10_clamp 1
		.amdhsa_ieee_mode 1
		.amdhsa_fp16_overflow 0
		.amdhsa_workgroup_processor_mode 1
		.amdhsa_memory_ordered 1
		.amdhsa_forward_progress 0
		.amdhsa_shared_vgpr_count 0
		.amdhsa_exception_fp_ieee_invalid_op 0
		.amdhsa_exception_fp_denorm_src 0
		.amdhsa_exception_fp_ieee_div_zero 0
		.amdhsa_exception_fp_ieee_overflow 0
		.amdhsa_exception_fp_ieee_underflow 0
		.amdhsa_exception_fp_ieee_inexact 0
		.amdhsa_exception_int_div_zero 0
	.end_amdhsa_kernel
	.section	.text._ZN7rocprim17ROCPRIM_400000_NS6detail17trampoline_kernelINS0_14default_configENS1_25transform_config_selectorImLb1EEEZNS1_14transform_implILb1ES3_S5_PmPlNS0_8identityIvEEEE10hipError_tT2_T3_mT4_P12ihipStream_tbEUlT_E_NS1_11comp_targetILNS1_3genE4ELNS1_11target_archE910ELNS1_3gpuE8ELNS1_3repE0EEENS1_30default_config_static_selectorELNS0_4arch9wavefront6targetE0EEEvT1_,"axG",@progbits,_ZN7rocprim17ROCPRIM_400000_NS6detail17trampoline_kernelINS0_14default_configENS1_25transform_config_selectorImLb1EEEZNS1_14transform_implILb1ES3_S5_PmPlNS0_8identityIvEEEE10hipError_tT2_T3_mT4_P12ihipStream_tbEUlT_E_NS1_11comp_targetILNS1_3genE4ELNS1_11target_archE910ELNS1_3gpuE8ELNS1_3repE0EEENS1_30default_config_static_selectorELNS0_4arch9wavefront6targetE0EEEvT1_,comdat
.Lfunc_end200:
	.size	_ZN7rocprim17ROCPRIM_400000_NS6detail17trampoline_kernelINS0_14default_configENS1_25transform_config_selectorImLb1EEEZNS1_14transform_implILb1ES3_S5_PmPlNS0_8identityIvEEEE10hipError_tT2_T3_mT4_P12ihipStream_tbEUlT_E_NS1_11comp_targetILNS1_3genE4ELNS1_11target_archE910ELNS1_3gpuE8ELNS1_3repE0EEENS1_30default_config_static_selectorELNS0_4arch9wavefront6targetE0EEEvT1_, .Lfunc_end200-_ZN7rocprim17ROCPRIM_400000_NS6detail17trampoline_kernelINS0_14default_configENS1_25transform_config_selectorImLb1EEEZNS1_14transform_implILb1ES3_S5_PmPlNS0_8identityIvEEEE10hipError_tT2_T3_mT4_P12ihipStream_tbEUlT_E_NS1_11comp_targetILNS1_3genE4ELNS1_11target_archE910ELNS1_3gpuE8ELNS1_3repE0EEENS1_30default_config_static_selectorELNS0_4arch9wavefront6targetE0EEEvT1_
                                        ; -- End function
	.section	.AMDGPU.csdata,"",@progbits
; Kernel info:
; codeLenInByte = 0
; NumSgprs: 0
; NumVgprs: 0
; ScratchSize: 0
; MemoryBound: 0
; FloatMode: 240
; IeeeMode: 1
; LDSByteSize: 0 bytes/workgroup (compile time only)
; SGPRBlocks: 0
; VGPRBlocks: 0
; NumSGPRsForWavesPerEU: 1
; NumVGPRsForWavesPerEU: 1
; Occupancy: 16
; WaveLimiterHint : 0
; COMPUTE_PGM_RSRC2:SCRATCH_EN: 0
; COMPUTE_PGM_RSRC2:USER_SGPR: 15
; COMPUTE_PGM_RSRC2:TRAP_HANDLER: 0
; COMPUTE_PGM_RSRC2:TGID_X_EN: 1
; COMPUTE_PGM_RSRC2:TGID_Y_EN: 0
; COMPUTE_PGM_RSRC2:TGID_Z_EN: 0
; COMPUTE_PGM_RSRC2:TIDIG_COMP_CNT: 0
	.section	.text._ZN7rocprim17ROCPRIM_400000_NS6detail17trampoline_kernelINS0_14default_configENS1_25transform_config_selectorImLb1EEEZNS1_14transform_implILb1ES3_S5_PmPlNS0_8identityIvEEEE10hipError_tT2_T3_mT4_P12ihipStream_tbEUlT_E_NS1_11comp_targetILNS1_3genE3ELNS1_11target_archE908ELNS1_3gpuE7ELNS1_3repE0EEENS1_30default_config_static_selectorELNS0_4arch9wavefront6targetE0EEEvT1_,"axG",@progbits,_ZN7rocprim17ROCPRIM_400000_NS6detail17trampoline_kernelINS0_14default_configENS1_25transform_config_selectorImLb1EEEZNS1_14transform_implILb1ES3_S5_PmPlNS0_8identityIvEEEE10hipError_tT2_T3_mT4_P12ihipStream_tbEUlT_E_NS1_11comp_targetILNS1_3genE3ELNS1_11target_archE908ELNS1_3gpuE7ELNS1_3repE0EEENS1_30default_config_static_selectorELNS0_4arch9wavefront6targetE0EEEvT1_,comdat
	.protected	_ZN7rocprim17ROCPRIM_400000_NS6detail17trampoline_kernelINS0_14default_configENS1_25transform_config_selectorImLb1EEEZNS1_14transform_implILb1ES3_S5_PmPlNS0_8identityIvEEEE10hipError_tT2_T3_mT4_P12ihipStream_tbEUlT_E_NS1_11comp_targetILNS1_3genE3ELNS1_11target_archE908ELNS1_3gpuE7ELNS1_3repE0EEENS1_30default_config_static_selectorELNS0_4arch9wavefront6targetE0EEEvT1_ ; -- Begin function _ZN7rocprim17ROCPRIM_400000_NS6detail17trampoline_kernelINS0_14default_configENS1_25transform_config_selectorImLb1EEEZNS1_14transform_implILb1ES3_S5_PmPlNS0_8identityIvEEEE10hipError_tT2_T3_mT4_P12ihipStream_tbEUlT_E_NS1_11comp_targetILNS1_3genE3ELNS1_11target_archE908ELNS1_3gpuE7ELNS1_3repE0EEENS1_30default_config_static_selectorELNS0_4arch9wavefront6targetE0EEEvT1_
	.globl	_ZN7rocprim17ROCPRIM_400000_NS6detail17trampoline_kernelINS0_14default_configENS1_25transform_config_selectorImLb1EEEZNS1_14transform_implILb1ES3_S5_PmPlNS0_8identityIvEEEE10hipError_tT2_T3_mT4_P12ihipStream_tbEUlT_E_NS1_11comp_targetILNS1_3genE3ELNS1_11target_archE908ELNS1_3gpuE7ELNS1_3repE0EEENS1_30default_config_static_selectorELNS0_4arch9wavefront6targetE0EEEvT1_
	.p2align	8
	.type	_ZN7rocprim17ROCPRIM_400000_NS6detail17trampoline_kernelINS0_14default_configENS1_25transform_config_selectorImLb1EEEZNS1_14transform_implILb1ES3_S5_PmPlNS0_8identityIvEEEE10hipError_tT2_T3_mT4_P12ihipStream_tbEUlT_E_NS1_11comp_targetILNS1_3genE3ELNS1_11target_archE908ELNS1_3gpuE7ELNS1_3repE0EEENS1_30default_config_static_selectorELNS0_4arch9wavefront6targetE0EEEvT1_,@function
_ZN7rocprim17ROCPRIM_400000_NS6detail17trampoline_kernelINS0_14default_configENS1_25transform_config_selectorImLb1EEEZNS1_14transform_implILb1ES3_S5_PmPlNS0_8identityIvEEEE10hipError_tT2_T3_mT4_P12ihipStream_tbEUlT_E_NS1_11comp_targetILNS1_3genE3ELNS1_11target_archE908ELNS1_3gpuE7ELNS1_3repE0EEENS1_30default_config_static_selectorELNS0_4arch9wavefront6targetE0EEEvT1_: ; @_ZN7rocprim17ROCPRIM_400000_NS6detail17trampoline_kernelINS0_14default_configENS1_25transform_config_selectorImLb1EEEZNS1_14transform_implILb1ES3_S5_PmPlNS0_8identityIvEEEE10hipError_tT2_T3_mT4_P12ihipStream_tbEUlT_E_NS1_11comp_targetILNS1_3genE3ELNS1_11target_archE908ELNS1_3gpuE7ELNS1_3repE0EEENS1_30default_config_static_selectorELNS0_4arch9wavefront6targetE0EEEvT1_
; %bb.0:
	.section	.rodata,"a",@progbits
	.p2align	6, 0x0
	.amdhsa_kernel _ZN7rocprim17ROCPRIM_400000_NS6detail17trampoline_kernelINS0_14default_configENS1_25transform_config_selectorImLb1EEEZNS1_14transform_implILb1ES3_S5_PmPlNS0_8identityIvEEEE10hipError_tT2_T3_mT4_P12ihipStream_tbEUlT_E_NS1_11comp_targetILNS1_3genE3ELNS1_11target_archE908ELNS1_3gpuE7ELNS1_3repE0EEENS1_30default_config_static_selectorELNS0_4arch9wavefront6targetE0EEEvT1_
		.amdhsa_group_segment_fixed_size 0
		.amdhsa_private_segment_fixed_size 0
		.amdhsa_kernarg_size 40
		.amdhsa_user_sgpr_count 15
		.amdhsa_user_sgpr_dispatch_ptr 0
		.amdhsa_user_sgpr_queue_ptr 0
		.amdhsa_user_sgpr_kernarg_segment_ptr 1
		.amdhsa_user_sgpr_dispatch_id 0
		.amdhsa_user_sgpr_private_segment_size 0
		.amdhsa_wavefront_size32 1
		.amdhsa_uses_dynamic_stack 0
		.amdhsa_enable_private_segment 0
		.amdhsa_system_sgpr_workgroup_id_x 1
		.amdhsa_system_sgpr_workgroup_id_y 0
		.amdhsa_system_sgpr_workgroup_id_z 0
		.amdhsa_system_sgpr_workgroup_info 0
		.amdhsa_system_vgpr_workitem_id 0
		.amdhsa_next_free_vgpr 1
		.amdhsa_next_free_sgpr 1
		.amdhsa_reserve_vcc 0
		.amdhsa_float_round_mode_32 0
		.amdhsa_float_round_mode_16_64 0
		.amdhsa_float_denorm_mode_32 3
		.amdhsa_float_denorm_mode_16_64 3
		.amdhsa_dx10_clamp 1
		.amdhsa_ieee_mode 1
		.amdhsa_fp16_overflow 0
		.amdhsa_workgroup_processor_mode 1
		.amdhsa_memory_ordered 1
		.amdhsa_forward_progress 0
		.amdhsa_shared_vgpr_count 0
		.amdhsa_exception_fp_ieee_invalid_op 0
		.amdhsa_exception_fp_denorm_src 0
		.amdhsa_exception_fp_ieee_div_zero 0
		.amdhsa_exception_fp_ieee_overflow 0
		.amdhsa_exception_fp_ieee_underflow 0
		.amdhsa_exception_fp_ieee_inexact 0
		.amdhsa_exception_int_div_zero 0
	.end_amdhsa_kernel
	.section	.text._ZN7rocprim17ROCPRIM_400000_NS6detail17trampoline_kernelINS0_14default_configENS1_25transform_config_selectorImLb1EEEZNS1_14transform_implILb1ES3_S5_PmPlNS0_8identityIvEEEE10hipError_tT2_T3_mT4_P12ihipStream_tbEUlT_E_NS1_11comp_targetILNS1_3genE3ELNS1_11target_archE908ELNS1_3gpuE7ELNS1_3repE0EEENS1_30default_config_static_selectorELNS0_4arch9wavefront6targetE0EEEvT1_,"axG",@progbits,_ZN7rocprim17ROCPRIM_400000_NS6detail17trampoline_kernelINS0_14default_configENS1_25transform_config_selectorImLb1EEEZNS1_14transform_implILb1ES3_S5_PmPlNS0_8identityIvEEEE10hipError_tT2_T3_mT4_P12ihipStream_tbEUlT_E_NS1_11comp_targetILNS1_3genE3ELNS1_11target_archE908ELNS1_3gpuE7ELNS1_3repE0EEENS1_30default_config_static_selectorELNS0_4arch9wavefront6targetE0EEEvT1_,comdat
.Lfunc_end201:
	.size	_ZN7rocprim17ROCPRIM_400000_NS6detail17trampoline_kernelINS0_14default_configENS1_25transform_config_selectorImLb1EEEZNS1_14transform_implILb1ES3_S5_PmPlNS0_8identityIvEEEE10hipError_tT2_T3_mT4_P12ihipStream_tbEUlT_E_NS1_11comp_targetILNS1_3genE3ELNS1_11target_archE908ELNS1_3gpuE7ELNS1_3repE0EEENS1_30default_config_static_selectorELNS0_4arch9wavefront6targetE0EEEvT1_, .Lfunc_end201-_ZN7rocprim17ROCPRIM_400000_NS6detail17trampoline_kernelINS0_14default_configENS1_25transform_config_selectorImLb1EEEZNS1_14transform_implILb1ES3_S5_PmPlNS0_8identityIvEEEE10hipError_tT2_T3_mT4_P12ihipStream_tbEUlT_E_NS1_11comp_targetILNS1_3genE3ELNS1_11target_archE908ELNS1_3gpuE7ELNS1_3repE0EEENS1_30default_config_static_selectorELNS0_4arch9wavefront6targetE0EEEvT1_
                                        ; -- End function
	.section	.AMDGPU.csdata,"",@progbits
; Kernel info:
; codeLenInByte = 0
; NumSgprs: 0
; NumVgprs: 0
; ScratchSize: 0
; MemoryBound: 0
; FloatMode: 240
; IeeeMode: 1
; LDSByteSize: 0 bytes/workgroup (compile time only)
; SGPRBlocks: 0
; VGPRBlocks: 0
; NumSGPRsForWavesPerEU: 1
; NumVGPRsForWavesPerEU: 1
; Occupancy: 16
; WaveLimiterHint : 0
; COMPUTE_PGM_RSRC2:SCRATCH_EN: 0
; COMPUTE_PGM_RSRC2:USER_SGPR: 15
; COMPUTE_PGM_RSRC2:TRAP_HANDLER: 0
; COMPUTE_PGM_RSRC2:TGID_X_EN: 1
; COMPUTE_PGM_RSRC2:TGID_Y_EN: 0
; COMPUTE_PGM_RSRC2:TGID_Z_EN: 0
; COMPUTE_PGM_RSRC2:TIDIG_COMP_CNT: 0
	.section	.text._ZN7rocprim17ROCPRIM_400000_NS6detail17trampoline_kernelINS0_14default_configENS1_25transform_config_selectorImLb1EEEZNS1_14transform_implILb1ES3_S5_PmPlNS0_8identityIvEEEE10hipError_tT2_T3_mT4_P12ihipStream_tbEUlT_E_NS1_11comp_targetILNS1_3genE2ELNS1_11target_archE906ELNS1_3gpuE6ELNS1_3repE0EEENS1_30default_config_static_selectorELNS0_4arch9wavefront6targetE0EEEvT1_,"axG",@progbits,_ZN7rocprim17ROCPRIM_400000_NS6detail17trampoline_kernelINS0_14default_configENS1_25transform_config_selectorImLb1EEEZNS1_14transform_implILb1ES3_S5_PmPlNS0_8identityIvEEEE10hipError_tT2_T3_mT4_P12ihipStream_tbEUlT_E_NS1_11comp_targetILNS1_3genE2ELNS1_11target_archE906ELNS1_3gpuE6ELNS1_3repE0EEENS1_30default_config_static_selectorELNS0_4arch9wavefront6targetE0EEEvT1_,comdat
	.protected	_ZN7rocprim17ROCPRIM_400000_NS6detail17trampoline_kernelINS0_14default_configENS1_25transform_config_selectorImLb1EEEZNS1_14transform_implILb1ES3_S5_PmPlNS0_8identityIvEEEE10hipError_tT2_T3_mT4_P12ihipStream_tbEUlT_E_NS1_11comp_targetILNS1_3genE2ELNS1_11target_archE906ELNS1_3gpuE6ELNS1_3repE0EEENS1_30default_config_static_selectorELNS0_4arch9wavefront6targetE0EEEvT1_ ; -- Begin function _ZN7rocprim17ROCPRIM_400000_NS6detail17trampoline_kernelINS0_14default_configENS1_25transform_config_selectorImLb1EEEZNS1_14transform_implILb1ES3_S5_PmPlNS0_8identityIvEEEE10hipError_tT2_T3_mT4_P12ihipStream_tbEUlT_E_NS1_11comp_targetILNS1_3genE2ELNS1_11target_archE906ELNS1_3gpuE6ELNS1_3repE0EEENS1_30default_config_static_selectorELNS0_4arch9wavefront6targetE0EEEvT1_
	.globl	_ZN7rocprim17ROCPRIM_400000_NS6detail17trampoline_kernelINS0_14default_configENS1_25transform_config_selectorImLb1EEEZNS1_14transform_implILb1ES3_S5_PmPlNS0_8identityIvEEEE10hipError_tT2_T3_mT4_P12ihipStream_tbEUlT_E_NS1_11comp_targetILNS1_3genE2ELNS1_11target_archE906ELNS1_3gpuE6ELNS1_3repE0EEENS1_30default_config_static_selectorELNS0_4arch9wavefront6targetE0EEEvT1_
	.p2align	8
	.type	_ZN7rocprim17ROCPRIM_400000_NS6detail17trampoline_kernelINS0_14default_configENS1_25transform_config_selectorImLb1EEEZNS1_14transform_implILb1ES3_S5_PmPlNS0_8identityIvEEEE10hipError_tT2_T3_mT4_P12ihipStream_tbEUlT_E_NS1_11comp_targetILNS1_3genE2ELNS1_11target_archE906ELNS1_3gpuE6ELNS1_3repE0EEENS1_30default_config_static_selectorELNS0_4arch9wavefront6targetE0EEEvT1_,@function
_ZN7rocprim17ROCPRIM_400000_NS6detail17trampoline_kernelINS0_14default_configENS1_25transform_config_selectorImLb1EEEZNS1_14transform_implILb1ES3_S5_PmPlNS0_8identityIvEEEE10hipError_tT2_T3_mT4_P12ihipStream_tbEUlT_E_NS1_11comp_targetILNS1_3genE2ELNS1_11target_archE906ELNS1_3gpuE6ELNS1_3repE0EEENS1_30default_config_static_selectorELNS0_4arch9wavefront6targetE0EEEvT1_: ; @_ZN7rocprim17ROCPRIM_400000_NS6detail17trampoline_kernelINS0_14default_configENS1_25transform_config_selectorImLb1EEEZNS1_14transform_implILb1ES3_S5_PmPlNS0_8identityIvEEEE10hipError_tT2_T3_mT4_P12ihipStream_tbEUlT_E_NS1_11comp_targetILNS1_3genE2ELNS1_11target_archE906ELNS1_3gpuE6ELNS1_3repE0EEENS1_30default_config_static_selectorELNS0_4arch9wavefront6targetE0EEEvT1_
; %bb.0:
	.section	.rodata,"a",@progbits
	.p2align	6, 0x0
	.amdhsa_kernel _ZN7rocprim17ROCPRIM_400000_NS6detail17trampoline_kernelINS0_14default_configENS1_25transform_config_selectorImLb1EEEZNS1_14transform_implILb1ES3_S5_PmPlNS0_8identityIvEEEE10hipError_tT2_T3_mT4_P12ihipStream_tbEUlT_E_NS1_11comp_targetILNS1_3genE2ELNS1_11target_archE906ELNS1_3gpuE6ELNS1_3repE0EEENS1_30default_config_static_selectorELNS0_4arch9wavefront6targetE0EEEvT1_
		.amdhsa_group_segment_fixed_size 0
		.amdhsa_private_segment_fixed_size 0
		.amdhsa_kernarg_size 40
		.amdhsa_user_sgpr_count 15
		.amdhsa_user_sgpr_dispatch_ptr 0
		.amdhsa_user_sgpr_queue_ptr 0
		.amdhsa_user_sgpr_kernarg_segment_ptr 1
		.amdhsa_user_sgpr_dispatch_id 0
		.amdhsa_user_sgpr_private_segment_size 0
		.amdhsa_wavefront_size32 1
		.amdhsa_uses_dynamic_stack 0
		.amdhsa_enable_private_segment 0
		.amdhsa_system_sgpr_workgroup_id_x 1
		.amdhsa_system_sgpr_workgroup_id_y 0
		.amdhsa_system_sgpr_workgroup_id_z 0
		.amdhsa_system_sgpr_workgroup_info 0
		.amdhsa_system_vgpr_workitem_id 0
		.amdhsa_next_free_vgpr 1
		.amdhsa_next_free_sgpr 1
		.amdhsa_reserve_vcc 0
		.amdhsa_float_round_mode_32 0
		.amdhsa_float_round_mode_16_64 0
		.amdhsa_float_denorm_mode_32 3
		.amdhsa_float_denorm_mode_16_64 3
		.amdhsa_dx10_clamp 1
		.amdhsa_ieee_mode 1
		.amdhsa_fp16_overflow 0
		.amdhsa_workgroup_processor_mode 1
		.amdhsa_memory_ordered 1
		.amdhsa_forward_progress 0
		.amdhsa_shared_vgpr_count 0
		.amdhsa_exception_fp_ieee_invalid_op 0
		.amdhsa_exception_fp_denorm_src 0
		.amdhsa_exception_fp_ieee_div_zero 0
		.amdhsa_exception_fp_ieee_overflow 0
		.amdhsa_exception_fp_ieee_underflow 0
		.amdhsa_exception_fp_ieee_inexact 0
		.amdhsa_exception_int_div_zero 0
	.end_amdhsa_kernel
	.section	.text._ZN7rocprim17ROCPRIM_400000_NS6detail17trampoline_kernelINS0_14default_configENS1_25transform_config_selectorImLb1EEEZNS1_14transform_implILb1ES3_S5_PmPlNS0_8identityIvEEEE10hipError_tT2_T3_mT4_P12ihipStream_tbEUlT_E_NS1_11comp_targetILNS1_3genE2ELNS1_11target_archE906ELNS1_3gpuE6ELNS1_3repE0EEENS1_30default_config_static_selectorELNS0_4arch9wavefront6targetE0EEEvT1_,"axG",@progbits,_ZN7rocprim17ROCPRIM_400000_NS6detail17trampoline_kernelINS0_14default_configENS1_25transform_config_selectorImLb1EEEZNS1_14transform_implILb1ES3_S5_PmPlNS0_8identityIvEEEE10hipError_tT2_T3_mT4_P12ihipStream_tbEUlT_E_NS1_11comp_targetILNS1_3genE2ELNS1_11target_archE906ELNS1_3gpuE6ELNS1_3repE0EEENS1_30default_config_static_selectorELNS0_4arch9wavefront6targetE0EEEvT1_,comdat
.Lfunc_end202:
	.size	_ZN7rocprim17ROCPRIM_400000_NS6detail17trampoline_kernelINS0_14default_configENS1_25transform_config_selectorImLb1EEEZNS1_14transform_implILb1ES3_S5_PmPlNS0_8identityIvEEEE10hipError_tT2_T3_mT4_P12ihipStream_tbEUlT_E_NS1_11comp_targetILNS1_3genE2ELNS1_11target_archE906ELNS1_3gpuE6ELNS1_3repE0EEENS1_30default_config_static_selectorELNS0_4arch9wavefront6targetE0EEEvT1_, .Lfunc_end202-_ZN7rocprim17ROCPRIM_400000_NS6detail17trampoline_kernelINS0_14default_configENS1_25transform_config_selectorImLb1EEEZNS1_14transform_implILb1ES3_S5_PmPlNS0_8identityIvEEEE10hipError_tT2_T3_mT4_P12ihipStream_tbEUlT_E_NS1_11comp_targetILNS1_3genE2ELNS1_11target_archE906ELNS1_3gpuE6ELNS1_3repE0EEENS1_30default_config_static_selectorELNS0_4arch9wavefront6targetE0EEEvT1_
                                        ; -- End function
	.section	.AMDGPU.csdata,"",@progbits
; Kernel info:
; codeLenInByte = 0
; NumSgprs: 0
; NumVgprs: 0
; ScratchSize: 0
; MemoryBound: 0
; FloatMode: 240
; IeeeMode: 1
; LDSByteSize: 0 bytes/workgroup (compile time only)
; SGPRBlocks: 0
; VGPRBlocks: 0
; NumSGPRsForWavesPerEU: 1
; NumVGPRsForWavesPerEU: 1
; Occupancy: 16
; WaveLimiterHint : 0
; COMPUTE_PGM_RSRC2:SCRATCH_EN: 0
; COMPUTE_PGM_RSRC2:USER_SGPR: 15
; COMPUTE_PGM_RSRC2:TRAP_HANDLER: 0
; COMPUTE_PGM_RSRC2:TGID_X_EN: 1
; COMPUTE_PGM_RSRC2:TGID_Y_EN: 0
; COMPUTE_PGM_RSRC2:TGID_Z_EN: 0
; COMPUTE_PGM_RSRC2:TIDIG_COMP_CNT: 0
	.section	.text._ZN7rocprim17ROCPRIM_400000_NS6detail17trampoline_kernelINS0_14default_configENS1_25transform_config_selectorImLb1EEEZNS1_14transform_implILb1ES3_S5_PmPlNS0_8identityIvEEEE10hipError_tT2_T3_mT4_P12ihipStream_tbEUlT_E_NS1_11comp_targetILNS1_3genE9ELNS1_11target_archE1100ELNS1_3gpuE3ELNS1_3repE0EEENS1_30default_config_static_selectorELNS0_4arch9wavefront6targetE0EEEvT1_,"axG",@progbits,_ZN7rocprim17ROCPRIM_400000_NS6detail17trampoline_kernelINS0_14default_configENS1_25transform_config_selectorImLb1EEEZNS1_14transform_implILb1ES3_S5_PmPlNS0_8identityIvEEEE10hipError_tT2_T3_mT4_P12ihipStream_tbEUlT_E_NS1_11comp_targetILNS1_3genE9ELNS1_11target_archE1100ELNS1_3gpuE3ELNS1_3repE0EEENS1_30default_config_static_selectorELNS0_4arch9wavefront6targetE0EEEvT1_,comdat
	.protected	_ZN7rocprim17ROCPRIM_400000_NS6detail17trampoline_kernelINS0_14default_configENS1_25transform_config_selectorImLb1EEEZNS1_14transform_implILb1ES3_S5_PmPlNS0_8identityIvEEEE10hipError_tT2_T3_mT4_P12ihipStream_tbEUlT_E_NS1_11comp_targetILNS1_3genE9ELNS1_11target_archE1100ELNS1_3gpuE3ELNS1_3repE0EEENS1_30default_config_static_selectorELNS0_4arch9wavefront6targetE0EEEvT1_ ; -- Begin function _ZN7rocprim17ROCPRIM_400000_NS6detail17trampoline_kernelINS0_14default_configENS1_25transform_config_selectorImLb1EEEZNS1_14transform_implILb1ES3_S5_PmPlNS0_8identityIvEEEE10hipError_tT2_T3_mT4_P12ihipStream_tbEUlT_E_NS1_11comp_targetILNS1_3genE9ELNS1_11target_archE1100ELNS1_3gpuE3ELNS1_3repE0EEENS1_30default_config_static_selectorELNS0_4arch9wavefront6targetE0EEEvT1_
	.globl	_ZN7rocprim17ROCPRIM_400000_NS6detail17trampoline_kernelINS0_14default_configENS1_25transform_config_selectorImLb1EEEZNS1_14transform_implILb1ES3_S5_PmPlNS0_8identityIvEEEE10hipError_tT2_T3_mT4_P12ihipStream_tbEUlT_E_NS1_11comp_targetILNS1_3genE9ELNS1_11target_archE1100ELNS1_3gpuE3ELNS1_3repE0EEENS1_30default_config_static_selectorELNS0_4arch9wavefront6targetE0EEEvT1_
	.p2align	8
	.type	_ZN7rocprim17ROCPRIM_400000_NS6detail17trampoline_kernelINS0_14default_configENS1_25transform_config_selectorImLb1EEEZNS1_14transform_implILb1ES3_S5_PmPlNS0_8identityIvEEEE10hipError_tT2_T3_mT4_P12ihipStream_tbEUlT_E_NS1_11comp_targetILNS1_3genE9ELNS1_11target_archE1100ELNS1_3gpuE3ELNS1_3repE0EEENS1_30default_config_static_selectorELNS0_4arch9wavefront6targetE0EEEvT1_,@function
_ZN7rocprim17ROCPRIM_400000_NS6detail17trampoline_kernelINS0_14default_configENS1_25transform_config_selectorImLb1EEEZNS1_14transform_implILb1ES3_S5_PmPlNS0_8identityIvEEEE10hipError_tT2_T3_mT4_P12ihipStream_tbEUlT_E_NS1_11comp_targetILNS1_3genE9ELNS1_11target_archE1100ELNS1_3gpuE3ELNS1_3repE0EEENS1_30default_config_static_selectorELNS0_4arch9wavefront6targetE0EEEvT1_: ; @_ZN7rocprim17ROCPRIM_400000_NS6detail17trampoline_kernelINS0_14default_configENS1_25transform_config_selectorImLb1EEEZNS1_14transform_implILb1ES3_S5_PmPlNS0_8identityIvEEEE10hipError_tT2_T3_mT4_P12ihipStream_tbEUlT_E_NS1_11comp_targetILNS1_3genE9ELNS1_11target_archE1100ELNS1_3gpuE3ELNS1_3repE0EEENS1_30default_config_static_selectorELNS0_4arch9wavefront6targetE0EEEvT1_
; %bb.0:
	s_load_b256 s[4:11], s[0:1], 0x0
	s_waitcnt lgkmcnt(0)
	s_load_b32 s9, s[0:1], 0x28
	s_lshl_b64 s[0:1], s[6:7], 3
	s_delay_alu instid0(SALU_CYCLE_1)
	s_add_u32 s4, s4, s0
	s_addc_u32 s5, s5, s1
	s_add_u32 s6, s10, s0
	s_addc_u32 s7, s11, s1
	s_lshl_b32 s0, s15, 11
	s_mov_b32 s1, 0
	s_waitcnt lgkmcnt(0)
	s_add_i32 s9, s9, -1
	s_lshl_b64 s[2:3], s[0:1], 3
	s_mov_b32 s1, -1
	s_add_u32 s4, s4, s2
	s_addc_u32 s5, s5, s3
	s_cmp_lg_u32 s15, s9
	s_cbranch_scc0 .LBB203_2
; %bb.1:
	v_lshlrev_b32_e32 v5, 4, v0
	s_add_u32 s10, s6, s2
	s_addc_u32 s11, s7, s3
	s_mov_b32 s1, 0
	global_load_b128 v[1:4], v5, s[4:5] slc dlc
	s_waitcnt vmcnt(0)
	global_store_b128 v5, v[1:4], s[10:11]
.LBB203_2:
	s_and_not1_b32 vcc_lo, exec_lo, s1
	s_cbranch_vccnz .LBB203_11
; %bb.3:
	s_sub_i32 s0, s8, s0
	v_lshlrev_b32_e32 v5, 3, v0
	v_cmp_gt_u32_e32 vcc_lo, s0, v0
                                        ; implicit-def: $vgpr1_vgpr2_vgpr3_vgpr4
	s_and_saveexec_b32 s1, vcc_lo
	s_cbranch_execz .LBB203_5
; %bb.4:
	global_load_b64 v[1:2], v5, s[4:5]
.LBB203_5:
	s_or_b32 exec_lo, exec_lo, s1
	v_or_b32_e32 v0, 0x400, v0
	s_delay_alu instid0(VALU_DEP_1) | instskip(NEXT) | instid1(VALU_DEP_1)
	v_cmp_gt_u32_e64 s0, s0, v0
	s_and_saveexec_b32 s1, s0
	s_cbranch_execz .LBB203_7
; %bb.6:
	v_lshlrev_b32_e32 v0, 3, v0
	global_load_b64 v[3:4], v0, s[4:5]
.LBB203_7:
	s_or_b32 exec_lo, exec_lo, s1
	s_add_u32 s1, s6, s2
	s_addc_u32 s2, s7, s3
	v_add_co_u32 v5, s1, s1, v5
	s_delay_alu instid0(VALU_DEP_1)
	v_add_co_ci_u32_e64 v6, null, s2, 0, s1
	s_and_saveexec_b32 s1, vcc_lo
	s_cbranch_execz .LBB203_9
; %bb.8:
	s_waitcnt vmcnt(0)
	global_store_b64 v[5:6], v[1:2], off
.LBB203_9:
	s_or_b32 exec_lo, exec_lo, s1
	s_and_saveexec_b32 s1, s0
	s_cbranch_execz .LBB203_11
; %bb.10:
	v_add_co_u32 v0, vcc_lo, 0x2000, v5
	s_waitcnt vmcnt(0)
	v_add_co_ci_u32_e32 v1, vcc_lo, 0, v6, vcc_lo
	global_store_b64 v[0:1], v[3:4], off
.LBB203_11:
	s_nop 0
	s_sendmsg sendmsg(MSG_DEALLOC_VGPRS)
	s_endpgm
	.section	.rodata,"a",@progbits
	.p2align	6, 0x0
	.amdhsa_kernel _ZN7rocprim17ROCPRIM_400000_NS6detail17trampoline_kernelINS0_14default_configENS1_25transform_config_selectorImLb1EEEZNS1_14transform_implILb1ES3_S5_PmPlNS0_8identityIvEEEE10hipError_tT2_T3_mT4_P12ihipStream_tbEUlT_E_NS1_11comp_targetILNS1_3genE9ELNS1_11target_archE1100ELNS1_3gpuE3ELNS1_3repE0EEENS1_30default_config_static_selectorELNS0_4arch9wavefront6targetE0EEEvT1_
		.amdhsa_group_segment_fixed_size 0
		.amdhsa_private_segment_fixed_size 0
		.amdhsa_kernarg_size 296
		.amdhsa_user_sgpr_count 15
		.amdhsa_user_sgpr_dispatch_ptr 0
		.amdhsa_user_sgpr_queue_ptr 0
		.amdhsa_user_sgpr_kernarg_segment_ptr 1
		.amdhsa_user_sgpr_dispatch_id 0
		.amdhsa_user_sgpr_private_segment_size 0
		.amdhsa_wavefront_size32 1
		.amdhsa_uses_dynamic_stack 0
		.amdhsa_enable_private_segment 0
		.amdhsa_system_sgpr_workgroup_id_x 1
		.amdhsa_system_sgpr_workgroup_id_y 0
		.amdhsa_system_sgpr_workgroup_id_z 0
		.amdhsa_system_sgpr_workgroup_info 0
		.amdhsa_system_vgpr_workitem_id 0
		.amdhsa_next_free_vgpr 7
		.amdhsa_next_free_sgpr 16
		.amdhsa_reserve_vcc 1
		.amdhsa_float_round_mode_32 0
		.amdhsa_float_round_mode_16_64 0
		.amdhsa_float_denorm_mode_32 3
		.amdhsa_float_denorm_mode_16_64 3
		.amdhsa_dx10_clamp 1
		.amdhsa_ieee_mode 1
		.amdhsa_fp16_overflow 0
		.amdhsa_workgroup_processor_mode 1
		.amdhsa_memory_ordered 1
		.amdhsa_forward_progress 0
		.amdhsa_shared_vgpr_count 0
		.amdhsa_exception_fp_ieee_invalid_op 0
		.amdhsa_exception_fp_denorm_src 0
		.amdhsa_exception_fp_ieee_div_zero 0
		.amdhsa_exception_fp_ieee_overflow 0
		.amdhsa_exception_fp_ieee_underflow 0
		.amdhsa_exception_fp_ieee_inexact 0
		.amdhsa_exception_int_div_zero 0
	.end_amdhsa_kernel
	.section	.text._ZN7rocprim17ROCPRIM_400000_NS6detail17trampoline_kernelINS0_14default_configENS1_25transform_config_selectorImLb1EEEZNS1_14transform_implILb1ES3_S5_PmPlNS0_8identityIvEEEE10hipError_tT2_T3_mT4_P12ihipStream_tbEUlT_E_NS1_11comp_targetILNS1_3genE9ELNS1_11target_archE1100ELNS1_3gpuE3ELNS1_3repE0EEENS1_30default_config_static_selectorELNS0_4arch9wavefront6targetE0EEEvT1_,"axG",@progbits,_ZN7rocprim17ROCPRIM_400000_NS6detail17trampoline_kernelINS0_14default_configENS1_25transform_config_selectorImLb1EEEZNS1_14transform_implILb1ES3_S5_PmPlNS0_8identityIvEEEE10hipError_tT2_T3_mT4_P12ihipStream_tbEUlT_E_NS1_11comp_targetILNS1_3genE9ELNS1_11target_archE1100ELNS1_3gpuE3ELNS1_3repE0EEENS1_30default_config_static_selectorELNS0_4arch9wavefront6targetE0EEEvT1_,comdat
.Lfunc_end203:
	.size	_ZN7rocprim17ROCPRIM_400000_NS6detail17trampoline_kernelINS0_14default_configENS1_25transform_config_selectorImLb1EEEZNS1_14transform_implILb1ES3_S5_PmPlNS0_8identityIvEEEE10hipError_tT2_T3_mT4_P12ihipStream_tbEUlT_E_NS1_11comp_targetILNS1_3genE9ELNS1_11target_archE1100ELNS1_3gpuE3ELNS1_3repE0EEENS1_30default_config_static_selectorELNS0_4arch9wavefront6targetE0EEEvT1_, .Lfunc_end203-_ZN7rocprim17ROCPRIM_400000_NS6detail17trampoline_kernelINS0_14default_configENS1_25transform_config_selectorImLb1EEEZNS1_14transform_implILb1ES3_S5_PmPlNS0_8identityIvEEEE10hipError_tT2_T3_mT4_P12ihipStream_tbEUlT_E_NS1_11comp_targetILNS1_3genE9ELNS1_11target_archE1100ELNS1_3gpuE3ELNS1_3repE0EEENS1_30default_config_static_selectorELNS0_4arch9wavefront6targetE0EEEvT1_
                                        ; -- End function
	.section	.AMDGPU.csdata,"",@progbits
; Kernel info:
; codeLenInByte = 304
; NumSgprs: 18
; NumVgprs: 7
; ScratchSize: 0
; MemoryBound: 1
; FloatMode: 240
; IeeeMode: 1
; LDSByteSize: 0 bytes/workgroup (compile time only)
; SGPRBlocks: 2
; VGPRBlocks: 0
; NumSGPRsForWavesPerEU: 18
; NumVGPRsForWavesPerEU: 7
; Occupancy: 16
; WaveLimiterHint : 0
; COMPUTE_PGM_RSRC2:SCRATCH_EN: 0
; COMPUTE_PGM_RSRC2:USER_SGPR: 15
; COMPUTE_PGM_RSRC2:TRAP_HANDLER: 0
; COMPUTE_PGM_RSRC2:TGID_X_EN: 1
; COMPUTE_PGM_RSRC2:TGID_Y_EN: 0
; COMPUTE_PGM_RSRC2:TGID_Z_EN: 0
; COMPUTE_PGM_RSRC2:TIDIG_COMP_CNT: 0
	.section	.text._ZN7rocprim17ROCPRIM_400000_NS6detail17trampoline_kernelINS0_14default_configENS1_25transform_config_selectorImLb1EEEZNS1_14transform_implILb1ES3_S5_PmPlNS0_8identityIvEEEE10hipError_tT2_T3_mT4_P12ihipStream_tbEUlT_E_NS1_11comp_targetILNS1_3genE8ELNS1_11target_archE1030ELNS1_3gpuE2ELNS1_3repE0EEENS1_30default_config_static_selectorELNS0_4arch9wavefront6targetE0EEEvT1_,"axG",@progbits,_ZN7rocprim17ROCPRIM_400000_NS6detail17trampoline_kernelINS0_14default_configENS1_25transform_config_selectorImLb1EEEZNS1_14transform_implILb1ES3_S5_PmPlNS0_8identityIvEEEE10hipError_tT2_T3_mT4_P12ihipStream_tbEUlT_E_NS1_11comp_targetILNS1_3genE8ELNS1_11target_archE1030ELNS1_3gpuE2ELNS1_3repE0EEENS1_30default_config_static_selectorELNS0_4arch9wavefront6targetE0EEEvT1_,comdat
	.protected	_ZN7rocprim17ROCPRIM_400000_NS6detail17trampoline_kernelINS0_14default_configENS1_25transform_config_selectorImLb1EEEZNS1_14transform_implILb1ES3_S5_PmPlNS0_8identityIvEEEE10hipError_tT2_T3_mT4_P12ihipStream_tbEUlT_E_NS1_11comp_targetILNS1_3genE8ELNS1_11target_archE1030ELNS1_3gpuE2ELNS1_3repE0EEENS1_30default_config_static_selectorELNS0_4arch9wavefront6targetE0EEEvT1_ ; -- Begin function _ZN7rocprim17ROCPRIM_400000_NS6detail17trampoline_kernelINS0_14default_configENS1_25transform_config_selectorImLb1EEEZNS1_14transform_implILb1ES3_S5_PmPlNS0_8identityIvEEEE10hipError_tT2_T3_mT4_P12ihipStream_tbEUlT_E_NS1_11comp_targetILNS1_3genE8ELNS1_11target_archE1030ELNS1_3gpuE2ELNS1_3repE0EEENS1_30default_config_static_selectorELNS0_4arch9wavefront6targetE0EEEvT1_
	.globl	_ZN7rocprim17ROCPRIM_400000_NS6detail17trampoline_kernelINS0_14default_configENS1_25transform_config_selectorImLb1EEEZNS1_14transform_implILb1ES3_S5_PmPlNS0_8identityIvEEEE10hipError_tT2_T3_mT4_P12ihipStream_tbEUlT_E_NS1_11comp_targetILNS1_3genE8ELNS1_11target_archE1030ELNS1_3gpuE2ELNS1_3repE0EEENS1_30default_config_static_selectorELNS0_4arch9wavefront6targetE0EEEvT1_
	.p2align	8
	.type	_ZN7rocprim17ROCPRIM_400000_NS6detail17trampoline_kernelINS0_14default_configENS1_25transform_config_selectorImLb1EEEZNS1_14transform_implILb1ES3_S5_PmPlNS0_8identityIvEEEE10hipError_tT2_T3_mT4_P12ihipStream_tbEUlT_E_NS1_11comp_targetILNS1_3genE8ELNS1_11target_archE1030ELNS1_3gpuE2ELNS1_3repE0EEENS1_30default_config_static_selectorELNS0_4arch9wavefront6targetE0EEEvT1_,@function
_ZN7rocprim17ROCPRIM_400000_NS6detail17trampoline_kernelINS0_14default_configENS1_25transform_config_selectorImLb1EEEZNS1_14transform_implILb1ES3_S5_PmPlNS0_8identityIvEEEE10hipError_tT2_T3_mT4_P12ihipStream_tbEUlT_E_NS1_11comp_targetILNS1_3genE8ELNS1_11target_archE1030ELNS1_3gpuE2ELNS1_3repE0EEENS1_30default_config_static_selectorELNS0_4arch9wavefront6targetE0EEEvT1_: ; @_ZN7rocprim17ROCPRIM_400000_NS6detail17trampoline_kernelINS0_14default_configENS1_25transform_config_selectorImLb1EEEZNS1_14transform_implILb1ES3_S5_PmPlNS0_8identityIvEEEE10hipError_tT2_T3_mT4_P12ihipStream_tbEUlT_E_NS1_11comp_targetILNS1_3genE8ELNS1_11target_archE1030ELNS1_3gpuE2ELNS1_3repE0EEENS1_30default_config_static_selectorELNS0_4arch9wavefront6targetE0EEEvT1_
; %bb.0:
	.section	.rodata,"a",@progbits
	.p2align	6, 0x0
	.amdhsa_kernel _ZN7rocprim17ROCPRIM_400000_NS6detail17trampoline_kernelINS0_14default_configENS1_25transform_config_selectorImLb1EEEZNS1_14transform_implILb1ES3_S5_PmPlNS0_8identityIvEEEE10hipError_tT2_T3_mT4_P12ihipStream_tbEUlT_E_NS1_11comp_targetILNS1_3genE8ELNS1_11target_archE1030ELNS1_3gpuE2ELNS1_3repE0EEENS1_30default_config_static_selectorELNS0_4arch9wavefront6targetE0EEEvT1_
		.amdhsa_group_segment_fixed_size 0
		.amdhsa_private_segment_fixed_size 0
		.amdhsa_kernarg_size 40
		.amdhsa_user_sgpr_count 15
		.amdhsa_user_sgpr_dispatch_ptr 0
		.amdhsa_user_sgpr_queue_ptr 0
		.amdhsa_user_sgpr_kernarg_segment_ptr 1
		.amdhsa_user_sgpr_dispatch_id 0
		.amdhsa_user_sgpr_private_segment_size 0
		.amdhsa_wavefront_size32 1
		.amdhsa_uses_dynamic_stack 0
		.amdhsa_enable_private_segment 0
		.amdhsa_system_sgpr_workgroup_id_x 1
		.amdhsa_system_sgpr_workgroup_id_y 0
		.amdhsa_system_sgpr_workgroup_id_z 0
		.amdhsa_system_sgpr_workgroup_info 0
		.amdhsa_system_vgpr_workitem_id 0
		.amdhsa_next_free_vgpr 1
		.amdhsa_next_free_sgpr 1
		.amdhsa_reserve_vcc 0
		.amdhsa_float_round_mode_32 0
		.amdhsa_float_round_mode_16_64 0
		.amdhsa_float_denorm_mode_32 3
		.amdhsa_float_denorm_mode_16_64 3
		.amdhsa_dx10_clamp 1
		.amdhsa_ieee_mode 1
		.amdhsa_fp16_overflow 0
		.amdhsa_workgroup_processor_mode 1
		.amdhsa_memory_ordered 1
		.amdhsa_forward_progress 0
		.amdhsa_shared_vgpr_count 0
		.amdhsa_exception_fp_ieee_invalid_op 0
		.amdhsa_exception_fp_denorm_src 0
		.amdhsa_exception_fp_ieee_div_zero 0
		.amdhsa_exception_fp_ieee_overflow 0
		.amdhsa_exception_fp_ieee_underflow 0
		.amdhsa_exception_fp_ieee_inexact 0
		.amdhsa_exception_int_div_zero 0
	.end_amdhsa_kernel
	.section	.text._ZN7rocprim17ROCPRIM_400000_NS6detail17trampoline_kernelINS0_14default_configENS1_25transform_config_selectorImLb1EEEZNS1_14transform_implILb1ES3_S5_PmPlNS0_8identityIvEEEE10hipError_tT2_T3_mT4_P12ihipStream_tbEUlT_E_NS1_11comp_targetILNS1_3genE8ELNS1_11target_archE1030ELNS1_3gpuE2ELNS1_3repE0EEENS1_30default_config_static_selectorELNS0_4arch9wavefront6targetE0EEEvT1_,"axG",@progbits,_ZN7rocprim17ROCPRIM_400000_NS6detail17trampoline_kernelINS0_14default_configENS1_25transform_config_selectorImLb1EEEZNS1_14transform_implILb1ES3_S5_PmPlNS0_8identityIvEEEE10hipError_tT2_T3_mT4_P12ihipStream_tbEUlT_E_NS1_11comp_targetILNS1_3genE8ELNS1_11target_archE1030ELNS1_3gpuE2ELNS1_3repE0EEENS1_30default_config_static_selectorELNS0_4arch9wavefront6targetE0EEEvT1_,comdat
.Lfunc_end204:
	.size	_ZN7rocprim17ROCPRIM_400000_NS6detail17trampoline_kernelINS0_14default_configENS1_25transform_config_selectorImLb1EEEZNS1_14transform_implILb1ES3_S5_PmPlNS0_8identityIvEEEE10hipError_tT2_T3_mT4_P12ihipStream_tbEUlT_E_NS1_11comp_targetILNS1_3genE8ELNS1_11target_archE1030ELNS1_3gpuE2ELNS1_3repE0EEENS1_30default_config_static_selectorELNS0_4arch9wavefront6targetE0EEEvT1_, .Lfunc_end204-_ZN7rocprim17ROCPRIM_400000_NS6detail17trampoline_kernelINS0_14default_configENS1_25transform_config_selectorImLb1EEEZNS1_14transform_implILb1ES3_S5_PmPlNS0_8identityIvEEEE10hipError_tT2_T3_mT4_P12ihipStream_tbEUlT_E_NS1_11comp_targetILNS1_3genE8ELNS1_11target_archE1030ELNS1_3gpuE2ELNS1_3repE0EEENS1_30default_config_static_selectorELNS0_4arch9wavefront6targetE0EEEvT1_
                                        ; -- End function
	.section	.AMDGPU.csdata,"",@progbits
; Kernel info:
; codeLenInByte = 0
; NumSgprs: 0
; NumVgprs: 0
; ScratchSize: 0
; MemoryBound: 0
; FloatMode: 240
; IeeeMode: 1
; LDSByteSize: 0 bytes/workgroup (compile time only)
; SGPRBlocks: 0
; VGPRBlocks: 0
; NumSGPRsForWavesPerEU: 1
; NumVGPRsForWavesPerEU: 1
; Occupancy: 16
; WaveLimiterHint : 0
; COMPUTE_PGM_RSRC2:SCRATCH_EN: 0
; COMPUTE_PGM_RSRC2:USER_SGPR: 15
; COMPUTE_PGM_RSRC2:TRAP_HANDLER: 0
; COMPUTE_PGM_RSRC2:TGID_X_EN: 1
; COMPUTE_PGM_RSRC2:TGID_Y_EN: 0
; COMPUTE_PGM_RSRC2:TGID_Z_EN: 0
; COMPUTE_PGM_RSRC2:TIDIG_COMP_CNT: 0
	.section	.text._ZN7rocprim17ROCPRIM_400000_NS6detail31init_lookback_scan_state_kernelINS1_19lookback_scan_stateImLb1ELb1EEENS1_16block_id_wrapperIjLb1EEEEEvT_jT0_jPNS7_10value_typeE,"axG",@progbits,_ZN7rocprim17ROCPRIM_400000_NS6detail31init_lookback_scan_state_kernelINS1_19lookback_scan_stateImLb1ELb1EEENS1_16block_id_wrapperIjLb1EEEEEvT_jT0_jPNS7_10value_typeE,comdat
	.protected	_ZN7rocprim17ROCPRIM_400000_NS6detail31init_lookback_scan_state_kernelINS1_19lookback_scan_stateImLb1ELb1EEENS1_16block_id_wrapperIjLb1EEEEEvT_jT0_jPNS7_10value_typeE ; -- Begin function _ZN7rocprim17ROCPRIM_400000_NS6detail31init_lookback_scan_state_kernelINS1_19lookback_scan_stateImLb1ELb1EEENS1_16block_id_wrapperIjLb1EEEEEvT_jT0_jPNS7_10value_typeE
	.globl	_ZN7rocprim17ROCPRIM_400000_NS6detail31init_lookback_scan_state_kernelINS1_19lookback_scan_stateImLb1ELb1EEENS1_16block_id_wrapperIjLb1EEEEEvT_jT0_jPNS7_10value_typeE
	.p2align	8
	.type	_ZN7rocprim17ROCPRIM_400000_NS6detail31init_lookback_scan_state_kernelINS1_19lookback_scan_stateImLb1ELb1EEENS1_16block_id_wrapperIjLb1EEEEEvT_jT0_jPNS7_10value_typeE,@function
_ZN7rocprim17ROCPRIM_400000_NS6detail31init_lookback_scan_state_kernelINS1_19lookback_scan_stateImLb1ELb1EEENS1_16block_id_wrapperIjLb1EEEEEvT_jT0_jPNS7_10value_typeE: ; @_ZN7rocprim17ROCPRIM_400000_NS6detail31init_lookback_scan_state_kernelINS1_19lookback_scan_stateImLb1ELb1EEENS1_16block_id_wrapperIjLb1EEEEEvT_jT0_jPNS7_10value_typeE
; %bb.0:
	s_clause 0x3
	s_load_b32 s6, s[0:1], 0x34
	s_load_b64 s[4:5], s[0:1], 0x20
	s_load_b64 s[2:3], s[0:1], 0x0
	s_load_b32 s8, s[0:1], 0x8
	s_waitcnt lgkmcnt(0)
	s_and_b32 s6, s6, 0xffff
	s_cmp_eq_u64 s[4:5], 0
	v_mad_u64_u32 v[1:2], null, s15, s6, v[0:1]
	s_cbranch_scc1 .LBB205_10
; %bb.1:
	s_load_b32 s6, s[0:1], 0x18
	s_waitcnt lgkmcnt(0)
	s_cmp_lt_u32 s6, s8
	s_cselect_b32 s7, s6, 0
	s_delay_alu instid0(VALU_DEP_1) | instid1(SALU_CYCLE_1)
	v_cmp_eq_u32_e32 vcc_lo, s7, v1
	s_mov_b32 s7, 0
	s_and_saveexec_b32 s9, vcc_lo
	s_cbranch_execz .LBB205_9
; %bb.2:
	s_add_i32 s6, s6, 32
	s_mov_b32 s10, exec_lo
	s_lshl_b64 s[6:7], s[6:7], 4
	v_mov_b32_e32 v6, 0
	s_add_u32 s6, s2, s6
	s_addc_u32 s7, s3, s7
	s_delay_alu instid0(SALU_CYCLE_1) | instskip(SKIP_2) | instid1(VALU_DEP_1)
	v_dual_mov_b32 v2, s6 :: v_dual_mov_b32 v3, s7
	;;#ASMSTART
	global_load_dwordx4 v[2:5], v[2:3] off glc	
s_waitcnt vmcnt(0)
	;;#ASMEND
	v_and_b32_e32 v5, 0xff, v4
	v_cmpx_eq_u64_e32 0, v[5:6]
	s_cbranch_execz .LBB205_8
; %bb.3:
	v_dual_mov_b32 v8, s7 :: v_dual_mov_b32 v7, s6
	s_mov_b32 s7, 1
	s_mov_b32 s6, 0
	.p2align	6
.LBB205_4:                              ; =>This Loop Header: Depth=1
                                        ;     Child Loop BB205_5 Depth 2
	s_max_u32 s11, s7, 1
.LBB205_5:                              ;   Parent Loop BB205_4 Depth=1
                                        ; =>  This Inner Loop Header: Depth=2
	s_delay_alu instid0(SALU_CYCLE_1)
	s_add_i32 s11, s11, -1
	s_sleep 1
	s_cmp_eq_u32 s11, 0
	s_cbranch_scc0 .LBB205_5
; %bb.6:                                ;   in Loop: Header=BB205_4 Depth=1
	;;#ASMSTART
	global_load_dwordx4 v[2:5], v[7:8] off glc	
s_waitcnt vmcnt(0)
	;;#ASMEND
	v_and_b32_e32 v5, 0xff, v4
	s_cmp_lt_u32 s7, 32
	s_cselect_b32 s11, -1, 0
	s_delay_alu instid0(SALU_CYCLE_1) | instskip(NEXT) | instid1(VALU_DEP_1)
	s_cmp_lg_u32 s11, 0
	v_cmp_ne_u64_e32 vcc_lo, 0, v[5:6]
	s_addc_u32 s7, s7, 0
	s_or_b32 s6, vcc_lo, s6
	s_delay_alu instid0(SALU_CYCLE_1)
	s_and_not1_b32 exec_lo, exec_lo, s6
	s_cbranch_execnz .LBB205_4
; %bb.7:
	s_or_b32 exec_lo, exec_lo, s6
.LBB205_8:
	s_delay_alu instid0(SALU_CYCLE_1)
	s_or_b32 exec_lo, exec_lo, s10
	v_mov_b32_e32 v0, 0
	global_store_b64 v0, v[2:3], s[4:5]
.LBB205_9:
	s_or_b32 exec_lo, exec_lo, s9
.LBB205_10:
	s_delay_alu instid0(SALU_CYCLE_1) | instskip(NEXT) | instid1(VALU_DEP_1)
	s_mov_b32 s4, exec_lo
	v_cmpx_eq_u32_e32 0, v1
	s_cbranch_execz .LBB205_12
; %bb.11:
	s_load_b64 s[0:1], s[0:1], 0x10
	v_mov_b32_e32 v0, 0
	s_waitcnt lgkmcnt(0)
	global_store_b32 v0, v0, s[0:1]
.LBB205_12:
	s_or_b32 exec_lo, exec_lo, s4
	s_delay_alu instid0(SALU_CYCLE_1)
	s_mov_b32 s0, exec_lo
	v_cmpx_gt_u32_e64 s8, v1
	s_cbranch_execz .LBB205_14
; %bb.13:
	v_dual_mov_b32 v3, 0 :: v_dual_add_nc_u32 v2, 32, v1
	s_delay_alu instid0(VALU_DEP_1) | instskip(SKIP_2) | instid1(VALU_DEP_3)
	v_lshlrev_b64 v[5:6], 4, v[2:3]
	v_mov_b32_e32 v2, v3
	v_mov_b32_e32 v4, v3
	v_add_co_u32 v7, vcc_lo, s2, v5
	s_delay_alu instid0(VALU_DEP_4)
	v_add_co_ci_u32_e32 v8, vcc_lo, s3, v6, vcc_lo
	v_mov_b32_e32 v5, v3
	global_store_b128 v[7:8], v[2:5], off
.LBB205_14:
	s_or_b32 exec_lo, exec_lo, s0
	s_delay_alu instid0(SALU_CYCLE_1)
	s_mov_b32 s0, exec_lo
	v_cmpx_gt_u32_e32 32, v1
	s_cbranch_execz .LBB205_16
; %bb.15:
	v_dual_mov_b32 v2, 0 :: v_dual_mov_b32 v3, 0xff
	s_delay_alu instid0(VALU_DEP_1) | instskip(SKIP_1) | instid1(VALU_DEP_2)
	v_lshlrev_b64 v[4:5], 4, v[1:2]
	v_mov_b32_e32 v1, v2
	v_add_co_u32 v6, vcc_lo, s2, v4
	s_delay_alu instid0(VALU_DEP_3)
	v_add_co_ci_u32_e32 v7, vcc_lo, s3, v5, vcc_lo
	v_mov_b32_e32 v4, v2
	global_store_b128 v[6:7], v[1:4], off
.LBB205_16:
	s_nop 0
	s_sendmsg sendmsg(MSG_DEALLOC_VGPRS)
	s_endpgm
	.section	.rodata,"a",@progbits
	.p2align	6, 0x0
	.amdhsa_kernel _ZN7rocprim17ROCPRIM_400000_NS6detail31init_lookback_scan_state_kernelINS1_19lookback_scan_stateImLb1ELb1EEENS1_16block_id_wrapperIjLb1EEEEEvT_jT0_jPNS7_10value_typeE
		.amdhsa_group_segment_fixed_size 0
		.amdhsa_private_segment_fixed_size 0
		.amdhsa_kernarg_size 296
		.amdhsa_user_sgpr_count 15
		.amdhsa_user_sgpr_dispatch_ptr 0
		.amdhsa_user_sgpr_queue_ptr 0
		.amdhsa_user_sgpr_kernarg_segment_ptr 1
		.amdhsa_user_sgpr_dispatch_id 0
		.amdhsa_user_sgpr_private_segment_size 0
		.amdhsa_wavefront_size32 1
		.amdhsa_uses_dynamic_stack 0
		.amdhsa_enable_private_segment 0
		.amdhsa_system_sgpr_workgroup_id_x 1
		.amdhsa_system_sgpr_workgroup_id_y 0
		.amdhsa_system_sgpr_workgroup_id_z 0
		.amdhsa_system_sgpr_workgroup_info 0
		.amdhsa_system_vgpr_workitem_id 0
		.amdhsa_next_free_vgpr 9
		.amdhsa_next_free_sgpr 16
		.amdhsa_reserve_vcc 1
		.amdhsa_float_round_mode_32 0
		.amdhsa_float_round_mode_16_64 0
		.amdhsa_float_denorm_mode_32 3
		.amdhsa_float_denorm_mode_16_64 3
		.amdhsa_dx10_clamp 1
		.amdhsa_ieee_mode 1
		.amdhsa_fp16_overflow 0
		.amdhsa_workgroup_processor_mode 1
		.amdhsa_memory_ordered 1
		.amdhsa_forward_progress 0
		.amdhsa_shared_vgpr_count 0
		.amdhsa_exception_fp_ieee_invalid_op 0
		.amdhsa_exception_fp_denorm_src 0
		.amdhsa_exception_fp_ieee_div_zero 0
		.amdhsa_exception_fp_ieee_overflow 0
		.amdhsa_exception_fp_ieee_underflow 0
		.amdhsa_exception_fp_ieee_inexact 0
		.amdhsa_exception_int_div_zero 0
	.end_amdhsa_kernel
	.section	.text._ZN7rocprim17ROCPRIM_400000_NS6detail31init_lookback_scan_state_kernelINS1_19lookback_scan_stateImLb1ELb1EEENS1_16block_id_wrapperIjLb1EEEEEvT_jT0_jPNS7_10value_typeE,"axG",@progbits,_ZN7rocprim17ROCPRIM_400000_NS6detail31init_lookback_scan_state_kernelINS1_19lookback_scan_stateImLb1ELb1EEENS1_16block_id_wrapperIjLb1EEEEEvT_jT0_jPNS7_10value_typeE,comdat
.Lfunc_end205:
	.size	_ZN7rocprim17ROCPRIM_400000_NS6detail31init_lookback_scan_state_kernelINS1_19lookback_scan_stateImLb1ELb1EEENS1_16block_id_wrapperIjLb1EEEEEvT_jT0_jPNS7_10value_typeE, .Lfunc_end205-_ZN7rocprim17ROCPRIM_400000_NS6detail31init_lookback_scan_state_kernelINS1_19lookback_scan_stateImLb1ELb1EEENS1_16block_id_wrapperIjLb1EEEEEvT_jT0_jPNS7_10value_typeE
                                        ; -- End function
	.section	.AMDGPU.csdata,"",@progbits
; Kernel info:
; codeLenInByte = 560
; NumSgprs: 18
; NumVgprs: 9
; ScratchSize: 0
; MemoryBound: 0
; FloatMode: 240
; IeeeMode: 1
; LDSByteSize: 0 bytes/workgroup (compile time only)
; SGPRBlocks: 2
; VGPRBlocks: 1
; NumSGPRsForWavesPerEU: 18
; NumVGPRsForWavesPerEU: 9
; Occupancy: 16
; WaveLimiterHint : 0
; COMPUTE_PGM_RSRC2:SCRATCH_EN: 0
; COMPUTE_PGM_RSRC2:USER_SGPR: 15
; COMPUTE_PGM_RSRC2:TRAP_HANDLER: 0
; COMPUTE_PGM_RSRC2:TGID_X_EN: 1
; COMPUTE_PGM_RSRC2:TGID_Y_EN: 0
; COMPUTE_PGM_RSRC2:TGID_Z_EN: 0
; COMPUTE_PGM_RSRC2:TIDIG_COMP_CNT: 0
	.section	.text._ZN7rocprim17ROCPRIM_400000_NS6detail17trampoline_kernelINS0_14default_configENS1_25partition_config_selectorILNS1_17partition_subalgoE6EdNS0_10empty_typeEbEEZZNS1_14partition_implILS5_6ELb0ES3_mN6thrust23THRUST_200600_302600_NS6detail15normal_iteratorINSA_10device_ptrIdEEEEPS6_SG_NS0_5tupleIJSF_S6_EEENSH_IJSG_SG_EEES6_PlJ7is_evenIdEEEE10hipError_tPvRmT3_T4_T5_T6_T7_T9_mT8_P12ihipStream_tbDpT10_ENKUlT_T0_E_clISt17integral_constantIbLb1EES16_EEDaS11_S12_EUlS11_E_NS1_11comp_targetILNS1_3genE0ELNS1_11target_archE4294967295ELNS1_3gpuE0ELNS1_3repE0EEENS1_30default_config_static_selectorELNS0_4arch9wavefront6targetE0EEEvT1_,"axG",@progbits,_ZN7rocprim17ROCPRIM_400000_NS6detail17trampoline_kernelINS0_14default_configENS1_25partition_config_selectorILNS1_17partition_subalgoE6EdNS0_10empty_typeEbEEZZNS1_14partition_implILS5_6ELb0ES3_mN6thrust23THRUST_200600_302600_NS6detail15normal_iteratorINSA_10device_ptrIdEEEEPS6_SG_NS0_5tupleIJSF_S6_EEENSH_IJSG_SG_EEES6_PlJ7is_evenIdEEEE10hipError_tPvRmT3_T4_T5_T6_T7_T9_mT8_P12ihipStream_tbDpT10_ENKUlT_T0_E_clISt17integral_constantIbLb1EES16_EEDaS11_S12_EUlS11_E_NS1_11comp_targetILNS1_3genE0ELNS1_11target_archE4294967295ELNS1_3gpuE0ELNS1_3repE0EEENS1_30default_config_static_selectorELNS0_4arch9wavefront6targetE0EEEvT1_,comdat
	.protected	_ZN7rocprim17ROCPRIM_400000_NS6detail17trampoline_kernelINS0_14default_configENS1_25partition_config_selectorILNS1_17partition_subalgoE6EdNS0_10empty_typeEbEEZZNS1_14partition_implILS5_6ELb0ES3_mN6thrust23THRUST_200600_302600_NS6detail15normal_iteratorINSA_10device_ptrIdEEEEPS6_SG_NS0_5tupleIJSF_S6_EEENSH_IJSG_SG_EEES6_PlJ7is_evenIdEEEE10hipError_tPvRmT3_T4_T5_T6_T7_T9_mT8_P12ihipStream_tbDpT10_ENKUlT_T0_E_clISt17integral_constantIbLb1EES16_EEDaS11_S12_EUlS11_E_NS1_11comp_targetILNS1_3genE0ELNS1_11target_archE4294967295ELNS1_3gpuE0ELNS1_3repE0EEENS1_30default_config_static_selectorELNS0_4arch9wavefront6targetE0EEEvT1_ ; -- Begin function _ZN7rocprim17ROCPRIM_400000_NS6detail17trampoline_kernelINS0_14default_configENS1_25partition_config_selectorILNS1_17partition_subalgoE6EdNS0_10empty_typeEbEEZZNS1_14partition_implILS5_6ELb0ES3_mN6thrust23THRUST_200600_302600_NS6detail15normal_iteratorINSA_10device_ptrIdEEEEPS6_SG_NS0_5tupleIJSF_S6_EEENSH_IJSG_SG_EEES6_PlJ7is_evenIdEEEE10hipError_tPvRmT3_T4_T5_T6_T7_T9_mT8_P12ihipStream_tbDpT10_ENKUlT_T0_E_clISt17integral_constantIbLb1EES16_EEDaS11_S12_EUlS11_E_NS1_11comp_targetILNS1_3genE0ELNS1_11target_archE4294967295ELNS1_3gpuE0ELNS1_3repE0EEENS1_30default_config_static_selectorELNS0_4arch9wavefront6targetE0EEEvT1_
	.globl	_ZN7rocprim17ROCPRIM_400000_NS6detail17trampoline_kernelINS0_14default_configENS1_25partition_config_selectorILNS1_17partition_subalgoE6EdNS0_10empty_typeEbEEZZNS1_14partition_implILS5_6ELb0ES3_mN6thrust23THRUST_200600_302600_NS6detail15normal_iteratorINSA_10device_ptrIdEEEEPS6_SG_NS0_5tupleIJSF_S6_EEENSH_IJSG_SG_EEES6_PlJ7is_evenIdEEEE10hipError_tPvRmT3_T4_T5_T6_T7_T9_mT8_P12ihipStream_tbDpT10_ENKUlT_T0_E_clISt17integral_constantIbLb1EES16_EEDaS11_S12_EUlS11_E_NS1_11comp_targetILNS1_3genE0ELNS1_11target_archE4294967295ELNS1_3gpuE0ELNS1_3repE0EEENS1_30default_config_static_selectorELNS0_4arch9wavefront6targetE0EEEvT1_
	.p2align	8
	.type	_ZN7rocprim17ROCPRIM_400000_NS6detail17trampoline_kernelINS0_14default_configENS1_25partition_config_selectorILNS1_17partition_subalgoE6EdNS0_10empty_typeEbEEZZNS1_14partition_implILS5_6ELb0ES3_mN6thrust23THRUST_200600_302600_NS6detail15normal_iteratorINSA_10device_ptrIdEEEEPS6_SG_NS0_5tupleIJSF_S6_EEENSH_IJSG_SG_EEES6_PlJ7is_evenIdEEEE10hipError_tPvRmT3_T4_T5_T6_T7_T9_mT8_P12ihipStream_tbDpT10_ENKUlT_T0_E_clISt17integral_constantIbLb1EES16_EEDaS11_S12_EUlS11_E_NS1_11comp_targetILNS1_3genE0ELNS1_11target_archE4294967295ELNS1_3gpuE0ELNS1_3repE0EEENS1_30default_config_static_selectorELNS0_4arch9wavefront6targetE0EEEvT1_,@function
_ZN7rocprim17ROCPRIM_400000_NS6detail17trampoline_kernelINS0_14default_configENS1_25partition_config_selectorILNS1_17partition_subalgoE6EdNS0_10empty_typeEbEEZZNS1_14partition_implILS5_6ELb0ES3_mN6thrust23THRUST_200600_302600_NS6detail15normal_iteratorINSA_10device_ptrIdEEEEPS6_SG_NS0_5tupleIJSF_S6_EEENSH_IJSG_SG_EEES6_PlJ7is_evenIdEEEE10hipError_tPvRmT3_T4_T5_T6_T7_T9_mT8_P12ihipStream_tbDpT10_ENKUlT_T0_E_clISt17integral_constantIbLb1EES16_EEDaS11_S12_EUlS11_E_NS1_11comp_targetILNS1_3genE0ELNS1_11target_archE4294967295ELNS1_3gpuE0ELNS1_3repE0EEENS1_30default_config_static_selectorELNS0_4arch9wavefront6targetE0EEEvT1_: ; @_ZN7rocprim17ROCPRIM_400000_NS6detail17trampoline_kernelINS0_14default_configENS1_25partition_config_selectorILNS1_17partition_subalgoE6EdNS0_10empty_typeEbEEZZNS1_14partition_implILS5_6ELb0ES3_mN6thrust23THRUST_200600_302600_NS6detail15normal_iteratorINSA_10device_ptrIdEEEEPS6_SG_NS0_5tupleIJSF_S6_EEENSH_IJSG_SG_EEES6_PlJ7is_evenIdEEEE10hipError_tPvRmT3_T4_T5_T6_T7_T9_mT8_P12ihipStream_tbDpT10_ENKUlT_T0_E_clISt17integral_constantIbLb1EES16_EEDaS11_S12_EUlS11_E_NS1_11comp_targetILNS1_3genE0ELNS1_11target_archE4294967295ELNS1_3gpuE0ELNS1_3repE0EEENS1_30default_config_static_selectorELNS0_4arch9wavefront6targetE0EEEvT1_
; %bb.0:
	.section	.rodata,"a",@progbits
	.p2align	6, 0x0
	.amdhsa_kernel _ZN7rocprim17ROCPRIM_400000_NS6detail17trampoline_kernelINS0_14default_configENS1_25partition_config_selectorILNS1_17partition_subalgoE6EdNS0_10empty_typeEbEEZZNS1_14partition_implILS5_6ELb0ES3_mN6thrust23THRUST_200600_302600_NS6detail15normal_iteratorINSA_10device_ptrIdEEEEPS6_SG_NS0_5tupleIJSF_S6_EEENSH_IJSG_SG_EEES6_PlJ7is_evenIdEEEE10hipError_tPvRmT3_T4_T5_T6_T7_T9_mT8_P12ihipStream_tbDpT10_ENKUlT_T0_E_clISt17integral_constantIbLb1EES16_EEDaS11_S12_EUlS11_E_NS1_11comp_targetILNS1_3genE0ELNS1_11target_archE4294967295ELNS1_3gpuE0ELNS1_3repE0EEENS1_30default_config_static_selectorELNS0_4arch9wavefront6targetE0EEEvT1_
		.amdhsa_group_segment_fixed_size 0
		.amdhsa_private_segment_fixed_size 0
		.amdhsa_kernarg_size 128
		.amdhsa_user_sgpr_count 15
		.amdhsa_user_sgpr_dispatch_ptr 0
		.amdhsa_user_sgpr_queue_ptr 0
		.amdhsa_user_sgpr_kernarg_segment_ptr 1
		.amdhsa_user_sgpr_dispatch_id 0
		.amdhsa_user_sgpr_private_segment_size 0
		.amdhsa_wavefront_size32 1
		.amdhsa_uses_dynamic_stack 0
		.amdhsa_enable_private_segment 0
		.amdhsa_system_sgpr_workgroup_id_x 1
		.amdhsa_system_sgpr_workgroup_id_y 0
		.amdhsa_system_sgpr_workgroup_id_z 0
		.amdhsa_system_sgpr_workgroup_info 0
		.amdhsa_system_vgpr_workitem_id 0
		.amdhsa_next_free_vgpr 1
		.amdhsa_next_free_sgpr 1
		.amdhsa_reserve_vcc 0
		.amdhsa_float_round_mode_32 0
		.amdhsa_float_round_mode_16_64 0
		.amdhsa_float_denorm_mode_32 3
		.amdhsa_float_denorm_mode_16_64 3
		.amdhsa_dx10_clamp 1
		.amdhsa_ieee_mode 1
		.amdhsa_fp16_overflow 0
		.amdhsa_workgroup_processor_mode 1
		.amdhsa_memory_ordered 1
		.amdhsa_forward_progress 0
		.amdhsa_shared_vgpr_count 0
		.amdhsa_exception_fp_ieee_invalid_op 0
		.amdhsa_exception_fp_denorm_src 0
		.amdhsa_exception_fp_ieee_div_zero 0
		.amdhsa_exception_fp_ieee_overflow 0
		.amdhsa_exception_fp_ieee_underflow 0
		.amdhsa_exception_fp_ieee_inexact 0
		.amdhsa_exception_int_div_zero 0
	.end_amdhsa_kernel
	.section	.text._ZN7rocprim17ROCPRIM_400000_NS6detail17trampoline_kernelINS0_14default_configENS1_25partition_config_selectorILNS1_17partition_subalgoE6EdNS0_10empty_typeEbEEZZNS1_14partition_implILS5_6ELb0ES3_mN6thrust23THRUST_200600_302600_NS6detail15normal_iteratorINSA_10device_ptrIdEEEEPS6_SG_NS0_5tupleIJSF_S6_EEENSH_IJSG_SG_EEES6_PlJ7is_evenIdEEEE10hipError_tPvRmT3_T4_T5_T6_T7_T9_mT8_P12ihipStream_tbDpT10_ENKUlT_T0_E_clISt17integral_constantIbLb1EES16_EEDaS11_S12_EUlS11_E_NS1_11comp_targetILNS1_3genE0ELNS1_11target_archE4294967295ELNS1_3gpuE0ELNS1_3repE0EEENS1_30default_config_static_selectorELNS0_4arch9wavefront6targetE0EEEvT1_,"axG",@progbits,_ZN7rocprim17ROCPRIM_400000_NS6detail17trampoline_kernelINS0_14default_configENS1_25partition_config_selectorILNS1_17partition_subalgoE6EdNS0_10empty_typeEbEEZZNS1_14partition_implILS5_6ELb0ES3_mN6thrust23THRUST_200600_302600_NS6detail15normal_iteratorINSA_10device_ptrIdEEEEPS6_SG_NS0_5tupleIJSF_S6_EEENSH_IJSG_SG_EEES6_PlJ7is_evenIdEEEE10hipError_tPvRmT3_T4_T5_T6_T7_T9_mT8_P12ihipStream_tbDpT10_ENKUlT_T0_E_clISt17integral_constantIbLb1EES16_EEDaS11_S12_EUlS11_E_NS1_11comp_targetILNS1_3genE0ELNS1_11target_archE4294967295ELNS1_3gpuE0ELNS1_3repE0EEENS1_30default_config_static_selectorELNS0_4arch9wavefront6targetE0EEEvT1_,comdat
.Lfunc_end206:
	.size	_ZN7rocprim17ROCPRIM_400000_NS6detail17trampoline_kernelINS0_14default_configENS1_25partition_config_selectorILNS1_17partition_subalgoE6EdNS0_10empty_typeEbEEZZNS1_14partition_implILS5_6ELb0ES3_mN6thrust23THRUST_200600_302600_NS6detail15normal_iteratorINSA_10device_ptrIdEEEEPS6_SG_NS0_5tupleIJSF_S6_EEENSH_IJSG_SG_EEES6_PlJ7is_evenIdEEEE10hipError_tPvRmT3_T4_T5_T6_T7_T9_mT8_P12ihipStream_tbDpT10_ENKUlT_T0_E_clISt17integral_constantIbLb1EES16_EEDaS11_S12_EUlS11_E_NS1_11comp_targetILNS1_3genE0ELNS1_11target_archE4294967295ELNS1_3gpuE0ELNS1_3repE0EEENS1_30default_config_static_selectorELNS0_4arch9wavefront6targetE0EEEvT1_, .Lfunc_end206-_ZN7rocprim17ROCPRIM_400000_NS6detail17trampoline_kernelINS0_14default_configENS1_25partition_config_selectorILNS1_17partition_subalgoE6EdNS0_10empty_typeEbEEZZNS1_14partition_implILS5_6ELb0ES3_mN6thrust23THRUST_200600_302600_NS6detail15normal_iteratorINSA_10device_ptrIdEEEEPS6_SG_NS0_5tupleIJSF_S6_EEENSH_IJSG_SG_EEES6_PlJ7is_evenIdEEEE10hipError_tPvRmT3_T4_T5_T6_T7_T9_mT8_P12ihipStream_tbDpT10_ENKUlT_T0_E_clISt17integral_constantIbLb1EES16_EEDaS11_S12_EUlS11_E_NS1_11comp_targetILNS1_3genE0ELNS1_11target_archE4294967295ELNS1_3gpuE0ELNS1_3repE0EEENS1_30default_config_static_selectorELNS0_4arch9wavefront6targetE0EEEvT1_
                                        ; -- End function
	.section	.AMDGPU.csdata,"",@progbits
; Kernel info:
; codeLenInByte = 0
; NumSgprs: 0
; NumVgprs: 0
; ScratchSize: 0
; MemoryBound: 0
; FloatMode: 240
; IeeeMode: 1
; LDSByteSize: 0 bytes/workgroup (compile time only)
; SGPRBlocks: 0
; VGPRBlocks: 0
; NumSGPRsForWavesPerEU: 1
; NumVGPRsForWavesPerEU: 1
; Occupancy: 16
; WaveLimiterHint : 0
; COMPUTE_PGM_RSRC2:SCRATCH_EN: 0
; COMPUTE_PGM_RSRC2:USER_SGPR: 15
; COMPUTE_PGM_RSRC2:TRAP_HANDLER: 0
; COMPUTE_PGM_RSRC2:TGID_X_EN: 1
; COMPUTE_PGM_RSRC2:TGID_Y_EN: 0
; COMPUTE_PGM_RSRC2:TGID_Z_EN: 0
; COMPUTE_PGM_RSRC2:TIDIG_COMP_CNT: 0
	.section	.text._ZN7rocprim17ROCPRIM_400000_NS6detail17trampoline_kernelINS0_14default_configENS1_25partition_config_selectorILNS1_17partition_subalgoE6EdNS0_10empty_typeEbEEZZNS1_14partition_implILS5_6ELb0ES3_mN6thrust23THRUST_200600_302600_NS6detail15normal_iteratorINSA_10device_ptrIdEEEEPS6_SG_NS0_5tupleIJSF_S6_EEENSH_IJSG_SG_EEES6_PlJ7is_evenIdEEEE10hipError_tPvRmT3_T4_T5_T6_T7_T9_mT8_P12ihipStream_tbDpT10_ENKUlT_T0_E_clISt17integral_constantIbLb1EES16_EEDaS11_S12_EUlS11_E_NS1_11comp_targetILNS1_3genE5ELNS1_11target_archE942ELNS1_3gpuE9ELNS1_3repE0EEENS1_30default_config_static_selectorELNS0_4arch9wavefront6targetE0EEEvT1_,"axG",@progbits,_ZN7rocprim17ROCPRIM_400000_NS6detail17trampoline_kernelINS0_14default_configENS1_25partition_config_selectorILNS1_17partition_subalgoE6EdNS0_10empty_typeEbEEZZNS1_14partition_implILS5_6ELb0ES3_mN6thrust23THRUST_200600_302600_NS6detail15normal_iteratorINSA_10device_ptrIdEEEEPS6_SG_NS0_5tupleIJSF_S6_EEENSH_IJSG_SG_EEES6_PlJ7is_evenIdEEEE10hipError_tPvRmT3_T4_T5_T6_T7_T9_mT8_P12ihipStream_tbDpT10_ENKUlT_T0_E_clISt17integral_constantIbLb1EES16_EEDaS11_S12_EUlS11_E_NS1_11comp_targetILNS1_3genE5ELNS1_11target_archE942ELNS1_3gpuE9ELNS1_3repE0EEENS1_30default_config_static_selectorELNS0_4arch9wavefront6targetE0EEEvT1_,comdat
	.protected	_ZN7rocprim17ROCPRIM_400000_NS6detail17trampoline_kernelINS0_14default_configENS1_25partition_config_selectorILNS1_17partition_subalgoE6EdNS0_10empty_typeEbEEZZNS1_14partition_implILS5_6ELb0ES3_mN6thrust23THRUST_200600_302600_NS6detail15normal_iteratorINSA_10device_ptrIdEEEEPS6_SG_NS0_5tupleIJSF_S6_EEENSH_IJSG_SG_EEES6_PlJ7is_evenIdEEEE10hipError_tPvRmT3_T4_T5_T6_T7_T9_mT8_P12ihipStream_tbDpT10_ENKUlT_T0_E_clISt17integral_constantIbLb1EES16_EEDaS11_S12_EUlS11_E_NS1_11comp_targetILNS1_3genE5ELNS1_11target_archE942ELNS1_3gpuE9ELNS1_3repE0EEENS1_30default_config_static_selectorELNS0_4arch9wavefront6targetE0EEEvT1_ ; -- Begin function _ZN7rocprim17ROCPRIM_400000_NS6detail17trampoline_kernelINS0_14default_configENS1_25partition_config_selectorILNS1_17partition_subalgoE6EdNS0_10empty_typeEbEEZZNS1_14partition_implILS5_6ELb0ES3_mN6thrust23THRUST_200600_302600_NS6detail15normal_iteratorINSA_10device_ptrIdEEEEPS6_SG_NS0_5tupleIJSF_S6_EEENSH_IJSG_SG_EEES6_PlJ7is_evenIdEEEE10hipError_tPvRmT3_T4_T5_T6_T7_T9_mT8_P12ihipStream_tbDpT10_ENKUlT_T0_E_clISt17integral_constantIbLb1EES16_EEDaS11_S12_EUlS11_E_NS1_11comp_targetILNS1_3genE5ELNS1_11target_archE942ELNS1_3gpuE9ELNS1_3repE0EEENS1_30default_config_static_selectorELNS0_4arch9wavefront6targetE0EEEvT1_
	.globl	_ZN7rocprim17ROCPRIM_400000_NS6detail17trampoline_kernelINS0_14default_configENS1_25partition_config_selectorILNS1_17partition_subalgoE6EdNS0_10empty_typeEbEEZZNS1_14partition_implILS5_6ELb0ES3_mN6thrust23THRUST_200600_302600_NS6detail15normal_iteratorINSA_10device_ptrIdEEEEPS6_SG_NS0_5tupleIJSF_S6_EEENSH_IJSG_SG_EEES6_PlJ7is_evenIdEEEE10hipError_tPvRmT3_T4_T5_T6_T7_T9_mT8_P12ihipStream_tbDpT10_ENKUlT_T0_E_clISt17integral_constantIbLb1EES16_EEDaS11_S12_EUlS11_E_NS1_11comp_targetILNS1_3genE5ELNS1_11target_archE942ELNS1_3gpuE9ELNS1_3repE0EEENS1_30default_config_static_selectorELNS0_4arch9wavefront6targetE0EEEvT1_
	.p2align	8
	.type	_ZN7rocprim17ROCPRIM_400000_NS6detail17trampoline_kernelINS0_14default_configENS1_25partition_config_selectorILNS1_17partition_subalgoE6EdNS0_10empty_typeEbEEZZNS1_14partition_implILS5_6ELb0ES3_mN6thrust23THRUST_200600_302600_NS6detail15normal_iteratorINSA_10device_ptrIdEEEEPS6_SG_NS0_5tupleIJSF_S6_EEENSH_IJSG_SG_EEES6_PlJ7is_evenIdEEEE10hipError_tPvRmT3_T4_T5_T6_T7_T9_mT8_P12ihipStream_tbDpT10_ENKUlT_T0_E_clISt17integral_constantIbLb1EES16_EEDaS11_S12_EUlS11_E_NS1_11comp_targetILNS1_3genE5ELNS1_11target_archE942ELNS1_3gpuE9ELNS1_3repE0EEENS1_30default_config_static_selectorELNS0_4arch9wavefront6targetE0EEEvT1_,@function
_ZN7rocprim17ROCPRIM_400000_NS6detail17trampoline_kernelINS0_14default_configENS1_25partition_config_selectorILNS1_17partition_subalgoE6EdNS0_10empty_typeEbEEZZNS1_14partition_implILS5_6ELb0ES3_mN6thrust23THRUST_200600_302600_NS6detail15normal_iteratorINSA_10device_ptrIdEEEEPS6_SG_NS0_5tupleIJSF_S6_EEENSH_IJSG_SG_EEES6_PlJ7is_evenIdEEEE10hipError_tPvRmT3_T4_T5_T6_T7_T9_mT8_P12ihipStream_tbDpT10_ENKUlT_T0_E_clISt17integral_constantIbLb1EES16_EEDaS11_S12_EUlS11_E_NS1_11comp_targetILNS1_3genE5ELNS1_11target_archE942ELNS1_3gpuE9ELNS1_3repE0EEENS1_30default_config_static_selectorELNS0_4arch9wavefront6targetE0EEEvT1_: ; @_ZN7rocprim17ROCPRIM_400000_NS6detail17trampoline_kernelINS0_14default_configENS1_25partition_config_selectorILNS1_17partition_subalgoE6EdNS0_10empty_typeEbEEZZNS1_14partition_implILS5_6ELb0ES3_mN6thrust23THRUST_200600_302600_NS6detail15normal_iteratorINSA_10device_ptrIdEEEEPS6_SG_NS0_5tupleIJSF_S6_EEENSH_IJSG_SG_EEES6_PlJ7is_evenIdEEEE10hipError_tPvRmT3_T4_T5_T6_T7_T9_mT8_P12ihipStream_tbDpT10_ENKUlT_T0_E_clISt17integral_constantIbLb1EES16_EEDaS11_S12_EUlS11_E_NS1_11comp_targetILNS1_3genE5ELNS1_11target_archE942ELNS1_3gpuE9ELNS1_3repE0EEENS1_30default_config_static_selectorELNS0_4arch9wavefront6targetE0EEEvT1_
; %bb.0:
	.section	.rodata,"a",@progbits
	.p2align	6, 0x0
	.amdhsa_kernel _ZN7rocprim17ROCPRIM_400000_NS6detail17trampoline_kernelINS0_14default_configENS1_25partition_config_selectorILNS1_17partition_subalgoE6EdNS0_10empty_typeEbEEZZNS1_14partition_implILS5_6ELb0ES3_mN6thrust23THRUST_200600_302600_NS6detail15normal_iteratorINSA_10device_ptrIdEEEEPS6_SG_NS0_5tupleIJSF_S6_EEENSH_IJSG_SG_EEES6_PlJ7is_evenIdEEEE10hipError_tPvRmT3_T4_T5_T6_T7_T9_mT8_P12ihipStream_tbDpT10_ENKUlT_T0_E_clISt17integral_constantIbLb1EES16_EEDaS11_S12_EUlS11_E_NS1_11comp_targetILNS1_3genE5ELNS1_11target_archE942ELNS1_3gpuE9ELNS1_3repE0EEENS1_30default_config_static_selectorELNS0_4arch9wavefront6targetE0EEEvT1_
		.amdhsa_group_segment_fixed_size 0
		.amdhsa_private_segment_fixed_size 0
		.amdhsa_kernarg_size 128
		.amdhsa_user_sgpr_count 15
		.amdhsa_user_sgpr_dispatch_ptr 0
		.amdhsa_user_sgpr_queue_ptr 0
		.amdhsa_user_sgpr_kernarg_segment_ptr 1
		.amdhsa_user_sgpr_dispatch_id 0
		.amdhsa_user_sgpr_private_segment_size 0
		.amdhsa_wavefront_size32 1
		.amdhsa_uses_dynamic_stack 0
		.amdhsa_enable_private_segment 0
		.amdhsa_system_sgpr_workgroup_id_x 1
		.amdhsa_system_sgpr_workgroup_id_y 0
		.amdhsa_system_sgpr_workgroup_id_z 0
		.amdhsa_system_sgpr_workgroup_info 0
		.amdhsa_system_vgpr_workitem_id 0
		.amdhsa_next_free_vgpr 1
		.amdhsa_next_free_sgpr 1
		.amdhsa_reserve_vcc 0
		.amdhsa_float_round_mode_32 0
		.amdhsa_float_round_mode_16_64 0
		.amdhsa_float_denorm_mode_32 3
		.amdhsa_float_denorm_mode_16_64 3
		.amdhsa_dx10_clamp 1
		.amdhsa_ieee_mode 1
		.amdhsa_fp16_overflow 0
		.amdhsa_workgroup_processor_mode 1
		.amdhsa_memory_ordered 1
		.amdhsa_forward_progress 0
		.amdhsa_shared_vgpr_count 0
		.amdhsa_exception_fp_ieee_invalid_op 0
		.amdhsa_exception_fp_denorm_src 0
		.amdhsa_exception_fp_ieee_div_zero 0
		.amdhsa_exception_fp_ieee_overflow 0
		.amdhsa_exception_fp_ieee_underflow 0
		.amdhsa_exception_fp_ieee_inexact 0
		.amdhsa_exception_int_div_zero 0
	.end_amdhsa_kernel
	.section	.text._ZN7rocprim17ROCPRIM_400000_NS6detail17trampoline_kernelINS0_14default_configENS1_25partition_config_selectorILNS1_17partition_subalgoE6EdNS0_10empty_typeEbEEZZNS1_14partition_implILS5_6ELb0ES3_mN6thrust23THRUST_200600_302600_NS6detail15normal_iteratorINSA_10device_ptrIdEEEEPS6_SG_NS0_5tupleIJSF_S6_EEENSH_IJSG_SG_EEES6_PlJ7is_evenIdEEEE10hipError_tPvRmT3_T4_T5_T6_T7_T9_mT8_P12ihipStream_tbDpT10_ENKUlT_T0_E_clISt17integral_constantIbLb1EES16_EEDaS11_S12_EUlS11_E_NS1_11comp_targetILNS1_3genE5ELNS1_11target_archE942ELNS1_3gpuE9ELNS1_3repE0EEENS1_30default_config_static_selectorELNS0_4arch9wavefront6targetE0EEEvT1_,"axG",@progbits,_ZN7rocprim17ROCPRIM_400000_NS6detail17trampoline_kernelINS0_14default_configENS1_25partition_config_selectorILNS1_17partition_subalgoE6EdNS0_10empty_typeEbEEZZNS1_14partition_implILS5_6ELb0ES3_mN6thrust23THRUST_200600_302600_NS6detail15normal_iteratorINSA_10device_ptrIdEEEEPS6_SG_NS0_5tupleIJSF_S6_EEENSH_IJSG_SG_EEES6_PlJ7is_evenIdEEEE10hipError_tPvRmT3_T4_T5_T6_T7_T9_mT8_P12ihipStream_tbDpT10_ENKUlT_T0_E_clISt17integral_constantIbLb1EES16_EEDaS11_S12_EUlS11_E_NS1_11comp_targetILNS1_3genE5ELNS1_11target_archE942ELNS1_3gpuE9ELNS1_3repE0EEENS1_30default_config_static_selectorELNS0_4arch9wavefront6targetE0EEEvT1_,comdat
.Lfunc_end207:
	.size	_ZN7rocprim17ROCPRIM_400000_NS6detail17trampoline_kernelINS0_14default_configENS1_25partition_config_selectorILNS1_17partition_subalgoE6EdNS0_10empty_typeEbEEZZNS1_14partition_implILS5_6ELb0ES3_mN6thrust23THRUST_200600_302600_NS6detail15normal_iteratorINSA_10device_ptrIdEEEEPS6_SG_NS0_5tupleIJSF_S6_EEENSH_IJSG_SG_EEES6_PlJ7is_evenIdEEEE10hipError_tPvRmT3_T4_T5_T6_T7_T9_mT8_P12ihipStream_tbDpT10_ENKUlT_T0_E_clISt17integral_constantIbLb1EES16_EEDaS11_S12_EUlS11_E_NS1_11comp_targetILNS1_3genE5ELNS1_11target_archE942ELNS1_3gpuE9ELNS1_3repE0EEENS1_30default_config_static_selectorELNS0_4arch9wavefront6targetE0EEEvT1_, .Lfunc_end207-_ZN7rocprim17ROCPRIM_400000_NS6detail17trampoline_kernelINS0_14default_configENS1_25partition_config_selectorILNS1_17partition_subalgoE6EdNS0_10empty_typeEbEEZZNS1_14partition_implILS5_6ELb0ES3_mN6thrust23THRUST_200600_302600_NS6detail15normal_iteratorINSA_10device_ptrIdEEEEPS6_SG_NS0_5tupleIJSF_S6_EEENSH_IJSG_SG_EEES6_PlJ7is_evenIdEEEE10hipError_tPvRmT3_T4_T5_T6_T7_T9_mT8_P12ihipStream_tbDpT10_ENKUlT_T0_E_clISt17integral_constantIbLb1EES16_EEDaS11_S12_EUlS11_E_NS1_11comp_targetILNS1_3genE5ELNS1_11target_archE942ELNS1_3gpuE9ELNS1_3repE0EEENS1_30default_config_static_selectorELNS0_4arch9wavefront6targetE0EEEvT1_
                                        ; -- End function
	.section	.AMDGPU.csdata,"",@progbits
; Kernel info:
; codeLenInByte = 0
; NumSgprs: 0
; NumVgprs: 0
; ScratchSize: 0
; MemoryBound: 0
; FloatMode: 240
; IeeeMode: 1
; LDSByteSize: 0 bytes/workgroup (compile time only)
; SGPRBlocks: 0
; VGPRBlocks: 0
; NumSGPRsForWavesPerEU: 1
; NumVGPRsForWavesPerEU: 1
; Occupancy: 16
; WaveLimiterHint : 0
; COMPUTE_PGM_RSRC2:SCRATCH_EN: 0
; COMPUTE_PGM_RSRC2:USER_SGPR: 15
; COMPUTE_PGM_RSRC2:TRAP_HANDLER: 0
; COMPUTE_PGM_RSRC2:TGID_X_EN: 1
; COMPUTE_PGM_RSRC2:TGID_Y_EN: 0
; COMPUTE_PGM_RSRC2:TGID_Z_EN: 0
; COMPUTE_PGM_RSRC2:TIDIG_COMP_CNT: 0
	.section	.text._ZN7rocprim17ROCPRIM_400000_NS6detail17trampoline_kernelINS0_14default_configENS1_25partition_config_selectorILNS1_17partition_subalgoE6EdNS0_10empty_typeEbEEZZNS1_14partition_implILS5_6ELb0ES3_mN6thrust23THRUST_200600_302600_NS6detail15normal_iteratorINSA_10device_ptrIdEEEEPS6_SG_NS0_5tupleIJSF_S6_EEENSH_IJSG_SG_EEES6_PlJ7is_evenIdEEEE10hipError_tPvRmT3_T4_T5_T6_T7_T9_mT8_P12ihipStream_tbDpT10_ENKUlT_T0_E_clISt17integral_constantIbLb1EES16_EEDaS11_S12_EUlS11_E_NS1_11comp_targetILNS1_3genE4ELNS1_11target_archE910ELNS1_3gpuE8ELNS1_3repE0EEENS1_30default_config_static_selectorELNS0_4arch9wavefront6targetE0EEEvT1_,"axG",@progbits,_ZN7rocprim17ROCPRIM_400000_NS6detail17trampoline_kernelINS0_14default_configENS1_25partition_config_selectorILNS1_17partition_subalgoE6EdNS0_10empty_typeEbEEZZNS1_14partition_implILS5_6ELb0ES3_mN6thrust23THRUST_200600_302600_NS6detail15normal_iteratorINSA_10device_ptrIdEEEEPS6_SG_NS0_5tupleIJSF_S6_EEENSH_IJSG_SG_EEES6_PlJ7is_evenIdEEEE10hipError_tPvRmT3_T4_T5_T6_T7_T9_mT8_P12ihipStream_tbDpT10_ENKUlT_T0_E_clISt17integral_constantIbLb1EES16_EEDaS11_S12_EUlS11_E_NS1_11comp_targetILNS1_3genE4ELNS1_11target_archE910ELNS1_3gpuE8ELNS1_3repE0EEENS1_30default_config_static_selectorELNS0_4arch9wavefront6targetE0EEEvT1_,comdat
	.protected	_ZN7rocprim17ROCPRIM_400000_NS6detail17trampoline_kernelINS0_14default_configENS1_25partition_config_selectorILNS1_17partition_subalgoE6EdNS0_10empty_typeEbEEZZNS1_14partition_implILS5_6ELb0ES3_mN6thrust23THRUST_200600_302600_NS6detail15normal_iteratorINSA_10device_ptrIdEEEEPS6_SG_NS0_5tupleIJSF_S6_EEENSH_IJSG_SG_EEES6_PlJ7is_evenIdEEEE10hipError_tPvRmT3_T4_T5_T6_T7_T9_mT8_P12ihipStream_tbDpT10_ENKUlT_T0_E_clISt17integral_constantIbLb1EES16_EEDaS11_S12_EUlS11_E_NS1_11comp_targetILNS1_3genE4ELNS1_11target_archE910ELNS1_3gpuE8ELNS1_3repE0EEENS1_30default_config_static_selectorELNS0_4arch9wavefront6targetE0EEEvT1_ ; -- Begin function _ZN7rocprim17ROCPRIM_400000_NS6detail17trampoline_kernelINS0_14default_configENS1_25partition_config_selectorILNS1_17partition_subalgoE6EdNS0_10empty_typeEbEEZZNS1_14partition_implILS5_6ELb0ES3_mN6thrust23THRUST_200600_302600_NS6detail15normal_iteratorINSA_10device_ptrIdEEEEPS6_SG_NS0_5tupleIJSF_S6_EEENSH_IJSG_SG_EEES6_PlJ7is_evenIdEEEE10hipError_tPvRmT3_T4_T5_T6_T7_T9_mT8_P12ihipStream_tbDpT10_ENKUlT_T0_E_clISt17integral_constantIbLb1EES16_EEDaS11_S12_EUlS11_E_NS1_11comp_targetILNS1_3genE4ELNS1_11target_archE910ELNS1_3gpuE8ELNS1_3repE0EEENS1_30default_config_static_selectorELNS0_4arch9wavefront6targetE0EEEvT1_
	.globl	_ZN7rocprim17ROCPRIM_400000_NS6detail17trampoline_kernelINS0_14default_configENS1_25partition_config_selectorILNS1_17partition_subalgoE6EdNS0_10empty_typeEbEEZZNS1_14partition_implILS5_6ELb0ES3_mN6thrust23THRUST_200600_302600_NS6detail15normal_iteratorINSA_10device_ptrIdEEEEPS6_SG_NS0_5tupleIJSF_S6_EEENSH_IJSG_SG_EEES6_PlJ7is_evenIdEEEE10hipError_tPvRmT3_T4_T5_T6_T7_T9_mT8_P12ihipStream_tbDpT10_ENKUlT_T0_E_clISt17integral_constantIbLb1EES16_EEDaS11_S12_EUlS11_E_NS1_11comp_targetILNS1_3genE4ELNS1_11target_archE910ELNS1_3gpuE8ELNS1_3repE0EEENS1_30default_config_static_selectorELNS0_4arch9wavefront6targetE0EEEvT1_
	.p2align	8
	.type	_ZN7rocprim17ROCPRIM_400000_NS6detail17trampoline_kernelINS0_14default_configENS1_25partition_config_selectorILNS1_17partition_subalgoE6EdNS0_10empty_typeEbEEZZNS1_14partition_implILS5_6ELb0ES3_mN6thrust23THRUST_200600_302600_NS6detail15normal_iteratorINSA_10device_ptrIdEEEEPS6_SG_NS0_5tupleIJSF_S6_EEENSH_IJSG_SG_EEES6_PlJ7is_evenIdEEEE10hipError_tPvRmT3_T4_T5_T6_T7_T9_mT8_P12ihipStream_tbDpT10_ENKUlT_T0_E_clISt17integral_constantIbLb1EES16_EEDaS11_S12_EUlS11_E_NS1_11comp_targetILNS1_3genE4ELNS1_11target_archE910ELNS1_3gpuE8ELNS1_3repE0EEENS1_30default_config_static_selectorELNS0_4arch9wavefront6targetE0EEEvT1_,@function
_ZN7rocprim17ROCPRIM_400000_NS6detail17trampoline_kernelINS0_14default_configENS1_25partition_config_selectorILNS1_17partition_subalgoE6EdNS0_10empty_typeEbEEZZNS1_14partition_implILS5_6ELb0ES3_mN6thrust23THRUST_200600_302600_NS6detail15normal_iteratorINSA_10device_ptrIdEEEEPS6_SG_NS0_5tupleIJSF_S6_EEENSH_IJSG_SG_EEES6_PlJ7is_evenIdEEEE10hipError_tPvRmT3_T4_T5_T6_T7_T9_mT8_P12ihipStream_tbDpT10_ENKUlT_T0_E_clISt17integral_constantIbLb1EES16_EEDaS11_S12_EUlS11_E_NS1_11comp_targetILNS1_3genE4ELNS1_11target_archE910ELNS1_3gpuE8ELNS1_3repE0EEENS1_30default_config_static_selectorELNS0_4arch9wavefront6targetE0EEEvT1_: ; @_ZN7rocprim17ROCPRIM_400000_NS6detail17trampoline_kernelINS0_14default_configENS1_25partition_config_selectorILNS1_17partition_subalgoE6EdNS0_10empty_typeEbEEZZNS1_14partition_implILS5_6ELb0ES3_mN6thrust23THRUST_200600_302600_NS6detail15normal_iteratorINSA_10device_ptrIdEEEEPS6_SG_NS0_5tupleIJSF_S6_EEENSH_IJSG_SG_EEES6_PlJ7is_evenIdEEEE10hipError_tPvRmT3_T4_T5_T6_T7_T9_mT8_P12ihipStream_tbDpT10_ENKUlT_T0_E_clISt17integral_constantIbLb1EES16_EEDaS11_S12_EUlS11_E_NS1_11comp_targetILNS1_3genE4ELNS1_11target_archE910ELNS1_3gpuE8ELNS1_3repE0EEENS1_30default_config_static_selectorELNS0_4arch9wavefront6targetE0EEEvT1_
; %bb.0:
	.section	.rodata,"a",@progbits
	.p2align	6, 0x0
	.amdhsa_kernel _ZN7rocprim17ROCPRIM_400000_NS6detail17trampoline_kernelINS0_14default_configENS1_25partition_config_selectorILNS1_17partition_subalgoE6EdNS0_10empty_typeEbEEZZNS1_14partition_implILS5_6ELb0ES3_mN6thrust23THRUST_200600_302600_NS6detail15normal_iteratorINSA_10device_ptrIdEEEEPS6_SG_NS0_5tupleIJSF_S6_EEENSH_IJSG_SG_EEES6_PlJ7is_evenIdEEEE10hipError_tPvRmT3_T4_T5_T6_T7_T9_mT8_P12ihipStream_tbDpT10_ENKUlT_T0_E_clISt17integral_constantIbLb1EES16_EEDaS11_S12_EUlS11_E_NS1_11comp_targetILNS1_3genE4ELNS1_11target_archE910ELNS1_3gpuE8ELNS1_3repE0EEENS1_30default_config_static_selectorELNS0_4arch9wavefront6targetE0EEEvT1_
		.amdhsa_group_segment_fixed_size 0
		.amdhsa_private_segment_fixed_size 0
		.amdhsa_kernarg_size 128
		.amdhsa_user_sgpr_count 15
		.amdhsa_user_sgpr_dispatch_ptr 0
		.amdhsa_user_sgpr_queue_ptr 0
		.amdhsa_user_sgpr_kernarg_segment_ptr 1
		.amdhsa_user_sgpr_dispatch_id 0
		.amdhsa_user_sgpr_private_segment_size 0
		.amdhsa_wavefront_size32 1
		.amdhsa_uses_dynamic_stack 0
		.amdhsa_enable_private_segment 0
		.amdhsa_system_sgpr_workgroup_id_x 1
		.amdhsa_system_sgpr_workgroup_id_y 0
		.amdhsa_system_sgpr_workgroup_id_z 0
		.amdhsa_system_sgpr_workgroup_info 0
		.amdhsa_system_vgpr_workitem_id 0
		.amdhsa_next_free_vgpr 1
		.amdhsa_next_free_sgpr 1
		.amdhsa_reserve_vcc 0
		.amdhsa_float_round_mode_32 0
		.amdhsa_float_round_mode_16_64 0
		.amdhsa_float_denorm_mode_32 3
		.amdhsa_float_denorm_mode_16_64 3
		.amdhsa_dx10_clamp 1
		.amdhsa_ieee_mode 1
		.amdhsa_fp16_overflow 0
		.amdhsa_workgroup_processor_mode 1
		.amdhsa_memory_ordered 1
		.amdhsa_forward_progress 0
		.amdhsa_shared_vgpr_count 0
		.amdhsa_exception_fp_ieee_invalid_op 0
		.amdhsa_exception_fp_denorm_src 0
		.amdhsa_exception_fp_ieee_div_zero 0
		.amdhsa_exception_fp_ieee_overflow 0
		.amdhsa_exception_fp_ieee_underflow 0
		.amdhsa_exception_fp_ieee_inexact 0
		.amdhsa_exception_int_div_zero 0
	.end_amdhsa_kernel
	.section	.text._ZN7rocprim17ROCPRIM_400000_NS6detail17trampoline_kernelINS0_14default_configENS1_25partition_config_selectorILNS1_17partition_subalgoE6EdNS0_10empty_typeEbEEZZNS1_14partition_implILS5_6ELb0ES3_mN6thrust23THRUST_200600_302600_NS6detail15normal_iteratorINSA_10device_ptrIdEEEEPS6_SG_NS0_5tupleIJSF_S6_EEENSH_IJSG_SG_EEES6_PlJ7is_evenIdEEEE10hipError_tPvRmT3_T4_T5_T6_T7_T9_mT8_P12ihipStream_tbDpT10_ENKUlT_T0_E_clISt17integral_constantIbLb1EES16_EEDaS11_S12_EUlS11_E_NS1_11comp_targetILNS1_3genE4ELNS1_11target_archE910ELNS1_3gpuE8ELNS1_3repE0EEENS1_30default_config_static_selectorELNS0_4arch9wavefront6targetE0EEEvT1_,"axG",@progbits,_ZN7rocprim17ROCPRIM_400000_NS6detail17trampoline_kernelINS0_14default_configENS1_25partition_config_selectorILNS1_17partition_subalgoE6EdNS0_10empty_typeEbEEZZNS1_14partition_implILS5_6ELb0ES3_mN6thrust23THRUST_200600_302600_NS6detail15normal_iteratorINSA_10device_ptrIdEEEEPS6_SG_NS0_5tupleIJSF_S6_EEENSH_IJSG_SG_EEES6_PlJ7is_evenIdEEEE10hipError_tPvRmT3_T4_T5_T6_T7_T9_mT8_P12ihipStream_tbDpT10_ENKUlT_T0_E_clISt17integral_constantIbLb1EES16_EEDaS11_S12_EUlS11_E_NS1_11comp_targetILNS1_3genE4ELNS1_11target_archE910ELNS1_3gpuE8ELNS1_3repE0EEENS1_30default_config_static_selectorELNS0_4arch9wavefront6targetE0EEEvT1_,comdat
.Lfunc_end208:
	.size	_ZN7rocprim17ROCPRIM_400000_NS6detail17trampoline_kernelINS0_14default_configENS1_25partition_config_selectorILNS1_17partition_subalgoE6EdNS0_10empty_typeEbEEZZNS1_14partition_implILS5_6ELb0ES3_mN6thrust23THRUST_200600_302600_NS6detail15normal_iteratorINSA_10device_ptrIdEEEEPS6_SG_NS0_5tupleIJSF_S6_EEENSH_IJSG_SG_EEES6_PlJ7is_evenIdEEEE10hipError_tPvRmT3_T4_T5_T6_T7_T9_mT8_P12ihipStream_tbDpT10_ENKUlT_T0_E_clISt17integral_constantIbLb1EES16_EEDaS11_S12_EUlS11_E_NS1_11comp_targetILNS1_3genE4ELNS1_11target_archE910ELNS1_3gpuE8ELNS1_3repE0EEENS1_30default_config_static_selectorELNS0_4arch9wavefront6targetE0EEEvT1_, .Lfunc_end208-_ZN7rocprim17ROCPRIM_400000_NS6detail17trampoline_kernelINS0_14default_configENS1_25partition_config_selectorILNS1_17partition_subalgoE6EdNS0_10empty_typeEbEEZZNS1_14partition_implILS5_6ELb0ES3_mN6thrust23THRUST_200600_302600_NS6detail15normal_iteratorINSA_10device_ptrIdEEEEPS6_SG_NS0_5tupleIJSF_S6_EEENSH_IJSG_SG_EEES6_PlJ7is_evenIdEEEE10hipError_tPvRmT3_T4_T5_T6_T7_T9_mT8_P12ihipStream_tbDpT10_ENKUlT_T0_E_clISt17integral_constantIbLb1EES16_EEDaS11_S12_EUlS11_E_NS1_11comp_targetILNS1_3genE4ELNS1_11target_archE910ELNS1_3gpuE8ELNS1_3repE0EEENS1_30default_config_static_selectorELNS0_4arch9wavefront6targetE0EEEvT1_
                                        ; -- End function
	.section	.AMDGPU.csdata,"",@progbits
; Kernel info:
; codeLenInByte = 0
; NumSgprs: 0
; NumVgprs: 0
; ScratchSize: 0
; MemoryBound: 0
; FloatMode: 240
; IeeeMode: 1
; LDSByteSize: 0 bytes/workgroup (compile time only)
; SGPRBlocks: 0
; VGPRBlocks: 0
; NumSGPRsForWavesPerEU: 1
; NumVGPRsForWavesPerEU: 1
; Occupancy: 16
; WaveLimiterHint : 0
; COMPUTE_PGM_RSRC2:SCRATCH_EN: 0
; COMPUTE_PGM_RSRC2:USER_SGPR: 15
; COMPUTE_PGM_RSRC2:TRAP_HANDLER: 0
; COMPUTE_PGM_RSRC2:TGID_X_EN: 1
; COMPUTE_PGM_RSRC2:TGID_Y_EN: 0
; COMPUTE_PGM_RSRC2:TGID_Z_EN: 0
; COMPUTE_PGM_RSRC2:TIDIG_COMP_CNT: 0
	.section	.text._ZN7rocprim17ROCPRIM_400000_NS6detail17trampoline_kernelINS0_14default_configENS1_25partition_config_selectorILNS1_17partition_subalgoE6EdNS0_10empty_typeEbEEZZNS1_14partition_implILS5_6ELb0ES3_mN6thrust23THRUST_200600_302600_NS6detail15normal_iteratorINSA_10device_ptrIdEEEEPS6_SG_NS0_5tupleIJSF_S6_EEENSH_IJSG_SG_EEES6_PlJ7is_evenIdEEEE10hipError_tPvRmT3_T4_T5_T6_T7_T9_mT8_P12ihipStream_tbDpT10_ENKUlT_T0_E_clISt17integral_constantIbLb1EES16_EEDaS11_S12_EUlS11_E_NS1_11comp_targetILNS1_3genE3ELNS1_11target_archE908ELNS1_3gpuE7ELNS1_3repE0EEENS1_30default_config_static_selectorELNS0_4arch9wavefront6targetE0EEEvT1_,"axG",@progbits,_ZN7rocprim17ROCPRIM_400000_NS6detail17trampoline_kernelINS0_14default_configENS1_25partition_config_selectorILNS1_17partition_subalgoE6EdNS0_10empty_typeEbEEZZNS1_14partition_implILS5_6ELb0ES3_mN6thrust23THRUST_200600_302600_NS6detail15normal_iteratorINSA_10device_ptrIdEEEEPS6_SG_NS0_5tupleIJSF_S6_EEENSH_IJSG_SG_EEES6_PlJ7is_evenIdEEEE10hipError_tPvRmT3_T4_T5_T6_T7_T9_mT8_P12ihipStream_tbDpT10_ENKUlT_T0_E_clISt17integral_constantIbLb1EES16_EEDaS11_S12_EUlS11_E_NS1_11comp_targetILNS1_3genE3ELNS1_11target_archE908ELNS1_3gpuE7ELNS1_3repE0EEENS1_30default_config_static_selectorELNS0_4arch9wavefront6targetE0EEEvT1_,comdat
	.protected	_ZN7rocprim17ROCPRIM_400000_NS6detail17trampoline_kernelINS0_14default_configENS1_25partition_config_selectorILNS1_17partition_subalgoE6EdNS0_10empty_typeEbEEZZNS1_14partition_implILS5_6ELb0ES3_mN6thrust23THRUST_200600_302600_NS6detail15normal_iteratorINSA_10device_ptrIdEEEEPS6_SG_NS0_5tupleIJSF_S6_EEENSH_IJSG_SG_EEES6_PlJ7is_evenIdEEEE10hipError_tPvRmT3_T4_T5_T6_T7_T9_mT8_P12ihipStream_tbDpT10_ENKUlT_T0_E_clISt17integral_constantIbLb1EES16_EEDaS11_S12_EUlS11_E_NS1_11comp_targetILNS1_3genE3ELNS1_11target_archE908ELNS1_3gpuE7ELNS1_3repE0EEENS1_30default_config_static_selectorELNS0_4arch9wavefront6targetE0EEEvT1_ ; -- Begin function _ZN7rocprim17ROCPRIM_400000_NS6detail17trampoline_kernelINS0_14default_configENS1_25partition_config_selectorILNS1_17partition_subalgoE6EdNS0_10empty_typeEbEEZZNS1_14partition_implILS5_6ELb0ES3_mN6thrust23THRUST_200600_302600_NS6detail15normal_iteratorINSA_10device_ptrIdEEEEPS6_SG_NS0_5tupleIJSF_S6_EEENSH_IJSG_SG_EEES6_PlJ7is_evenIdEEEE10hipError_tPvRmT3_T4_T5_T6_T7_T9_mT8_P12ihipStream_tbDpT10_ENKUlT_T0_E_clISt17integral_constantIbLb1EES16_EEDaS11_S12_EUlS11_E_NS1_11comp_targetILNS1_3genE3ELNS1_11target_archE908ELNS1_3gpuE7ELNS1_3repE0EEENS1_30default_config_static_selectorELNS0_4arch9wavefront6targetE0EEEvT1_
	.globl	_ZN7rocprim17ROCPRIM_400000_NS6detail17trampoline_kernelINS0_14default_configENS1_25partition_config_selectorILNS1_17partition_subalgoE6EdNS0_10empty_typeEbEEZZNS1_14partition_implILS5_6ELb0ES3_mN6thrust23THRUST_200600_302600_NS6detail15normal_iteratorINSA_10device_ptrIdEEEEPS6_SG_NS0_5tupleIJSF_S6_EEENSH_IJSG_SG_EEES6_PlJ7is_evenIdEEEE10hipError_tPvRmT3_T4_T5_T6_T7_T9_mT8_P12ihipStream_tbDpT10_ENKUlT_T0_E_clISt17integral_constantIbLb1EES16_EEDaS11_S12_EUlS11_E_NS1_11comp_targetILNS1_3genE3ELNS1_11target_archE908ELNS1_3gpuE7ELNS1_3repE0EEENS1_30default_config_static_selectorELNS0_4arch9wavefront6targetE0EEEvT1_
	.p2align	8
	.type	_ZN7rocprim17ROCPRIM_400000_NS6detail17trampoline_kernelINS0_14default_configENS1_25partition_config_selectorILNS1_17partition_subalgoE6EdNS0_10empty_typeEbEEZZNS1_14partition_implILS5_6ELb0ES3_mN6thrust23THRUST_200600_302600_NS6detail15normal_iteratorINSA_10device_ptrIdEEEEPS6_SG_NS0_5tupleIJSF_S6_EEENSH_IJSG_SG_EEES6_PlJ7is_evenIdEEEE10hipError_tPvRmT3_T4_T5_T6_T7_T9_mT8_P12ihipStream_tbDpT10_ENKUlT_T0_E_clISt17integral_constantIbLb1EES16_EEDaS11_S12_EUlS11_E_NS1_11comp_targetILNS1_3genE3ELNS1_11target_archE908ELNS1_3gpuE7ELNS1_3repE0EEENS1_30default_config_static_selectorELNS0_4arch9wavefront6targetE0EEEvT1_,@function
_ZN7rocprim17ROCPRIM_400000_NS6detail17trampoline_kernelINS0_14default_configENS1_25partition_config_selectorILNS1_17partition_subalgoE6EdNS0_10empty_typeEbEEZZNS1_14partition_implILS5_6ELb0ES3_mN6thrust23THRUST_200600_302600_NS6detail15normal_iteratorINSA_10device_ptrIdEEEEPS6_SG_NS0_5tupleIJSF_S6_EEENSH_IJSG_SG_EEES6_PlJ7is_evenIdEEEE10hipError_tPvRmT3_T4_T5_T6_T7_T9_mT8_P12ihipStream_tbDpT10_ENKUlT_T0_E_clISt17integral_constantIbLb1EES16_EEDaS11_S12_EUlS11_E_NS1_11comp_targetILNS1_3genE3ELNS1_11target_archE908ELNS1_3gpuE7ELNS1_3repE0EEENS1_30default_config_static_selectorELNS0_4arch9wavefront6targetE0EEEvT1_: ; @_ZN7rocprim17ROCPRIM_400000_NS6detail17trampoline_kernelINS0_14default_configENS1_25partition_config_selectorILNS1_17partition_subalgoE6EdNS0_10empty_typeEbEEZZNS1_14partition_implILS5_6ELb0ES3_mN6thrust23THRUST_200600_302600_NS6detail15normal_iteratorINSA_10device_ptrIdEEEEPS6_SG_NS0_5tupleIJSF_S6_EEENSH_IJSG_SG_EEES6_PlJ7is_evenIdEEEE10hipError_tPvRmT3_T4_T5_T6_T7_T9_mT8_P12ihipStream_tbDpT10_ENKUlT_T0_E_clISt17integral_constantIbLb1EES16_EEDaS11_S12_EUlS11_E_NS1_11comp_targetILNS1_3genE3ELNS1_11target_archE908ELNS1_3gpuE7ELNS1_3repE0EEENS1_30default_config_static_selectorELNS0_4arch9wavefront6targetE0EEEvT1_
; %bb.0:
	.section	.rodata,"a",@progbits
	.p2align	6, 0x0
	.amdhsa_kernel _ZN7rocprim17ROCPRIM_400000_NS6detail17trampoline_kernelINS0_14default_configENS1_25partition_config_selectorILNS1_17partition_subalgoE6EdNS0_10empty_typeEbEEZZNS1_14partition_implILS5_6ELb0ES3_mN6thrust23THRUST_200600_302600_NS6detail15normal_iteratorINSA_10device_ptrIdEEEEPS6_SG_NS0_5tupleIJSF_S6_EEENSH_IJSG_SG_EEES6_PlJ7is_evenIdEEEE10hipError_tPvRmT3_T4_T5_T6_T7_T9_mT8_P12ihipStream_tbDpT10_ENKUlT_T0_E_clISt17integral_constantIbLb1EES16_EEDaS11_S12_EUlS11_E_NS1_11comp_targetILNS1_3genE3ELNS1_11target_archE908ELNS1_3gpuE7ELNS1_3repE0EEENS1_30default_config_static_selectorELNS0_4arch9wavefront6targetE0EEEvT1_
		.amdhsa_group_segment_fixed_size 0
		.amdhsa_private_segment_fixed_size 0
		.amdhsa_kernarg_size 128
		.amdhsa_user_sgpr_count 15
		.amdhsa_user_sgpr_dispatch_ptr 0
		.amdhsa_user_sgpr_queue_ptr 0
		.amdhsa_user_sgpr_kernarg_segment_ptr 1
		.amdhsa_user_sgpr_dispatch_id 0
		.amdhsa_user_sgpr_private_segment_size 0
		.amdhsa_wavefront_size32 1
		.amdhsa_uses_dynamic_stack 0
		.amdhsa_enable_private_segment 0
		.amdhsa_system_sgpr_workgroup_id_x 1
		.amdhsa_system_sgpr_workgroup_id_y 0
		.amdhsa_system_sgpr_workgroup_id_z 0
		.amdhsa_system_sgpr_workgroup_info 0
		.amdhsa_system_vgpr_workitem_id 0
		.amdhsa_next_free_vgpr 1
		.amdhsa_next_free_sgpr 1
		.amdhsa_reserve_vcc 0
		.amdhsa_float_round_mode_32 0
		.amdhsa_float_round_mode_16_64 0
		.amdhsa_float_denorm_mode_32 3
		.amdhsa_float_denorm_mode_16_64 3
		.amdhsa_dx10_clamp 1
		.amdhsa_ieee_mode 1
		.amdhsa_fp16_overflow 0
		.amdhsa_workgroup_processor_mode 1
		.amdhsa_memory_ordered 1
		.amdhsa_forward_progress 0
		.amdhsa_shared_vgpr_count 0
		.amdhsa_exception_fp_ieee_invalid_op 0
		.amdhsa_exception_fp_denorm_src 0
		.amdhsa_exception_fp_ieee_div_zero 0
		.amdhsa_exception_fp_ieee_overflow 0
		.amdhsa_exception_fp_ieee_underflow 0
		.amdhsa_exception_fp_ieee_inexact 0
		.amdhsa_exception_int_div_zero 0
	.end_amdhsa_kernel
	.section	.text._ZN7rocprim17ROCPRIM_400000_NS6detail17trampoline_kernelINS0_14default_configENS1_25partition_config_selectorILNS1_17partition_subalgoE6EdNS0_10empty_typeEbEEZZNS1_14partition_implILS5_6ELb0ES3_mN6thrust23THRUST_200600_302600_NS6detail15normal_iteratorINSA_10device_ptrIdEEEEPS6_SG_NS0_5tupleIJSF_S6_EEENSH_IJSG_SG_EEES6_PlJ7is_evenIdEEEE10hipError_tPvRmT3_T4_T5_T6_T7_T9_mT8_P12ihipStream_tbDpT10_ENKUlT_T0_E_clISt17integral_constantIbLb1EES16_EEDaS11_S12_EUlS11_E_NS1_11comp_targetILNS1_3genE3ELNS1_11target_archE908ELNS1_3gpuE7ELNS1_3repE0EEENS1_30default_config_static_selectorELNS0_4arch9wavefront6targetE0EEEvT1_,"axG",@progbits,_ZN7rocprim17ROCPRIM_400000_NS6detail17trampoline_kernelINS0_14default_configENS1_25partition_config_selectorILNS1_17partition_subalgoE6EdNS0_10empty_typeEbEEZZNS1_14partition_implILS5_6ELb0ES3_mN6thrust23THRUST_200600_302600_NS6detail15normal_iteratorINSA_10device_ptrIdEEEEPS6_SG_NS0_5tupleIJSF_S6_EEENSH_IJSG_SG_EEES6_PlJ7is_evenIdEEEE10hipError_tPvRmT3_T4_T5_T6_T7_T9_mT8_P12ihipStream_tbDpT10_ENKUlT_T0_E_clISt17integral_constantIbLb1EES16_EEDaS11_S12_EUlS11_E_NS1_11comp_targetILNS1_3genE3ELNS1_11target_archE908ELNS1_3gpuE7ELNS1_3repE0EEENS1_30default_config_static_selectorELNS0_4arch9wavefront6targetE0EEEvT1_,comdat
.Lfunc_end209:
	.size	_ZN7rocprim17ROCPRIM_400000_NS6detail17trampoline_kernelINS0_14default_configENS1_25partition_config_selectorILNS1_17partition_subalgoE6EdNS0_10empty_typeEbEEZZNS1_14partition_implILS5_6ELb0ES3_mN6thrust23THRUST_200600_302600_NS6detail15normal_iteratorINSA_10device_ptrIdEEEEPS6_SG_NS0_5tupleIJSF_S6_EEENSH_IJSG_SG_EEES6_PlJ7is_evenIdEEEE10hipError_tPvRmT3_T4_T5_T6_T7_T9_mT8_P12ihipStream_tbDpT10_ENKUlT_T0_E_clISt17integral_constantIbLb1EES16_EEDaS11_S12_EUlS11_E_NS1_11comp_targetILNS1_3genE3ELNS1_11target_archE908ELNS1_3gpuE7ELNS1_3repE0EEENS1_30default_config_static_selectorELNS0_4arch9wavefront6targetE0EEEvT1_, .Lfunc_end209-_ZN7rocprim17ROCPRIM_400000_NS6detail17trampoline_kernelINS0_14default_configENS1_25partition_config_selectorILNS1_17partition_subalgoE6EdNS0_10empty_typeEbEEZZNS1_14partition_implILS5_6ELb0ES3_mN6thrust23THRUST_200600_302600_NS6detail15normal_iteratorINSA_10device_ptrIdEEEEPS6_SG_NS0_5tupleIJSF_S6_EEENSH_IJSG_SG_EEES6_PlJ7is_evenIdEEEE10hipError_tPvRmT3_T4_T5_T6_T7_T9_mT8_P12ihipStream_tbDpT10_ENKUlT_T0_E_clISt17integral_constantIbLb1EES16_EEDaS11_S12_EUlS11_E_NS1_11comp_targetILNS1_3genE3ELNS1_11target_archE908ELNS1_3gpuE7ELNS1_3repE0EEENS1_30default_config_static_selectorELNS0_4arch9wavefront6targetE0EEEvT1_
                                        ; -- End function
	.section	.AMDGPU.csdata,"",@progbits
; Kernel info:
; codeLenInByte = 0
; NumSgprs: 0
; NumVgprs: 0
; ScratchSize: 0
; MemoryBound: 0
; FloatMode: 240
; IeeeMode: 1
; LDSByteSize: 0 bytes/workgroup (compile time only)
; SGPRBlocks: 0
; VGPRBlocks: 0
; NumSGPRsForWavesPerEU: 1
; NumVGPRsForWavesPerEU: 1
; Occupancy: 16
; WaveLimiterHint : 0
; COMPUTE_PGM_RSRC2:SCRATCH_EN: 0
; COMPUTE_PGM_RSRC2:USER_SGPR: 15
; COMPUTE_PGM_RSRC2:TRAP_HANDLER: 0
; COMPUTE_PGM_RSRC2:TGID_X_EN: 1
; COMPUTE_PGM_RSRC2:TGID_Y_EN: 0
; COMPUTE_PGM_RSRC2:TGID_Z_EN: 0
; COMPUTE_PGM_RSRC2:TIDIG_COMP_CNT: 0
	.section	.text._ZN7rocprim17ROCPRIM_400000_NS6detail17trampoline_kernelINS0_14default_configENS1_25partition_config_selectorILNS1_17partition_subalgoE6EdNS0_10empty_typeEbEEZZNS1_14partition_implILS5_6ELb0ES3_mN6thrust23THRUST_200600_302600_NS6detail15normal_iteratorINSA_10device_ptrIdEEEEPS6_SG_NS0_5tupleIJSF_S6_EEENSH_IJSG_SG_EEES6_PlJ7is_evenIdEEEE10hipError_tPvRmT3_T4_T5_T6_T7_T9_mT8_P12ihipStream_tbDpT10_ENKUlT_T0_E_clISt17integral_constantIbLb1EES16_EEDaS11_S12_EUlS11_E_NS1_11comp_targetILNS1_3genE2ELNS1_11target_archE906ELNS1_3gpuE6ELNS1_3repE0EEENS1_30default_config_static_selectorELNS0_4arch9wavefront6targetE0EEEvT1_,"axG",@progbits,_ZN7rocprim17ROCPRIM_400000_NS6detail17trampoline_kernelINS0_14default_configENS1_25partition_config_selectorILNS1_17partition_subalgoE6EdNS0_10empty_typeEbEEZZNS1_14partition_implILS5_6ELb0ES3_mN6thrust23THRUST_200600_302600_NS6detail15normal_iteratorINSA_10device_ptrIdEEEEPS6_SG_NS0_5tupleIJSF_S6_EEENSH_IJSG_SG_EEES6_PlJ7is_evenIdEEEE10hipError_tPvRmT3_T4_T5_T6_T7_T9_mT8_P12ihipStream_tbDpT10_ENKUlT_T0_E_clISt17integral_constantIbLb1EES16_EEDaS11_S12_EUlS11_E_NS1_11comp_targetILNS1_3genE2ELNS1_11target_archE906ELNS1_3gpuE6ELNS1_3repE0EEENS1_30default_config_static_selectorELNS0_4arch9wavefront6targetE0EEEvT1_,comdat
	.protected	_ZN7rocprim17ROCPRIM_400000_NS6detail17trampoline_kernelINS0_14default_configENS1_25partition_config_selectorILNS1_17partition_subalgoE6EdNS0_10empty_typeEbEEZZNS1_14partition_implILS5_6ELb0ES3_mN6thrust23THRUST_200600_302600_NS6detail15normal_iteratorINSA_10device_ptrIdEEEEPS6_SG_NS0_5tupleIJSF_S6_EEENSH_IJSG_SG_EEES6_PlJ7is_evenIdEEEE10hipError_tPvRmT3_T4_T5_T6_T7_T9_mT8_P12ihipStream_tbDpT10_ENKUlT_T0_E_clISt17integral_constantIbLb1EES16_EEDaS11_S12_EUlS11_E_NS1_11comp_targetILNS1_3genE2ELNS1_11target_archE906ELNS1_3gpuE6ELNS1_3repE0EEENS1_30default_config_static_selectorELNS0_4arch9wavefront6targetE0EEEvT1_ ; -- Begin function _ZN7rocprim17ROCPRIM_400000_NS6detail17trampoline_kernelINS0_14default_configENS1_25partition_config_selectorILNS1_17partition_subalgoE6EdNS0_10empty_typeEbEEZZNS1_14partition_implILS5_6ELb0ES3_mN6thrust23THRUST_200600_302600_NS6detail15normal_iteratorINSA_10device_ptrIdEEEEPS6_SG_NS0_5tupleIJSF_S6_EEENSH_IJSG_SG_EEES6_PlJ7is_evenIdEEEE10hipError_tPvRmT3_T4_T5_T6_T7_T9_mT8_P12ihipStream_tbDpT10_ENKUlT_T0_E_clISt17integral_constantIbLb1EES16_EEDaS11_S12_EUlS11_E_NS1_11comp_targetILNS1_3genE2ELNS1_11target_archE906ELNS1_3gpuE6ELNS1_3repE0EEENS1_30default_config_static_selectorELNS0_4arch9wavefront6targetE0EEEvT1_
	.globl	_ZN7rocprim17ROCPRIM_400000_NS6detail17trampoline_kernelINS0_14default_configENS1_25partition_config_selectorILNS1_17partition_subalgoE6EdNS0_10empty_typeEbEEZZNS1_14partition_implILS5_6ELb0ES3_mN6thrust23THRUST_200600_302600_NS6detail15normal_iteratorINSA_10device_ptrIdEEEEPS6_SG_NS0_5tupleIJSF_S6_EEENSH_IJSG_SG_EEES6_PlJ7is_evenIdEEEE10hipError_tPvRmT3_T4_T5_T6_T7_T9_mT8_P12ihipStream_tbDpT10_ENKUlT_T0_E_clISt17integral_constantIbLb1EES16_EEDaS11_S12_EUlS11_E_NS1_11comp_targetILNS1_3genE2ELNS1_11target_archE906ELNS1_3gpuE6ELNS1_3repE0EEENS1_30default_config_static_selectorELNS0_4arch9wavefront6targetE0EEEvT1_
	.p2align	8
	.type	_ZN7rocprim17ROCPRIM_400000_NS6detail17trampoline_kernelINS0_14default_configENS1_25partition_config_selectorILNS1_17partition_subalgoE6EdNS0_10empty_typeEbEEZZNS1_14partition_implILS5_6ELb0ES3_mN6thrust23THRUST_200600_302600_NS6detail15normal_iteratorINSA_10device_ptrIdEEEEPS6_SG_NS0_5tupleIJSF_S6_EEENSH_IJSG_SG_EEES6_PlJ7is_evenIdEEEE10hipError_tPvRmT3_T4_T5_T6_T7_T9_mT8_P12ihipStream_tbDpT10_ENKUlT_T0_E_clISt17integral_constantIbLb1EES16_EEDaS11_S12_EUlS11_E_NS1_11comp_targetILNS1_3genE2ELNS1_11target_archE906ELNS1_3gpuE6ELNS1_3repE0EEENS1_30default_config_static_selectorELNS0_4arch9wavefront6targetE0EEEvT1_,@function
_ZN7rocprim17ROCPRIM_400000_NS6detail17trampoline_kernelINS0_14default_configENS1_25partition_config_selectorILNS1_17partition_subalgoE6EdNS0_10empty_typeEbEEZZNS1_14partition_implILS5_6ELb0ES3_mN6thrust23THRUST_200600_302600_NS6detail15normal_iteratorINSA_10device_ptrIdEEEEPS6_SG_NS0_5tupleIJSF_S6_EEENSH_IJSG_SG_EEES6_PlJ7is_evenIdEEEE10hipError_tPvRmT3_T4_T5_T6_T7_T9_mT8_P12ihipStream_tbDpT10_ENKUlT_T0_E_clISt17integral_constantIbLb1EES16_EEDaS11_S12_EUlS11_E_NS1_11comp_targetILNS1_3genE2ELNS1_11target_archE906ELNS1_3gpuE6ELNS1_3repE0EEENS1_30default_config_static_selectorELNS0_4arch9wavefront6targetE0EEEvT1_: ; @_ZN7rocprim17ROCPRIM_400000_NS6detail17trampoline_kernelINS0_14default_configENS1_25partition_config_selectorILNS1_17partition_subalgoE6EdNS0_10empty_typeEbEEZZNS1_14partition_implILS5_6ELb0ES3_mN6thrust23THRUST_200600_302600_NS6detail15normal_iteratorINSA_10device_ptrIdEEEEPS6_SG_NS0_5tupleIJSF_S6_EEENSH_IJSG_SG_EEES6_PlJ7is_evenIdEEEE10hipError_tPvRmT3_T4_T5_T6_T7_T9_mT8_P12ihipStream_tbDpT10_ENKUlT_T0_E_clISt17integral_constantIbLb1EES16_EEDaS11_S12_EUlS11_E_NS1_11comp_targetILNS1_3genE2ELNS1_11target_archE906ELNS1_3gpuE6ELNS1_3repE0EEENS1_30default_config_static_selectorELNS0_4arch9wavefront6targetE0EEEvT1_
; %bb.0:
	.section	.rodata,"a",@progbits
	.p2align	6, 0x0
	.amdhsa_kernel _ZN7rocprim17ROCPRIM_400000_NS6detail17trampoline_kernelINS0_14default_configENS1_25partition_config_selectorILNS1_17partition_subalgoE6EdNS0_10empty_typeEbEEZZNS1_14partition_implILS5_6ELb0ES3_mN6thrust23THRUST_200600_302600_NS6detail15normal_iteratorINSA_10device_ptrIdEEEEPS6_SG_NS0_5tupleIJSF_S6_EEENSH_IJSG_SG_EEES6_PlJ7is_evenIdEEEE10hipError_tPvRmT3_T4_T5_T6_T7_T9_mT8_P12ihipStream_tbDpT10_ENKUlT_T0_E_clISt17integral_constantIbLb1EES16_EEDaS11_S12_EUlS11_E_NS1_11comp_targetILNS1_3genE2ELNS1_11target_archE906ELNS1_3gpuE6ELNS1_3repE0EEENS1_30default_config_static_selectorELNS0_4arch9wavefront6targetE0EEEvT1_
		.amdhsa_group_segment_fixed_size 0
		.amdhsa_private_segment_fixed_size 0
		.amdhsa_kernarg_size 128
		.amdhsa_user_sgpr_count 15
		.amdhsa_user_sgpr_dispatch_ptr 0
		.amdhsa_user_sgpr_queue_ptr 0
		.amdhsa_user_sgpr_kernarg_segment_ptr 1
		.amdhsa_user_sgpr_dispatch_id 0
		.amdhsa_user_sgpr_private_segment_size 0
		.amdhsa_wavefront_size32 1
		.amdhsa_uses_dynamic_stack 0
		.amdhsa_enable_private_segment 0
		.amdhsa_system_sgpr_workgroup_id_x 1
		.amdhsa_system_sgpr_workgroup_id_y 0
		.amdhsa_system_sgpr_workgroup_id_z 0
		.amdhsa_system_sgpr_workgroup_info 0
		.amdhsa_system_vgpr_workitem_id 0
		.amdhsa_next_free_vgpr 1
		.amdhsa_next_free_sgpr 1
		.amdhsa_reserve_vcc 0
		.amdhsa_float_round_mode_32 0
		.amdhsa_float_round_mode_16_64 0
		.amdhsa_float_denorm_mode_32 3
		.amdhsa_float_denorm_mode_16_64 3
		.amdhsa_dx10_clamp 1
		.amdhsa_ieee_mode 1
		.amdhsa_fp16_overflow 0
		.amdhsa_workgroup_processor_mode 1
		.amdhsa_memory_ordered 1
		.amdhsa_forward_progress 0
		.amdhsa_shared_vgpr_count 0
		.amdhsa_exception_fp_ieee_invalid_op 0
		.amdhsa_exception_fp_denorm_src 0
		.amdhsa_exception_fp_ieee_div_zero 0
		.amdhsa_exception_fp_ieee_overflow 0
		.amdhsa_exception_fp_ieee_underflow 0
		.amdhsa_exception_fp_ieee_inexact 0
		.amdhsa_exception_int_div_zero 0
	.end_amdhsa_kernel
	.section	.text._ZN7rocprim17ROCPRIM_400000_NS6detail17trampoline_kernelINS0_14default_configENS1_25partition_config_selectorILNS1_17partition_subalgoE6EdNS0_10empty_typeEbEEZZNS1_14partition_implILS5_6ELb0ES3_mN6thrust23THRUST_200600_302600_NS6detail15normal_iteratorINSA_10device_ptrIdEEEEPS6_SG_NS0_5tupleIJSF_S6_EEENSH_IJSG_SG_EEES6_PlJ7is_evenIdEEEE10hipError_tPvRmT3_T4_T5_T6_T7_T9_mT8_P12ihipStream_tbDpT10_ENKUlT_T0_E_clISt17integral_constantIbLb1EES16_EEDaS11_S12_EUlS11_E_NS1_11comp_targetILNS1_3genE2ELNS1_11target_archE906ELNS1_3gpuE6ELNS1_3repE0EEENS1_30default_config_static_selectorELNS0_4arch9wavefront6targetE0EEEvT1_,"axG",@progbits,_ZN7rocprim17ROCPRIM_400000_NS6detail17trampoline_kernelINS0_14default_configENS1_25partition_config_selectorILNS1_17partition_subalgoE6EdNS0_10empty_typeEbEEZZNS1_14partition_implILS5_6ELb0ES3_mN6thrust23THRUST_200600_302600_NS6detail15normal_iteratorINSA_10device_ptrIdEEEEPS6_SG_NS0_5tupleIJSF_S6_EEENSH_IJSG_SG_EEES6_PlJ7is_evenIdEEEE10hipError_tPvRmT3_T4_T5_T6_T7_T9_mT8_P12ihipStream_tbDpT10_ENKUlT_T0_E_clISt17integral_constantIbLb1EES16_EEDaS11_S12_EUlS11_E_NS1_11comp_targetILNS1_3genE2ELNS1_11target_archE906ELNS1_3gpuE6ELNS1_3repE0EEENS1_30default_config_static_selectorELNS0_4arch9wavefront6targetE0EEEvT1_,comdat
.Lfunc_end210:
	.size	_ZN7rocprim17ROCPRIM_400000_NS6detail17trampoline_kernelINS0_14default_configENS1_25partition_config_selectorILNS1_17partition_subalgoE6EdNS0_10empty_typeEbEEZZNS1_14partition_implILS5_6ELb0ES3_mN6thrust23THRUST_200600_302600_NS6detail15normal_iteratorINSA_10device_ptrIdEEEEPS6_SG_NS0_5tupleIJSF_S6_EEENSH_IJSG_SG_EEES6_PlJ7is_evenIdEEEE10hipError_tPvRmT3_T4_T5_T6_T7_T9_mT8_P12ihipStream_tbDpT10_ENKUlT_T0_E_clISt17integral_constantIbLb1EES16_EEDaS11_S12_EUlS11_E_NS1_11comp_targetILNS1_3genE2ELNS1_11target_archE906ELNS1_3gpuE6ELNS1_3repE0EEENS1_30default_config_static_selectorELNS0_4arch9wavefront6targetE0EEEvT1_, .Lfunc_end210-_ZN7rocprim17ROCPRIM_400000_NS6detail17trampoline_kernelINS0_14default_configENS1_25partition_config_selectorILNS1_17partition_subalgoE6EdNS0_10empty_typeEbEEZZNS1_14partition_implILS5_6ELb0ES3_mN6thrust23THRUST_200600_302600_NS6detail15normal_iteratorINSA_10device_ptrIdEEEEPS6_SG_NS0_5tupleIJSF_S6_EEENSH_IJSG_SG_EEES6_PlJ7is_evenIdEEEE10hipError_tPvRmT3_T4_T5_T6_T7_T9_mT8_P12ihipStream_tbDpT10_ENKUlT_T0_E_clISt17integral_constantIbLb1EES16_EEDaS11_S12_EUlS11_E_NS1_11comp_targetILNS1_3genE2ELNS1_11target_archE906ELNS1_3gpuE6ELNS1_3repE0EEENS1_30default_config_static_selectorELNS0_4arch9wavefront6targetE0EEEvT1_
                                        ; -- End function
	.section	.AMDGPU.csdata,"",@progbits
; Kernel info:
; codeLenInByte = 0
; NumSgprs: 0
; NumVgprs: 0
; ScratchSize: 0
; MemoryBound: 0
; FloatMode: 240
; IeeeMode: 1
; LDSByteSize: 0 bytes/workgroup (compile time only)
; SGPRBlocks: 0
; VGPRBlocks: 0
; NumSGPRsForWavesPerEU: 1
; NumVGPRsForWavesPerEU: 1
; Occupancy: 16
; WaveLimiterHint : 0
; COMPUTE_PGM_RSRC2:SCRATCH_EN: 0
; COMPUTE_PGM_RSRC2:USER_SGPR: 15
; COMPUTE_PGM_RSRC2:TRAP_HANDLER: 0
; COMPUTE_PGM_RSRC2:TGID_X_EN: 1
; COMPUTE_PGM_RSRC2:TGID_Y_EN: 0
; COMPUTE_PGM_RSRC2:TGID_Z_EN: 0
; COMPUTE_PGM_RSRC2:TIDIG_COMP_CNT: 0
	.section	.text._ZN7rocprim17ROCPRIM_400000_NS6detail17trampoline_kernelINS0_14default_configENS1_25partition_config_selectorILNS1_17partition_subalgoE6EdNS0_10empty_typeEbEEZZNS1_14partition_implILS5_6ELb0ES3_mN6thrust23THRUST_200600_302600_NS6detail15normal_iteratorINSA_10device_ptrIdEEEEPS6_SG_NS0_5tupleIJSF_S6_EEENSH_IJSG_SG_EEES6_PlJ7is_evenIdEEEE10hipError_tPvRmT3_T4_T5_T6_T7_T9_mT8_P12ihipStream_tbDpT10_ENKUlT_T0_E_clISt17integral_constantIbLb1EES16_EEDaS11_S12_EUlS11_E_NS1_11comp_targetILNS1_3genE10ELNS1_11target_archE1200ELNS1_3gpuE4ELNS1_3repE0EEENS1_30default_config_static_selectorELNS0_4arch9wavefront6targetE0EEEvT1_,"axG",@progbits,_ZN7rocprim17ROCPRIM_400000_NS6detail17trampoline_kernelINS0_14default_configENS1_25partition_config_selectorILNS1_17partition_subalgoE6EdNS0_10empty_typeEbEEZZNS1_14partition_implILS5_6ELb0ES3_mN6thrust23THRUST_200600_302600_NS6detail15normal_iteratorINSA_10device_ptrIdEEEEPS6_SG_NS0_5tupleIJSF_S6_EEENSH_IJSG_SG_EEES6_PlJ7is_evenIdEEEE10hipError_tPvRmT3_T4_T5_T6_T7_T9_mT8_P12ihipStream_tbDpT10_ENKUlT_T0_E_clISt17integral_constantIbLb1EES16_EEDaS11_S12_EUlS11_E_NS1_11comp_targetILNS1_3genE10ELNS1_11target_archE1200ELNS1_3gpuE4ELNS1_3repE0EEENS1_30default_config_static_selectorELNS0_4arch9wavefront6targetE0EEEvT1_,comdat
	.protected	_ZN7rocprim17ROCPRIM_400000_NS6detail17trampoline_kernelINS0_14default_configENS1_25partition_config_selectorILNS1_17partition_subalgoE6EdNS0_10empty_typeEbEEZZNS1_14partition_implILS5_6ELb0ES3_mN6thrust23THRUST_200600_302600_NS6detail15normal_iteratorINSA_10device_ptrIdEEEEPS6_SG_NS0_5tupleIJSF_S6_EEENSH_IJSG_SG_EEES6_PlJ7is_evenIdEEEE10hipError_tPvRmT3_T4_T5_T6_T7_T9_mT8_P12ihipStream_tbDpT10_ENKUlT_T0_E_clISt17integral_constantIbLb1EES16_EEDaS11_S12_EUlS11_E_NS1_11comp_targetILNS1_3genE10ELNS1_11target_archE1200ELNS1_3gpuE4ELNS1_3repE0EEENS1_30default_config_static_selectorELNS0_4arch9wavefront6targetE0EEEvT1_ ; -- Begin function _ZN7rocprim17ROCPRIM_400000_NS6detail17trampoline_kernelINS0_14default_configENS1_25partition_config_selectorILNS1_17partition_subalgoE6EdNS0_10empty_typeEbEEZZNS1_14partition_implILS5_6ELb0ES3_mN6thrust23THRUST_200600_302600_NS6detail15normal_iteratorINSA_10device_ptrIdEEEEPS6_SG_NS0_5tupleIJSF_S6_EEENSH_IJSG_SG_EEES6_PlJ7is_evenIdEEEE10hipError_tPvRmT3_T4_T5_T6_T7_T9_mT8_P12ihipStream_tbDpT10_ENKUlT_T0_E_clISt17integral_constantIbLb1EES16_EEDaS11_S12_EUlS11_E_NS1_11comp_targetILNS1_3genE10ELNS1_11target_archE1200ELNS1_3gpuE4ELNS1_3repE0EEENS1_30default_config_static_selectorELNS0_4arch9wavefront6targetE0EEEvT1_
	.globl	_ZN7rocprim17ROCPRIM_400000_NS6detail17trampoline_kernelINS0_14default_configENS1_25partition_config_selectorILNS1_17partition_subalgoE6EdNS0_10empty_typeEbEEZZNS1_14partition_implILS5_6ELb0ES3_mN6thrust23THRUST_200600_302600_NS6detail15normal_iteratorINSA_10device_ptrIdEEEEPS6_SG_NS0_5tupleIJSF_S6_EEENSH_IJSG_SG_EEES6_PlJ7is_evenIdEEEE10hipError_tPvRmT3_T4_T5_T6_T7_T9_mT8_P12ihipStream_tbDpT10_ENKUlT_T0_E_clISt17integral_constantIbLb1EES16_EEDaS11_S12_EUlS11_E_NS1_11comp_targetILNS1_3genE10ELNS1_11target_archE1200ELNS1_3gpuE4ELNS1_3repE0EEENS1_30default_config_static_selectorELNS0_4arch9wavefront6targetE0EEEvT1_
	.p2align	8
	.type	_ZN7rocprim17ROCPRIM_400000_NS6detail17trampoline_kernelINS0_14default_configENS1_25partition_config_selectorILNS1_17partition_subalgoE6EdNS0_10empty_typeEbEEZZNS1_14partition_implILS5_6ELb0ES3_mN6thrust23THRUST_200600_302600_NS6detail15normal_iteratorINSA_10device_ptrIdEEEEPS6_SG_NS0_5tupleIJSF_S6_EEENSH_IJSG_SG_EEES6_PlJ7is_evenIdEEEE10hipError_tPvRmT3_T4_T5_T6_T7_T9_mT8_P12ihipStream_tbDpT10_ENKUlT_T0_E_clISt17integral_constantIbLb1EES16_EEDaS11_S12_EUlS11_E_NS1_11comp_targetILNS1_3genE10ELNS1_11target_archE1200ELNS1_3gpuE4ELNS1_3repE0EEENS1_30default_config_static_selectorELNS0_4arch9wavefront6targetE0EEEvT1_,@function
_ZN7rocprim17ROCPRIM_400000_NS6detail17trampoline_kernelINS0_14default_configENS1_25partition_config_selectorILNS1_17partition_subalgoE6EdNS0_10empty_typeEbEEZZNS1_14partition_implILS5_6ELb0ES3_mN6thrust23THRUST_200600_302600_NS6detail15normal_iteratorINSA_10device_ptrIdEEEEPS6_SG_NS0_5tupleIJSF_S6_EEENSH_IJSG_SG_EEES6_PlJ7is_evenIdEEEE10hipError_tPvRmT3_T4_T5_T6_T7_T9_mT8_P12ihipStream_tbDpT10_ENKUlT_T0_E_clISt17integral_constantIbLb1EES16_EEDaS11_S12_EUlS11_E_NS1_11comp_targetILNS1_3genE10ELNS1_11target_archE1200ELNS1_3gpuE4ELNS1_3repE0EEENS1_30default_config_static_selectorELNS0_4arch9wavefront6targetE0EEEvT1_: ; @_ZN7rocprim17ROCPRIM_400000_NS6detail17trampoline_kernelINS0_14default_configENS1_25partition_config_selectorILNS1_17partition_subalgoE6EdNS0_10empty_typeEbEEZZNS1_14partition_implILS5_6ELb0ES3_mN6thrust23THRUST_200600_302600_NS6detail15normal_iteratorINSA_10device_ptrIdEEEEPS6_SG_NS0_5tupleIJSF_S6_EEENSH_IJSG_SG_EEES6_PlJ7is_evenIdEEEE10hipError_tPvRmT3_T4_T5_T6_T7_T9_mT8_P12ihipStream_tbDpT10_ENKUlT_T0_E_clISt17integral_constantIbLb1EES16_EEDaS11_S12_EUlS11_E_NS1_11comp_targetILNS1_3genE10ELNS1_11target_archE1200ELNS1_3gpuE4ELNS1_3repE0EEENS1_30default_config_static_selectorELNS0_4arch9wavefront6targetE0EEEvT1_
; %bb.0:
	.section	.rodata,"a",@progbits
	.p2align	6, 0x0
	.amdhsa_kernel _ZN7rocprim17ROCPRIM_400000_NS6detail17trampoline_kernelINS0_14default_configENS1_25partition_config_selectorILNS1_17partition_subalgoE6EdNS0_10empty_typeEbEEZZNS1_14partition_implILS5_6ELb0ES3_mN6thrust23THRUST_200600_302600_NS6detail15normal_iteratorINSA_10device_ptrIdEEEEPS6_SG_NS0_5tupleIJSF_S6_EEENSH_IJSG_SG_EEES6_PlJ7is_evenIdEEEE10hipError_tPvRmT3_T4_T5_T6_T7_T9_mT8_P12ihipStream_tbDpT10_ENKUlT_T0_E_clISt17integral_constantIbLb1EES16_EEDaS11_S12_EUlS11_E_NS1_11comp_targetILNS1_3genE10ELNS1_11target_archE1200ELNS1_3gpuE4ELNS1_3repE0EEENS1_30default_config_static_selectorELNS0_4arch9wavefront6targetE0EEEvT1_
		.amdhsa_group_segment_fixed_size 0
		.amdhsa_private_segment_fixed_size 0
		.amdhsa_kernarg_size 128
		.amdhsa_user_sgpr_count 15
		.amdhsa_user_sgpr_dispatch_ptr 0
		.amdhsa_user_sgpr_queue_ptr 0
		.amdhsa_user_sgpr_kernarg_segment_ptr 1
		.amdhsa_user_sgpr_dispatch_id 0
		.amdhsa_user_sgpr_private_segment_size 0
		.amdhsa_wavefront_size32 1
		.amdhsa_uses_dynamic_stack 0
		.amdhsa_enable_private_segment 0
		.amdhsa_system_sgpr_workgroup_id_x 1
		.amdhsa_system_sgpr_workgroup_id_y 0
		.amdhsa_system_sgpr_workgroup_id_z 0
		.amdhsa_system_sgpr_workgroup_info 0
		.amdhsa_system_vgpr_workitem_id 0
		.amdhsa_next_free_vgpr 1
		.amdhsa_next_free_sgpr 1
		.amdhsa_reserve_vcc 0
		.amdhsa_float_round_mode_32 0
		.amdhsa_float_round_mode_16_64 0
		.amdhsa_float_denorm_mode_32 3
		.amdhsa_float_denorm_mode_16_64 3
		.amdhsa_dx10_clamp 1
		.amdhsa_ieee_mode 1
		.amdhsa_fp16_overflow 0
		.amdhsa_workgroup_processor_mode 1
		.amdhsa_memory_ordered 1
		.amdhsa_forward_progress 0
		.amdhsa_shared_vgpr_count 0
		.amdhsa_exception_fp_ieee_invalid_op 0
		.amdhsa_exception_fp_denorm_src 0
		.amdhsa_exception_fp_ieee_div_zero 0
		.amdhsa_exception_fp_ieee_overflow 0
		.amdhsa_exception_fp_ieee_underflow 0
		.amdhsa_exception_fp_ieee_inexact 0
		.amdhsa_exception_int_div_zero 0
	.end_amdhsa_kernel
	.section	.text._ZN7rocprim17ROCPRIM_400000_NS6detail17trampoline_kernelINS0_14default_configENS1_25partition_config_selectorILNS1_17partition_subalgoE6EdNS0_10empty_typeEbEEZZNS1_14partition_implILS5_6ELb0ES3_mN6thrust23THRUST_200600_302600_NS6detail15normal_iteratorINSA_10device_ptrIdEEEEPS6_SG_NS0_5tupleIJSF_S6_EEENSH_IJSG_SG_EEES6_PlJ7is_evenIdEEEE10hipError_tPvRmT3_T4_T5_T6_T7_T9_mT8_P12ihipStream_tbDpT10_ENKUlT_T0_E_clISt17integral_constantIbLb1EES16_EEDaS11_S12_EUlS11_E_NS1_11comp_targetILNS1_3genE10ELNS1_11target_archE1200ELNS1_3gpuE4ELNS1_3repE0EEENS1_30default_config_static_selectorELNS0_4arch9wavefront6targetE0EEEvT1_,"axG",@progbits,_ZN7rocprim17ROCPRIM_400000_NS6detail17trampoline_kernelINS0_14default_configENS1_25partition_config_selectorILNS1_17partition_subalgoE6EdNS0_10empty_typeEbEEZZNS1_14partition_implILS5_6ELb0ES3_mN6thrust23THRUST_200600_302600_NS6detail15normal_iteratorINSA_10device_ptrIdEEEEPS6_SG_NS0_5tupleIJSF_S6_EEENSH_IJSG_SG_EEES6_PlJ7is_evenIdEEEE10hipError_tPvRmT3_T4_T5_T6_T7_T9_mT8_P12ihipStream_tbDpT10_ENKUlT_T0_E_clISt17integral_constantIbLb1EES16_EEDaS11_S12_EUlS11_E_NS1_11comp_targetILNS1_3genE10ELNS1_11target_archE1200ELNS1_3gpuE4ELNS1_3repE0EEENS1_30default_config_static_selectorELNS0_4arch9wavefront6targetE0EEEvT1_,comdat
.Lfunc_end211:
	.size	_ZN7rocprim17ROCPRIM_400000_NS6detail17trampoline_kernelINS0_14default_configENS1_25partition_config_selectorILNS1_17partition_subalgoE6EdNS0_10empty_typeEbEEZZNS1_14partition_implILS5_6ELb0ES3_mN6thrust23THRUST_200600_302600_NS6detail15normal_iteratorINSA_10device_ptrIdEEEEPS6_SG_NS0_5tupleIJSF_S6_EEENSH_IJSG_SG_EEES6_PlJ7is_evenIdEEEE10hipError_tPvRmT3_T4_T5_T6_T7_T9_mT8_P12ihipStream_tbDpT10_ENKUlT_T0_E_clISt17integral_constantIbLb1EES16_EEDaS11_S12_EUlS11_E_NS1_11comp_targetILNS1_3genE10ELNS1_11target_archE1200ELNS1_3gpuE4ELNS1_3repE0EEENS1_30default_config_static_selectorELNS0_4arch9wavefront6targetE0EEEvT1_, .Lfunc_end211-_ZN7rocprim17ROCPRIM_400000_NS6detail17trampoline_kernelINS0_14default_configENS1_25partition_config_selectorILNS1_17partition_subalgoE6EdNS0_10empty_typeEbEEZZNS1_14partition_implILS5_6ELb0ES3_mN6thrust23THRUST_200600_302600_NS6detail15normal_iteratorINSA_10device_ptrIdEEEEPS6_SG_NS0_5tupleIJSF_S6_EEENSH_IJSG_SG_EEES6_PlJ7is_evenIdEEEE10hipError_tPvRmT3_T4_T5_T6_T7_T9_mT8_P12ihipStream_tbDpT10_ENKUlT_T0_E_clISt17integral_constantIbLb1EES16_EEDaS11_S12_EUlS11_E_NS1_11comp_targetILNS1_3genE10ELNS1_11target_archE1200ELNS1_3gpuE4ELNS1_3repE0EEENS1_30default_config_static_selectorELNS0_4arch9wavefront6targetE0EEEvT1_
                                        ; -- End function
	.section	.AMDGPU.csdata,"",@progbits
; Kernel info:
; codeLenInByte = 0
; NumSgprs: 0
; NumVgprs: 0
; ScratchSize: 0
; MemoryBound: 0
; FloatMode: 240
; IeeeMode: 1
; LDSByteSize: 0 bytes/workgroup (compile time only)
; SGPRBlocks: 0
; VGPRBlocks: 0
; NumSGPRsForWavesPerEU: 1
; NumVGPRsForWavesPerEU: 1
; Occupancy: 16
; WaveLimiterHint : 0
; COMPUTE_PGM_RSRC2:SCRATCH_EN: 0
; COMPUTE_PGM_RSRC2:USER_SGPR: 15
; COMPUTE_PGM_RSRC2:TRAP_HANDLER: 0
; COMPUTE_PGM_RSRC2:TGID_X_EN: 1
; COMPUTE_PGM_RSRC2:TGID_Y_EN: 0
; COMPUTE_PGM_RSRC2:TGID_Z_EN: 0
; COMPUTE_PGM_RSRC2:TIDIG_COMP_CNT: 0
	.section	.text._ZN7rocprim17ROCPRIM_400000_NS6detail17trampoline_kernelINS0_14default_configENS1_25partition_config_selectorILNS1_17partition_subalgoE6EdNS0_10empty_typeEbEEZZNS1_14partition_implILS5_6ELb0ES3_mN6thrust23THRUST_200600_302600_NS6detail15normal_iteratorINSA_10device_ptrIdEEEEPS6_SG_NS0_5tupleIJSF_S6_EEENSH_IJSG_SG_EEES6_PlJ7is_evenIdEEEE10hipError_tPvRmT3_T4_T5_T6_T7_T9_mT8_P12ihipStream_tbDpT10_ENKUlT_T0_E_clISt17integral_constantIbLb1EES16_EEDaS11_S12_EUlS11_E_NS1_11comp_targetILNS1_3genE9ELNS1_11target_archE1100ELNS1_3gpuE3ELNS1_3repE0EEENS1_30default_config_static_selectorELNS0_4arch9wavefront6targetE0EEEvT1_,"axG",@progbits,_ZN7rocprim17ROCPRIM_400000_NS6detail17trampoline_kernelINS0_14default_configENS1_25partition_config_selectorILNS1_17partition_subalgoE6EdNS0_10empty_typeEbEEZZNS1_14partition_implILS5_6ELb0ES3_mN6thrust23THRUST_200600_302600_NS6detail15normal_iteratorINSA_10device_ptrIdEEEEPS6_SG_NS0_5tupleIJSF_S6_EEENSH_IJSG_SG_EEES6_PlJ7is_evenIdEEEE10hipError_tPvRmT3_T4_T5_T6_T7_T9_mT8_P12ihipStream_tbDpT10_ENKUlT_T0_E_clISt17integral_constantIbLb1EES16_EEDaS11_S12_EUlS11_E_NS1_11comp_targetILNS1_3genE9ELNS1_11target_archE1100ELNS1_3gpuE3ELNS1_3repE0EEENS1_30default_config_static_selectorELNS0_4arch9wavefront6targetE0EEEvT1_,comdat
	.protected	_ZN7rocprim17ROCPRIM_400000_NS6detail17trampoline_kernelINS0_14default_configENS1_25partition_config_selectorILNS1_17partition_subalgoE6EdNS0_10empty_typeEbEEZZNS1_14partition_implILS5_6ELb0ES3_mN6thrust23THRUST_200600_302600_NS6detail15normal_iteratorINSA_10device_ptrIdEEEEPS6_SG_NS0_5tupleIJSF_S6_EEENSH_IJSG_SG_EEES6_PlJ7is_evenIdEEEE10hipError_tPvRmT3_T4_T5_T6_T7_T9_mT8_P12ihipStream_tbDpT10_ENKUlT_T0_E_clISt17integral_constantIbLb1EES16_EEDaS11_S12_EUlS11_E_NS1_11comp_targetILNS1_3genE9ELNS1_11target_archE1100ELNS1_3gpuE3ELNS1_3repE0EEENS1_30default_config_static_selectorELNS0_4arch9wavefront6targetE0EEEvT1_ ; -- Begin function _ZN7rocprim17ROCPRIM_400000_NS6detail17trampoline_kernelINS0_14default_configENS1_25partition_config_selectorILNS1_17partition_subalgoE6EdNS0_10empty_typeEbEEZZNS1_14partition_implILS5_6ELb0ES3_mN6thrust23THRUST_200600_302600_NS6detail15normal_iteratorINSA_10device_ptrIdEEEEPS6_SG_NS0_5tupleIJSF_S6_EEENSH_IJSG_SG_EEES6_PlJ7is_evenIdEEEE10hipError_tPvRmT3_T4_T5_T6_T7_T9_mT8_P12ihipStream_tbDpT10_ENKUlT_T0_E_clISt17integral_constantIbLb1EES16_EEDaS11_S12_EUlS11_E_NS1_11comp_targetILNS1_3genE9ELNS1_11target_archE1100ELNS1_3gpuE3ELNS1_3repE0EEENS1_30default_config_static_selectorELNS0_4arch9wavefront6targetE0EEEvT1_
	.globl	_ZN7rocprim17ROCPRIM_400000_NS6detail17trampoline_kernelINS0_14default_configENS1_25partition_config_selectorILNS1_17partition_subalgoE6EdNS0_10empty_typeEbEEZZNS1_14partition_implILS5_6ELb0ES3_mN6thrust23THRUST_200600_302600_NS6detail15normal_iteratorINSA_10device_ptrIdEEEEPS6_SG_NS0_5tupleIJSF_S6_EEENSH_IJSG_SG_EEES6_PlJ7is_evenIdEEEE10hipError_tPvRmT3_T4_T5_T6_T7_T9_mT8_P12ihipStream_tbDpT10_ENKUlT_T0_E_clISt17integral_constantIbLb1EES16_EEDaS11_S12_EUlS11_E_NS1_11comp_targetILNS1_3genE9ELNS1_11target_archE1100ELNS1_3gpuE3ELNS1_3repE0EEENS1_30default_config_static_selectorELNS0_4arch9wavefront6targetE0EEEvT1_
	.p2align	8
	.type	_ZN7rocprim17ROCPRIM_400000_NS6detail17trampoline_kernelINS0_14default_configENS1_25partition_config_selectorILNS1_17partition_subalgoE6EdNS0_10empty_typeEbEEZZNS1_14partition_implILS5_6ELb0ES3_mN6thrust23THRUST_200600_302600_NS6detail15normal_iteratorINSA_10device_ptrIdEEEEPS6_SG_NS0_5tupleIJSF_S6_EEENSH_IJSG_SG_EEES6_PlJ7is_evenIdEEEE10hipError_tPvRmT3_T4_T5_T6_T7_T9_mT8_P12ihipStream_tbDpT10_ENKUlT_T0_E_clISt17integral_constantIbLb1EES16_EEDaS11_S12_EUlS11_E_NS1_11comp_targetILNS1_3genE9ELNS1_11target_archE1100ELNS1_3gpuE3ELNS1_3repE0EEENS1_30default_config_static_selectorELNS0_4arch9wavefront6targetE0EEEvT1_,@function
_ZN7rocprim17ROCPRIM_400000_NS6detail17trampoline_kernelINS0_14default_configENS1_25partition_config_selectorILNS1_17partition_subalgoE6EdNS0_10empty_typeEbEEZZNS1_14partition_implILS5_6ELb0ES3_mN6thrust23THRUST_200600_302600_NS6detail15normal_iteratorINSA_10device_ptrIdEEEEPS6_SG_NS0_5tupleIJSF_S6_EEENSH_IJSG_SG_EEES6_PlJ7is_evenIdEEEE10hipError_tPvRmT3_T4_T5_T6_T7_T9_mT8_P12ihipStream_tbDpT10_ENKUlT_T0_E_clISt17integral_constantIbLb1EES16_EEDaS11_S12_EUlS11_E_NS1_11comp_targetILNS1_3genE9ELNS1_11target_archE1100ELNS1_3gpuE3ELNS1_3repE0EEENS1_30default_config_static_selectorELNS0_4arch9wavefront6targetE0EEEvT1_: ; @_ZN7rocprim17ROCPRIM_400000_NS6detail17trampoline_kernelINS0_14default_configENS1_25partition_config_selectorILNS1_17partition_subalgoE6EdNS0_10empty_typeEbEEZZNS1_14partition_implILS5_6ELb0ES3_mN6thrust23THRUST_200600_302600_NS6detail15normal_iteratorINSA_10device_ptrIdEEEEPS6_SG_NS0_5tupleIJSF_S6_EEENSH_IJSG_SG_EEES6_PlJ7is_evenIdEEEE10hipError_tPvRmT3_T4_T5_T6_T7_T9_mT8_P12ihipStream_tbDpT10_ENKUlT_T0_E_clISt17integral_constantIbLb1EES16_EEDaS11_S12_EUlS11_E_NS1_11comp_targetILNS1_3genE9ELNS1_11target_archE1100ELNS1_3gpuE3ELNS1_3repE0EEENS1_30default_config_static_selectorELNS0_4arch9wavefront6targetE0EEEvT1_
; %bb.0:
	s_clause 0x3
	s_load_b64 s[12:13], s[0:1], 0x28
	s_load_b128 s[8:11], s[0:1], 0x40
	s_load_b64 s[16:17], s[0:1], 0x50
	s_load_b64 s[14:15], s[0:1], 0x60
	v_cmp_eq_u32_e64 s2, 0, v0
	s_delay_alu instid0(VALU_DEP_1)
	s_and_saveexec_b32 s3, s2
	s_cbranch_execz .LBB212_4
; %bb.1:
	s_mov_b32 s5, exec_lo
	s_mov_b32 s4, exec_lo
	v_mbcnt_lo_u32_b32 v1, s5, 0
                                        ; implicit-def: $vgpr2
	s_delay_alu instid0(VALU_DEP_1)
	v_cmpx_eq_u32_e32 0, v1
	s_cbranch_execz .LBB212_3
; %bb.2:
	s_load_b64 s[6:7], s[0:1], 0x70
	s_bcnt1_i32_b32 s5, s5
	s_delay_alu instid0(SALU_CYCLE_1)
	v_dual_mov_b32 v2, 0 :: v_dual_mov_b32 v3, s5
	s_waitcnt lgkmcnt(0)
	global_atomic_add_u32 v2, v2, v3, s[6:7] glc
.LBB212_3:
	s_or_b32 exec_lo, exec_lo, s4
	s_waitcnt vmcnt(0)
	v_readfirstlane_b32 s4, v2
	s_delay_alu instid0(VALU_DEP_1)
	v_dual_mov_b32 v2, 0 :: v_dual_add_nc_u32 v1, s4, v1
	ds_store_b32 v2, v1
.LBB212_4:
	s_or_b32 exec_lo, exec_lo, s3
	v_mov_b32_e32 v2, 0
	s_clause 0x1
	s_load_b128 s[4:7], s[0:1], 0x8
	s_load_b32 s0, s[0:1], 0x68
	s_waitcnt lgkmcnt(0)
	s_barrier
	buffer_gl0_inv
	ds_load_b32 v1, v2
	s_waitcnt lgkmcnt(0)
	s_barrier
	buffer_gl0_inv
	global_load_b64 v[21:22], v2, s[10:11]
	s_lshl_b64 s[10:11], s[6:7], 3
	s_delay_alu instid0(SALU_CYCLE_1)
	s_add_u32 s1, s4, s10
	s_mul_i32 s4, s0, 0x900
	s_addc_u32 s3, s5, s11
	v_readfirstlane_b32 s10, v1
	v_mul_lo_u32 v1, 0x900, v1
	s_add_i32 s5, s4, s6
	s_add_i32 s11, s0, -1
	s_sub_i32 s0, s16, s5
	s_add_u32 s4, s6, s4
	s_addc_u32 s5, s7, 0
	s_cmp_eq_u32 s10, s11
	v_cmp_ge_u64_e64 s4, s[4:5], s[16:17]
	v_lshlrev_b64 v[1:2], 3, v[1:2]
	s_cselect_b32 s5, -1, 0
	s_delay_alu instid0(VALU_DEP_2) | instid1(SALU_CYCLE_1)
	s_and_b32 s4, s4, s5
	s_delay_alu instid0(VALU_DEP_1) | instskip(NEXT) | instid1(VALU_DEP_2)
	v_add_co_u32 v17, vcc_lo, s1, v1
	v_add_co_ci_u32_e32 v18, vcc_lo, s3, v2, vcc_lo
	s_xor_b32 s6, s4, -1
	s_mov_b32 s1, -1
	s_and_b32 vcc_lo, exec_lo, s6
	s_cbranch_vccz .LBB212_6
; %bb.5:
	v_lshlrev_b32_e32 v13, 3, v0
	s_mov_b32 s1, 0
	s_delay_alu instid0(VALU_DEP_1) | instskip(SKIP_1) | instid1(VALU_DEP_2)
	v_add_co_u32 v1, vcc_lo, v17, v13
	v_add_co_ci_u32_e32 v2, vcc_lo, 0, v18, vcc_lo
	v_add_co_u32 v3, vcc_lo, 0x1000, v1
	s_delay_alu instid0(VALU_DEP_2)
	v_add_co_ci_u32_e32 v4, vcc_lo, 0, v2, vcc_lo
	v_add_co_u32 v5, vcc_lo, 0x2000, v1
	v_add_co_ci_u32_e32 v6, vcc_lo, 0, v2, vcc_lo
	v_add_co_u32 v7, vcc_lo, 0x3000, v1
	v_add_co_ci_u32_e32 v8, vcc_lo, 0, v2, vcc_lo
	s_clause 0x5
	flat_load_b64 v[9:10], v[1:2]
	flat_load_b64 v[1:2], v[1:2] offset:3072
	flat_load_b64 v[3:4], v[3:4] offset:2048
	;; [unrolled: 1-line block ×3, first 2 shown]
	flat_load_b64 v[11:12], v[7:8]
	flat_load_b64 v[7:8], v[7:8] offset:3072
	s_waitcnt vmcnt(4) lgkmcnt(4)
	ds_store_2addr_stride64_b64 v13, v[9:10], v[1:2] offset1:6
	s_waitcnt vmcnt(2) lgkmcnt(3)
	ds_store_2addr_stride64_b64 v13, v[3:4], v[5:6] offset0:12 offset1:18
	s_waitcnt vmcnt(0) lgkmcnt(2)
	ds_store_2addr_stride64_b64 v13, v[11:12], v[7:8] offset0:24 offset1:30
	s_waitcnt lgkmcnt(0)
	s_barrier
.LBB212_6:
	s_and_not1_b32 vcc_lo, exec_lo, s1
	s_addk_i32 s0, 0x900
	s_cbranch_vccnz .LBB212_20
; %bb.7:
	s_mov_b32 s1, exec_lo
                                        ; implicit-def: $vgpr1_vgpr2_vgpr3_vgpr4_vgpr5_vgpr6_vgpr7_vgpr8_vgpr9_vgpr10_vgpr11_vgpr12_vgpr13_vgpr14_vgpr15_vgpr16
	v_cmpx_gt_u32_e64 s0, v0
	s_cbranch_execz .LBB212_9
; %bb.8:
	v_lshlrev_b32_e32 v1, 3, v0
	s_delay_alu instid0(VALU_DEP_1)
	v_add_co_u32 v1, vcc_lo, v17, v1
	v_add_co_ci_u32_e32 v2, vcc_lo, 0, v18, vcc_lo
	flat_load_b64 v[1:2], v[1:2]
.LBB212_9:
	s_or_b32 exec_lo, exec_lo, s1
	v_add_nc_u32_e32 v13, 0x180, v0
	s_mov_b32 s1, exec_lo
	s_delay_alu instid0(VALU_DEP_1)
	v_cmpx_gt_u32_e64 s0, v13
	s_cbranch_execz .LBB212_11
; %bb.10:
	v_lshlrev_b32_e32 v3, 3, v0
	s_delay_alu instid0(VALU_DEP_1)
	v_add_co_u32 v3, vcc_lo, v17, v3
	v_add_co_ci_u32_e32 v4, vcc_lo, 0, v18, vcc_lo
	flat_load_b64 v[3:4], v[3:4] offset:3072
.LBB212_11:
	s_or_b32 exec_lo, exec_lo, s1
	v_add_nc_u32_e32 v13, 0x300, v0
	s_mov_b32 s1, exec_lo
	s_delay_alu instid0(VALU_DEP_1)
	v_cmpx_gt_u32_e64 s0, v13
	s_cbranch_execz .LBB212_13
; %bb.12:
	v_lshlrev_b32_e32 v5, 3, v13
	s_delay_alu instid0(VALU_DEP_1)
	v_add_co_u32 v5, vcc_lo, v17, v5
	v_add_co_ci_u32_e32 v6, vcc_lo, 0, v18, vcc_lo
	flat_load_b64 v[5:6], v[5:6]
.LBB212_13:
	s_or_b32 exec_lo, exec_lo, s1
	v_add_nc_u32_e32 v13, 0x480, v0
	s_mov_b32 s1, exec_lo
	s_delay_alu instid0(VALU_DEP_1)
	v_cmpx_gt_u32_e64 s0, v13
	s_cbranch_execz .LBB212_15
; %bb.14:
	v_lshlrev_b32_e32 v7, 3, v13
	s_delay_alu instid0(VALU_DEP_1)
	v_add_co_u32 v7, vcc_lo, v17, v7
	v_add_co_ci_u32_e32 v8, vcc_lo, 0, v18, vcc_lo
	flat_load_b64 v[7:8], v[7:8]
.LBB212_15:
	s_or_b32 exec_lo, exec_lo, s1
	v_or_b32_e32 v13, 0x600, v0
	s_mov_b32 s1, exec_lo
	s_delay_alu instid0(VALU_DEP_1)
	v_cmpx_gt_u32_e64 s0, v13
	s_cbranch_execz .LBB212_17
; %bb.16:
	v_lshlrev_b32_e32 v9, 3, v13
	s_delay_alu instid0(VALU_DEP_1)
	v_add_co_u32 v9, vcc_lo, v17, v9
	v_add_co_ci_u32_e32 v10, vcc_lo, 0, v18, vcc_lo
	flat_load_b64 v[9:10], v[9:10]
.LBB212_17:
	s_or_b32 exec_lo, exec_lo, s1
	v_add_nc_u32_e32 v13, 0x780, v0
	s_mov_b32 s1, exec_lo
	s_delay_alu instid0(VALU_DEP_1)
	v_cmpx_gt_u32_e64 s0, v13
	s_cbranch_execz .LBB212_19
; %bb.18:
	v_lshlrev_b32_e32 v11, 3, v13
	s_delay_alu instid0(VALU_DEP_1)
	v_add_co_u32 v11, vcc_lo, v17, v11
	v_add_co_ci_u32_e32 v12, vcc_lo, 0, v18, vcc_lo
	flat_load_b64 v[11:12], v[11:12]
.LBB212_19:
	s_or_b32 exec_lo, exec_lo, s1
	v_lshlrev_b32_e32 v13, 3, v0
	s_waitcnt vmcnt(0) lgkmcnt(0)
	ds_store_2addr_stride64_b64 v13, v[1:2], v[3:4] offset1:6
	ds_store_2addr_stride64_b64 v13, v[5:6], v[7:8] offset0:12 offset1:18
	ds_store_2addr_stride64_b64 v13, v[9:10], v[11:12] offset0:24 offset1:30
	s_waitcnt lgkmcnt(0)
	s_barrier
.LBB212_20:
	v_mul_u32_u24_e32 v13, 6, v0
	s_waitcnt vmcnt(0)
	buffer_gl0_inv
	s_and_not1_b32 vcc_lo, exec_lo, s6
	v_lshlrev_b32_e32 v37, 3, v13
	ds_load_b128 v[9:12], v37
	ds_load_b128 v[5:8], v37 offset:16
	ds_load_b128 v[1:4], v37 offset:32
	s_waitcnt lgkmcnt(0)
	s_barrier
	buffer_gl0_inv
	v_cvt_u32_f64_e32 v14, v[9:10]
	v_cvt_u32_f64_e32 v15, v[11:12]
	;; [unrolled: 1-line block ×6, first 2 shown]
	v_xor_b32_e32 v16, -1, v14
	v_xor_b32_e32 v18, -1, v15
	;; [unrolled: 1-line block ×6, first 2 shown]
	s_cbranch_vccnz .LBB212_22
; %bb.21:
	v_and_b32_e32 v20, 1, v18
	v_and_b32_e32 v23, 1, v19
	;; [unrolled: 1-line block ×5, first 2 shown]
	v_lshlrev_b16 v20, 8, v20
	v_lshlrev_b16 v23, 8, v23
	v_and_b32_e32 v33, 1, v15
	s_delay_alu instid0(VALU_DEP_3) | instskip(NEXT) | instid1(VALU_DEP_3)
	v_or_b32_e32 v20, v24, v20
	v_or_b32_e32 v23, v25, v23
	s_delay_alu instid0(VALU_DEP_2) | instskip(NEXT) | instid1(VALU_DEP_2)
	v_and_b32_e32 v20, 0xffff, v20
	v_lshlrev_b32_e32 v23, 16, v23
	s_delay_alu instid0(VALU_DEP_1)
	v_or_b32_e32 v36, v20, v23
	s_cbranch_execz .LBB212_23
	s_branch .LBB212_24
.LBB212_22:
                                        ; implicit-def: $vgpr33
                                        ; implicit-def: $vgpr34
                                        ; implicit-def: $vgpr36
.LBB212_23:
	v_or_b32_e32 v20, 1, v13
	v_add_nc_u32_e32 v23, 3, v13
	v_add_nc_u32_e32 v24, 2, v13
	s_delay_alu instid0(VALU_DEP_3) | instskip(SKIP_1) | instid1(VALU_DEP_4)
	v_cmp_gt_u32_e32 vcc_lo, s0, v20
	v_cndmask_b32_e64 v20, 0, 1, vcc_lo
	v_cmp_gt_u32_e32 vcc_lo, s0, v23
	s_delay_alu instid0(VALU_DEP_2)
	v_and_b32_e32 v18, v20, v18
	v_cndmask_b32_e64 v23, 0, 1, vcc_lo
	v_cmp_gt_u32_e32 vcc_lo, s0, v13
	v_add_nc_u32_e32 v20, 4, v13
	v_add_nc_u32_e32 v13, 5, v13
	v_lshlrev_b16 v18, 8, v18
	v_and_b32_e32 v19, v23, v19
	v_cndmask_b32_e64 v25, 0, 1, vcc_lo
	v_cmp_gt_u32_e32 vcc_lo, s0, v24
	s_delay_alu instid0(VALU_DEP_3) | instskip(NEXT) | instid1(VALU_DEP_3)
	v_lshlrev_b16 v19, 8, v19
	v_and_b32_e32 v16, v25, v16
	v_cndmask_b32_e64 v24, 0, 1, vcc_lo
	v_cmp_gt_u32_e32 vcc_lo, s0, v20
	s_delay_alu instid0(VALU_DEP_3) | instskip(NEXT) | instid1(VALU_DEP_3)
	v_or_b32_e32 v16, v16, v18
	v_and_b32_e32 v17, v24, v17
	v_cndmask_b32_e64 v18, 0, 1, vcc_lo
	v_cmp_gt_u32_e32 vcc_lo, s0, v13
	s_delay_alu instid0(VALU_DEP_4) | instskip(NEXT) | instid1(VALU_DEP_4)
	v_and_b32_e32 v16, 0xffff, v16
	v_or_b32_e32 v17, v17, v19
	s_delay_alu instid0(VALU_DEP_4) | instskip(SKIP_1) | instid1(VALU_DEP_3)
	v_and_b32_e32 v34, v18, v14
	v_cndmask_b32_e64 v13, 0, 1, vcc_lo
	v_lshlrev_b32_e32 v17, 16, v17
	s_delay_alu instid0(VALU_DEP_2) | instskip(NEXT) | instid1(VALU_DEP_2)
	v_and_b32_e32 v33, v13, v15
	v_or_b32_e32 v36, v16, v17
.LBB212_24:
	s_delay_alu instid0(VALU_DEP_1)
	v_dual_mov_b32 v14, 0 :: v_dual_and_b32 v41, 0xff, v36
	v_bfe_u32 v40, v36, 8, 8
	v_bfe_u32 v39, v36, 16, 8
	v_lshrrev_b32_e32 v35, 24, v36
	v_and_b32_e32 v38, 0xff, v34
	v_mbcnt_lo_u32_b32 v42, -1, 0
	v_add_co_u32 v13, s0, v40, v41
	s_delay_alu instid0(VALU_DEP_1) | instskip(SKIP_1) | instid1(VALU_DEP_3)
	v_add_co_ci_u32_e64 v15, null, 0, 0, s0
	v_and_b32_e32 v16, 0xff, v33
	v_add_co_u32 v13, vcc_lo, v13, v39
	s_delay_alu instid0(VALU_DEP_3) | instskip(SKIP_1) | instid1(VALU_DEP_3)
	v_add_co_ci_u32_e32 v15, vcc_lo, 0, v15, vcc_lo
	v_and_b32_e32 v43, 15, v42
	v_add_co_u32 v13, vcc_lo, v13, v35
	s_delay_alu instid0(VALU_DEP_3) | instskip(NEXT) | instid1(VALU_DEP_3)
	v_add_co_ci_u32_e32 v15, vcc_lo, 0, v15, vcc_lo
	v_cmp_ne_u32_e64 s0, 0, v43
	s_delay_alu instid0(VALU_DEP_3) | instskip(NEXT) | instid1(VALU_DEP_3)
	v_add_co_u32 v13, vcc_lo, v13, v38
	v_add_co_ci_u32_e32 v15, vcc_lo, 0, v15, vcc_lo
	s_cmp_lg_u32 s10, 0
	s_delay_alu instid0(VALU_DEP_2) | instskip(NEXT) | instid1(VALU_DEP_2)
	v_add_co_u32 v23, vcc_lo, v13, v16
	v_add_co_ci_u32_e32 v24, vcc_lo, 0, v15, vcc_lo
	s_mov_b32 s1, -1
	s_cbranch_scc0 .LBB212_93
; %bb.25:
	s_delay_alu instid0(VALU_DEP_2)
	v_mov_b32_e32 v15, v23
	v_mov_b32_dpp v13, v23 row_shr:1 row_mask:0xf bank_mask:0xf
	v_mov_b32_dpp v18, v14 row_shr:1 row_mask:0xf bank_mask:0xf
	v_dual_mov_b32 v17, v23 :: v_dual_mov_b32 v16, v24
	s_and_saveexec_b32 s1, s0
; %bb.26:
	s_delay_alu instid0(VALU_DEP_3) | instskip(SKIP_1) | instid1(VALU_DEP_2)
	v_add_co_u32 v17, vcc_lo, v23, v13
	v_add_co_ci_u32_e32 v14, vcc_lo, 0, v24, vcc_lo
	v_add_co_u32 v13, vcc_lo, 0, v17
	s_delay_alu instid0(VALU_DEP_2) | instskip(NEXT) | instid1(VALU_DEP_1)
	v_add_co_ci_u32_e32 v14, vcc_lo, v18, v14, vcc_lo
	v_dual_mov_b32 v16, v14 :: v_dual_mov_b32 v15, v13
; %bb.27:
	s_or_b32 exec_lo, exec_lo, s1
	v_mov_b32_dpp v13, v17 row_shr:2 row_mask:0xf bank_mask:0xf
	v_mov_b32_dpp v18, v14 row_shr:2 row_mask:0xf bank_mask:0xf
	v_cmp_lt_u32_e32 vcc_lo, 1, v43
	s_and_saveexec_b32 s3, vcc_lo
; %bb.28:
	s_delay_alu instid0(VALU_DEP_3) | instskip(NEXT) | instid1(VALU_DEP_1)
	v_add_co_u32 v17, s1, v15, v13
	v_add_co_ci_u32_e64 v14, s1, 0, v16, s1
	s_delay_alu instid0(VALU_DEP_2) | instskip(NEXT) | instid1(VALU_DEP_1)
	v_add_co_u32 v13, s1, 0, v17
	v_add_co_ci_u32_e64 v14, s1, v18, v14, s1
	s_delay_alu instid0(VALU_DEP_1)
	v_dual_mov_b32 v16, v14 :: v_dual_mov_b32 v15, v13
; %bb.29:
	s_or_b32 exec_lo, exec_lo, s3
	v_mov_b32_dpp v13, v17 row_shr:4 row_mask:0xf bank_mask:0xf
	v_mov_b32_dpp v18, v14 row_shr:4 row_mask:0xf bank_mask:0xf
	v_cmp_lt_u32_e64 s1, 3, v43
	s_delay_alu instid0(VALU_DEP_1)
	s_and_saveexec_b32 s4, s1
; %bb.30:
	s_delay_alu instid0(VALU_DEP_3) | instskip(NEXT) | instid1(VALU_DEP_1)
	v_add_co_u32 v17, s3, v15, v13
	v_add_co_ci_u32_e64 v14, s3, 0, v16, s3
	s_delay_alu instid0(VALU_DEP_2) | instskip(NEXT) | instid1(VALU_DEP_1)
	v_add_co_u32 v13, s3, 0, v17
	v_add_co_ci_u32_e64 v14, s3, v18, v14, s3
	s_delay_alu instid0(VALU_DEP_1)
	v_dual_mov_b32 v16, v14 :: v_dual_mov_b32 v15, v13
; %bb.31:
	s_or_b32 exec_lo, exec_lo, s4
	v_mov_b32_dpp v18, v17 row_shr:8 row_mask:0xf bank_mask:0xf
	v_mov_b32_dpp v13, v14 row_shr:8 row_mask:0xf bank_mask:0xf
	v_cmp_lt_u32_e64 s3, 7, v43
	s_delay_alu instid0(VALU_DEP_1)
	s_and_saveexec_b32 s7, s3
; %bb.32:
	s_delay_alu instid0(VALU_DEP_3) | instskip(NEXT) | instid1(VALU_DEP_1)
	v_add_co_u32 v17, s4, v15, v18
	v_add_co_ci_u32_e64 v14, s4, 0, v16, s4
	s_delay_alu instid0(VALU_DEP_2) | instskip(NEXT) | instid1(VALU_DEP_1)
	v_add_co_u32 v15, s4, 0, v17
	v_add_co_ci_u32_e64 v16, s4, v13, v14, s4
	s_delay_alu instid0(VALU_DEP_1)
	v_mov_b32_e32 v14, v16
; %bb.33:
	s_or_b32 exec_lo, exec_lo, s7
	ds_swizzle_b32 v13, v17 offset:swizzle(BROADCAST,32,15)
	ds_swizzle_b32 v18, v14 offset:swizzle(BROADCAST,32,15)
	v_and_b32_e32 v19, 16, v42
	s_mov_b32 s7, exec_lo
	s_delay_alu instid0(VALU_DEP_1)
	v_cmpx_ne_u32_e32 0, v19
	s_cbranch_execz .LBB212_35
; %bb.34:
	s_waitcnt lgkmcnt(1)
	v_add_co_u32 v17, s4, v15, v13
	s_delay_alu instid0(VALU_DEP_1) | instskip(NEXT) | instid1(VALU_DEP_2)
	v_add_co_ci_u32_e64 v14, s4, 0, v16, s4
	v_add_co_u32 v13, s4, 0, v17
	s_waitcnt lgkmcnt(0)
	s_delay_alu instid0(VALU_DEP_2) | instskip(NEXT) | instid1(VALU_DEP_1)
	v_add_co_ci_u32_e64 v14, s4, v18, v14, s4
	v_dual_mov_b32 v16, v14 :: v_dual_mov_b32 v15, v13
.LBB212_35:
	s_or_b32 exec_lo, exec_lo, s7
	s_waitcnt lgkmcnt(1)
	v_and_b32_e32 v13, 0x1e0, v0
	s_mov_b32 s7, exec_lo
	s_delay_alu instid0(VALU_DEP_1) | instskip(SKIP_1) | instid1(VALU_DEP_1)
	v_min_u32_e32 v13, 0x160, v13
	s_waitcnt lgkmcnt(0)
	v_or_b32_e32 v18, 31, v13
	v_lshrrev_b32_e32 v13, 5, v0
	s_delay_alu instid0(VALU_DEP_2)
	v_cmpx_eq_u32_e64 v18, v0
	s_cbranch_execz .LBB212_37
; %bb.36:
	s_delay_alu instid0(VALU_DEP_2)
	v_lshlrev_b32_e32 v18, 3, v13
	ds_store_b64 v18, v[15:16]
.LBB212_37:
	s_or_b32 exec_lo, exec_lo, s7
	s_delay_alu instid0(SALU_CYCLE_1)
	s_mov_b32 s7, exec_lo
	s_waitcnt lgkmcnt(0)
	s_barrier
	buffer_gl0_inv
	v_cmpx_gt_u32_e32 12, v0
	s_cbranch_execz .LBB212_47
; %bb.38:
	v_lshlrev_b32_e32 v18, 3, v0
	ds_load_b64 v[15:16], v18
	s_waitcnt lgkmcnt(0)
	v_mov_b32_e32 v19, v15
	v_mov_b32_dpp v25, v15 row_shr:1 row_mask:0xf bank_mask:0xf
	v_mov_b32_dpp v20, v16 row_shr:1 row_mask:0xf bank_mask:0xf
	s_and_saveexec_b32 s11, s0
; %bb.39:
	s_delay_alu instid0(VALU_DEP_2) | instskip(NEXT) | instid1(VALU_DEP_1)
	v_add_co_u32 v19, s4, v15, v25
	v_add_co_ci_u32_e64 v16, s4, 0, v16, s4
	s_delay_alu instid0(VALU_DEP_2) | instskip(NEXT) | instid1(VALU_DEP_1)
	v_add_co_u32 v15, s4, 0, v19
	v_add_co_ci_u32_e64 v16, s4, v20, v16, s4
; %bb.40:
	s_or_b32 exec_lo, exec_lo, s11
	v_mov_b32_dpp v25, v19 row_shr:2 row_mask:0xf bank_mask:0xf
	s_delay_alu instid0(VALU_DEP_2)
	v_mov_b32_dpp v20, v16 row_shr:2 row_mask:0xf bank_mask:0xf
	s_and_saveexec_b32 s4, vcc_lo
; %bb.41:
	s_delay_alu instid0(VALU_DEP_2) | instskip(SKIP_1) | instid1(VALU_DEP_2)
	v_add_co_u32 v19, vcc_lo, v15, v25
	v_add_co_ci_u32_e32 v16, vcc_lo, 0, v16, vcc_lo
	v_add_co_u32 v15, vcc_lo, 0, v19
	s_delay_alu instid0(VALU_DEP_2)
	v_add_co_ci_u32_e32 v16, vcc_lo, v20, v16, vcc_lo
; %bb.42:
	s_or_b32 exec_lo, exec_lo, s4
	v_mov_b32_dpp v25, v19 row_shr:4 row_mask:0xf bank_mask:0xf
	s_delay_alu instid0(VALU_DEP_2)
	v_mov_b32_dpp v20, v16 row_shr:4 row_mask:0xf bank_mask:0xf
	s_and_saveexec_b32 s4, s1
; %bb.43:
	s_delay_alu instid0(VALU_DEP_2) | instskip(SKIP_1) | instid1(VALU_DEP_2)
	v_add_co_u32 v19, vcc_lo, v15, v25
	v_add_co_ci_u32_e32 v16, vcc_lo, 0, v16, vcc_lo
	v_add_co_u32 v15, vcc_lo, 0, v19
	s_delay_alu instid0(VALU_DEP_2)
	v_add_co_ci_u32_e32 v16, vcc_lo, v20, v16, vcc_lo
; %bb.44:
	s_or_b32 exec_lo, exec_lo, s4
	v_mov_b32_dpp v20, v19 row_shr:8 row_mask:0xf bank_mask:0xf
	s_delay_alu instid0(VALU_DEP_2)
	v_mov_b32_dpp v19, v16 row_shr:8 row_mask:0xf bank_mask:0xf
	s_and_saveexec_b32 s1, s3
; %bb.45:
	s_delay_alu instid0(VALU_DEP_2) | instskip(SKIP_1) | instid1(VALU_DEP_2)
	v_add_co_u32 v15, vcc_lo, v15, v20
	v_add_co_ci_u32_e32 v16, vcc_lo, 0, v16, vcc_lo
	v_add_co_u32 v15, vcc_lo, v15, 0
	s_delay_alu instid0(VALU_DEP_2)
	v_add_co_ci_u32_e32 v16, vcc_lo, v16, v19, vcc_lo
; %bb.46:
	s_or_b32 exec_lo, exec_lo, s1
	ds_store_b64 v18, v[15:16]
.LBB212_47:
	s_or_b32 exec_lo, exec_lo, s7
	v_cmp_gt_u32_e32 vcc_lo, 32, v0
	s_mov_b32 s3, exec_lo
	s_waitcnt lgkmcnt(0)
	s_barrier
	buffer_gl0_inv
                                        ; implicit-def: $vgpr25_vgpr26
	v_cmpx_lt_u32_e32 31, v0
	s_cbranch_execz .LBB212_49
; %bb.48:
	v_lshl_add_u32 v13, v13, 3, -8
	ds_load_b64 v[25:26], v13
	s_waitcnt lgkmcnt(0)
	v_add_co_u32 v17, s1, v17, v25
	s_delay_alu instid0(VALU_DEP_1)
	v_add_co_ci_u32_e64 v14, s1, v14, v26, s1
.LBB212_49:
	s_or_b32 exec_lo, exec_lo, s3
	v_add_nc_u32_e32 v13, -1, v42
	s_delay_alu instid0(VALU_DEP_1) | instskip(NEXT) | instid1(VALU_DEP_1)
	v_cmp_gt_i32_e64 s1, 0, v13
	v_cndmask_b32_e64 v13, v13, v42, s1
	v_cmp_eq_u32_e64 s1, 0, v42
	s_delay_alu instid0(VALU_DEP_2)
	v_lshlrev_b32_e32 v13, 2, v13
	ds_bpermute_b32 v31, v13, v17
	ds_bpermute_b32 v32, v13, v14
	s_and_saveexec_b32 s3, vcc_lo
	s_cbranch_execz .LBB212_92
; %bb.50:
	v_mov_b32_e32 v16, 0
	ds_load_b64 v[13:14], v16 offset:88
	s_and_saveexec_b32 s4, s1
	s_cbranch_execz .LBB212_52
; %bb.51:
	s_add_i32 s16, s10, 32
	s_mov_b32 s17, 0
	s_delay_alu instid0(SALU_CYCLE_1) | instskip(NEXT) | instid1(SALU_CYCLE_1)
	s_lshl_b64 s[16:17], s[16:17], 4
	s_add_u32 s16, s14, s16
	s_addc_u32 s17, s15, s17
	s_delay_alu instid0(SALU_CYCLE_1)
	v_dual_mov_b32 v15, 1 :: v_dual_mov_b32 v18, s17
	v_mov_b32_e32 v17, s16
	s_waitcnt lgkmcnt(0)
	;;#ASMSTART
	global_store_dwordx4 v[17:18], v[13:16] off	
s_waitcnt vmcnt(0)
	;;#ASMEND
.LBB212_52:
	s_or_b32 exec_lo, exec_lo, s4
	v_xad_u32 v27, v42, -1, s10
	s_mov_b32 s7, 0
	s_mov_b32 s4, exec_lo
	s_delay_alu instid0(VALU_DEP_1) | instskip(NEXT) | instid1(VALU_DEP_1)
	v_add_nc_u32_e32 v15, 32, v27
	v_lshlrev_b64 v[15:16], 4, v[15:16]
	s_delay_alu instid0(VALU_DEP_1) | instskip(NEXT) | instid1(VALU_DEP_2)
	v_add_co_u32 v15, vcc_lo, s14, v15
	v_add_co_ci_u32_e32 v16, vcc_lo, s15, v16, vcc_lo
	;;#ASMSTART
	global_load_dwordx4 v[17:20], v[15:16] off glc	
s_waitcnt vmcnt(0)
	;;#ASMEND
	v_and_b32_e32 v20, 0xff, v18
	v_and_b32_e32 v28, 0xff00, v18
	v_or3_b32 v17, v17, 0, 0
	v_and_b32_e32 v29, 0xff000000, v18
	v_and_b32_e32 v18, 0xff0000, v18
	s_delay_alu instid0(VALU_DEP_4) | instskip(SKIP_2) | instid1(VALU_DEP_3)
	v_or3_b32 v20, 0, v20, v28
	v_and_b32_e32 v28, 0xff, v19
	v_or3_b32 v17, v17, 0, 0
	v_or3_b32 v18, v20, v18, v29
	s_delay_alu instid0(VALU_DEP_3)
	v_cmpx_eq_u16_e32 0, v28
	s_cbranch_execz .LBB212_58
; %bb.53:
	s_mov_b32 s11, 1
	.p2align	6
.LBB212_54:                             ; =>This Loop Header: Depth=1
                                        ;     Child Loop BB212_55 Depth 2
	s_delay_alu instid0(SALU_CYCLE_1)
	s_max_u32 s16, s11, 1
.LBB212_55:                             ;   Parent Loop BB212_54 Depth=1
                                        ; =>  This Inner Loop Header: Depth=2
	s_delay_alu instid0(SALU_CYCLE_1)
	s_add_i32 s16, s16, -1
	s_sleep 1
	s_cmp_eq_u32 s16, 0
	s_cbranch_scc0 .LBB212_55
; %bb.56:                               ;   in Loop: Header=BB212_54 Depth=1
	;;#ASMSTART
	global_load_dwordx4 v[17:20], v[15:16] off glc	
s_waitcnt vmcnt(0)
	;;#ASMEND
	v_and_b32_e32 v20, 0xff, v19
	s_cmp_lt_u32 s11, 32
	s_cselect_b32 s16, -1, 0
	s_delay_alu instid0(SALU_CYCLE_1) | instskip(NEXT) | instid1(VALU_DEP_1)
	s_cmp_lg_u32 s16, 0
	v_cmp_ne_u16_e32 vcc_lo, 0, v20
	s_addc_u32 s11, s11, 0
	s_or_b32 s7, vcc_lo, s7
	s_delay_alu instid0(SALU_CYCLE_1)
	s_and_not1_b32 exec_lo, exec_lo, s7
	s_cbranch_execnz .LBB212_54
; %bb.57:
	s_or_b32 exec_lo, exec_lo, s7
.LBB212_58:
	s_delay_alu instid0(SALU_CYCLE_1)
	s_or_b32 exec_lo, exec_lo, s4
	v_cmp_ne_u32_e32 vcc_lo, 31, v42
	v_and_b32_e32 v16, 0xff, v19
	v_lshlrev_b32_e64 v45, v42, -1
	s_mov_b32 s4, exec_lo
	v_add_co_ci_u32_e32 v15, vcc_lo, 0, v42, vcc_lo
	s_delay_alu instid0(VALU_DEP_3) | instskip(SKIP_1) | instid1(VALU_DEP_3)
	v_cmp_eq_u16_e32 vcc_lo, 2, v16
	v_mov_b32_e32 v16, v17
	v_lshlrev_b32_e32 v44, 2, v15
	v_and_or_b32 v15, vcc_lo, v45, 0x80000000
	ds_bpermute_b32 v28, v44, v17
	ds_bpermute_b32 v20, v44, v18
	v_ctz_i32_b32_e32 v15, v15
	s_delay_alu instid0(VALU_DEP_1)
	v_cmpx_lt_u32_e64 v42, v15
	s_cbranch_execz .LBB212_60
; %bb.59:
	s_waitcnt lgkmcnt(1)
	v_add_co_u32 v16, vcc_lo, v17, v28
	v_add_co_ci_u32_e32 v18, vcc_lo, 0, v18, vcc_lo
	s_delay_alu instid0(VALU_DEP_2) | instskip(SKIP_1) | instid1(VALU_DEP_2)
	v_add_co_u32 v17, vcc_lo, 0, v16
	s_waitcnt lgkmcnt(0)
	v_add_co_ci_u32_e32 v18, vcc_lo, v20, v18, vcc_lo
.LBB212_60:
	s_or_b32 exec_lo, exec_lo, s4
	v_cmp_gt_u32_e32 vcc_lo, 30, v42
	v_add_nc_u32_e32 v47, 2, v42
	s_mov_b32 s4, exec_lo
	s_waitcnt lgkmcnt(0)
	v_cndmask_b32_e64 v20, 0, 1, vcc_lo
	s_delay_alu instid0(VALU_DEP_1) | instskip(NEXT) | instid1(VALU_DEP_1)
	v_lshlrev_b32_e32 v20, 1, v20
	v_add_lshl_u32 v46, v20, v42, 2
	ds_bpermute_b32 v28, v46, v16
	ds_bpermute_b32 v20, v46, v18
	v_cmpx_le_u32_e64 v47, v15
	s_cbranch_execz .LBB212_62
; %bb.61:
	s_waitcnt lgkmcnt(1)
	v_add_co_u32 v16, vcc_lo, v17, v28
	v_add_co_ci_u32_e32 v18, vcc_lo, 0, v18, vcc_lo
	s_delay_alu instid0(VALU_DEP_2) | instskip(SKIP_1) | instid1(VALU_DEP_2)
	v_add_co_u32 v17, vcc_lo, 0, v16
	s_waitcnt lgkmcnt(0)
	v_add_co_ci_u32_e32 v18, vcc_lo, v20, v18, vcc_lo
.LBB212_62:
	s_or_b32 exec_lo, exec_lo, s4
	v_cmp_gt_u32_e32 vcc_lo, 28, v42
	v_add_nc_u32_e32 v49, 4, v42
	s_mov_b32 s4, exec_lo
	s_waitcnt lgkmcnt(0)
	v_cndmask_b32_e64 v20, 0, 1, vcc_lo
	s_delay_alu instid0(VALU_DEP_1) | instskip(NEXT) | instid1(VALU_DEP_1)
	v_lshlrev_b32_e32 v20, 2, v20
	v_add_lshl_u32 v48, v20, v42, 2
	ds_bpermute_b32 v28, v48, v16
	ds_bpermute_b32 v20, v48, v18
	v_cmpx_le_u32_e64 v49, v15
	;; [unrolled: 22-line block ×4, first 2 shown]
	s_cbranch_execz .LBB212_68
; %bb.67:
	s_waitcnt lgkmcnt(1)
	v_add_co_u32 v15, vcc_lo, v17, v20
	v_add_co_ci_u32_e32 v18, vcc_lo, 0, v18, vcc_lo
	s_delay_alu instid0(VALU_DEP_2) | instskip(SKIP_1) | instid1(VALU_DEP_2)
	v_add_co_u32 v17, vcc_lo, v15, 0
	s_waitcnt lgkmcnt(0)
	v_add_co_ci_u32_e32 v18, vcc_lo, v18, v16, vcc_lo
.LBB212_68:
	s_or_b32 exec_lo, exec_lo, s4
	v_mov_b32_e32 v28, 0
	s_branch .LBB212_70
.LBB212_69:                             ;   in Loop: Header=BB212_70 Depth=1
	s_or_b32 exec_lo, exec_lo, s4
	v_add_co_u32 v17, vcc_lo, v17, v15
	v_subrev_nc_u32_e32 v27, 32, v27
	v_add_co_ci_u32_e32 v18, vcc_lo, v18, v16, vcc_lo
.LBB212_70:                             ; =>This Loop Header: Depth=1
                                        ;     Child Loop BB212_73 Depth 2
                                        ;       Child Loop BB212_74 Depth 3
	v_and_b32_e32 v15, 0xff, v19
	s_delay_alu instid0(VALU_DEP_1) | instskip(SKIP_2) | instid1(VALU_DEP_1)
	v_cmp_ne_u16_e32 vcc_lo, 2, v15
	v_cndmask_b32_e64 v15, 0, 1, vcc_lo
	;;#ASMSTART
	;;#ASMEND
	v_cmp_ne_u32_e32 vcc_lo, 0, v15
	s_waitcnt lgkmcnt(0)
	v_dual_mov_b32 v15, v17 :: v_dual_mov_b32 v16, v18
	s_cmp_lg_u32 vcc_lo, exec_lo
	s_cbranch_scc1 .LBB212_87
; %bb.71:                               ;   in Loop: Header=BB212_70 Depth=1
	v_lshlrev_b64 v[17:18], 4, v[27:28]
	s_mov_b32 s4, exec_lo
	s_delay_alu instid0(VALU_DEP_1) | instskip(NEXT) | instid1(VALU_DEP_2)
	v_add_co_u32 v29, vcc_lo, s14, v17
	v_add_co_ci_u32_e32 v30, vcc_lo, s15, v18, vcc_lo
	;;#ASMSTART
	global_load_dwordx4 v[17:20], v[29:30] off glc	
s_waitcnt vmcnt(0)
	;;#ASMEND
	v_and_b32_e32 v20, 0xff, v18
	v_and_b32_e32 v54, 0xff00, v18
	v_or3_b32 v17, v17, 0, 0
	v_and_b32_e32 v55, 0xff000000, v18
	v_and_b32_e32 v18, 0xff0000, v18
	s_delay_alu instid0(VALU_DEP_4) | instskip(SKIP_2) | instid1(VALU_DEP_3)
	v_or3_b32 v20, 0, v20, v54
	v_and_b32_e32 v54, 0xff, v19
	v_or3_b32 v17, v17, 0, 0
	v_or3_b32 v18, v20, v18, v55
	s_delay_alu instid0(VALU_DEP_3)
	v_cmpx_eq_u16_e32 0, v54
	s_cbranch_execz .LBB212_77
; %bb.72:                               ;   in Loop: Header=BB212_70 Depth=1
	s_mov_b32 s11, 1
	s_mov_b32 s7, 0
	.p2align	6
.LBB212_73:                             ;   Parent Loop BB212_70 Depth=1
                                        ; =>  This Loop Header: Depth=2
                                        ;       Child Loop BB212_74 Depth 3
	s_max_u32 s16, s11, 1
.LBB212_74:                             ;   Parent Loop BB212_70 Depth=1
                                        ;     Parent Loop BB212_73 Depth=2
                                        ; =>    This Inner Loop Header: Depth=3
	s_delay_alu instid0(SALU_CYCLE_1)
	s_add_i32 s16, s16, -1
	s_sleep 1
	s_cmp_eq_u32 s16, 0
	s_cbranch_scc0 .LBB212_74
; %bb.75:                               ;   in Loop: Header=BB212_73 Depth=2
	;;#ASMSTART
	global_load_dwordx4 v[17:20], v[29:30] off glc	
s_waitcnt vmcnt(0)
	;;#ASMEND
	v_and_b32_e32 v20, 0xff, v19
	s_cmp_lt_u32 s11, 32
	s_cselect_b32 s16, -1, 0
	s_delay_alu instid0(SALU_CYCLE_1) | instskip(NEXT) | instid1(VALU_DEP_1)
	s_cmp_lg_u32 s16, 0
	v_cmp_ne_u16_e32 vcc_lo, 0, v20
	s_addc_u32 s11, s11, 0
	s_or_b32 s7, vcc_lo, s7
	s_delay_alu instid0(SALU_CYCLE_1)
	s_and_not1_b32 exec_lo, exec_lo, s7
	s_cbranch_execnz .LBB212_73
; %bb.76:                               ;   in Loop: Header=BB212_70 Depth=1
	s_or_b32 exec_lo, exec_lo, s7
.LBB212_77:                             ;   in Loop: Header=BB212_70 Depth=1
	s_delay_alu instid0(SALU_CYCLE_1)
	s_or_b32 exec_lo, exec_lo, s4
	v_dual_mov_b32 v29, v17 :: v_dual_and_b32 v20, 0xff, v19
	ds_bpermute_b32 v54, v44, v17
	ds_bpermute_b32 v30, v44, v18
	s_mov_b32 s4, exec_lo
	v_cmp_eq_u16_e32 vcc_lo, 2, v20
	v_and_or_b32 v20, vcc_lo, v45, 0x80000000
	s_delay_alu instid0(VALU_DEP_1) | instskip(NEXT) | instid1(VALU_DEP_1)
	v_ctz_i32_b32_e32 v20, v20
	v_cmpx_lt_u32_e64 v42, v20
	s_cbranch_execz .LBB212_79
; %bb.78:                               ;   in Loop: Header=BB212_70 Depth=1
	s_waitcnt lgkmcnt(1)
	v_add_co_u32 v29, vcc_lo, v17, v54
	v_add_co_ci_u32_e32 v18, vcc_lo, 0, v18, vcc_lo
	s_delay_alu instid0(VALU_DEP_2) | instskip(SKIP_1) | instid1(VALU_DEP_2)
	v_add_co_u32 v17, vcc_lo, 0, v29
	s_waitcnt lgkmcnt(0)
	v_add_co_ci_u32_e32 v18, vcc_lo, v30, v18, vcc_lo
.LBB212_79:                             ;   in Loop: Header=BB212_70 Depth=1
	s_or_b32 exec_lo, exec_lo, s4
	s_waitcnt lgkmcnt(1)
	ds_bpermute_b32 v54, v46, v29
	s_waitcnt lgkmcnt(1)
	ds_bpermute_b32 v30, v46, v18
	s_mov_b32 s4, exec_lo
	v_cmpx_le_u32_e64 v47, v20
	s_cbranch_execz .LBB212_81
; %bb.80:                               ;   in Loop: Header=BB212_70 Depth=1
	s_waitcnt lgkmcnt(1)
	v_add_co_u32 v29, vcc_lo, v17, v54
	v_add_co_ci_u32_e32 v18, vcc_lo, 0, v18, vcc_lo
	s_delay_alu instid0(VALU_DEP_2) | instskip(SKIP_1) | instid1(VALU_DEP_2)
	v_add_co_u32 v17, vcc_lo, 0, v29
	s_waitcnt lgkmcnt(0)
	v_add_co_ci_u32_e32 v18, vcc_lo, v30, v18, vcc_lo
.LBB212_81:                             ;   in Loop: Header=BB212_70 Depth=1
	s_or_b32 exec_lo, exec_lo, s4
	s_waitcnt lgkmcnt(1)
	ds_bpermute_b32 v54, v48, v29
	s_waitcnt lgkmcnt(1)
	ds_bpermute_b32 v30, v48, v18
	s_mov_b32 s4, exec_lo
	v_cmpx_le_u32_e64 v49, v20
	;; [unrolled: 17-line block ×3, first 2 shown]
	s_cbranch_execz .LBB212_85
; %bb.84:                               ;   in Loop: Header=BB212_70 Depth=1
	s_waitcnt lgkmcnt(1)
	v_add_co_u32 v29, vcc_lo, v17, v54
	v_add_co_ci_u32_e32 v18, vcc_lo, 0, v18, vcc_lo
	s_delay_alu instid0(VALU_DEP_2) | instskip(SKIP_1) | instid1(VALU_DEP_2)
	v_add_co_u32 v17, vcc_lo, 0, v29
	s_waitcnt lgkmcnt(0)
	v_add_co_ci_u32_e32 v18, vcc_lo, v30, v18, vcc_lo
.LBB212_85:                             ;   in Loop: Header=BB212_70 Depth=1
	s_or_b32 exec_lo, exec_lo, s4
	s_waitcnt lgkmcnt(0)
	ds_bpermute_b32 v30, v52, v29
	ds_bpermute_b32 v29, v52, v18
	s_mov_b32 s4, exec_lo
	v_cmpx_le_u32_e64 v53, v20
	s_cbranch_execz .LBB212_69
; %bb.86:                               ;   in Loop: Header=BB212_70 Depth=1
	s_waitcnt lgkmcnt(1)
	v_add_co_u32 v17, vcc_lo, v17, v30
	v_add_co_ci_u32_e32 v18, vcc_lo, 0, v18, vcc_lo
	s_delay_alu instid0(VALU_DEP_2) | instskip(SKIP_1) | instid1(VALU_DEP_2)
	v_add_co_u32 v17, vcc_lo, v17, 0
	s_waitcnt lgkmcnt(0)
	v_add_co_ci_u32_e32 v18, vcc_lo, v18, v29, vcc_lo
	s_branch .LBB212_69
.LBB212_87:                             ;   in Loop: Header=BB212_70 Depth=1
                                        ; implicit-def: $vgpr17_vgpr18
	s_cbranch_execz .LBB212_70
; %bb.88:
	s_and_saveexec_b32 s4, s1
	s_cbranch_execz .LBB212_90
; %bb.89:
	s_add_i32 s10, s10, 32
	s_mov_b32 s11, 0
	v_add_co_u32 v17, vcc_lo, v15, v13
	s_lshl_b64 s[10:11], s[10:11], 4
	v_dual_mov_b32 v19, 2 :: v_dual_mov_b32 v20, 0
	s_add_u32 s10, s14, s10
	s_addc_u32 s11, s15, s11
	v_add_co_ci_u32_e32 v18, vcc_lo, v16, v14, vcc_lo
	v_dual_mov_b32 v28, s11 :: v_dual_mov_b32 v27, s10
	;;#ASMSTART
	global_store_dwordx4 v[27:28], v[17:20] off	
s_waitcnt vmcnt(0)
	;;#ASMEND
	ds_store_b128 v20, v[13:16] offset:18432
.LBB212_90:
	s_or_b32 exec_lo, exec_lo, s4
	s_delay_alu instid0(SALU_CYCLE_1)
	s_and_b32 exec_lo, exec_lo, s2
	s_cbranch_execz .LBB212_92
; %bb.91:
	v_mov_b32_e32 v13, 0
	ds_store_b64 v13, v[15:16] offset:88
.LBB212_92:
	s_or_b32 exec_lo, exec_lo, s3
	v_mov_b32_e32 v15, 0
	s_waitcnt lgkmcnt(0)
	s_barrier
	buffer_gl0_inv
	v_cndmask_b32_e64 v16, v31, v25, s1
	ds_load_b64 v[13:14], v15 offset:88
	v_cndmask_b32_e64 v17, v32, v26, s1
	s_waitcnt lgkmcnt(0)
	s_barrier
	v_cndmask_b32_e64 v16, v16, 0, s2
	buffer_gl0_inv
	v_cndmask_b32_e64 v17, v17, 0, s2
	v_add_co_u32 v31, vcc_lo, v13, v16
	s_delay_alu instid0(VALU_DEP_2) | instskip(SKIP_3) | instid1(VALU_DEP_2)
	v_add_co_ci_u32_e32 v32, vcc_lo, v14, v17, vcc_lo
	ds_load_b128 v[13:16], v15 offset:18432
	v_add_co_u32 v29, vcc_lo, v31, v41
	v_add_co_ci_u32_e32 v30, vcc_lo, 0, v32, vcc_lo
	v_add_co_u32 v27, vcc_lo, v29, v40
	s_delay_alu instid0(VALU_DEP_2) | instskip(NEXT) | instid1(VALU_DEP_2)
	v_add_co_ci_u32_e32 v28, vcc_lo, 0, v30, vcc_lo
	v_add_co_u32 v25, vcc_lo, v27, v39
	s_delay_alu instid0(VALU_DEP_2) | instskip(NEXT) | instid1(VALU_DEP_2)
	;; [unrolled: 3-line block ×3, first 2 shown]
	v_add_co_ci_u32_e32 v20, vcc_lo, 0, v26, vcc_lo
	v_add_co_u32 v17, vcc_lo, v19, v38
	s_delay_alu instid0(VALU_DEP_2)
	v_add_co_ci_u32_e32 v18, vcc_lo, 0, v20, vcc_lo
	s_branch .LBB212_121
.LBB212_93:
                                        ; implicit-def: $vgpr17_vgpr18
                                        ; implicit-def: $vgpr19_vgpr20
                                        ; implicit-def: $vgpr25_vgpr26
                                        ; implicit-def: $vgpr27_vgpr28
                                        ; implicit-def: $vgpr29_vgpr30
                                        ; implicit-def: $vgpr31_vgpr32
                                        ; implicit-def: $vgpr15_vgpr16
	s_and_b32 vcc_lo, exec_lo, s1
	s_cbranch_vccz .LBB212_121
; %bb.94:
	s_waitcnt lgkmcnt(0)
	v_dual_mov_b32 v14, 0 :: v_dual_mov_b32 v15, v23
	v_mov_b32_dpp v16, v23 row_shr:1 row_mask:0xf bank_mask:0xf
	s_delay_alu instid0(VALU_DEP_2)
	v_mov_b32_dpp v13, v14 row_shr:1 row_mask:0xf bank_mask:0xf
	s_and_saveexec_b32 s1, s0
; %bb.95:
	s_delay_alu instid0(VALU_DEP_2) | instskip(SKIP_1) | instid1(VALU_DEP_2)
	v_add_co_u32 v15, vcc_lo, v23, v16
	v_add_co_ci_u32_e32 v14, vcc_lo, 0, v24, vcc_lo
	v_add_co_u32 v23, vcc_lo, 0, v15
	s_delay_alu instid0(VALU_DEP_2) | instskip(NEXT) | instid1(VALU_DEP_1)
	v_add_co_ci_u32_e32 v24, vcc_lo, v13, v14, vcc_lo
	v_mov_b32_e32 v14, v24
; %bb.96:
	s_or_b32 exec_lo, exec_lo, s1
	v_mov_b32_dpp v13, v15 row_shr:2 row_mask:0xf bank_mask:0xf
	s_delay_alu instid0(VALU_DEP_2)
	v_mov_b32_dpp v16, v14 row_shr:2 row_mask:0xf bank_mask:0xf
	v_cmp_lt_u32_e32 vcc_lo, 1, v43
	s_and_saveexec_b32 s3, vcc_lo
; %bb.97:
	s_delay_alu instid0(VALU_DEP_3) | instskip(NEXT) | instid1(VALU_DEP_1)
	v_add_co_u32 v15, s1, v23, v13
	v_add_co_ci_u32_e64 v14, s1, 0, v24, s1
	s_delay_alu instid0(VALU_DEP_2) | instskip(NEXT) | instid1(VALU_DEP_1)
	v_add_co_u32 v13, s1, 0, v15
	v_add_co_ci_u32_e64 v14, s1, v16, v14, s1
	s_delay_alu instid0(VALU_DEP_1)
	v_dual_mov_b32 v24, v14 :: v_dual_mov_b32 v23, v13
; %bb.98:
	s_or_b32 exec_lo, exec_lo, s3
	v_mov_b32_dpp v13, v15 row_shr:4 row_mask:0xf bank_mask:0xf
	v_mov_b32_dpp v16, v14 row_shr:4 row_mask:0xf bank_mask:0xf
	v_cmp_lt_u32_e64 s1, 3, v43
	s_delay_alu instid0(VALU_DEP_1)
	s_and_saveexec_b32 s4, s1
; %bb.99:
	s_delay_alu instid0(VALU_DEP_3) | instskip(NEXT) | instid1(VALU_DEP_1)
	v_add_co_u32 v15, s3, v23, v13
	v_add_co_ci_u32_e64 v14, s3, 0, v24, s3
	s_delay_alu instid0(VALU_DEP_2) | instskip(NEXT) | instid1(VALU_DEP_1)
	v_add_co_u32 v13, s3, 0, v15
	v_add_co_ci_u32_e64 v14, s3, v16, v14, s3
	s_delay_alu instid0(VALU_DEP_1)
	v_dual_mov_b32 v24, v14 :: v_dual_mov_b32 v23, v13
; %bb.100:
	s_or_b32 exec_lo, exec_lo, s4
	v_mov_b32_dpp v16, v15 row_shr:8 row_mask:0xf bank_mask:0xf
	v_mov_b32_dpp v13, v14 row_shr:8 row_mask:0xf bank_mask:0xf
	v_cmp_lt_u32_e64 s3, 7, v43
	s_delay_alu instid0(VALU_DEP_1)
	s_and_saveexec_b32 s7, s3
; %bb.101:
	s_delay_alu instid0(VALU_DEP_3) | instskip(NEXT) | instid1(VALU_DEP_1)
	v_add_co_u32 v15, s4, v23, v16
	v_add_co_ci_u32_e64 v14, s4, 0, v24, s4
	s_delay_alu instid0(VALU_DEP_2) | instskip(NEXT) | instid1(VALU_DEP_1)
	v_add_co_u32 v23, s4, 0, v15
	v_add_co_ci_u32_e64 v24, s4, v13, v14, s4
	s_delay_alu instid0(VALU_DEP_1)
	v_mov_b32_e32 v14, v24
; %bb.102:
	s_or_b32 exec_lo, exec_lo, s7
	ds_swizzle_b32 v15, v15 offset:swizzle(BROADCAST,32,15)
	ds_swizzle_b32 v13, v14 offset:swizzle(BROADCAST,32,15)
	v_and_b32_e32 v14, 16, v42
	s_mov_b32 s7, exec_lo
	s_delay_alu instid0(VALU_DEP_1)
	v_cmpx_ne_u32_e32 0, v14
	s_cbranch_execz .LBB212_104
; %bb.103:
	s_waitcnt lgkmcnt(1)
	v_add_co_u32 v14, s4, v23, v15
	s_delay_alu instid0(VALU_DEP_1) | instskip(NEXT) | instid1(VALU_DEP_2)
	v_add_co_ci_u32_e64 v15, s4, 0, v24, s4
	v_add_co_u32 v23, s4, v14, 0
	s_waitcnt lgkmcnt(0)
	s_delay_alu instid0(VALU_DEP_2)
	v_add_co_ci_u32_e64 v24, s4, v15, v13, s4
.LBB212_104:
	s_or_b32 exec_lo, exec_lo, s7
	s_waitcnt lgkmcnt(0)
	v_and_b32_e32 v13, 0x1e0, v0
	v_lshrrev_b32_e32 v15, 5, v0
	s_mov_b32 s7, exec_lo
	s_delay_alu instid0(VALU_DEP_2) | instskip(NEXT) | instid1(VALU_DEP_1)
	v_min_u32_e32 v13, 0x160, v13
	v_or_b32_e32 v13, 31, v13
	s_delay_alu instid0(VALU_DEP_1)
	v_cmpx_eq_u32_e64 v13, v0
	s_cbranch_execz .LBB212_106
; %bb.105:
	v_lshlrev_b32_e32 v13, 3, v15
	ds_store_b64 v13, v[23:24]
.LBB212_106:
	s_or_b32 exec_lo, exec_lo, s7
	s_delay_alu instid0(SALU_CYCLE_1)
	s_mov_b32 s7, exec_lo
	s_waitcnt lgkmcnt(0)
	s_barrier
	buffer_gl0_inv
	v_cmpx_gt_u32_e32 12, v0
	s_cbranch_execz .LBB212_116
; %bb.107:
	v_mad_i32_i24 v13, 0xffffffd8, v0, v37
	ds_load_b64 v[13:14], v13
	s_waitcnt lgkmcnt(0)
	v_mov_b32_dpp v18, v13 row_shr:1 row_mask:0xf bank_mask:0xf
	v_mov_b32_dpp v17, v14 row_shr:1 row_mask:0xf bank_mask:0xf
	v_mov_b32_e32 v16, v13
	s_and_saveexec_b32 s4, s0
; %bb.108:
	s_delay_alu instid0(VALU_DEP_3) | instskip(NEXT) | instid1(VALU_DEP_1)
	v_add_co_u32 v16, s0, v13, v18
	v_add_co_ci_u32_e64 v14, s0, 0, v14, s0
	s_delay_alu instid0(VALU_DEP_2) | instskip(NEXT) | instid1(VALU_DEP_1)
	v_add_co_u32 v13, s0, 0, v16
	v_add_co_ci_u32_e64 v14, s0, v17, v14, s0
; %bb.109:
	s_or_b32 exec_lo, exec_lo, s4
	v_mov_b32_dpp v18, v16 row_shr:2 row_mask:0xf bank_mask:0xf
	s_delay_alu instid0(VALU_DEP_2)
	v_mov_b32_dpp v17, v14 row_shr:2 row_mask:0xf bank_mask:0xf
	s_and_saveexec_b32 s0, vcc_lo
; %bb.110:
	s_delay_alu instid0(VALU_DEP_2) | instskip(SKIP_1) | instid1(VALU_DEP_2)
	v_add_co_u32 v16, vcc_lo, v13, v18
	v_add_co_ci_u32_e32 v14, vcc_lo, 0, v14, vcc_lo
	v_add_co_u32 v13, vcc_lo, 0, v16
	s_delay_alu instid0(VALU_DEP_2)
	v_add_co_ci_u32_e32 v14, vcc_lo, v17, v14, vcc_lo
; %bb.111:
	s_or_b32 exec_lo, exec_lo, s0
	v_mov_b32_dpp v18, v16 row_shr:4 row_mask:0xf bank_mask:0xf
	s_delay_alu instid0(VALU_DEP_2)
	v_mov_b32_dpp v17, v14 row_shr:4 row_mask:0xf bank_mask:0xf
	s_and_saveexec_b32 s0, s1
; %bb.112:
	s_delay_alu instid0(VALU_DEP_2) | instskip(SKIP_1) | instid1(VALU_DEP_2)
	v_add_co_u32 v16, vcc_lo, v13, v18
	v_add_co_ci_u32_e32 v14, vcc_lo, 0, v14, vcc_lo
	v_add_co_u32 v13, vcc_lo, 0, v16
	s_delay_alu instid0(VALU_DEP_2)
	v_add_co_ci_u32_e32 v14, vcc_lo, v17, v14, vcc_lo
; %bb.113:
	s_or_b32 exec_lo, exec_lo, s0
	v_mul_i32_i24_e32 v17, 0xffffffd8, v0
	v_mov_b32_dpp v18, v16 row_shr:8 row_mask:0xf bank_mask:0xf
	s_delay_alu instid0(VALU_DEP_3)
	v_mov_b32_dpp v16, v14 row_shr:8 row_mask:0xf bank_mask:0xf
	s_and_saveexec_b32 s0, s3
; %bb.114:
	s_delay_alu instid0(VALU_DEP_2) | instskip(SKIP_1) | instid1(VALU_DEP_2)
	v_add_co_u32 v13, vcc_lo, v13, v18
	v_add_co_ci_u32_e32 v14, vcc_lo, 0, v14, vcc_lo
	v_add_co_u32 v13, vcc_lo, v13, 0
	s_delay_alu instid0(VALU_DEP_2)
	v_add_co_ci_u32_e32 v14, vcc_lo, v14, v16, vcc_lo
; %bb.115:
	s_or_b32 exec_lo, exec_lo, s0
	v_add_nc_u32_e32 v16, v37, v17
	ds_store_b64 v16, v[13:14]
.LBB212_116:
	s_or_b32 exec_lo, exec_lo, s7
	v_mov_b32_e32 v17, 0
	v_mov_b32_e32 v18, 0
	s_mov_b32 s0, exec_lo
	s_waitcnt lgkmcnt(0)
	s_barrier
	buffer_gl0_inv
	v_cmpx_lt_u32_e32 31, v0
	s_cbranch_execz .LBB212_118
; %bb.117:
	v_lshl_add_u32 v13, v15, 3, -8
	ds_load_b64 v[17:18], v13
.LBB212_118:
	s_or_b32 exec_lo, exec_lo, s0
	v_dual_mov_b32 v16, 0 :: v_dual_add_nc_u32 v13, -1, v42
	s_delay_alu instid0(VALU_DEP_1) | instskip(SKIP_4) | instid1(VALU_DEP_3)
	v_cmp_gt_i32_e32 vcc_lo, 0, v13
	v_cndmask_b32_e32 v13, v13, v42, vcc_lo
	s_waitcnt lgkmcnt(0)
	v_add_co_u32 v14, vcc_lo, v17, v23
	v_add_co_ci_u32_e32 v15, vcc_lo, v18, v24, vcc_lo
	v_lshlrev_b32_e32 v13, 2, v13
	ds_bpermute_b32 v19, v13, v14
	ds_bpermute_b32 v20, v13, v15
	ds_load_b64 v[13:14], v16 offset:88
	s_and_saveexec_b32 s0, s2
	s_cbranch_execz .LBB212_120
; %bb.119:
	s_add_u32 s10, s14, 0x200
	s_addc_u32 s11, s15, 0
	s_delay_alu instid0(SALU_CYCLE_1)
	v_dual_mov_b32 v15, 2 :: v_dual_mov_b32 v24, s11
	v_mov_b32_e32 v23, s10
	s_waitcnt lgkmcnt(0)
	;;#ASMSTART
	global_store_dwordx4 v[23:24], v[13:16] off	
s_waitcnt vmcnt(0)
	;;#ASMEND
.LBB212_120:
	s_or_b32 exec_lo, exec_lo, s0
	v_cmp_eq_u32_e32 vcc_lo, 0, v42
	s_waitcnt lgkmcnt(0)
	s_barrier
	buffer_gl0_inv
	v_dual_cndmask_b32 v15, v19, v17 :: v_dual_cndmask_b32 v16, v20, v18
	s_delay_alu instid0(VALU_DEP_1) | instskip(NEXT) | instid1(VALU_DEP_2)
	v_cndmask_b32_e64 v31, v15, 0, s2
	v_cndmask_b32_e64 v32, v16, 0, s2
	v_mov_b32_e32 v15, 0
	v_mov_b32_e32 v16, 0
	s_delay_alu instid0(VALU_DEP_4) | instskip(NEXT) | instid1(VALU_DEP_4)
	v_add_co_u32 v29, vcc_lo, v31, v41
	v_add_co_ci_u32_e32 v30, vcc_lo, 0, v32, vcc_lo
	s_delay_alu instid0(VALU_DEP_2) | instskip(NEXT) | instid1(VALU_DEP_2)
	v_add_co_u32 v27, vcc_lo, v29, v40
	v_add_co_ci_u32_e32 v28, vcc_lo, 0, v30, vcc_lo
	s_delay_alu instid0(VALU_DEP_2) | instskip(NEXT) | instid1(VALU_DEP_2)
	;; [unrolled: 3-line block ×4, first 2 shown]
	v_add_co_u32 v17, vcc_lo, v19, v38
	v_add_co_ci_u32_e32 v18, vcc_lo, 0, v20, vcc_lo
.LBB212_121:
	s_waitcnt lgkmcnt(0)
	v_cmp_gt_u64_e32 vcc_lo, 0x181, v[13:14]
	v_lshrrev_b32_e32 v38, 8, v36
	v_lshrrev_b32_e32 v37, 16, v36
	s_mov_b32 s0, -1
	s_cbranch_vccnz .LBB212_125
; %bb.122:
	s_and_b32 vcc_lo, exec_lo, s0
	s_cbranch_vccnz .LBB212_144
.LBB212_123:
	s_and_b32 s0, s2, s5
	s_delay_alu instid0(SALU_CYCLE_1)
	s_and_saveexec_b32 s1, s0
	s_cbranch_execnz .LBB212_160
.LBB212_124:
	s_nop 0
	s_sendmsg sendmsg(MSG_DEALLOC_VGPRS)
	s_endpgm
.LBB212_125:
	v_add_co_u32 v23, vcc_lo, v15, v13
	v_add_co_ci_u32_e32 v24, vcc_lo, v16, v14, vcc_lo
	v_lshlrev_b64 v[39:40], 3, v[21:22]
	s_delay_alu instid0(VALU_DEP_2) | instskip(NEXT) | instid1(VALU_DEP_2)
	v_cmp_lt_u64_e32 vcc_lo, v[31:32], v[23:24]
	v_add_co_u32 v39, s0, s12, v39
	s_delay_alu instid0(VALU_DEP_1) | instskip(SKIP_1) | instid1(SALU_CYCLE_1)
	v_add_co_ci_u32_e64 v40, s0, s13, v40, s0
	s_or_b32 s1, s6, vcc_lo
	s_and_saveexec_b32 s0, s1
	s_cbranch_execz .LBB212_128
; %bb.126:
	v_and_b32_e32 v41, 1, v36
	s_delay_alu instid0(VALU_DEP_1)
	v_cmp_eq_u32_e32 vcc_lo, 1, v41
	s_and_b32 exec_lo, exec_lo, vcc_lo
	s_cbranch_execz .LBB212_128
; %bb.127:
	v_lshlrev_b64 v[41:42], 3, v[31:32]
	s_delay_alu instid0(VALU_DEP_1) | instskip(NEXT) | instid1(VALU_DEP_2)
	v_add_co_u32 v41, vcc_lo, v39, v41
	v_add_co_ci_u32_e32 v42, vcc_lo, v40, v42, vcc_lo
	global_store_b64 v[41:42], v[9:10], off
.LBB212_128:
	s_or_b32 exec_lo, exec_lo, s0
	v_cmp_lt_u64_e32 vcc_lo, v[29:30], v[23:24]
	s_or_b32 s1, s6, vcc_lo
	s_delay_alu instid0(SALU_CYCLE_1)
	s_and_saveexec_b32 s0, s1
	s_cbranch_execz .LBB212_131
; %bb.129:
	v_and_b32_e32 v32, 1, v38
	s_delay_alu instid0(VALU_DEP_1)
	v_cmp_eq_u32_e32 vcc_lo, 1, v32
	s_and_b32 exec_lo, exec_lo, vcc_lo
	s_cbranch_execz .LBB212_131
; %bb.130:
	v_lshlrev_b64 v[41:42], 3, v[29:30]
	s_delay_alu instid0(VALU_DEP_1) | instskip(NEXT) | instid1(VALU_DEP_2)
	v_add_co_u32 v41, vcc_lo, v39, v41
	v_add_co_ci_u32_e32 v42, vcc_lo, v40, v42, vcc_lo
	global_store_b64 v[41:42], v[11:12], off
.LBB212_131:
	s_or_b32 exec_lo, exec_lo, s0
	v_cmp_lt_u64_e32 vcc_lo, v[27:28], v[23:24]
	s_or_b32 s1, s6, vcc_lo
	s_delay_alu instid0(SALU_CYCLE_1)
	;; [unrolled: 19-line block ×5, first 2 shown]
	s_and_saveexec_b32 s0, s1
	s_cbranch_execz .LBB212_143
; %bb.141:
	v_and_b32_e32 v20, 1, v33
	s_delay_alu instid0(VALU_DEP_1)
	v_cmp_eq_u32_e32 vcc_lo, 1, v20
	s_and_b32 exec_lo, exec_lo, vcc_lo
	s_cbranch_execz .LBB212_143
; %bb.142:
	v_lshlrev_b64 v[23:24], 3, v[17:18]
	s_delay_alu instid0(VALU_DEP_1) | instskip(NEXT) | instid1(VALU_DEP_2)
	v_add_co_u32 v23, vcc_lo, v39, v23
	v_add_co_ci_u32_e32 v24, vcc_lo, v40, v24, vcc_lo
	global_store_b64 v[23:24], v[3:4], off
.LBB212_143:
	s_or_b32 exec_lo, exec_lo, s0
	s_branch .LBB212_123
.LBB212_144:
	v_and_b32_e32 v18, 1, v36
	s_mov_b32 s0, exec_lo
	s_delay_alu instid0(VALU_DEP_1)
	v_cmpx_eq_u32_e32 1, v18
	s_cbranch_execz .LBB212_146
; %bb.145:
	v_sub_nc_u32_e32 v18, v31, v15
	s_delay_alu instid0(VALU_DEP_1)
	v_lshlrev_b32_e32 v18, 3, v18
	ds_store_b64 v18, v[9:10]
.LBB212_146:
	s_or_b32 exec_lo, exec_lo, s0
	v_and_b32_e32 v9, 1, v38
	s_mov_b32 s0, exec_lo
	s_delay_alu instid0(VALU_DEP_1)
	v_cmpx_eq_u32_e32 1, v9
	s_cbranch_execz .LBB212_148
; %bb.147:
	v_sub_nc_u32_e32 v9, v29, v15
	s_delay_alu instid0(VALU_DEP_1)
	v_lshlrev_b32_e32 v9, 3, v9
	ds_store_b64 v9, v[11:12]
.LBB212_148:
	s_or_b32 exec_lo, exec_lo, s0
	;; [unrolled: 12-line block ×6, first 2 shown]
	v_mov_b32_e32 v1, 0
	s_mov_b32 s1, exec_lo
	s_waitcnt lgkmcnt(0)
	s_waitcnt_vscnt null, 0x0
	s_barrier
	buffer_gl0_inv
	v_cmpx_gt_u64_e64 v[13:14], v[0:1]
	s_cbranch_execz .LBB212_159
; %bb.157:
	v_lshlrev_b64 v[2:3], 3, v[15:16]
	v_lshlrev_b64 v[4:5], 3, v[21:22]
	s_mov_b32 s3, 0
	s_delay_alu instid0(VALU_DEP_2) | instskip(NEXT) | instid1(VALU_DEP_3)
	v_add_co_u32 v6, vcc_lo, s12, v2
	v_add_co_ci_u32_e32 v7, vcc_lo, s13, v3, vcc_lo
	v_dual_mov_b32 v3, v1 :: v_dual_mov_b32 v2, v0
	s_delay_alu instid0(VALU_DEP_3) | instskip(NEXT) | instid1(VALU_DEP_3)
	v_add_co_u32 v4, vcc_lo, v6, v4
	v_add_co_ci_u32_e32 v5, vcc_lo, v7, v5, vcc_lo
	v_add_nc_u32_e32 v0, 0x180, v0
	.p2align	6
.LBB212_158:                            ; =>This Inner Loop Header: Depth=1
	s_delay_alu instid0(VALU_DEP_4) | instskip(SKIP_2) | instid1(VALU_DEP_4)
	v_lshlrev_b32_e32 v6, 3, v2
	v_lshlrev_b64 v[8:9], 3, v[2:3]
	v_mov_b32_e32 v3, v1
	v_cmp_le_u64_e32 vcc_lo, v[13:14], v[0:1]
	v_mov_b32_e32 v2, v0
	ds_load_b64 v[6:7], v6
	v_add_nc_u32_e32 v0, 0x180, v0
	v_add_co_u32 v8, s0, v4, v8
	s_delay_alu instid0(VALU_DEP_1)
	v_add_co_ci_u32_e64 v9, s0, v5, v9, s0
	s_or_b32 s3, vcc_lo, s3
	s_waitcnt lgkmcnt(0)
	global_store_b64 v[8:9], v[6:7], off
	s_and_not1_b32 exec_lo, exec_lo, s3
	s_cbranch_execnz .LBB212_158
.LBB212_159:
	s_or_b32 exec_lo, exec_lo, s1
	s_and_b32 s0, s2, s5
	s_delay_alu instid0(SALU_CYCLE_1)
	s_and_saveexec_b32 s1, s0
	s_cbranch_execz .LBB212_124
.LBB212_160:
	v_add_co_u32 v0, vcc_lo, v15, v13
	v_add_co_ci_u32_e32 v1, vcc_lo, v16, v14, vcc_lo
	v_mov_b32_e32 v2, 0
	s_delay_alu instid0(VALU_DEP_3) | instskip(NEXT) | instid1(VALU_DEP_3)
	v_add_co_u32 v0, vcc_lo, v0, v21
	v_add_co_ci_u32_e32 v1, vcc_lo, v1, v22, vcc_lo
	global_store_b64 v2, v[0:1], s[8:9]
	s_nop 0
	s_sendmsg sendmsg(MSG_DEALLOC_VGPRS)
	s_endpgm
	.section	.rodata,"a",@progbits
	.p2align	6, 0x0
	.amdhsa_kernel _ZN7rocprim17ROCPRIM_400000_NS6detail17trampoline_kernelINS0_14default_configENS1_25partition_config_selectorILNS1_17partition_subalgoE6EdNS0_10empty_typeEbEEZZNS1_14partition_implILS5_6ELb0ES3_mN6thrust23THRUST_200600_302600_NS6detail15normal_iteratorINSA_10device_ptrIdEEEEPS6_SG_NS0_5tupleIJSF_S6_EEENSH_IJSG_SG_EEES6_PlJ7is_evenIdEEEE10hipError_tPvRmT3_T4_T5_T6_T7_T9_mT8_P12ihipStream_tbDpT10_ENKUlT_T0_E_clISt17integral_constantIbLb1EES16_EEDaS11_S12_EUlS11_E_NS1_11comp_targetILNS1_3genE9ELNS1_11target_archE1100ELNS1_3gpuE3ELNS1_3repE0EEENS1_30default_config_static_selectorELNS0_4arch9wavefront6targetE0EEEvT1_
		.amdhsa_group_segment_fixed_size 18448
		.amdhsa_private_segment_fixed_size 0
		.amdhsa_kernarg_size 128
		.amdhsa_user_sgpr_count 15
		.amdhsa_user_sgpr_dispatch_ptr 0
		.amdhsa_user_sgpr_queue_ptr 0
		.amdhsa_user_sgpr_kernarg_segment_ptr 1
		.amdhsa_user_sgpr_dispatch_id 0
		.amdhsa_user_sgpr_private_segment_size 0
		.amdhsa_wavefront_size32 1
		.amdhsa_uses_dynamic_stack 0
		.amdhsa_enable_private_segment 0
		.amdhsa_system_sgpr_workgroup_id_x 1
		.amdhsa_system_sgpr_workgroup_id_y 0
		.amdhsa_system_sgpr_workgroup_id_z 0
		.amdhsa_system_sgpr_workgroup_info 0
		.amdhsa_system_vgpr_workitem_id 0
		.amdhsa_next_free_vgpr 56
		.amdhsa_next_free_sgpr 18
		.amdhsa_reserve_vcc 1
		.amdhsa_float_round_mode_32 0
		.amdhsa_float_round_mode_16_64 0
		.amdhsa_float_denorm_mode_32 3
		.amdhsa_float_denorm_mode_16_64 3
		.amdhsa_dx10_clamp 1
		.amdhsa_ieee_mode 1
		.amdhsa_fp16_overflow 0
		.amdhsa_workgroup_processor_mode 1
		.amdhsa_memory_ordered 1
		.amdhsa_forward_progress 0
		.amdhsa_shared_vgpr_count 0
		.amdhsa_exception_fp_ieee_invalid_op 0
		.amdhsa_exception_fp_denorm_src 0
		.amdhsa_exception_fp_ieee_div_zero 0
		.amdhsa_exception_fp_ieee_overflow 0
		.amdhsa_exception_fp_ieee_underflow 0
		.amdhsa_exception_fp_ieee_inexact 0
		.amdhsa_exception_int_div_zero 0
	.end_amdhsa_kernel
	.section	.text._ZN7rocprim17ROCPRIM_400000_NS6detail17trampoline_kernelINS0_14default_configENS1_25partition_config_selectorILNS1_17partition_subalgoE6EdNS0_10empty_typeEbEEZZNS1_14partition_implILS5_6ELb0ES3_mN6thrust23THRUST_200600_302600_NS6detail15normal_iteratorINSA_10device_ptrIdEEEEPS6_SG_NS0_5tupleIJSF_S6_EEENSH_IJSG_SG_EEES6_PlJ7is_evenIdEEEE10hipError_tPvRmT3_T4_T5_T6_T7_T9_mT8_P12ihipStream_tbDpT10_ENKUlT_T0_E_clISt17integral_constantIbLb1EES16_EEDaS11_S12_EUlS11_E_NS1_11comp_targetILNS1_3genE9ELNS1_11target_archE1100ELNS1_3gpuE3ELNS1_3repE0EEENS1_30default_config_static_selectorELNS0_4arch9wavefront6targetE0EEEvT1_,"axG",@progbits,_ZN7rocprim17ROCPRIM_400000_NS6detail17trampoline_kernelINS0_14default_configENS1_25partition_config_selectorILNS1_17partition_subalgoE6EdNS0_10empty_typeEbEEZZNS1_14partition_implILS5_6ELb0ES3_mN6thrust23THRUST_200600_302600_NS6detail15normal_iteratorINSA_10device_ptrIdEEEEPS6_SG_NS0_5tupleIJSF_S6_EEENSH_IJSG_SG_EEES6_PlJ7is_evenIdEEEE10hipError_tPvRmT3_T4_T5_T6_T7_T9_mT8_P12ihipStream_tbDpT10_ENKUlT_T0_E_clISt17integral_constantIbLb1EES16_EEDaS11_S12_EUlS11_E_NS1_11comp_targetILNS1_3genE9ELNS1_11target_archE1100ELNS1_3gpuE3ELNS1_3repE0EEENS1_30default_config_static_selectorELNS0_4arch9wavefront6targetE0EEEvT1_,comdat
.Lfunc_end212:
	.size	_ZN7rocprim17ROCPRIM_400000_NS6detail17trampoline_kernelINS0_14default_configENS1_25partition_config_selectorILNS1_17partition_subalgoE6EdNS0_10empty_typeEbEEZZNS1_14partition_implILS5_6ELb0ES3_mN6thrust23THRUST_200600_302600_NS6detail15normal_iteratorINSA_10device_ptrIdEEEEPS6_SG_NS0_5tupleIJSF_S6_EEENSH_IJSG_SG_EEES6_PlJ7is_evenIdEEEE10hipError_tPvRmT3_T4_T5_T6_T7_T9_mT8_P12ihipStream_tbDpT10_ENKUlT_T0_E_clISt17integral_constantIbLb1EES16_EEDaS11_S12_EUlS11_E_NS1_11comp_targetILNS1_3genE9ELNS1_11target_archE1100ELNS1_3gpuE3ELNS1_3repE0EEENS1_30default_config_static_selectorELNS0_4arch9wavefront6targetE0EEEvT1_, .Lfunc_end212-_ZN7rocprim17ROCPRIM_400000_NS6detail17trampoline_kernelINS0_14default_configENS1_25partition_config_selectorILNS1_17partition_subalgoE6EdNS0_10empty_typeEbEEZZNS1_14partition_implILS5_6ELb0ES3_mN6thrust23THRUST_200600_302600_NS6detail15normal_iteratorINSA_10device_ptrIdEEEEPS6_SG_NS0_5tupleIJSF_S6_EEENSH_IJSG_SG_EEES6_PlJ7is_evenIdEEEE10hipError_tPvRmT3_T4_T5_T6_T7_T9_mT8_P12ihipStream_tbDpT10_ENKUlT_T0_E_clISt17integral_constantIbLb1EES16_EEDaS11_S12_EUlS11_E_NS1_11comp_targetILNS1_3genE9ELNS1_11target_archE1100ELNS1_3gpuE3ELNS1_3repE0EEENS1_30default_config_static_selectorELNS0_4arch9wavefront6targetE0EEEvT1_
                                        ; -- End function
	.section	.AMDGPU.csdata,"",@progbits
; Kernel info:
; codeLenInByte = 6776
; NumSgprs: 20
; NumVgprs: 56
; ScratchSize: 0
; MemoryBound: 0
; FloatMode: 240
; IeeeMode: 1
; LDSByteSize: 18448 bytes/workgroup (compile time only)
; SGPRBlocks: 2
; VGPRBlocks: 6
; NumSGPRsForWavesPerEU: 20
; NumVGPRsForWavesPerEU: 56
; Occupancy: 15
; WaveLimiterHint : 1
; COMPUTE_PGM_RSRC2:SCRATCH_EN: 0
; COMPUTE_PGM_RSRC2:USER_SGPR: 15
; COMPUTE_PGM_RSRC2:TRAP_HANDLER: 0
; COMPUTE_PGM_RSRC2:TGID_X_EN: 1
; COMPUTE_PGM_RSRC2:TGID_Y_EN: 0
; COMPUTE_PGM_RSRC2:TGID_Z_EN: 0
; COMPUTE_PGM_RSRC2:TIDIG_COMP_CNT: 0
	.section	.text._ZN7rocprim17ROCPRIM_400000_NS6detail17trampoline_kernelINS0_14default_configENS1_25partition_config_selectorILNS1_17partition_subalgoE6EdNS0_10empty_typeEbEEZZNS1_14partition_implILS5_6ELb0ES3_mN6thrust23THRUST_200600_302600_NS6detail15normal_iteratorINSA_10device_ptrIdEEEEPS6_SG_NS0_5tupleIJSF_S6_EEENSH_IJSG_SG_EEES6_PlJ7is_evenIdEEEE10hipError_tPvRmT3_T4_T5_T6_T7_T9_mT8_P12ihipStream_tbDpT10_ENKUlT_T0_E_clISt17integral_constantIbLb1EES16_EEDaS11_S12_EUlS11_E_NS1_11comp_targetILNS1_3genE8ELNS1_11target_archE1030ELNS1_3gpuE2ELNS1_3repE0EEENS1_30default_config_static_selectorELNS0_4arch9wavefront6targetE0EEEvT1_,"axG",@progbits,_ZN7rocprim17ROCPRIM_400000_NS6detail17trampoline_kernelINS0_14default_configENS1_25partition_config_selectorILNS1_17partition_subalgoE6EdNS0_10empty_typeEbEEZZNS1_14partition_implILS5_6ELb0ES3_mN6thrust23THRUST_200600_302600_NS6detail15normal_iteratorINSA_10device_ptrIdEEEEPS6_SG_NS0_5tupleIJSF_S6_EEENSH_IJSG_SG_EEES6_PlJ7is_evenIdEEEE10hipError_tPvRmT3_T4_T5_T6_T7_T9_mT8_P12ihipStream_tbDpT10_ENKUlT_T0_E_clISt17integral_constantIbLb1EES16_EEDaS11_S12_EUlS11_E_NS1_11comp_targetILNS1_3genE8ELNS1_11target_archE1030ELNS1_3gpuE2ELNS1_3repE0EEENS1_30default_config_static_selectorELNS0_4arch9wavefront6targetE0EEEvT1_,comdat
	.protected	_ZN7rocprim17ROCPRIM_400000_NS6detail17trampoline_kernelINS0_14default_configENS1_25partition_config_selectorILNS1_17partition_subalgoE6EdNS0_10empty_typeEbEEZZNS1_14partition_implILS5_6ELb0ES3_mN6thrust23THRUST_200600_302600_NS6detail15normal_iteratorINSA_10device_ptrIdEEEEPS6_SG_NS0_5tupleIJSF_S6_EEENSH_IJSG_SG_EEES6_PlJ7is_evenIdEEEE10hipError_tPvRmT3_T4_T5_T6_T7_T9_mT8_P12ihipStream_tbDpT10_ENKUlT_T0_E_clISt17integral_constantIbLb1EES16_EEDaS11_S12_EUlS11_E_NS1_11comp_targetILNS1_3genE8ELNS1_11target_archE1030ELNS1_3gpuE2ELNS1_3repE0EEENS1_30default_config_static_selectorELNS0_4arch9wavefront6targetE0EEEvT1_ ; -- Begin function _ZN7rocprim17ROCPRIM_400000_NS6detail17trampoline_kernelINS0_14default_configENS1_25partition_config_selectorILNS1_17partition_subalgoE6EdNS0_10empty_typeEbEEZZNS1_14partition_implILS5_6ELb0ES3_mN6thrust23THRUST_200600_302600_NS6detail15normal_iteratorINSA_10device_ptrIdEEEEPS6_SG_NS0_5tupleIJSF_S6_EEENSH_IJSG_SG_EEES6_PlJ7is_evenIdEEEE10hipError_tPvRmT3_T4_T5_T6_T7_T9_mT8_P12ihipStream_tbDpT10_ENKUlT_T0_E_clISt17integral_constantIbLb1EES16_EEDaS11_S12_EUlS11_E_NS1_11comp_targetILNS1_3genE8ELNS1_11target_archE1030ELNS1_3gpuE2ELNS1_3repE0EEENS1_30default_config_static_selectorELNS0_4arch9wavefront6targetE0EEEvT1_
	.globl	_ZN7rocprim17ROCPRIM_400000_NS6detail17trampoline_kernelINS0_14default_configENS1_25partition_config_selectorILNS1_17partition_subalgoE6EdNS0_10empty_typeEbEEZZNS1_14partition_implILS5_6ELb0ES3_mN6thrust23THRUST_200600_302600_NS6detail15normal_iteratorINSA_10device_ptrIdEEEEPS6_SG_NS0_5tupleIJSF_S6_EEENSH_IJSG_SG_EEES6_PlJ7is_evenIdEEEE10hipError_tPvRmT3_T4_T5_T6_T7_T9_mT8_P12ihipStream_tbDpT10_ENKUlT_T0_E_clISt17integral_constantIbLb1EES16_EEDaS11_S12_EUlS11_E_NS1_11comp_targetILNS1_3genE8ELNS1_11target_archE1030ELNS1_3gpuE2ELNS1_3repE0EEENS1_30default_config_static_selectorELNS0_4arch9wavefront6targetE0EEEvT1_
	.p2align	8
	.type	_ZN7rocprim17ROCPRIM_400000_NS6detail17trampoline_kernelINS0_14default_configENS1_25partition_config_selectorILNS1_17partition_subalgoE6EdNS0_10empty_typeEbEEZZNS1_14partition_implILS5_6ELb0ES3_mN6thrust23THRUST_200600_302600_NS6detail15normal_iteratorINSA_10device_ptrIdEEEEPS6_SG_NS0_5tupleIJSF_S6_EEENSH_IJSG_SG_EEES6_PlJ7is_evenIdEEEE10hipError_tPvRmT3_T4_T5_T6_T7_T9_mT8_P12ihipStream_tbDpT10_ENKUlT_T0_E_clISt17integral_constantIbLb1EES16_EEDaS11_S12_EUlS11_E_NS1_11comp_targetILNS1_3genE8ELNS1_11target_archE1030ELNS1_3gpuE2ELNS1_3repE0EEENS1_30default_config_static_selectorELNS0_4arch9wavefront6targetE0EEEvT1_,@function
_ZN7rocprim17ROCPRIM_400000_NS6detail17trampoline_kernelINS0_14default_configENS1_25partition_config_selectorILNS1_17partition_subalgoE6EdNS0_10empty_typeEbEEZZNS1_14partition_implILS5_6ELb0ES3_mN6thrust23THRUST_200600_302600_NS6detail15normal_iteratorINSA_10device_ptrIdEEEEPS6_SG_NS0_5tupleIJSF_S6_EEENSH_IJSG_SG_EEES6_PlJ7is_evenIdEEEE10hipError_tPvRmT3_T4_T5_T6_T7_T9_mT8_P12ihipStream_tbDpT10_ENKUlT_T0_E_clISt17integral_constantIbLb1EES16_EEDaS11_S12_EUlS11_E_NS1_11comp_targetILNS1_3genE8ELNS1_11target_archE1030ELNS1_3gpuE2ELNS1_3repE0EEENS1_30default_config_static_selectorELNS0_4arch9wavefront6targetE0EEEvT1_: ; @_ZN7rocprim17ROCPRIM_400000_NS6detail17trampoline_kernelINS0_14default_configENS1_25partition_config_selectorILNS1_17partition_subalgoE6EdNS0_10empty_typeEbEEZZNS1_14partition_implILS5_6ELb0ES3_mN6thrust23THRUST_200600_302600_NS6detail15normal_iteratorINSA_10device_ptrIdEEEEPS6_SG_NS0_5tupleIJSF_S6_EEENSH_IJSG_SG_EEES6_PlJ7is_evenIdEEEE10hipError_tPvRmT3_T4_T5_T6_T7_T9_mT8_P12ihipStream_tbDpT10_ENKUlT_T0_E_clISt17integral_constantIbLb1EES16_EEDaS11_S12_EUlS11_E_NS1_11comp_targetILNS1_3genE8ELNS1_11target_archE1030ELNS1_3gpuE2ELNS1_3repE0EEENS1_30default_config_static_selectorELNS0_4arch9wavefront6targetE0EEEvT1_
; %bb.0:
	.section	.rodata,"a",@progbits
	.p2align	6, 0x0
	.amdhsa_kernel _ZN7rocprim17ROCPRIM_400000_NS6detail17trampoline_kernelINS0_14default_configENS1_25partition_config_selectorILNS1_17partition_subalgoE6EdNS0_10empty_typeEbEEZZNS1_14partition_implILS5_6ELb0ES3_mN6thrust23THRUST_200600_302600_NS6detail15normal_iteratorINSA_10device_ptrIdEEEEPS6_SG_NS0_5tupleIJSF_S6_EEENSH_IJSG_SG_EEES6_PlJ7is_evenIdEEEE10hipError_tPvRmT3_T4_T5_T6_T7_T9_mT8_P12ihipStream_tbDpT10_ENKUlT_T0_E_clISt17integral_constantIbLb1EES16_EEDaS11_S12_EUlS11_E_NS1_11comp_targetILNS1_3genE8ELNS1_11target_archE1030ELNS1_3gpuE2ELNS1_3repE0EEENS1_30default_config_static_selectorELNS0_4arch9wavefront6targetE0EEEvT1_
		.amdhsa_group_segment_fixed_size 0
		.amdhsa_private_segment_fixed_size 0
		.amdhsa_kernarg_size 128
		.amdhsa_user_sgpr_count 15
		.amdhsa_user_sgpr_dispatch_ptr 0
		.amdhsa_user_sgpr_queue_ptr 0
		.amdhsa_user_sgpr_kernarg_segment_ptr 1
		.amdhsa_user_sgpr_dispatch_id 0
		.amdhsa_user_sgpr_private_segment_size 0
		.amdhsa_wavefront_size32 1
		.amdhsa_uses_dynamic_stack 0
		.amdhsa_enable_private_segment 0
		.amdhsa_system_sgpr_workgroup_id_x 1
		.amdhsa_system_sgpr_workgroup_id_y 0
		.amdhsa_system_sgpr_workgroup_id_z 0
		.amdhsa_system_sgpr_workgroup_info 0
		.amdhsa_system_vgpr_workitem_id 0
		.amdhsa_next_free_vgpr 1
		.amdhsa_next_free_sgpr 1
		.amdhsa_reserve_vcc 0
		.amdhsa_float_round_mode_32 0
		.amdhsa_float_round_mode_16_64 0
		.amdhsa_float_denorm_mode_32 3
		.amdhsa_float_denorm_mode_16_64 3
		.amdhsa_dx10_clamp 1
		.amdhsa_ieee_mode 1
		.amdhsa_fp16_overflow 0
		.amdhsa_workgroup_processor_mode 1
		.amdhsa_memory_ordered 1
		.amdhsa_forward_progress 0
		.amdhsa_shared_vgpr_count 0
		.amdhsa_exception_fp_ieee_invalid_op 0
		.amdhsa_exception_fp_denorm_src 0
		.amdhsa_exception_fp_ieee_div_zero 0
		.amdhsa_exception_fp_ieee_overflow 0
		.amdhsa_exception_fp_ieee_underflow 0
		.amdhsa_exception_fp_ieee_inexact 0
		.amdhsa_exception_int_div_zero 0
	.end_amdhsa_kernel
	.section	.text._ZN7rocprim17ROCPRIM_400000_NS6detail17trampoline_kernelINS0_14default_configENS1_25partition_config_selectorILNS1_17partition_subalgoE6EdNS0_10empty_typeEbEEZZNS1_14partition_implILS5_6ELb0ES3_mN6thrust23THRUST_200600_302600_NS6detail15normal_iteratorINSA_10device_ptrIdEEEEPS6_SG_NS0_5tupleIJSF_S6_EEENSH_IJSG_SG_EEES6_PlJ7is_evenIdEEEE10hipError_tPvRmT3_T4_T5_T6_T7_T9_mT8_P12ihipStream_tbDpT10_ENKUlT_T0_E_clISt17integral_constantIbLb1EES16_EEDaS11_S12_EUlS11_E_NS1_11comp_targetILNS1_3genE8ELNS1_11target_archE1030ELNS1_3gpuE2ELNS1_3repE0EEENS1_30default_config_static_selectorELNS0_4arch9wavefront6targetE0EEEvT1_,"axG",@progbits,_ZN7rocprim17ROCPRIM_400000_NS6detail17trampoline_kernelINS0_14default_configENS1_25partition_config_selectorILNS1_17partition_subalgoE6EdNS0_10empty_typeEbEEZZNS1_14partition_implILS5_6ELb0ES3_mN6thrust23THRUST_200600_302600_NS6detail15normal_iteratorINSA_10device_ptrIdEEEEPS6_SG_NS0_5tupleIJSF_S6_EEENSH_IJSG_SG_EEES6_PlJ7is_evenIdEEEE10hipError_tPvRmT3_T4_T5_T6_T7_T9_mT8_P12ihipStream_tbDpT10_ENKUlT_T0_E_clISt17integral_constantIbLb1EES16_EEDaS11_S12_EUlS11_E_NS1_11comp_targetILNS1_3genE8ELNS1_11target_archE1030ELNS1_3gpuE2ELNS1_3repE0EEENS1_30default_config_static_selectorELNS0_4arch9wavefront6targetE0EEEvT1_,comdat
.Lfunc_end213:
	.size	_ZN7rocprim17ROCPRIM_400000_NS6detail17trampoline_kernelINS0_14default_configENS1_25partition_config_selectorILNS1_17partition_subalgoE6EdNS0_10empty_typeEbEEZZNS1_14partition_implILS5_6ELb0ES3_mN6thrust23THRUST_200600_302600_NS6detail15normal_iteratorINSA_10device_ptrIdEEEEPS6_SG_NS0_5tupleIJSF_S6_EEENSH_IJSG_SG_EEES6_PlJ7is_evenIdEEEE10hipError_tPvRmT3_T4_T5_T6_T7_T9_mT8_P12ihipStream_tbDpT10_ENKUlT_T0_E_clISt17integral_constantIbLb1EES16_EEDaS11_S12_EUlS11_E_NS1_11comp_targetILNS1_3genE8ELNS1_11target_archE1030ELNS1_3gpuE2ELNS1_3repE0EEENS1_30default_config_static_selectorELNS0_4arch9wavefront6targetE0EEEvT1_, .Lfunc_end213-_ZN7rocprim17ROCPRIM_400000_NS6detail17trampoline_kernelINS0_14default_configENS1_25partition_config_selectorILNS1_17partition_subalgoE6EdNS0_10empty_typeEbEEZZNS1_14partition_implILS5_6ELb0ES3_mN6thrust23THRUST_200600_302600_NS6detail15normal_iteratorINSA_10device_ptrIdEEEEPS6_SG_NS0_5tupleIJSF_S6_EEENSH_IJSG_SG_EEES6_PlJ7is_evenIdEEEE10hipError_tPvRmT3_T4_T5_T6_T7_T9_mT8_P12ihipStream_tbDpT10_ENKUlT_T0_E_clISt17integral_constantIbLb1EES16_EEDaS11_S12_EUlS11_E_NS1_11comp_targetILNS1_3genE8ELNS1_11target_archE1030ELNS1_3gpuE2ELNS1_3repE0EEENS1_30default_config_static_selectorELNS0_4arch9wavefront6targetE0EEEvT1_
                                        ; -- End function
	.section	.AMDGPU.csdata,"",@progbits
; Kernel info:
; codeLenInByte = 0
; NumSgprs: 0
; NumVgprs: 0
; ScratchSize: 0
; MemoryBound: 0
; FloatMode: 240
; IeeeMode: 1
; LDSByteSize: 0 bytes/workgroup (compile time only)
; SGPRBlocks: 0
; VGPRBlocks: 0
; NumSGPRsForWavesPerEU: 1
; NumVGPRsForWavesPerEU: 1
; Occupancy: 16
; WaveLimiterHint : 0
; COMPUTE_PGM_RSRC2:SCRATCH_EN: 0
; COMPUTE_PGM_RSRC2:USER_SGPR: 15
; COMPUTE_PGM_RSRC2:TRAP_HANDLER: 0
; COMPUTE_PGM_RSRC2:TGID_X_EN: 1
; COMPUTE_PGM_RSRC2:TGID_Y_EN: 0
; COMPUTE_PGM_RSRC2:TGID_Z_EN: 0
; COMPUTE_PGM_RSRC2:TIDIG_COMP_CNT: 0
	.section	.text._ZN7rocprim17ROCPRIM_400000_NS6detail31init_lookback_scan_state_kernelINS1_19lookback_scan_stateImLb1ELb1EEENS1_16block_id_wrapperIjLb0EEEEEvT_jT0_jPNS7_10value_typeE,"axG",@progbits,_ZN7rocprim17ROCPRIM_400000_NS6detail31init_lookback_scan_state_kernelINS1_19lookback_scan_stateImLb1ELb1EEENS1_16block_id_wrapperIjLb0EEEEEvT_jT0_jPNS7_10value_typeE,comdat
	.protected	_ZN7rocprim17ROCPRIM_400000_NS6detail31init_lookback_scan_state_kernelINS1_19lookback_scan_stateImLb1ELb1EEENS1_16block_id_wrapperIjLb0EEEEEvT_jT0_jPNS7_10value_typeE ; -- Begin function _ZN7rocprim17ROCPRIM_400000_NS6detail31init_lookback_scan_state_kernelINS1_19lookback_scan_stateImLb1ELb1EEENS1_16block_id_wrapperIjLb0EEEEEvT_jT0_jPNS7_10value_typeE
	.globl	_ZN7rocprim17ROCPRIM_400000_NS6detail31init_lookback_scan_state_kernelINS1_19lookback_scan_stateImLb1ELb1EEENS1_16block_id_wrapperIjLb0EEEEEvT_jT0_jPNS7_10value_typeE
	.p2align	8
	.type	_ZN7rocprim17ROCPRIM_400000_NS6detail31init_lookback_scan_state_kernelINS1_19lookback_scan_stateImLb1ELb1EEENS1_16block_id_wrapperIjLb0EEEEEvT_jT0_jPNS7_10value_typeE,@function
_ZN7rocprim17ROCPRIM_400000_NS6detail31init_lookback_scan_state_kernelINS1_19lookback_scan_stateImLb1ELb1EEENS1_16block_id_wrapperIjLb0EEEEEvT_jT0_jPNS7_10value_typeE: ; @_ZN7rocprim17ROCPRIM_400000_NS6detail31init_lookback_scan_state_kernelINS1_19lookback_scan_stateImLb1ELb1EEENS1_16block_id_wrapperIjLb0EEEEEvT_jT0_jPNS7_10value_typeE
; %bb.0:
	s_clause 0x3
	s_load_b32 s7, s[0:1], 0x2c
	s_load_b64 s[4:5], s[0:1], 0x18
	s_load_b64 s[2:3], s[0:1], 0x0
	s_load_b32 s6, s[0:1], 0x8
	s_waitcnt lgkmcnt(0)
	s_and_b32 s7, s7, 0xffff
	s_cmp_eq_u64 s[4:5], 0
	v_mad_u64_u32 v[1:2], null, s15, s7, v[0:1]
	s_cbranch_scc1 .LBB214_10
; %bb.1:
	s_load_b32 s0, s[0:1], 0x10
	s_waitcnt lgkmcnt(0)
	s_cmp_lt_u32 s0, s6
	s_cselect_b32 s1, s0, 0
	s_delay_alu instid0(VALU_DEP_1) | instid1(SALU_CYCLE_1)
	v_cmp_eq_u32_e32 vcc_lo, s1, v1
	s_mov_b32 s1, 0
	s_and_saveexec_b32 s7, vcc_lo
	s_cbranch_execz .LBB214_9
; %bb.2:
	s_add_i32 s0, s0, 32
	s_mov_b32 s8, exec_lo
	s_lshl_b64 s[0:1], s[0:1], 4
	v_mov_b32_e32 v6, 0
	s_add_u32 s0, s2, s0
	s_addc_u32 s1, s3, s1
	s_delay_alu instid0(SALU_CYCLE_1) | instskip(SKIP_2) | instid1(VALU_DEP_1)
	v_dual_mov_b32 v3, s1 :: v_dual_mov_b32 v2, s0
	;;#ASMSTART
	global_load_dwordx4 v[2:5], v[2:3] off glc	
s_waitcnt vmcnt(0)
	;;#ASMEND
	v_and_b32_e32 v5, 0xff, v4
	v_cmpx_eq_u64_e32 0, v[5:6]
	s_cbranch_execz .LBB214_8
; %bb.3:
	v_dual_mov_b32 v8, s1 :: v_dual_mov_b32 v7, s0
	s_mov_b32 s1, 1
	s_mov_b32 s0, 0
	.p2align	6
.LBB214_4:                              ; =>This Loop Header: Depth=1
                                        ;     Child Loop BB214_5 Depth 2
	s_max_u32 s9, s1, 1
.LBB214_5:                              ;   Parent Loop BB214_4 Depth=1
                                        ; =>  This Inner Loop Header: Depth=2
	s_delay_alu instid0(SALU_CYCLE_1)
	s_add_i32 s9, s9, -1
	s_sleep 1
	s_cmp_eq_u32 s9, 0
	s_cbranch_scc0 .LBB214_5
; %bb.6:                                ;   in Loop: Header=BB214_4 Depth=1
	;;#ASMSTART
	global_load_dwordx4 v[2:5], v[7:8] off glc	
s_waitcnt vmcnt(0)
	;;#ASMEND
	v_and_b32_e32 v5, 0xff, v4
	s_cmp_lt_u32 s1, 32
	s_cselect_b32 s9, -1, 0
	s_delay_alu instid0(SALU_CYCLE_1) | instskip(NEXT) | instid1(VALU_DEP_1)
	s_cmp_lg_u32 s9, 0
	v_cmp_ne_u64_e32 vcc_lo, 0, v[5:6]
	s_addc_u32 s1, s1, 0
	s_or_b32 s0, vcc_lo, s0
	s_delay_alu instid0(SALU_CYCLE_1)
	s_and_not1_b32 exec_lo, exec_lo, s0
	s_cbranch_execnz .LBB214_4
; %bb.7:
	s_or_b32 exec_lo, exec_lo, s0
.LBB214_8:
	s_delay_alu instid0(SALU_CYCLE_1)
	s_or_b32 exec_lo, exec_lo, s8
	v_mov_b32_e32 v0, 0
	global_store_b64 v0, v[2:3], s[4:5]
.LBB214_9:
	s_or_b32 exec_lo, exec_lo, s7
.LBB214_10:
	s_delay_alu instid0(SALU_CYCLE_1) | instskip(NEXT) | instid1(VALU_DEP_1)
	s_mov_b32 s0, exec_lo
	v_cmpx_gt_u32_e64 s6, v1
	s_cbranch_execz .LBB214_12
; %bb.11:
	v_dual_mov_b32 v3, 0 :: v_dual_add_nc_u32 v2, 32, v1
	s_delay_alu instid0(VALU_DEP_1) | instskip(SKIP_2) | instid1(VALU_DEP_3)
	v_lshlrev_b64 v[5:6], 4, v[2:3]
	v_mov_b32_e32 v2, v3
	v_mov_b32_e32 v4, v3
	v_add_co_u32 v7, vcc_lo, s2, v5
	s_delay_alu instid0(VALU_DEP_4)
	v_add_co_ci_u32_e32 v8, vcc_lo, s3, v6, vcc_lo
	v_mov_b32_e32 v5, v3
	global_store_b128 v[7:8], v[2:5], off
.LBB214_12:
	s_or_b32 exec_lo, exec_lo, s0
	s_delay_alu instid0(SALU_CYCLE_1)
	s_mov_b32 s0, exec_lo
	v_cmpx_gt_u32_e32 32, v1
	s_cbranch_execz .LBB214_14
; %bb.13:
	v_dual_mov_b32 v2, 0 :: v_dual_mov_b32 v3, 0xff
	s_delay_alu instid0(VALU_DEP_1) | instskip(SKIP_1) | instid1(VALU_DEP_2)
	v_lshlrev_b64 v[4:5], 4, v[1:2]
	v_mov_b32_e32 v1, v2
	v_add_co_u32 v6, vcc_lo, s2, v4
	s_delay_alu instid0(VALU_DEP_3)
	v_add_co_ci_u32_e32 v7, vcc_lo, s3, v5, vcc_lo
	v_mov_b32_e32 v4, v2
	global_store_b128 v[6:7], v[1:4], off
.LBB214_14:
	s_nop 0
	s_sendmsg sendmsg(MSG_DEALLOC_VGPRS)
	s_endpgm
	.section	.rodata,"a",@progbits
	.p2align	6, 0x0
	.amdhsa_kernel _ZN7rocprim17ROCPRIM_400000_NS6detail31init_lookback_scan_state_kernelINS1_19lookback_scan_stateImLb1ELb1EEENS1_16block_id_wrapperIjLb0EEEEEvT_jT0_jPNS7_10value_typeE
		.amdhsa_group_segment_fixed_size 0
		.amdhsa_private_segment_fixed_size 0
		.amdhsa_kernarg_size 288
		.amdhsa_user_sgpr_count 15
		.amdhsa_user_sgpr_dispatch_ptr 0
		.amdhsa_user_sgpr_queue_ptr 0
		.amdhsa_user_sgpr_kernarg_segment_ptr 1
		.amdhsa_user_sgpr_dispatch_id 0
		.amdhsa_user_sgpr_private_segment_size 0
		.amdhsa_wavefront_size32 1
		.amdhsa_uses_dynamic_stack 0
		.amdhsa_enable_private_segment 0
		.amdhsa_system_sgpr_workgroup_id_x 1
		.amdhsa_system_sgpr_workgroup_id_y 0
		.amdhsa_system_sgpr_workgroup_id_z 0
		.amdhsa_system_sgpr_workgroup_info 0
		.amdhsa_system_vgpr_workitem_id 0
		.amdhsa_next_free_vgpr 9
		.amdhsa_next_free_sgpr 16
		.amdhsa_reserve_vcc 1
		.amdhsa_float_round_mode_32 0
		.amdhsa_float_round_mode_16_64 0
		.amdhsa_float_denorm_mode_32 3
		.amdhsa_float_denorm_mode_16_64 3
		.amdhsa_dx10_clamp 1
		.amdhsa_ieee_mode 1
		.amdhsa_fp16_overflow 0
		.amdhsa_workgroup_processor_mode 1
		.amdhsa_memory_ordered 1
		.amdhsa_forward_progress 0
		.amdhsa_shared_vgpr_count 0
		.amdhsa_exception_fp_ieee_invalid_op 0
		.amdhsa_exception_fp_denorm_src 0
		.amdhsa_exception_fp_ieee_div_zero 0
		.amdhsa_exception_fp_ieee_overflow 0
		.amdhsa_exception_fp_ieee_underflow 0
		.amdhsa_exception_fp_ieee_inexact 0
		.amdhsa_exception_int_div_zero 0
	.end_amdhsa_kernel
	.section	.text._ZN7rocprim17ROCPRIM_400000_NS6detail31init_lookback_scan_state_kernelINS1_19lookback_scan_stateImLb1ELb1EEENS1_16block_id_wrapperIjLb0EEEEEvT_jT0_jPNS7_10value_typeE,"axG",@progbits,_ZN7rocprim17ROCPRIM_400000_NS6detail31init_lookback_scan_state_kernelINS1_19lookback_scan_stateImLb1ELb1EEENS1_16block_id_wrapperIjLb0EEEEEvT_jT0_jPNS7_10value_typeE,comdat
.Lfunc_end214:
	.size	_ZN7rocprim17ROCPRIM_400000_NS6detail31init_lookback_scan_state_kernelINS1_19lookback_scan_stateImLb1ELb1EEENS1_16block_id_wrapperIjLb0EEEEEvT_jT0_jPNS7_10value_typeE, .Lfunc_end214-_ZN7rocprim17ROCPRIM_400000_NS6detail31init_lookback_scan_state_kernelINS1_19lookback_scan_stateImLb1ELb1EEENS1_16block_id_wrapperIjLb0EEEEEvT_jT0_jPNS7_10value_typeE
                                        ; -- End function
	.section	.AMDGPU.csdata,"",@progbits
; Kernel info:
; codeLenInByte = 516
; NumSgprs: 18
; NumVgprs: 9
; ScratchSize: 0
; MemoryBound: 0
; FloatMode: 240
; IeeeMode: 1
; LDSByteSize: 0 bytes/workgroup (compile time only)
; SGPRBlocks: 2
; VGPRBlocks: 1
; NumSGPRsForWavesPerEU: 18
; NumVGPRsForWavesPerEU: 9
; Occupancy: 16
; WaveLimiterHint : 0
; COMPUTE_PGM_RSRC2:SCRATCH_EN: 0
; COMPUTE_PGM_RSRC2:USER_SGPR: 15
; COMPUTE_PGM_RSRC2:TRAP_HANDLER: 0
; COMPUTE_PGM_RSRC2:TGID_X_EN: 1
; COMPUTE_PGM_RSRC2:TGID_Y_EN: 0
; COMPUTE_PGM_RSRC2:TGID_Z_EN: 0
; COMPUTE_PGM_RSRC2:TIDIG_COMP_CNT: 0
	.section	.text._ZN7rocprim17ROCPRIM_400000_NS6detail17trampoline_kernelINS0_14default_configENS1_25partition_config_selectorILNS1_17partition_subalgoE6EdNS0_10empty_typeEbEEZZNS1_14partition_implILS5_6ELb0ES3_mN6thrust23THRUST_200600_302600_NS6detail15normal_iteratorINSA_10device_ptrIdEEEEPS6_SG_NS0_5tupleIJSF_S6_EEENSH_IJSG_SG_EEES6_PlJ7is_evenIdEEEE10hipError_tPvRmT3_T4_T5_T6_T7_T9_mT8_P12ihipStream_tbDpT10_ENKUlT_T0_E_clISt17integral_constantIbLb1EES15_IbLb0EEEEDaS11_S12_EUlS11_E_NS1_11comp_targetILNS1_3genE0ELNS1_11target_archE4294967295ELNS1_3gpuE0ELNS1_3repE0EEENS1_30default_config_static_selectorELNS0_4arch9wavefront6targetE0EEEvT1_,"axG",@progbits,_ZN7rocprim17ROCPRIM_400000_NS6detail17trampoline_kernelINS0_14default_configENS1_25partition_config_selectorILNS1_17partition_subalgoE6EdNS0_10empty_typeEbEEZZNS1_14partition_implILS5_6ELb0ES3_mN6thrust23THRUST_200600_302600_NS6detail15normal_iteratorINSA_10device_ptrIdEEEEPS6_SG_NS0_5tupleIJSF_S6_EEENSH_IJSG_SG_EEES6_PlJ7is_evenIdEEEE10hipError_tPvRmT3_T4_T5_T6_T7_T9_mT8_P12ihipStream_tbDpT10_ENKUlT_T0_E_clISt17integral_constantIbLb1EES15_IbLb0EEEEDaS11_S12_EUlS11_E_NS1_11comp_targetILNS1_3genE0ELNS1_11target_archE4294967295ELNS1_3gpuE0ELNS1_3repE0EEENS1_30default_config_static_selectorELNS0_4arch9wavefront6targetE0EEEvT1_,comdat
	.protected	_ZN7rocprim17ROCPRIM_400000_NS6detail17trampoline_kernelINS0_14default_configENS1_25partition_config_selectorILNS1_17partition_subalgoE6EdNS0_10empty_typeEbEEZZNS1_14partition_implILS5_6ELb0ES3_mN6thrust23THRUST_200600_302600_NS6detail15normal_iteratorINSA_10device_ptrIdEEEEPS6_SG_NS0_5tupleIJSF_S6_EEENSH_IJSG_SG_EEES6_PlJ7is_evenIdEEEE10hipError_tPvRmT3_T4_T5_T6_T7_T9_mT8_P12ihipStream_tbDpT10_ENKUlT_T0_E_clISt17integral_constantIbLb1EES15_IbLb0EEEEDaS11_S12_EUlS11_E_NS1_11comp_targetILNS1_3genE0ELNS1_11target_archE4294967295ELNS1_3gpuE0ELNS1_3repE0EEENS1_30default_config_static_selectorELNS0_4arch9wavefront6targetE0EEEvT1_ ; -- Begin function _ZN7rocprim17ROCPRIM_400000_NS6detail17trampoline_kernelINS0_14default_configENS1_25partition_config_selectorILNS1_17partition_subalgoE6EdNS0_10empty_typeEbEEZZNS1_14partition_implILS5_6ELb0ES3_mN6thrust23THRUST_200600_302600_NS6detail15normal_iteratorINSA_10device_ptrIdEEEEPS6_SG_NS0_5tupleIJSF_S6_EEENSH_IJSG_SG_EEES6_PlJ7is_evenIdEEEE10hipError_tPvRmT3_T4_T5_T6_T7_T9_mT8_P12ihipStream_tbDpT10_ENKUlT_T0_E_clISt17integral_constantIbLb1EES15_IbLb0EEEEDaS11_S12_EUlS11_E_NS1_11comp_targetILNS1_3genE0ELNS1_11target_archE4294967295ELNS1_3gpuE0ELNS1_3repE0EEENS1_30default_config_static_selectorELNS0_4arch9wavefront6targetE0EEEvT1_
	.globl	_ZN7rocprim17ROCPRIM_400000_NS6detail17trampoline_kernelINS0_14default_configENS1_25partition_config_selectorILNS1_17partition_subalgoE6EdNS0_10empty_typeEbEEZZNS1_14partition_implILS5_6ELb0ES3_mN6thrust23THRUST_200600_302600_NS6detail15normal_iteratorINSA_10device_ptrIdEEEEPS6_SG_NS0_5tupleIJSF_S6_EEENSH_IJSG_SG_EEES6_PlJ7is_evenIdEEEE10hipError_tPvRmT3_T4_T5_T6_T7_T9_mT8_P12ihipStream_tbDpT10_ENKUlT_T0_E_clISt17integral_constantIbLb1EES15_IbLb0EEEEDaS11_S12_EUlS11_E_NS1_11comp_targetILNS1_3genE0ELNS1_11target_archE4294967295ELNS1_3gpuE0ELNS1_3repE0EEENS1_30default_config_static_selectorELNS0_4arch9wavefront6targetE0EEEvT1_
	.p2align	8
	.type	_ZN7rocprim17ROCPRIM_400000_NS6detail17trampoline_kernelINS0_14default_configENS1_25partition_config_selectorILNS1_17partition_subalgoE6EdNS0_10empty_typeEbEEZZNS1_14partition_implILS5_6ELb0ES3_mN6thrust23THRUST_200600_302600_NS6detail15normal_iteratorINSA_10device_ptrIdEEEEPS6_SG_NS0_5tupleIJSF_S6_EEENSH_IJSG_SG_EEES6_PlJ7is_evenIdEEEE10hipError_tPvRmT3_T4_T5_T6_T7_T9_mT8_P12ihipStream_tbDpT10_ENKUlT_T0_E_clISt17integral_constantIbLb1EES15_IbLb0EEEEDaS11_S12_EUlS11_E_NS1_11comp_targetILNS1_3genE0ELNS1_11target_archE4294967295ELNS1_3gpuE0ELNS1_3repE0EEENS1_30default_config_static_selectorELNS0_4arch9wavefront6targetE0EEEvT1_,@function
_ZN7rocprim17ROCPRIM_400000_NS6detail17trampoline_kernelINS0_14default_configENS1_25partition_config_selectorILNS1_17partition_subalgoE6EdNS0_10empty_typeEbEEZZNS1_14partition_implILS5_6ELb0ES3_mN6thrust23THRUST_200600_302600_NS6detail15normal_iteratorINSA_10device_ptrIdEEEEPS6_SG_NS0_5tupleIJSF_S6_EEENSH_IJSG_SG_EEES6_PlJ7is_evenIdEEEE10hipError_tPvRmT3_T4_T5_T6_T7_T9_mT8_P12ihipStream_tbDpT10_ENKUlT_T0_E_clISt17integral_constantIbLb1EES15_IbLb0EEEEDaS11_S12_EUlS11_E_NS1_11comp_targetILNS1_3genE0ELNS1_11target_archE4294967295ELNS1_3gpuE0ELNS1_3repE0EEENS1_30default_config_static_selectorELNS0_4arch9wavefront6targetE0EEEvT1_: ; @_ZN7rocprim17ROCPRIM_400000_NS6detail17trampoline_kernelINS0_14default_configENS1_25partition_config_selectorILNS1_17partition_subalgoE6EdNS0_10empty_typeEbEEZZNS1_14partition_implILS5_6ELb0ES3_mN6thrust23THRUST_200600_302600_NS6detail15normal_iteratorINSA_10device_ptrIdEEEEPS6_SG_NS0_5tupleIJSF_S6_EEENSH_IJSG_SG_EEES6_PlJ7is_evenIdEEEE10hipError_tPvRmT3_T4_T5_T6_T7_T9_mT8_P12ihipStream_tbDpT10_ENKUlT_T0_E_clISt17integral_constantIbLb1EES15_IbLb0EEEEDaS11_S12_EUlS11_E_NS1_11comp_targetILNS1_3genE0ELNS1_11target_archE4294967295ELNS1_3gpuE0ELNS1_3repE0EEENS1_30default_config_static_selectorELNS0_4arch9wavefront6targetE0EEEvT1_
; %bb.0:
	.section	.rodata,"a",@progbits
	.p2align	6, 0x0
	.amdhsa_kernel _ZN7rocprim17ROCPRIM_400000_NS6detail17trampoline_kernelINS0_14default_configENS1_25partition_config_selectorILNS1_17partition_subalgoE6EdNS0_10empty_typeEbEEZZNS1_14partition_implILS5_6ELb0ES3_mN6thrust23THRUST_200600_302600_NS6detail15normal_iteratorINSA_10device_ptrIdEEEEPS6_SG_NS0_5tupleIJSF_S6_EEENSH_IJSG_SG_EEES6_PlJ7is_evenIdEEEE10hipError_tPvRmT3_T4_T5_T6_T7_T9_mT8_P12ihipStream_tbDpT10_ENKUlT_T0_E_clISt17integral_constantIbLb1EES15_IbLb0EEEEDaS11_S12_EUlS11_E_NS1_11comp_targetILNS1_3genE0ELNS1_11target_archE4294967295ELNS1_3gpuE0ELNS1_3repE0EEENS1_30default_config_static_selectorELNS0_4arch9wavefront6targetE0EEEvT1_
		.amdhsa_group_segment_fixed_size 0
		.amdhsa_private_segment_fixed_size 0
		.amdhsa_kernarg_size 112
		.amdhsa_user_sgpr_count 15
		.amdhsa_user_sgpr_dispatch_ptr 0
		.amdhsa_user_sgpr_queue_ptr 0
		.amdhsa_user_sgpr_kernarg_segment_ptr 1
		.amdhsa_user_sgpr_dispatch_id 0
		.amdhsa_user_sgpr_private_segment_size 0
		.amdhsa_wavefront_size32 1
		.amdhsa_uses_dynamic_stack 0
		.amdhsa_enable_private_segment 0
		.amdhsa_system_sgpr_workgroup_id_x 1
		.amdhsa_system_sgpr_workgroup_id_y 0
		.amdhsa_system_sgpr_workgroup_id_z 0
		.amdhsa_system_sgpr_workgroup_info 0
		.amdhsa_system_vgpr_workitem_id 0
		.amdhsa_next_free_vgpr 1
		.amdhsa_next_free_sgpr 1
		.amdhsa_reserve_vcc 0
		.amdhsa_float_round_mode_32 0
		.amdhsa_float_round_mode_16_64 0
		.amdhsa_float_denorm_mode_32 3
		.amdhsa_float_denorm_mode_16_64 3
		.amdhsa_dx10_clamp 1
		.amdhsa_ieee_mode 1
		.amdhsa_fp16_overflow 0
		.amdhsa_workgroup_processor_mode 1
		.amdhsa_memory_ordered 1
		.amdhsa_forward_progress 0
		.amdhsa_shared_vgpr_count 0
		.amdhsa_exception_fp_ieee_invalid_op 0
		.amdhsa_exception_fp_denorm_src 0
		.amdhsa_exception_fp_ieee_div_zero 0
		.amdhsa_exception_fp_ieee_overflow 0
		.amdhsa_exception_fp_ieee_underflow 0
		.amdhsa_exception_fp_ieee_inexact 0
		.amdhsa_exception_int_div_zero 0
	.end_amdhsa_kernel
	.section	.text._ZN7rocprim17ROCPRIM_400000_NS6detail17trampoline_kernelINS0_14default_configENS1_25partition_config_selectorILNS1_17partition_subalgoE6EdNS0_10empty_typeEbEEZZNS1_14partition_implILS5_6ELb0ES3_mN6thrust23THRUST_200600_302600_NS6detail15normal_iteratorINSA_10device_ptrIdEEEEPS6_SG_NS0_5tupleIJSF_S6_EEENSH_IJSG_SG_EEES6_PlJ7is_evenIdEEEE10hipError_tPvRmT3_T4_T5_T6_T7_T9_mT8_P12ihipStream_tbDpT10_ENKUlT_T0_E_clISt17integral_constantIbLb1EES15_IbLb0EEEEDaS11_S12_EUlS11_E_NS1_11comp_targetILNS1_3genE0ELNS1_11target_archE4294967295ELNS1_3gpuE0ELNS1_3repE0EEENS1_30default_config_static_selectorELNS0_4arch9wavefront6targetE0EEEvT1_,"axG",@progbits,_ZN7rocprim17ROCPRIM_400000_NS6detail17trampoline_kernelINS0_14default_configENS1_25partition_config_selectorILNS1_17partition_subalgoE6EdNS0_10empty_typeEbEEZZNS1_14partition_implILS5_6ELb0ES3_mN6thrust23THRUST_200600_302600_NS6detail15normal_iteratorINSA_10device_ptrIdEEEEPS6_SG_NS0_5tupleIJSF_S6_EEENSH_IJSG_SG_EEES6_PlJ7is_evenIdEEEE10hipError_tPvRmT3_T4_T5_T6_T7_T9_mT8_P12ihipStream_tbDpT10_ENKUlT_T0_E_clISt17integral_constantIbLb1EES15_IbLb0EEEEDaS11_S12_EUlS11_E_NS1_11comp_targetILNS1_3genE0ELNS1_11target_archE4294967295ELNS1_3gpuE0ELNS1_3repE0EEENS1_30default_config_static_selectorELNS0_4arch9wavefront6targetE0EEEvT1_,comdat
.Lfunc_end215:
	.size	_ZN7rocprim17ROCPRIM_400000_NS6detail17trampoline_kernelINS0_14default_configENS1_25partition_config_selectorILNS1_17partition_subalgoE6EdNS0_10empty_typeEbEEZZNS1_14partition_implILS5_6ELb0ES3_mN6thrust23THRUST_200600_302600_NS6detail15normal_iteratorINSA_10device_ptrIdEEEEPS6_SG_NS0_5tupleIJSF_S6_EEENSH_IJSG_SG_EEES6_PlJ7is_evenIdEEEE10hipError_tPvRmT3_T4_T5_T6_T7_T9_mT8_P12ihipStream_tbDpT10_ENKUlT_T0_E_clISt17integral_constantIbLb1EES15_IbLb0EEEEDaS11_S12_EUlS11_E_NS1_11comp_targetILNS1_3genE0ELNS1_11target_archE4294967295ELNS1_3gpuE0ELNS1_3repE0EEENS1_30default_config_static_selectorELNS0_4arch9wavefront6targetE0EEEvT1_, .Lfunc_end215-_ZN7rocprim17ROCPRIM_400000_NS6detail17trampoline_kernelINS0_14default_configENS1_25partition_config_selectorILNS1_17partition_subalgoE6EdNS0_10empty_typeEbEEZZNS1_14partition_implILS5_6ELb0ES3_mN6thrust23THRUST_200600_302600_NS6detail15normal_iteratorINSA_10device_ptrIdEEEEPS6_SG_NS0_5tupleIJSF_S6_EEENSH_IJSG_SG_EEES6_PlJ7is_evenIdEEEE10hipError_tPvRmT3_T4_T5_T6_T7_T9_mT8_P12ihipStream_tbDpT10_ENKUlT_T0_E_clISt17integral_constantIbLb1EES15_IbLb0EEEEDaS11_S12_EUlS11_E_NS1_11comp_targetILNS1_3genE0ELNS1_11target_archE4294967295ELNS1_3gpuE0ELNS1_3repE0EEENS1_30default_config_static_selectorELNS0_4arch9wavefront6targetE0EEEvT1_
                                        ; -- End function
	.section	.AMDGPU.csdata,"",@progbits
; Kernel info:
; codeLenInByte = 0
; NumSgprs: 0
; NumVgprs: 0
; ScratchSize: 0
; MemoryBound: 0
; FloatMode: 240
; IeeeMode: 1
; LDSByteSize: 0 bytes/workgroup (compile time only)
; SGPRBlocks: 0
; VGPRBlocks: 0
; NumSGPRsForWavesPerEU: 1
; NumVGPRsForWavesPerEU: 1
; Occupancy: 16
; WaveLimiterHint : 0
; COMPUTE_PGM_RSRC2:SCRATCH_EN: 0
; COMPUTE_PGM_RSRC2:USER_SGPR: 15
; COMPUTE_PGM_RSRC2:TRAP_HANDLER: 0
; COMPUTE_PGM_RSRC2:TGID_X_EN: 1
; COMPUTE_PGM_RSRC2:TGID_Y_EN: 0
; COMPUTE_PGM_RSRC2:TGID_Z_EN: 0
; COMPUTE_PGM_RSRC2:TIDIG_COMP_CNT: 0
	.section	.text._ZN7rocprim17ROCPRIM_400000_NS6detail17trampoline_kernelINS0_14default_configENS1_25partition_config_selectorILNS1_17partition_subalgoE6EdNS0_10empty_typeEbEEZZNS1_14partition_implILS5_6ELb0ES3_mN6thrust23THRUST_200600_302600_NS6detail15normal_iteratorINSA_10device_ptrIdEEEEPS6_SG_NS0_5tupleIJSF_S6_EEENSH_IJSG_SG_EEES6_PlJ7is_evenIdEEEE10hipError_tPvRmT3_T4_T5_T6_T7_T9_mT8_P12ihipStream_tbDpT10_ENKUlT_T0_E_clISt17integral_constantIbLb1EES15_IbLb0EEEEDaS11_S12_EUlS11_E_NS1_11comp_targetILNS1_3genE5ELNS1_11target_archE942ELNS1_3gpuE9ELNS1_3repE0EEENS1_30default_config_static_selectorELNS0_4arch9wavefront6targetE0EEEvT1_,"axG",@progbits,_ZN7rocprim17ROCPRIM_400000_NS6detail17trampoline_kernelINS0_14default_configENS1_25partition_config_selectorILNS1_17partition_subalgoE6EdNS0_10empty_typeEbEEZZNS1_14partition_implILS5_6ELb0ES3_mN6thrust23THRUST_200600_302600_NS6detail15normal_iteratorINSA_10device_ptrIdEEEEPS6_SG_NS0_5tupleIJSF_S6_EEENSH_IJSG_SG_EEES6_PlJ7is_evenIdEEEE10hipError_tPvRmT3_T4_T5_T6_T7_T9_mT8_P12ihipStream_tbDpT10_ENKUlT_T0_E_clISt17integral_constantIbLb1EES15_IbLb0EEEEDaS11_S12_EUlS11_E_NS1_11comp_targetILNS1_3genE5ELNS1_11target_archE942ELNS1_3gpuE9ELNS1_3repE0EEENS1_30default_config_static_selectorELNS0_4arch9wavefront6targetE0EEEvT1_,comdat
	.protected	_ZN7rocprim17ROCPRIM_400000_NS6detail17trampoline_kernelINS0_14default_configENS1_25partition_config_selectorILNS1_17partition_subalgoE6EdNS0_10empty_typeEbEEZZNS1_14partition_implILS5_6ELb0ES3_mN6thrust23THRUST_200600_302600_NS6detail15normal_iteratorINSA_10device_ptrIdEEEEPS6_SG_NS0_5tupleIJSF_S6_EEENSH_IJSG_SG_EEES6_PlJ7is_evenIdEEEE10hipError_tPvRmT3_T4_T5_T6_T7_T9_mT8_P12ihipStream_tbDpT10_ENKUlT_T0_E_clISt17integral_constantIbLb1EES15_IbLb0EEEEDaS11_S12_EUlS11_E_NS1_11comp_targetILNS1_3genE5ELNS1_11target_archE942ELNS1_3gpuE9ELNS1_3repE0EEENS1_30default_config_static_selectorELNS0_4arch9wavefront6targetE0EEEvT1_ ; -- Begin function _ZN7rocprim17ROCPRIM_400000_NS6detail17trampoline_kernelINS0_14default_configENS1_25partition_config_selectorILNS1_17partition_subalgoE6EdNS0_10empty_typeEbEEZZNS1_14partition_implILS5_6ELb0ES3_mN6thrust23THRUST_200600_302600_NS6detail15normal_iteratorINSA_10device_ptrIdEEEEPS6_SG_NS0_5tupleIJSF_S6_EEENSH_IJSG_SG_EEES6_PlJ7is_evenIdEEEE10hipError_tPvRmT3_T4_T5_T6_T7_T9_mT8_P12ihipStream_tbDpT10_ENKUlT_T0_E_clISt17integral_constantIbLb1EES15_IbLb0EEEEDaS11_S12_EUlS11_E_NS1_11comp_targetILNS1_3genE5ELNS1_11target_archE942ELNS1_3gpuE9ELNS1_3repE0EEENS1_30default_config_static_selectorELNS0_4arch9wavefront6targetE0EEEvT1_
	.globl	_ZN7rocprim17ROCPRIM_400000_NS6detail17trampoline_kernelINS0_14default_configENS1_25partition_config_selectorILNS1_17partition_subalgoE6EdNS0_10empty_typeEbEEZZNS1_14partition_implILS5_6ELb0ES3_mN6thrust23THRUST_200600_302600_NS6detail15normal_iteratorINSA_10device_ptrIdEEEEPS6_SG_NS0_5tupleIJSF_S6_EEENSH_IJSG_SG_EEES6_PlJ7is_evenIdEEEE10hipError_tPvRmT3_T4_T5_T6_T7_T9_mT8_P12ihipStream_tbDpT10_ENKUlT_T0_E_clISt17integral_constantIbLb1EES15_IbLb0EEEEDaS11_S12_EUlS11_E_NS1_11comp_targetILNS1_3genE5ELNS1_11target_archE942ELNS1_3gpuE9ELNS1_3repE0EEENS1_30default_config_static_selectorELNS0_4arch9wavefront6targetE0EEEvT1_
	.p2align	8
	.type	_ZN7rocprim17ROCPRIM_400000_NS6detail17trampoline_kernelINS0_14default_configENS1_25partition_config_selectorILNS1_17partition_subalgoE6EdNS0_10empty_typeEbEEZZNS1_14partition_implILS5_6ELb0ES3_mN6thrust23THRUST_200600_302600_NS6detail15normal_iteratorINSA_10device_ptrIdEEEEPS6_SG_NS0_5tupleIJSF_S6_EEENSH_IJSG_SG_EEES6_PlJ7is_evenIdEEEE10hipError_tPvRmT3_T4_T5_T6_T7_T9_mT8_P12ihipStream_tbDpT10_ENKUlT_T0_E_clISt17integral_constantIbLb1EES15_IbLb0EEEEDaS11_S12_EUlS11_E_NS1_11comp_targetILNS1_3genE5ELNS1_11target_archE942ELNS1_3gpuE9ELNS1_3repE0EEENS1_30default_config_static_selectorELNS0_4arch9wavefront6targetE0EEEvT1_,@function
_ZN7rocprim17ROCPRIM_400000_NS6detail17trampoline_kernelINS0_14default_configENS1_25partition_config_selectorILNS1_17partition_subalgoE6EdNS0_10empty_typeEbEEZZNS1_14partition_implILS5_6ELb0ES3_mN6thrust23THRUST_200600_302600_NS6detail15normal_iteratorINSA_10device_ptrIdEEEEPS6_SG_NS0_5tupleIJSF_S6_EEENSH_IJSG_SG_EEES6_PlJ7is_evenIdEEEE10hipError_tPvRmT3_T4_T5_T6_T7_T9_mT8_P12ihipStream_tbDpT10_ENKUlT_T0_E_clISt17integral_constantIbLb1EES15_IbLb0EEEEDaS11_S12_EUlS11_E_NS1_11comp_targetILNS1_3genE5ELNS1_11target_archE942ELNS1_3gpuE9ELNS1_3repE0EEENS1_30default_config_static_selectorELNS0_4arch9wavefront6targetE0EEEvT1_: ; @_ZN7rocprim17ROCPRIM_400000_NS6detail17trampoline_kernelINS0_14default_configENS1_25partition_config_selectorILNS1_17partition_subalgoE6EdNS0_10empty_typeEbEEZZNS1_14partition_implILS5_6ELb0ES3_mN6thrust23THRUST_200600_302600_NS6detail15normal_iteratorINSA_10device_ptrIdEEEEPS6_SG_NS0_5tupleIJSF_S6_EEENSH_IJSG_SG_EEES6_PlJ7is_evenIdEEEE10hipError_tPvRmT3_T4_T5_T6_T7_T9_mT8_P12ihipStream_tbDpT10_ENKUlT_T0_E_clISt17integral_constantIbLb1EES15_IbLb0EEEEDaS11_S12_EUlS11_E_NS1_11comp_targetILNS1_3genE5ELNS1_11target_archE942ELNS1_3gpuE9ELNS1_3repE0EEENS1_30default_config_static_selectorELNS0_4arch9wavefront6targetE0EEEvT1_
; %bb.0:
	.section	.rodata,"a",@progbits
	.p2align	6, 0x0
	.amdhsa_kernel _ZN7rocprim17ROCPRIM_400000_NS6detail17trampoline_kernelINS0_14default_configENS1_25partition_config_selectorILNS1_17partition_subalgoE6EdNS0_10empty_typeEbEEZZNS1_14partition_implILS5_6ELb0ES3_mN6thrust23THRUST_200600_302600_NS6detail15normal_iteratorINSA_10device_ptrIdEEEEPS6_SG_NS0_5tupleIJSF_S6_EEENSH_IJSG_SG_EEES6_PlJ7is_evenIdEEEE10hipError_tPvRmT3_T4_T5_T6_T7_T9_mT8_P12ihipStream_tbDpT10_ENKUlT_T0_E_clISt17integral_constantIbLb1EES15_IbLb0EEEEDaS11_S12_EUlS11_E_NS1_11comp_targetILNS1_3genE5ELNS1_11target_archE942ELNS1_3gpuE9ELNS1_3repE0EEENS1_30default_config_static_selectorELNS0_4arch9wavefront6targetE0EEEvT1_
		.amdhsa_group_segment_fixed_size 0
		.amdhsa_private_segment_fixed_size 0
		.amdhsa_kernarg_size 112
		.amdhsa_user_sgpr_count 15
		.amdhsa_user_sgpr_dispatch_ptr 0
		.amdhsa_user_sgpr_queue_ptr 0
		.amdhsa_user_sgpr_kernarg_segment_ptr 1
		.amdhsa_user_sgpr_dispatch_id 0
		.amdhsa_user_sgpr_private_segment_size 0
		.amdhsa_wavefront_size32 1
		.amdhsa_uses_dynamic_stack 0
		.amdhsa_enable_private_segment 0
		.amdhsa_system_sgpr_workgroup_id_x 1
		.amdhsa_system_sgpr_workgroup_id_y 0
		.amdhsa_system_sgpr_workgroup_id_z 0
		.amdhsa_system_sgpr_workgroup_info 0
		.amdhsa_system_vgpr_workitem_id 0
		.amdhsa_next_free_vgpr 1
		.amdhsa_next_free_sgpr 1
		.amdhsa_reserve_vcc 0
		.amdhsa_float_round_mode_32 0
		.amdhsa_float_round_mode_16_64 0
		.amdhsa_float_denorm_mode_32 3
		.amdhsa_float_denorm_mode_16_64 3
		.amdhsa_dx10_clamp 1
		.amdhsa_ieee_mode 1
		.amdhsa_fp16_overflow 0
		.amdhsa_workgroup_processor_mode 1
		.amdhsa_memory_ordered 1
		.amdhsa_forward_progress 0
		.amdhsa_shared_vgpr_count 0
		.amdhsa_exception_fp_ieee_invalid_op 0
		.amdhsa_exception_fp_denorm_src 0
		.amdhsa_exception_fp_ieee_div_zero 0
		.amdhsa_exception_fp_ieee_overflow 0
		.amdhsa_exception_fp_ieee_underflow 0
		.amdhsa_exception_fp_ieee_inexact 0
		.amdhsa_exception_int_div_zero 0
	.end_amdhsa_kernel
	.section	.text._ZN7rocprim17ROCPRIM_400000_NS6detail17trampoline_kernelINS0_14default_configENS1_25partition_config_selectorILNS1_17partition_subalgoE6EdNS0_10empty_typeEbEEZZNS1_14partition_implILS5_6ELb0ES3_mN6thrust23THRUST_200600_302600_NS6detail15normal_iteratorINSA_10device_ptrIdEEEEPS6_SG_NS0_5tupleIJSF_S6_EEENSH_IJSG_SG_EEES6_PlJ7is_evenIdEEEE10hipError_tPvRmT3_T4_T5_T6_T7_T9_mT8_P12ihipStream_tbDpT10_ENKUlT_T0_E_clISt17integral_constantIbLb1EES15_IbLb0EEEEDaS11_S12_EUlS11_E_NS1_11comp_targetILNS1_3genE5ELNS1_11target_archE942ELNS1_3gpuE9ELNS1_3repE0EEENS1_30default_config_static_selectorELNS0_4arch9wavefront6targetE0EEEvT1_,"axG",@progbits,_ZN7rocprim17ROCPRIM_400000_NS6detail17trampoline_kernelINS0_14default_configENS1_25partition_config_selectorILNS1_17partition_subalgoE6EdNS0_10empty_typeEbEEZZNS1_14partition_implILS5_6ELb0ES3_mN6thrust23THRUST_200600_302600_NS6detail15normal_iteratorINSA_10device_ptrIdEEEEPS6_SG_NS0_5tupleIJSF_S6_EEENSH_IJSG_SG_EEES6_PlJ7is_evenIdEEEE10hipError_tPvRmT3_T4_T5_T6_T7_T9_mT8_P12ihipStream_tbDpT10_ENKUlT_T0_E_clISt17integral_constantIbLb1EES15_IbLb0EEEEDaS11_S12_EUlS11_E_NS1_11comp_targetILNS1_3genE5ELNS1_11target_archE942ELNS1_3gpuE9ELNS1_3repE0EEENS1_30default_config_static_selectorELNS0_4arch9wavefront6targetE0EEEvT1_,comdat
.Lfunc_end216:
	.size	_ZN7rocprim17ROCPRIM_400000_NS6detail17trampoline_kernelINS0_14default_configENS1_25partition_config_selectorILNS1_17partition_subalgoE6EdNS0_10empty_typeEbEEZZNS1_14partition_implILS5_6ELb0ES3_mN6thrust23THRUST_200600_302600_NS6detail15normal_iteratorINSA_10device_ptrIdEEEEPS6_SG_NS0_5tupleIJSF_S6_EEENSH_IJSG_SG_EEES6_PlJ7is_evenIdEEEE10hipError_tPvRmT3_T4_T5_T6_T7_T9_mT8_P12ihipStream_tbDpT10_ENKUlT_T0_E_clISt17integral_constantIbLb1EES15_IbLb0EEEEDaS11_S12_EUlS11_E_NS1_11comp_targetILNS1_3genE5ELNS1_11target_archE942ELNS1_3gpuE9ELNS1_3repE0EEENS1_30default_config_static_selectorELNS0_4arch9wavefront6targetE0EEEvT1_, .Lfunc_end216-_ZN7rocprim17ROCPRIM_400000_NS6detail17trampoline_kernelINS0_14default_configENS1_25partition_config_selectorILNS1_17partition_subalgoE6EdNS0_10empty_typeEbEEZZNS1_14partition_implILS5_6ELb0ES3_mN6thrust23THRUST_200600_302600_NS6detail15normal_iteratorINSA_10device_ptrIdEEEEPS6_SG_NS0_5tupleIJSF_S6_EEENSH_IJSG_SG_EEES6_PlJ7is_evenIdEEEE10hipError_tPvRmT3_T4_T5_T6_T7_T9_mT8_P12ihipStream_tbDpT10_ENKUlT_T0_E_clISt17integral_constantIbLb1EES15_IbLb0EEEEDaS11_S12_EUlS11_E_NS1_11comp_targetILNS1_3genE5ELNS1_11target_archE942ELNS1_3gpuE9ELNS1_3repE0EEENS1_30default_config_static_selectorELNS0_4arch9wavefront6targetE0EEEvT1_
                                        ; -- End function
	.section	.AMDGPU.csdata,"",@progbits
; Kernel info:
; codeLenInByte = 0
; NumSgprs: 0
; NumVgprs: 0
; ScratchSize: 0
; MemoryBound: 0
; FloatMode: 240
; IeeeMode: 1
; LDSByteSize: 0 bytes/workgroup (compile time only)
; SGPRBlocks: 0
; VGPRBlocks: 0
; NumSGPRsForWavesPerEU: 1
; NumVGPRsForWavesPerEU: 1
; Occupancy: 16
; WaveLimiterHint : 0
; COMPUTE_PGM_RSRC2:SCRATCH_EN: 0
; COMPUTE_PGM_RSRC2:USER_SGPR: 15
; COMPUTE_PGM_RSRC2:TRAP_HANDLER: 0
; COMPUTE_PGM_RSRC2:TGID_X_EN: 1
; COMPUTE_PGM_RSRC2:TGID_Y_EN: 0
; COMPUTE_PGM_RSRC2:TGID_Z_EN: 0
; COMPUTE_PGM_RSRC2:TIDIG_COMP_CNT: 0
	.section	.text._ZN7rocprim17ROCPRIM_400000_NS6detail17trampoline_kernelINS0_14default_configENS1_25partition_config_selectorILNS1_17partition_subalgoE6EdNS0_10empty_typeEbEEZZNS1_14partition_implILS5_6ELb0ES3_mN6thrust23THRUST_200600_302600_NS6detail15normal_iteratorINSA_10device_ptrIdEEEEPS6_SG_NS0_5tupleIJSF_S6_EEENSH_IJSG_SG_EEES6_PlJ7is_evenIdEEEE10hipError_tPvRmT3_T4_T5_T6_T7_T9_mT8_P12ihipStream_tbDpT10_ENKUlT_T0_E_clISt17integral_constantIbLb1EES15_IbLb0EEEEDaS11_S12_EUlS11_E_NS1_11comp_targetILNS1_3genE4ELNS1_11target_archE910ELNS1_3gpuE8ELNS1_3repE0EEENS1_30default_config_static_selectorELNS0_4arch9wavefront6targetE0EEEvT1_,"axG",@progbits,_ZN7rocprim17ROCPRIM_400000_NS6detail17trampoline_kernelINS0_14default_configENS1_25partition_config_selectorILNS1_17partition_subalgoE6EdNS0_10empty_typeEbEEZZNS1_14partition_implILS5_6ELb0ES3_mN6thrust23THRUST_200600_302600_NS6detail15normal_iteratorINSA_10device_ptrIdEEEEPS6_SG_NS0_5tupleIJSF_S6_EEENSH_IJSG_SG_EEES6_PlJ7is_evenIdEEEE10hipError_tPvRmT3_T4_T5_T6_T7_T9_mT8_P12ihipStream_tbDpT10_ENKUlT_T0_E_clISt17integral_constantIbLb1EES15_IbLb0EEEEDaS11_S12_EUlS11_E_NS1_11comp_targetILNS1_3genE4ELNS1_11target_archE910ELNS1_3gpuE8ELNS1_3repE0EEENS1_30default_config_static_selectorELNS0_4arch9wavefront6targetE0EEEvT1_,comdat
	.protected	_ZN7rocprim17ROCPRIM_400000_NS6detail17trampoline_kernelINS0_14default_configENS1_25partition_config_selectorILNS1_17partition_subalgoE6EdNS0_10empty_typeEbEEZZNS1_14partition_implILS5_6ELb0ES3_mN6thrust23THRUST_200600_302600_NS6detail15normal_iteratorINSA_10device_ptrIdEEEEPS6_SG_NS0_5tupleIJSF_S6_EEENSH_IJSG_SG_EEES6_PlJ7is_evenIdEEEE10hipError_tPvRmT3_T4_T5_T6_T7_T9_mT8_P12ihipStream_tbDpT10_ENKUlT_T0_E_clISt17integral_constantIbLb1EES15_IbLb0EEEEDaS11_S12_EUlS11_E_NS1_11comp_targetILNS1_3genE4ELNS1_11target_archE910ELNS1_3gpuE8ELNS1_3repE0EEENS1_30default_config_static_selectorELNS0_4arch9wavefront6targetE0EEEvT1_ ; -- Begin function _ZN7rocprim17ROCPRIM_400000_NS6detail17trampoline_kernelINS0_14default_configENS1_25partition_config_selectorILNS1_17partition_subalgoE6EdNS0_10empty_typeEbEEZZNS1_14partition_implILS5_6ELb0ES3_mN6thrust23THRUST_200600_302600_NS6detail15normal_iteratorINSA_10device_ptrIdEEEEPS6_SG_NS0_5tupleIJSF_S6_EEENSH_IJSG_SG_EEES6_PlJ7is_evenIdEEEE10hipError_tPvRmT3_T4_T5_T6_T7_T9_mT8_P12ihipStream_tbDpT10_ENKUlT_T0_E_clISt17integral_constantIbLb1EES15_IbLb0EEEEDaS11_S12_EUlS11_E_NS1_11comp_targetILNS1_3genE4ELNS1_11target_archE910ELNS1_3gpuE8ELNS1_3repE0EEENS1_30default_config_static_selectorELNS0_4arch9wavefront6targetE0EEEvT1_
	.globl	_ZN7rocprim17ROCPRIM_400000_NS6detail17trampoline_kernelINS0_14default_configENS1_25partition_config_selectorILNS1_17partition_subalgoE6EdNS0_10empty_typeEbEEZZNS1_14partition_implILS5_6ELb0ES3_mN6thrust23THRUST_200600_302600_NS6detail15normal_iteratorINSA_10device_ptrIdEEEEPS6_SG_NS0_5tupleIJSF_S6_EEENSH_IJSG_SG_EEES6_PlJ7is_evenIdEEEE10hipError_tPvRmT3_T4_T5_T6_T7_T9_mT8_P12ihipStream_tbDpT10_ENKUlT_T0_E_clISt17integral_constantIbLb1EES15_IbLb0EEEEDaS11_S12_EUlS11_E_NS1_11comp_targetILNS1_3genE4ELNS1_11target_archE910ELNS1_3gpuE8ELNS1_3repE0EEENS1_30default_config_static_selectorELNS0_4arch9wavefront6targetE0EEEvT1_
	.p2align	8
	.type	_ZN7rocprim17ROCPRIM_400000_NS6detail17trampoline_kernelINS0_14default_configENS1_25partition_config_selectorILNS1_17partition_subalgoE6EdNS0_10empty_typeEbEEZZNS1_14partition_implILS5_6ELb0ES3_mN6thrust23THRUST_200600_302600_NS6detail15normal_iteratorINSA_10device_ptrIdEEEEPS6_SG_NS0_5tupleIJSF_S6_EEENSH_IJSG_SG_EEES6_PlJ7is_evenIdEEEE10hipError_tPvRmT3_T4_T5_T6_T7_T9_mT8_P12ihipStream_tbDpT10_ENKUlT_T0_E_clISt17integral_constantIbLb1EES15_IbLb0EEEEDaS11_S12_EUlS11_E_NS1_11comp_targetILNS1_3genE4ELNS1_11target_archE910ELNS1_3gpuE8ELNS1_3repE0EEENS1_30default_config_static_selectorELNS0_4arch9wavefront6targetE0EEEvT1_,@function
_ZN7rocprim17ROCPRIM_400000_NS6detail17trampoline_kernelINS0_14default_configENS1_25partition_config_selectorILNS1_17partition_subalgoE6EdNS0_10empty_typeEbEEZZNS1_14partition_implILS5_6ELb0ES3_mN6thrust23THRUST_200600_302600_NS6detail15normal_iteratorINSA_10device_ptrIdEEEEPS6_SG_NS0_5tupleIJSF_S6_EEENSH_IJSG_SG_EEES6_PlJ7is_evenIdEEEE10hipError_tPvRmT3_T4_T5_T6_T7_T9_mT8_P12ihipStream_tbDpT10_ENKUlT_T0_E_clISt17integral_constantIbLb1EES15_IbLb0EEEEDaS11_S12_EUlS11_E_NS1_11comp_targetILNS1_3genE4ELNS1_11target_archE910ELNS1_3gpuE8ELNS1_3repE0EEENS1_30default_config_static_selectorELNS0_4arch9wavefront6targetE0EEEvT1_: ; @_ZN7rocprim17ROCPRIM_400000_NS6detail17trampoline_kernelINS0_14default_configENS1_25partition_config_selectorILNS1_17partition_subalgoE6EdNS0_10empty_typeEbEEZZNS1_14partition_implILS5_6ELb0ES3_mN6thrust23THRUST_200600_302600_NS6detail15normal_iteratorINSA_10device_ptrIdEEEEPS6_SG_NS0_5tupleIJSF_S6_EEENSH_IJSG_SG_EEES6_PlJ7is_evenIdEEEE10hipError_tPvRmT3_T4_T5_T6_T7_T9_mT8_P12ihipStream_tbDpT10_ENKUlT_T0_E_clISt17integral_constantIbLb1EES15_IbLb0EEEEDaS11_S12_EUlS11_E_NS1_11comp_targetILNS1_3genE4ELNS1_11target_archE910ELNS1_3gpuE8ELNS1_3repE0EEENS1_30default_config_static_selectorELNS0_4arch9wavefront6targetE0EEEvT1_
; %bb.0:
	.section	.rodata,"a",@progbits
	.p2align	6, 0x0
	.amdhsa_kernel _ZN7rocprim17ROCPRIM_400000_NS6detail17trampoline_kernelINS0_14default_configENS1_25partition_config_selectorILNS1_17partition_subalgoE6EdNS0_10empty_typeEbEEZZNS1_14partition_implILS5_6ELb0ES3_mN6thrust23THRUST_200600_302600_NS6detail15normal_iteratorINSA_10device_ptrIdEEEEPS6_SG_NS0_5tupleIJSF_S6_EEENSH_IJSG_SG_EEES6_PlJ7is_evenIdEEEE10hipError_tPvRmT3_T4_T5_T6_T7_T9_mT8_P12ihipStream_tbDpT10_ENKUlT_T0_E_clISt17integral_constantIbLb1EES15_IbLb0EEEEDaS11_S12_EUlS11_E_NS1_11comp_targetILNS1_3genE4ELNS1_11target_archE910ELNS1_3gpuE8ELNS1_3repE0EEENS1_30default_config_static_selectorELNS0_4arch9wavefront6targetE0EEEvT1_
		.amdhsa_group_segment_fixed_size 0
		.amdhsa_private_segment_fixed_size 0
		.amdhsa_kernarg_size 112
		.amdhsa_user_sgpr_count 15
		.amdhsa_user_sgpr_dispatch_ptr 0
		.amdhsa_user_sgpr_queue_ptr 0
		.amdhsa_user_sgpr_kernarg_segment_ptr 1
		.amdhsa_user_sgpr_dispatch_id 0
		.amdhsa_user_sgpr_private_segment_size 0
		.amdhsa_wavefront_size32 1
		.amdhsa_uses_dynamic_stack 0
		.amdhsa_enable_private_segment 0
		.amdhsa_system_sgpr_workgroup_id_x 1
		.amdhsa_system_sgpr_workgroup_id_y 0
		.amdhsa_system_sgpr_workgroup_id_z 0
		.amdhsa_system_sgpr_workgroup_info 0
		.amdhsa_system_vgpr_workitem_id 0
		.amdhsa_next_free_vgpr 1
		.amdhsa_next_free_sgpr 1
		.amdhsa_reserve_vcc 0
		.amdhsa_float_round_mode_32 0
		.amdhsa_float_round_mode_16_64 0
		.amdhsa_float_denorm_mode_32 3
		.amdhsa_float_denorm_mode_16_64 3
		.amdhsa_dx10_clamp 1
		.amdhsa_ieee_mode 1
		.amdhsa_fp16_overflow 0
		.amdhsa_workgroup_processor_mode 1
		.amdhsa_memory_ordered 1
		.amdhsa_forward_progress 0
		.amdhsa_shared_vgpr_count 0
		.amdhsa_exception_fp_ieee_invalid_op 0
		.amdhsa_exception_fp_denorm_src 0
		.amdhsa_exception_fp_ieee_div_zero 0
		.amdhsa_exception_fp_ieee_overflow 0
		.amdhsa_exception_fp_ieee_underflow 0
		.amdhsa_exception_fp_ieee_inexact 0
		.amdhsa_exception_int_div_zero 0
	.end_amdhsa_kernel
	.section	.text._ZN7rocprim17ROCPRIM_400000_NS6detail17trampoline_kernelINS0_14default_configENS1_25partition_config_selectorILNS1_17partition_subalgoE6EdNS0_10empty_typeEbEEZZNS1_14partition_implILS5_6ELb0ES3_mN6thrust23THRUST_200600_302600_NS6detail15normal_iteratorINSA_10device_ptrIdEEEEPS6_SG_NS0_5tupleIJSF_S6_EEENSH_IJSG_SG_EEES6_PlJ7is_evenIdEEEE10hipError_tPvRmT3_T4_T5_T6_T7_T9_mT8_P12ihipStream_tbDpT10_ENKUlT_T0_E_clISt17integral_constantIbLb1EES15_IbLb0EEEEDaS11_S12_EUlS11_E_NS1_11comp_targetILNS1_3genE4ELNS1_11target_archE910ELNS1_3gpuE8ELNS1_3repE0EEENS1_30default_config_static_selectorELNS0_4arch9wavefront6targetE0EEEvT1_,"axG",@progbits,_ZN7rocprim17ROCPRIM_400000_NS6detail17trampoline_kernelINS0_14default_configENS1_25partition_config_selectorILNS1_17partition_subalgoE6EdNS0_10empty_typeEbEEZZNS1_14partition_implILS5_6ELb0ES3_mN6thrust23THRUST_200600_302600_NS6detail15normal_iteratorINSA_10device_ptrIdEEEEPS6_SG_NS0_5tupleIJSF_S6_EEENSH_IJSG_SG_EEES6_PlJ7is_evenIdEEEE10hipError_tPvRmT3_T4_T5_T6_T7_T9_mT8_P12ihipStream_tbDpT10_ENKUlT_T0_E_clISt17integral_constantIbLb1EES15_IbLb0EEEEDaS11_S12_EUlS11_E_NS1_11comp_targetILNS1_3genE4ELNS1_11target_archE910ELNS1_3gpuE8ELNS1_3repE0EEENS1_30default_config_static_selectorELNS0_4arch9wavefront6targetE0EEEvT1_,comdat
.Lfunc_end217:
	.size	_ZN7rocprim17ROCPRIM_400000_NS6detail17trampoline_kernelINS0_14default_configENS1_25partition_config_selectorILNS1_17partition_subalgoE6EdNS0_10empty_typeEbEEZZNS1_14partition_implILS5_6ELb0ES3_mN6thrust23THRUST_200600_302600_NS6detail15normal_iteratorINSA_10device_ptrIdEEEEPS6_SG_NS0_5tupleIJSF_S6_EEENSH_IJSG_SG_EEES6_PlJ7is_evenIdEEEE10hipError_tPvRmT3_T4_T5_T6_T7_T9_mT8_P12ihipStream_tbDpT10_ENKUlT_T0_E_clISt17integral_constantIbLb1EES15_IbLb0EEEEDaS11_S12_EUlS11_E_NS1_11comp_targetILNS1_3genE4ELNS1_11target_archE910ELNS1_3gpuE8ELNS1_3repE0EEENS1_30default_config_static_selectorELNS0_4arch9wavefront6targetE0EEEvT1_, .Lfunc_end217-_ZN7rocprim17ROCPRIM_400000_NS6detail17trampoline_kernelINS0_14default_configENS1_25partition_config_selectorILNS1_17partition_subalgoE6EdNS0_10empty_typeEbEEZZNS1_14partition_implILS5_6ELb0ES3_mN6thrust23THRUST_200600_302600_NS6detail15normal_iteratorINSA_10device_ptrIdEEEEPS6_SG_NS0_5tupleIJSF_S6_EEENSH_IJSG_SG_EEES6_PlJ7is_evenIdEEEE10hipError_tPvRmT3_T4_T5_T6_T7_T9_mT8_P12ihipStream_tbDpT10_ENKUlT_T0_E_clISt17integral_constantIbLb1EES15_IbLb0EEEEDaS11_S12_EUlS11_E_NS1_11comp_targetILNS1_3genE4ELNS1_11target_archE910ELNS1_3gpuE8ELNS1_3repE0EEENS1_30default_config_static_selectorELNS0_4arch9wavefront6targetE0EEEvT1_
                                        ; -- End function
	.section	.AMDGPU.csdata,"",@progbits
; Kernel info:
; codeLenInByte = 0
; NumSgprs: 0
; NumVgprs: 0
; ScratchSize: 0
; MemoryBound: 0
; FloatMode: 240
; IeeeMode: 1
; LDSByteSize: 0 bytes/workgroup (compile time only)
; SGPRBlocks: 0
; VGPRBlocks: 0
; NumSGPRsForWavesPerEU: 1
; NumVGPRsForWavesPerEU: 1
; Occupancy: 16
; WaveLimiterHint : 0
; COMPUTE_PGM_RSRC2:SCRATCH_EN: 0
; COMPUTE_PGM_RSRC2:USER_SGPR: 15
; COMPUTE_PGM_RSRC2:TRAP_HANDLER: 0
; COMPUTE_PGM_RSRC2:TGID_X_EN: 1
; COMPUTE_PGM_RSRC2:TGID_Y_EN: 0
; COMPUTE_PGM_RSRC2:TGID_Z_EN: 0
; COMPUTE_PGM_RSRC2:TIDIG_COMP_CNT: 0
	.section	.text._ZN7rocprim17ROCPRIM_400000_NS6detail17trampoline_kernelINS0_14default_configENS1_25partition_config_selectorILNS1_17partition_subalgoE6EdNS0_10empty_typeEbEEZZNS1_14partition_implILS5_6ELb0ES3_mN6thrust23THRUST_200600_302600_NS6detail15normal_iteratorINSA_10device_ptrIdEEEEPS6_SG_NS0_5tupleIJSF_S6_EEENSH_IJSG_SG_EEES6_PlJ7is_evenIdEEEE10hipError_tPvRmT3_T4_T5_T6_T7_T9_mT8_P12ihipStream_tbDpT10_ENKUlT_T0_E_clISt17integral_constantIbLb1EES15_IbLb0EEEEDaS11_S12_EUlS11_E_NS1_11comp_targetILNS1_3genE3ELNS1_11target_archE908ELNS1_3gpuE7ELNS1_3repE0EEENS1_30default_config_static_selectorELNS0_4arch9wavefront6targetE0EEEvT1_,"axG",@progbits,_ZN7rocprim17ROCPRIM_400000_NS6detail17trampoline_kernelINS0_14default_configENS1_25partition_config_selectorILNS1_17partition_subalgoE6EdNS0_10empty_typeEbEEZZNS1_14partition_implILS5_6ELb0ES3_mN6thrust23THRUST_200600_302600_NS6detail15normal_iteratorINSA_10device_ptrIdEEEEPS6_SG_NS0_5tupleIJSF_S6_EEENSH_IJSG_SG_EEES6_PlJ7is_evenIdEEEE10hipError_tPvRmT3_T4_T5_T6_T7_T9_mT8_P12ihipStream_tbDpT10_ENKUlT_T0_E_clISt17integral_constantIbLb1EES15_IbLb0EEEEDaS11_S12_EUlS11_E_NS1_11comp_targetILNS1_3genE3ELNS1_11target_archE908ELNS1_3gpuE7ELNS1_3repE0EEENS1_30default_config_static_selectorELNS0_4arch9wavefront6targetE0EEEvT1_,comdat
	.protected	_ZN7rocprim17ROCPRIM_400000_NS6detail17trampoline_kernelINS0_14default_configENS1_25partition_config_selectorILNS1_17partition_subalgoE6EdNS0_10empty_typeEbEEZZNS1_14partition_implILS5_6ELb0ES3_mN6thrust23THRUST_200600_302600_NS6detail15normal_iteratorINSA_10device_ptrIdEEEEPS6_SG_NS0_5tupleIJSF_S6_EEENSH_IJSG_SG_EEES6_PlJ7is_evenIdEEEE10hipError_tPvRmT3_T4_T5_T6_T7_T9_mT8_P12ihipStream_tbDpT10_ENKUlT_T0_E_clISt17integral_constantIbLb1EES15_IbLb0EEEEDaS11_S12_EUlS11_E_NS1_11comp_targetILNS1_3genE3ELNS1_11target_archE908ELNS1_3gpuE7ELNS1_3repE0EEENS1_30default_config_static_selectorELNS0_4arch9wavefront6targetE0EEEvT1_ ; -- Begin function _ZN7rocprim17ROCPRIM_400000_NS6detail17trampoline_kernelINS0_14default_configENS1_25partition_config_selectorILNS1_17partition_subalgoE6EdNS0_10empty_typeEbEEZZNS1_14partition_implILS5_6ELb0ES3_mN6thrust23THRUST_200600_302600_NS6detail15normal_iteratorINSA_10device_ptrIdEEEEPS6_SG_NS0_5tupleIJSF_S6_EEENSH_IJSG_SG_EEES6_PlJ7is_evenIdEEEE10hipError_tPvRmT3_T4_T5_T6_T7_T9_mT8_P12ihipStream_tbDpT10_ENKUlT_T0_E_clISt17integral_constantIbLb1EES15_IbLb0EEEEDaS11_S12_EUlS11_E_NS1_11comp_targetILNS1_3genE3ELNS1_11target_archE908ELNS1_3gpuE7ELNS1_3repE0EEENS1_30default_config_static_selectorELNS0_4arch9wavefront6targetE0EEEvT1_
	.globl	_ZN7rocprim17ROCPRIM_400000_NS6detail17trampoline_kernelINS0_14default_configENS1_25partition_config_selectorILNS1_17partition_subalgoE6EdNS0_10empty_typeEbEEZZNS1_14partition_implILS5_6ELb0ES3_mN6thrust23THRUST_200600_302600_NS6detail15normal_iteratorINSA_10device_ptrIdEEEEPS6_SG_NS0_5tupleIJSF_S6_EEENSH_IJSG_SG_EEES6_PlJ7is_evenIdEEEE10hipError_tPvRmT3_T4_T5_T6_T7_T9_mT8_P12ihipStream_tbDpT10_ENKUlT_T0_E_clISt17integral_constantIbLb1EES15_IbLb0EEEEDaS11_S12_EUlS11_E_NS1_11comp_targetILNS1_3genE3ELNS1_11target_archE908ELNS1_3gpuE7ELNS1_3repE0EEENS1_30default_config_static_selectorELNS0_4arch9wavefront6targetE0EEEvT1_
	.p2align	8
	.type	_ZN7rocprim17ROCPRIM_400000_NS6detail17trampoline_kernelINS0_14default_configENS1_25partition_config_selectorILNS1_17partition_subalgoE6EdNS0_10empty_typeEbEEZZNS1_14partition_implILS5_6ELb0ES3_mN6thrust23THRUST_200600_302600_NS6detail15normal_iteratorINSA_10device_ptrIdEEEEPS6_SG_NS0_5tupleIJSF_S6_EEENSH_IJSG_SG_EEES6_PlJ7is_evenIdEEEE10hipError_tPvRmT3_T4_T5_T6_T7_T9_mT8_P12ihipStream_tbDpT10_ENKUlT_T0_E_clISt17integral_constantIbLb1EES15_IbLb0EEEEDaS11_S12_EUlS11_E_NS1_11comp_targetILNS1_3genE3ELNS1_11target_archE908ELNS1_3gpuE7ELNS1_3repE0EEENS1_30default_config_static_selectorELNS0_4arch9wavefront6targetE0EEEvT1_,@function
_ZN7rocprim17ROCPRIM_400000_NS6detail17trampoline_kernelINS0_14default_configENS1_25partition_config_selectorILNS1_17partition_subalgoE6EdNS0_10empty_typeEbEEZZNS1_14partition_implILS5_6ELb0ES3_mN6thrust23THRUST_200600_302600_NS6detail15normal_iteratorINSA_10device_ptrIdEEEEPS6_SG_NS0_5tupleIJSF_S6_EEENSH_IJSG_SG_EEES6_PlJ7is_evenIdEEEE10hipError_tPvRmT3_T4_T5_T6_T7_T9_mT8_P12ihipStream_tbDpT10_ENKUlT_T0_E_clISt17integral_constantIbLb1EES15_IbLb0EEEEDaS11_S12_EUlS11_E_NS1_11comp_targetILNS1_3genE3ELNS1_11target_archE908ELNS1_3gpuE7ELNS1_3repE0EEENS1_30default_config_static_selectorELNS0_4arch9wavefront6targetE0EEEvT1_: ; @_ZN7rocprim17ROCPRIM_400000_NS6detail17trampoline_kernelINS0_14default_configENS1_25partition_config_selectorILNS1_17partition_subalgoE6EdNS0_10empty_typeEbEEZZNS1_14partition_implILS5_6ELb0ES3_mN6thrust23THRUST_200600_302600_NS6detail15normal_iteratorINSA_10device_ptrIdEEEEPS6_SG_NS0_5tupleIJSF_S6_EEENSH_IJSG_SG_EEES6_PlJ7is_evenIdEEEE10hipError_tPvRmT3_T4_T5_T6_T7_T9_mT8_P12ihipStream_tbDpT10_ENKUlT_T0_E_clISt17integral_constantIbLb1EES15_IbLb0EEEEDaS11_S12_EUlS11_E_NS1_11comp_targetILNS1_3genE3ELNS1_11target_archE908ELNS1_3gpuE7ELNS1_3repE0EEENS1_30default_config_static_selectorELNS0_4arch9wavefront6targetE0EEEvT1_
; %bb.0:
	.section	.rodata,"a",@progbits
	.p2align	6, 0x0
	.amdhsa_kernel _ZN7rocprim17ROCPRIM_400000_NS6detail17trampoline_kernelINS0_14default_configENS1_25partition_config_selectorILNS1_17partition_subalgoE6EdNS0_10empty_typeEbEEZZNS1_14partition_implILS5_6ELb0ES3_mN6thrust23THRUST_200600_302600_NS6detail15normal_iteratorINSA_10device_ptrIdEEEEPS6_SG_NS0_5tupleIJSF_S6_EEENSH_IJSG_SG_EEES6_PlJ7is_evenIdEEEE10hipError_tPvRmT3_T4_T5_T6_T7_T9_mT8_P12ihipStream_tbDpT10_ENKUlT_T0_E_clISt17integral_constantIbLb1EES15_IbLb0EEEEDaS11_S12_EUlS11_E_NS1_11comp_targetILNS1_3genE3ELNS1_11target_archE908ELNS1_3gpuE7ELNS1_3repE0EEENS1_30default_config_static_selectorELNS0_4arch9wavefront6targetE0EEEvT1_
		.amdhsa_group_segment_fixed_size 0
		.amdhsa_private_segment_fixed_size 0
		.amdhsa_kernarg_size 112
		.amdhsa_user_sgpr_count 15
		.amdhsa_user_sgpr_dispatch_ptr 0
		.amdhsa_user_sgpr_queue_ptr 0
		.amdhsa_user_sgpr_kernarg_segment_ptr 1
		.amdhsa_user_sgpr_dispatch_id 0
		.amdhsa_user_sgpr_private_segment_size 0
		.amdhsa_wavefront_size32 1
		.amdhsa_uses_dynamic_stack 0
		.amdhsa_enable_private_segment 0
		.amdhsa_system_sgpr_workgroup_id_x 1
		.amdhsa_system_sgpr_workgroup_id_y 0
		.amdhsa_system_sgpr_workgroup_id_z 0
		.amdhsa_system_sgpr_workgroup_info 0
		.amdhsa_system_vgpr_workitem_id 0
		.amdhsa_next_free_vgpr 1
		.amdhsa_next_free_sgpr 1
		.amdhsa_reserve_vcc 0
		.amdhsa_float_round_mode_32 0
		.amdhsa_float_round_mode_16_64 0
		.amdhsa_float_denorm_mode_32 3
		.amdhsa_float_denorm_mode_16_64 3
		.amdhsa_dx10_clamp 1
		.amdhsa_ieee_mode 1
		.amdhsa_fp16_overflow 0
		.amdhsa_workgroup_processor_mode 1
		.amdhsa_memory_ordered 1
		.amdhsa_forward_progress 0
		.amdhsa_shared_vgpr_count 0
		.amdhsa_exception_fp_ieee_invalid_op 0
		.amdhsa_exception_fp_denorm_src 0
		.amdhsa_exception_fp_ieee_div_zero 0
		.amdhsa_exception_fp_ieee_overflow 0
		.amdhsa_exception_fp_ieee_underflow 0
		.amdhsa_exception_fp_ieee_inexact 0
		.amdhsa_exception_int_div_zero 0
	.end_amdhsa_kernel
	.section	.text._ZN7rocprim17ROCPRIM_400000_NS6detail17trampoline_kernelINS0_14default_configENS1_25partition_config_selectorILNS1_17partition_subalgoE6EdNS0_10empty_typeEbEEZZNS1_14partition_implILS5_6ELb0ES3_mN6thrust23THRUST_200600_302600_NS6detail15normal_iteratorINSA_10device_ptrIdEEEEPS6_SG_NS0_5tupleIJSF_S6_EEENSH_IJSG_SG_EEES6_PlJ7is_evenIdEEEE10hipError_tPvRmT3_T4_T5_T6_T7_T9_mT8_P12ihipStream_tbDpT10_ENKUlT_T0_E_clISt17integral_constantIbLb1EES15_IbLb0EEEEDaS11_S12_EUlS11_E_NS1_11comp_targetILNS1_3genE3ELNS1_11target_archE908ELNS1_3gpuE7ELNS1_3repE0EEENS1_30default_config_static_selectorELNS0_4arch9wavefront6targetE0EEEvT1_,"axG",@progbits,_ZN7rocprim17ROCPRIM_400000_NS6detail17trampoline_kernelINS0_14default_configENS1_25partition_config_selectorILNS1_17partition_subalgoE6EdNS0_10empty_typeEbEEZZNS1_14partition_implILS5_6ELb0ES3_mN6thrust23THRUST_200600_302600_NS6detail15normal_iteratorINSA_10device_ptrIdEEEEPS6_SG_NS0_5tupleIJSF_S6_EEENSH_IJSG_SG_EEES6_PlJ7is_evenIdEEEE10hipError_tPvRmT3_T4_T5_T6_T7_T9_mT8_P12ihipStream_tbDpT10_ENKUlT_T0_E_clISt17integral_constantIbLb1EES15_IbLb0EEEEDaS11_S12_EUlS11_E_NS1_11comp_targetILNS1_3genE3ELNS1_11target_archE908ELNS1_3gpuE7ELNS1_3repE0EEENS1_30default_config_static_selectorELNS0_4arch9wavefront6targetE0EEEvT1_,comdat
.Lfunc_end218:
	.size	_ZN7rocprim17ROCPRIM_400000_NS6detail17trampoline_kernelINS0_14default_configENS1_25partition_config_selectorILNS1_17partition_subalgoE6EdNS0_10empty_typeEbEEZZNS1_14partition_implILS5_6ELb0ES3_mN6thrust23THRUST_200600_302600_NS6detail15normal_iteratorINSA_10device_ptrIdEEEEPS6_SG_NS0_5tupleIJSF_S6_EEENSH_IJSG_SG_EEES6_PlJ7is_evenIdEEEE10hipError_tPvRmT3_T4_T5_T6_T7_T9_mT8_P12ihipStream_tbDpT10_ENKUlT_T0_E_clISt17integral_constantIbLb1EES15_IbLb0EEEEDaS11_S12_EUlS11_E_NS1_11comp_targetILNS1_3genE3ELNS1_11target_archE908ELNS1_3gpuE7ELNS1_3repE0EEENS1_30default_config_static_selectorELNS0_4arch9wavefront6targetE0EEEvT1_, .Lfunc_end218-_ZN7rocprim17ROCPRIM_400000_NS6detail17trampoline_kernelINS0_14default_configENS1_25partition_config_selectorILNS1_17partition_subalgoE6EdNS0_10empty_typeEbEEZZNS1_14partition_implILS5_6ELb0ES3_mN6thrust23THRUST_200600_302600_NS6detail15normal_iteratorINSA_10device_ptrIdEEEEPS6_SG_NS0_5tupleIJSF_S6_EEENSH_IJSG_SG_EEES6_PlJ7is_evenIdEEEE10hipError_tPvRmT3_T4_T5_T6_T7_T9_mT8_P12ihipStream_tbDpT10_ENKUlT_T0_E_clISt17integral_constantIbLb1EES15_IbLb0EEEEDaS11_S12_EUlS11_E_NS1_11comp_targetILNS1_3genE3ELNS1_11target_archE908ELNS1_3gpuE7ELNS1_3repE0EEENS1_30default_config_static_selectorELNS0_4arch9wavefront6targetE0EEEvT1_
                                        ; -- End function
	.section	.AMDGPU.csdata,"",@progbits
; Kernel info:
; codeLenInByte = 0
; NumSgprs: 0
; NumVgprs: 0
; ScratchSize: 0
; MemoryBound: 0
; FloatMode: 240
; IeeeMode: 1
; LDSByteSize: 0 bytes/workgroup (compile time only)
; SGPRBlocks: 0
; VGPRBlocks: 0
; NumSGPRsForWavesPerEU: 1
; NumVGPRsForWavesPerEU: 1
; Occupancy: 16
; WaveLimiterHint : 0
; COMPUTE_PGM_RSRC2:SCRATCH_EN: 0
; COMPUTE_PGM_RSRC2:USER_SGPR: 15
; COMPUTE_PGM_RSRC2:TRAP_HANDLER: 0
; COMPUTE_PGM_RSRC2:TGID_X_EN: 1
; COMPUTE_PGM_RSRC2:TGID_Y_EN: 0
; COMPUTE_PGM_RSRC2:TGID_Z_EN: 0
; COMPUTE_PGM_RSRC2:TIDIG_COMP_CNT: 0
	.section	.text._ZN7rocprim17ROCPRIM_400000_NS6detail17trampoline_kernelINS0_14default_configENS1_25partition_config_selectorILNS1_17partition_subalgoE6EdNS0_10empty_typeEbEEZZNS1_14partition_implILS5_6ELb0ES3_mN6thrust23THRUST_200600_302600_NS6detail15normal_iteratorINSA_10device_ptrIdEEEEPS6_SG_NS0_5tupleIJSF_S6_EEENSH_IJSG_SG_EEES6_PlJ7is_evenIdEEEE10hipError_tPvRmT3_T4_T5_T6_T7_T9_mT8_P12ihipStream_tbDpT10_ENKUlT_T0_E_clISt17integral_constantIbLb1EES15_IbLb0EEEEDaS11_S12_EUlS11_E_NS1_11comp_targetILNS1_3genE2ELNS1_11target_archE906ELNS1_3gpuE6ELNS1_3repE0EEENS1_30default_config_static_selectorELNS0_4arch9wavefront6targetE0EEEvT1_,"axG",@progbits,_ZN7rocprim17ROCPRIM_400000_NS6detail17trampoline_kernelINS0_14default_configENS1_25partition_config_selectorILNS1_17partition_subalgoE6EdNS0_10empty_typeEbEEZZNS1_14partition_implILS5_6ELb0ES3_mN6thrust23THRUST_200600_302600_NS6detail15normal_iteratorINSA_10device_ptrIdEEEEPS6_SG_NS0_5tupleIJSF_S6_EEENSH_IJSG_SG_EEES6_PlJ7is_evenIdEEEE10hipError_tPvRmT3_T4_T5_T6_T7_T9_mT8_P12ihipStream_tbDpT10_ENKUlT_T0_E_clISt17integral_constantIbLb1EES15_IbLb0EEEEDaS11_S12_EUlS11_E_NS1_11comp_targetILNS1_3genE2ELNS1_11target_archE906ELNS1_3gpuE6ELNS1_3repE0EEENS1_30default_config_static_selectorELNS0_4arch9wavefront6targetE0EEEvT1_,comdat
	.protected	_ZN7rocprim17ROCPRIM_400000_NS6detail17trampoline_kernelINS0_14default_configENS1_25partition_config_selectorILNS1_17partition_subalgoE6EdNS0_10empty_typeEbEEZZNS1_14partition_implILS5_6ELb0ES3_mN6thrust23THRUST_200600_302600_NS6detail15normal_iteratorINSA_10device_ptrIdEEEEPS6_SG_NS0_5tupleIJSF_S6_EEENSH_IJSG_SG_EEES6_PlJ7is_evenIdEEEE10hipError_tPvRmT3_T4_T5_T6_T7_T9_mT8_P12ihipStream_tbDpT10_ENKUlT_T0_E_clISt17integral_constantIbLb1EES15_IbLb0EEEEDaS11_S12_EUlS11_E_NS1_11comp_targetILNS1_3genE2ELNS1_11target_archE906ELNS1_3gpuE6ELNS1_3repE0EEENS1_30default_config_static_selectorELNS0_4arch9wavefront6targetE0EEEvT1_ ; -- Begin function _ZN7rocprim17ROCPRIM_400000_NS6detail17trampoline_kernelINS0_14default_configENS1_25partition_config_selectorILNS1_17partition_subalgoE6EdNS0_10empty_typeEbEEZZNS1_14partition_implILS5_6ELb0ES3_mN6thrust23THRUST_200600_302600_NS6detail15normal_iteratorINSA_10device_ptrIdEEEEPS6_SG_NS0_5tupleIJSF_S6_EEENSH_IJSG_SG_EEES6_PlJ7is_evenIdEEEE10hipError_tPvRmT3_T4_T5_T6_T7_T9_mT8_P12ihipStream_tbDpT10_ENKUlT_T0_E_clISt17integral_constantIbLb1EES15_IbLb0EEEEDaS11_S12_EUlS11_E_NS1_11comp_targetILNS1_3genE2ELNS1_11target_archE906ELNS1_3gpuE6ELNS1_3repE0EEENS1_30default_config_static_selectorELNS0_4arch9wavefront6targetE0EEEvT1_
	.globl	_ZN7rocprim17ROCPRIM_400000_NS6detail17trampoline_kernelINS0_14default_configENS1_25partition_config_selectorILNS1_17partition_subalgoE6EdNS0_10empty_typeEbEEZZNS1_14partition_implILS5_6ELb0ES3_mN6thrust23THRUST_200600_302600_NS6detail15normal_iteratorINSA_10device_ptrIdEEEEPS6_SG_NS0_5tupleIJSF_S6_EEENSH_IJSG_SG_EEES6_PlJ7is_evenIdEEEE10hipError_tPvRmT3_T4_T5_T6_T7_T9_mT8_P12ihipStream_tbDpT10_ENKUlT_T0_E_clISt17integral_constantIbLb1EES15_IbLb0EEEEDaS11_S12_EUlS11_E_NS1_11comp_targetILNS1_3genE2ELNS1_11target_archE906ELNS1_3gpuE6ELNS1_3repE0EEENS1_30default_config_static_selectorELNS0_4arch9wavefront6targetE0EEEvT1_
	.p2align	8
	.type	_ZN7rocprim17ROCPRIM_400000_NS6detail17trampoline_kernelINS0_14default_configENS1_25partition_config_selectorILNS1_17partition_subalgoE6EdNS0_10empty_typeEbEEZZNS1_14partition_implILS5_6ELb0ES3_mN6thrust23THRUST_200600_302600_NS6detail15normal_iteratorINSA_10device_ptrIdEEEEPS6_SG_NS0_5tupleIJSF_S6_EEENSH_IJSG_SG_EEES6_PlJ7is_evenIdEEEE10hipError_tPvRmT3_T4_T5_T6_T7_T9_mT8_P12ihipStream_tbDpT10_ENKUlT_T0_E_clISt17integral_constantIbLb1EES15_IbLb0EEEEDaS11_S12_EUlS11_E_NS1_11comp_targetILNS1_3genE2ELNS1_11target_archE906ELNS1_3gpuE6ELNS1_3repE0EEENS1_30default_config_static_selectorELNS0_4arch9wavefront6targetE0EEEvT1_,@function
_ZN7rocprim17ROCPRIM_400000_NS6detail17trampoline_kernelINS0_14default_configENS1_25partition_config_selectorILNS1_17partition_subalgoE6EdNS0_10empty_typeEbEEZZNS1_14partition_implILS5_6ELb0ES3_mN6thrust23THRUST_200600_302600_NS6detail15normal_iteratorINSA_10device_ptrIdEEEEPS6_SG_NS0_5tupleIJSF_S6_EEENSH_IJSG_SG_EEES6_PlJ7is_evenIdEEEE10hipError_tPvRmT3_T4_T5_T6_T7_T9_mT8_P12ihipStream_tbDpT10_ENKUlT_T0_E_clISt17integral_constantIbLb1EES15_IbLb0EEEEDaS11_S12_EUlS11_E_NS1_11comp_targetILNS1_3genE2ELNS1_11target_archE906ELNS1_3gpuE6ELNS1_3repE0EEENS1_30default_config_static_selectorELNS0_4arch9wavefront6targetE0EEEvT1_: ; @_ZN7rocprim17ROCPRIM_400000_NS6detail17trampoline_kernelINS0_14default_configENS1_25partition_config_selectorILNS1_17partition_subalgoE6EdNS0_10empty_typeEbEEZZNS1_14partition_implILS5_6ELb0ES3_mN6thrust23THRUST_200600_302600_NS6detail15normal_iteratorINSA_10device_ptrIdEEEEPS6_SG_NS0_5tupleIJSF_S6_EEENSH_IJSG_SG_EEES6_PlJ7is_evenIdEEEE10hipError_tPvRmT3_T4_T5_T6_T7_T9_mT8_P12ihipStream_tbDpT10_ENKUlT_T0_E_clISt17integral_constantIbLb1EES15_IbLb0EEEEDaS11_S12_EUlS11_E_NS1_11comp_targetILNS1_3genE2ELNS1_11target_archE906ELNS1_3gpuE6ELNS1_3repE0EEENS1_30default_config_static_selectorELNS0_4arch9wavefront6targetE0EEEvT1_
; %bb.0:
	.section	.rodata,"a",@progbits
	.p2align	6, 0x0
	.amdhsa_kernel _ZN7rocprim17ROCPRIM_400000_NS6detail17trampoline_kernelINS0_14default_configENS1_25partition_config_selectorILNS1_17partition_subalgoE6EdNS0_10empty_typeEbEEZZNS1_14partition_implILS5_6ELb0ES3_mN6thrust23THRUST_200600_302600_NS6detail15normal_iteratorINSA_10device_ptrIdEEEEPS6_SG_NS0_5tupleIJSF_S6_EEENSH_IJSG_SG_EEES6_PlJ7is_evenIdEEEE10hipError_tPvRmT3_T4_T5_T6_T7_T9_mT8_P12ihipStream_tbDpT10_ENKUlT_T0_E_clISt17integral_constantIbLb1EES15_IbLb0EEEEDaS11_S12_EUlS11_E_NS1_11comp_targetILNS1_3genE2ELNS1_11target_archE906ELNS1_3gpuE6ELNS1_3repE0EEENS1_30default_config_static_selectorELNS0_4arch9wavefront6targetE0EEEvT1_
		.amdhsa_group_segment_fixed_size 0
		.amdhsa_private_segment_fixed_size 0
		.amdhsa_kernarg_size 112
		.amdhsa_user_sgpr_count 15
		.amdhsa_user_sgpr_dispatch_ptr 0
		.amdhsa_user_sgpr_queue_ptr 0
		.amdhsa_user_sgpr_kernarg_segment_ptr 1
		.amdhsa_user_sgpr_dispatch_id 0
		.amdhsa_user_sgpr_private_segment_size 0
		.amdhsa_wavefront_size32 1
		.amdhsa_uses_dynamic_stack 0
		.amdhsa_enable_private_segment 0
		.amdhsa_system_sgpr_workgroup_id_x 1
		.amdhsa_system_sgpr_workgroup_id_y 0
		.amdhsa_system_sgpr_workgroup_id_z 0
		.amdhsa_system_sgpr_workgroup_info 0
		.amdhsa_system_vgpr_workitem_id 0
		.amdhsa_next_free_vgpr 1
		.amdhsa_next_free_sgpr 1
		.amdhsa_reserve_vcc 0
		.amdhsa_float_round_mode_32 0
		.amdhsa_float_round_mode_16_64 0
		.amdhsa_float_denorm_mode_32 3
		.amdhsa_float_denorm_mode_16_64 3
		.amdhsa_dx10_clamp 1
		.amdhsa_ieee_mode 1
		.amdhsa_fp16_overflow 0
		.amdhsa_workgroup_processor_mode 1
		.amdhsa_memory_ordered 1
		.amdhsa_forward_progress 0
		.amdhsa_shared_vgpr_count 0
		.amdhsa_exception_fp_ieee_invalid_op 0
		.amdhsa_exception_fp_denorm_src 0
		.amdhsa_exception_fp_ieee_div_zero 0
		.amdhsa_exception_fp_ieee_overflow 0
		.amdhsa_exception_fp_ieee_underflow 0
		.amdhsa_exception_fp_ieee_inexact 0
		.amdhsa_exception_int_div_zero 0
	.end_amdhsa_kernel
	.section	.text._ZN7rocprim17ROCPRIM_400000_NS6detail17trampoline_kernelINS0_14default_configENS1_25partition_config_selectorILNS1_17partition_subalgoE6EdNS0_10empty_typeEbEEZZNS1_14partition_implILS5_6ELb0ES3_mN6thrust23THRUST_200600_302600_NS6detail15normal_iteratorINSA_10device_ptrIdEEEEPS6_SG_NS0_5tupleIJSF_S6_EEENSH_IJSG_SG_EEES6_PlJ7is_evenIdEEEE10hipError_tPvRmT3_T4_T5_T6_T7_T9_mT8_P12ihipStream_tbDpT10_ENKUlT_T0_E_clISt17integral_constantIbLb1EES15_IbLb0EEEEDaS11_S12_EUlS11_E_NS1_11comp_targetILNS1_3genE2ELNS1_11target_archE906ELNS1_3gpuE6ELNS1_3repE0EEENS1_30default_config_static_selectorELNS0_4arch9wavefront6targetE0EEEvT1_,"axG",@progbits,_ZN7rocprim17ROCPRIM_400000_NS6detail17trampoline_kernelINS0_14default_configENS1_25partition_config_selectorILNS1_17partition_subalgoE6EdNS0_10empty_typeEbEEZZNS1_14partition_implILS5_6ELb0ES3_mN6thrust23THRUST_200600_302600_NS6detail15normal_iteratorINSA_10device_ptrIdEEEEPS6_SG_NS0_5tupleIJSF_S6_EEENSH_IJSG_SG_EEES6_PlJ7is_evenIdEEEE10hipError_tPvRmT3_T4_T5_T6_T7_T9_mT8_P12ihipStream_tbDpT10_ENKUlT_T0_E_clISt17integral_constantIbLb1EES15_IbLb0EEEEDaS11_S12_EUlS11_E_NS1_11comp_targetILNS1_3genE2ELNS1_11target_archE906ELNS1_3gpuE6ELNS1_3repE0EEENS1_30default_config_static_selectorELNS0_4arch9wavefront6targetE0EEEvT1_,comdat
.Lfunc_end219:
	.size	_ZN7rocprim17ROCPRIM_400000_NS6detail17trampoline_kernelINS0_14default_configENS1_25partition_config_selectorILNS1_17partition_subalgoE6EdNS0_10empty_typeEbEEZZNS1_14partition_implILS5_6ELb0ES3_mN6thrust23THRUST_200600_302600_NS6detail15normal_iteratorINSA_10device_ptrIdEEEEPS6_SG_NS0_5tupleIJSF_S6_EEENSH_IJSG_SG_EEES6_PlJ7is_evenIdEEEE10hipError_tPvRmT3_T4_T5_T6_T7_T9_mT8_P12ihipStream_tbDpT10_ENKUlT_T0_E_clISt17integral_constantIbLb1EES15_IbLb0EEEEDaS11_S12_EUlS11_E_NS1_11comp_targetILNS1_3genE2ELNS1_11target_archE906ELNS1_3gpuE6ELNS1_3repE0EEENS1_30default_config_static_selectorELNS0_4arch9wavefront6targetE0EEEvT1_, .Lfunc_end219-_ZN7rocprim17ROCPRIM_400000_NS6detail17trampoline_kernelINS0_14default_configENS1_25partition_config_selectorILNS1_17partition_subalgoE6EdNS0_10empty_typeEbEEZZNS1_14partition_implILS5_6ELb0ES3_mN6thrust23THRUST_200600_302600_NS6detail15normal_iteratorINSA_10device_ptrIdEEEEPS6_SG_NS0_5tupleIJSF_S6_EEENSH_IJSG_SG_EEES6_PlJ7is_evenIdEEEE10hipError_tPvRmT3_T4_T5_T6_T7_T9_mT8_P12ihipStream_tbDpT10_ENKUlT_T0_E_clISt17integral_constantIbLb1EES15_IbLb0EEEEDaS11_S12_EUlS11_E_NS1_11comp_targetILNS1_3genE2ELNS1_11target_archE906ELNS1_3gpuE6ELNS1_3repE0EEENS1_30default_config_static_selectorELNS0_4arch9wavefront6targetE0EEEvT1_
                                        ; -- End function
	.section	.AMDGPU.csdata,"",@progbits
; Kernel info:
; codeLenInByte = 0
; NumSgprs: 0
; NumVgprs: 0
; ScratchSize: 0
; MemoryBound: 0
; FloatMode: 240
; IeeeMode: 1
; LDSByteSize: 0 bytes/workgroup (compile time only)
; SGPRBlocks: 0
; VGPRBlocks: 0
; NumSGPRsForWavesPerEU: 1
; NumVGPRsForWavesPerEU: 1
; Occupancy: 16
; WaveLimiterHint : 0
; COMPUTE_PGM_RSRC2:SCRATCH_EN: 0
; COMPUTE_PGM_RSRC2:USER_SGPR: 15
; COMPUTE_PGM_RSRC2:TRAP_HANDLER: 0
; COMPUTE_PGM_RSRC2:TGID_X_EN: 1
; COMPUTE_PGM_RSRC2:TGID_Y_EN: 0
; COMPUTE_PGM_RSRC2:TGID_Z_EN: 0
; COMPUTE_PGM_RSRC2:TIDIG_COMP_CNT: 0
	.section	.text._ZN7rocprim17ROCPRIM_400000_NS6detail17trampoline_kernelINS0_14default_configENS1_25partition_config_selectorILNS1_17partition_subalgoE6EdNS0_10empty_typeEbEEZZNS1_14partition_implILS5_6ELb0ES3_mN6thrust23THRUST_200600_302600_NS6detail15normal_iteratorINSA_10device_ptrIdEEEEPS6_SG_NS0_5tupleIJSF_S6_EEENSH_IJSG_SG_EEES6_PlJ7is_evenIdEEEE10hipError_tPvRmT3_T4_T5_T6_T7_T9_mT8_P12ihipStream_tbDpT10_ENKUlT_T0_E_clISt17integral_constantIbLb1EES15_IbLb0EEEEDaS11_S12_EUlS11_E_NS1_11comp_targetILNS1_3genE10ELNS1_11target_archE1200ELNS1_3gpuE4ELNS1_3repE0EEENS1_30default_config_static_selectorELNS0_4arch9wavefront6targetE0EEEvT1_,"axG",@progbits,_ZN7rocprim17ROCPRIM_400000_NS6detail17trampoline_kernelINS0_14default_configENS1_25partition_config_selectorILNS1_17partition_subalgoE6EdNS0_10empty_typeEbEEZZNS1_14partition_implILS5_6ELb0ES3_mN6thrust23THRUST_200600_302600_NS6detail15normal_iteratorINSA_10device_ptrIdEEEEPS6_SG_NS0_5tupleIJSF_S6_EEENSH_IJSG_SG_EEES6_PlJ7is_evenIdEEEE10hipError_tPvRmT3_T4_T5_T6_T7_T9_mT8_P12ihipStream_tbDpT10_ENKUlT_T0_E_clISt17integral_constantIbLb1EES15_IbLb0EEEEDaS11_S12_EUlS11_E_NS1_11comp_targetILNS1_3genE10ELNS1_11target_archE1200ELNS1_3gpuE4ELNS1_3repE0EEENS1_30default_config_static_selectorELNS0_4arch9wavefront6targetE0EEEvT1_,comdat
	.protected	_ZN7rocprim17ROCPRIM_400000_NS6detail17trampoline_kernelINS0_14default_configENS1_25partition_config_selectorILNS1_17partition_subalgoE6EdNS0_10empty_typeEbEEZZNS1_14partition_implILS5_6ELb0ES3_mN6thrust23THRUST_200600_302600_NS6detail15normal_iteratorINSA_10device_ptrIdEEEEPS6_SG_NS0_5tupleIJSF_S6_EEENSH_IJSG_SG_EEES6_PlJ7is_evenIdEEEE10hipError_tPvRmT3_T4_T5_T6_T7_T9_mT8_P12ihipStream_tbDpT10_ENKUlT_T0_E_clISt17integral_constantIbLb1EES15_IbLb0EEEEDaS11_S12_EUlS11_E_NS1_11comp_targetILNS1_3genE10ELNS1_11target_archE1200ELNS1_3gpuE4ELNS1_3repE0EEENS1_30default_config_static_selectorELNS0_4arch9wavefront6targetE0EEEvT1_ ; -- Begin function _ZN7rocprim17ROCPRIM_400000_NS6detail17trampoline_kernelINS0_14default_configENS1_25partition_config_selectorILNS1_17partition_subalgoE6EdNS0_10empty_typeEbEEZZNS1_14partition_implILS5_6ELb0ES3_mN6thrust23THRUST_200600_302600_NS6detail15normal_iteratorINSA_10device_ptrIdEEEEPS6_SG_NS0_5tupleIJSF_S6_EEENSH_IJSG_SG_EEES6_PlJ7is_evenIdEEEE10hipError_tPvRmT3_T4_T5_T6_T7_T9_mT8_P12ihipStream_tbDpT10_ENKUlT_T0_E_clISt17integral_constantIbLb1EES15_IbLb0EEEEDaS11_S12_EUlS11_E_NS1_11comp_targetILNS1_3genE10ELNS1_11target_archE1200ELNS1_3gpuE4ELNS1_3repE0EEENS1_30default_config_static_selectorELNS0_4arch9wavefront6targetE0EEEvT1_
	.globl	_ZN7rocprim17ROCPRIM_400000_NS6detail17trampoline_kernelINS0_14default_configENS1_25partition_config_selectorILNS1_17partition_subalgoE6EdNS0_10empty_typeEbEEZZNS1_14partition_implILS5_6ELb0ES3_mN6thrust23THRUST_200600_302600_NS6detail15normal_iteratorINSA_10device_ptrIdEEEEPS6_SG_NS0_5tupleIJSF_S6_EEENSH_IJSG_SG_EEES6_PlJ7is_evenIdEEEE10hipError_tPvRmT3_T4_T5_T6_T7_T9_mT8_P12ihipStream_tbDpT10_ENKUlT_T0_E_clISt17integral_constantIbLb1EES15_IbLb0EEEEDaS11_S12_EUlS11_E_NS1_11comp_targetILNS1_3genE10ELNS1_11target_archE1200ELNS1_3gpuE4ELNS1_3repE0EEENS1_30default_config_static_selectorELNS0_4arch9wavefront6targetE0EEEvT1_
	.p2align	8
	.type	_ZN7rocprim17ROCPRIM_400000_NS6detail17trampoline_kernelINS0_14default_configENS1_25partition_config_selectorILNS1_17partition_subalgoE6EdNS0_10empty_typeEbEEZZNS1_14partition_implILS5_6ELb0ES3_mN6thrust23THRUST_200600_302600_NS6detail15normal_iteratorINSA_10device_ptrIdEEEEPS6_SG_NS0_5tupleIJSF_S6_EEENSH_IJSG_SG_EEES6_PlJ7is_evenIdEEEE10hipError_tPvRmT3_T4_T5_T6_T7_T9_mT8_P12ihipStream_tbDpT10_ENKUlT_T0_E_clISt17integral_constantIbLb1EES15_IbLb0EEEEDaS11_S12_EUlS11_E_NS1_11comp_targetILNS1_3genE10ELNS1_11target_archE1200ELNS1_3gpuE4ELNS1_3repE0EEENS1_30default_config_static_selectorELNS0_4arch9wavefront6targetE0EEEvT1_,@function
_ZN7rocprim17ROCPRIM_400000_NS6detail17trampoline_kernelINS0_14default_configENS1_25partition_config_selectorILNS1_17partition_subalgoE6EdNS0_10empty_typeEbEEZZNS1_14partition_implILS5_6ELb0ES3_mN6thrust23THRUST_200600_302600_NS6detail15normal_iteratorINSA_10device_ptrIdEEEEPS6_SG_NS0_5tupleIJSF_S6_EEENSH_IJSG_SG_EEES6_PlJ7is_evenIdEEEE10hipError_tPvRmT3_T4_T5_T6_T7_T9_mT8_P12ihipStream_tbDpT10_ENKUlT_T0_E_clISt17integral_constantIbLb1EES15_IbLb0EEEEDaS11_S12_EUlS11_E_NS1_11comp_targetILNS1_3genE10ELNS1_11target_archE1200ELNS1_3gpuE4ELNS1_3repE0EEENS1_30default_config_static_selectorELNS0_4arch9wavefront6targetE0EEEvT1_: ; @_ZN7rocprim17ROCPRIM_400000_NS6detail17trampoline_kernelINS0_14default_configENS1_25partition_config_selectorILNS1_17partition_subalgoE6EdNS0_10empty_typeEbEEZZNS1_14partition_implILS5_6ELb0ES3_mN6thrust23THRUST_200600_302600_NS6detail15normal_iteratorINSA_10device_ptrIdEEEEPS6_SG_NS0_5tupleIJSF_S6_EEENSH_IJSG_SG_EEES6_PlJ7is_evenIdEEEE10hipError_tPvRmT3_T4_T5_T6_T7_T9_mT8_P12ihipStream_tbDpT10_ENKUlT_T0_E_clISt17integral_constantIbLb1EES15_IbLb0EEEEDaS11_S12_EUlS11_E_NS1_11comp_targetILNS1_3genE10ELNS1_11target_archE1200ELNS1_3gpuE4ELNS1_3repE0EEENS1_30default_config_static_selectorELNS0_4arch9wavefront6targetE0EEEvT1_
; %bb.0:
	.section	.rodata,"a",@progbits
	.p2align	6, 0x0
	.amdhsa_kernel _ZN7rocprim17ROCPRIM_400000_NS6detail17trampoline_kernelINS0_14default_configENS1_25partition_config_selectorILNS1_17partition_subalgoE6EdNS0_10empty_typeEbEEZZNS1_14partition_implILS5_6ELb0ES3_mN6thrust23THRUST_200600_302600_NS6detail15normal_iteratorINSA_10device_ptrIdEEEEPS6_SG_NS0_5tupleIJSF_S6_EEENSH_IJSG_SG_EEES6_PlJ7is_evenIdEEEE10hipError_tPvRmT3_T4_T5_T6_T7_T9_mT8_P12ihipStream_tbDpT10_ENKUlT_T0_E_clISt17integral_constantIbLb1EES15_IbLb0EEEEDaS11_S12_EUlS11_E_NS1_11comp_targetILNS1_3genE10ELNS1_11target_archE1200ELNS1_3gpuE4ELNS1_3repE0EEENS1_30default_config_static_selectorELNS0_4arch9wavefront6targetE0EEEvT1_
		.amdhsa_group_segment_fixed_size 0
		.amdhsa_private_segment_fixed_size 0
		.amdhsa_kernarg_size 112
		.amdhsa_user_sgpr_count 15
		.amdhsa_user_sgpr_dispatch_ptr 0
		.amdhsa_user_sgpr_queue_ptr 0
		.amdhsa_user_sgpr_kernarg_segment_ptr 1
		.amdhsa_user_sgpr_dispatch_id 0
		.amdhsa_user_sgpr_private_segment_size 0
		.amdhsa_wavefront_size32 1
		.amdhsa_uses_dynamic_stack 0
		.amdhsa_enable_private_segment 0
		.amdhsa_system_sgpr_workgroup_id_x 1
		.amdhsa_system_sgpr_workgroup_id_y 0
		.amdhsa_system_sgpr_workgroup_id_z 0
		.amdhsa_system_sgpr_workgroup_info 0
		.amdhsa_system_vgpr_workitem_id 0
		.amdhsa_next_free_vgpr 1
		.amdhsa_next_free_sgpr 1
		.amdhsa_reserve_vcc 0
		.amdhsa_float_round_mode_32 0
		.amdhsa_float_round_mode_16_64 0
		.amdhsa_float_denorm_mode_32 3
		.amdhsa_float_denorm_mode_16_64 3
		.amdhsa_dx10_clamp 1
		.amdhsa_ieee_mode 1
		.amdhsa_fp16_overflow 0
		.amdhsa_workgroup_processor_mode 1
		.amdhsa_memory_ordered 1
		.amdhsa_forward_progress 0
		.amdhsa_shared_vgpr_count 0
		.amdhsa_exception_fp_ieee_invalid_op 0
		.amdhsa_exception_fp_denorm_src 0
		.amdhsa_exception_fp_ieee_div_zero 0
		.amdhsa_exception_fp_ieee_overflow 0
		.amdhsa_exception_fp_ieee_underflow 0
		.amdhsa_exception_fp_ieee_inexact 0
		.amdhsa_exception_int_div_zero 0
	.end_amdhsa_kernel
	.section	.text._ZN7rocprim17ROCPRIM_400000_NS6detail17trampoline_kernelINS0_14default_configENS1_25partition_config_selectorILNS1_17partition_subalgoE6EdNS0_10empty_typeEbEEZZNS1_14partition_implILS5_6ELb0ES3_mN6thrust23THRUST_200600_302600_NS6detail15normal_iteratorINSA_10device_ptrIdEEEEPS6_SG_NS0_5tupleIJSF_S6_EEENSH_IJSG_SG_EEES6_PlJ7is_evenIdEEEE10hipError_tPvRmT3_T4_T5_T6_T7_T9_mT8_P12ihipStream_tbDpT10_ENKUlT_T0_E_clISt17integral_constantIbLb1EES15_IbLb0EEEEDaS11_S12_EUlS11_E_NS1_11comp_targetILNS1_3genE10ELNS1_11target_archE1200ELNS1_3gpuE4ELNS1_3repE0EEENS1_30default_config_static_selectorELNS0_4arch9wavefront6targetE0EEEvT1_,"axG",@progbits,_ZN7rocprim17ROCPRIM_400000_NS6detail17trampoline_kernelINS0_14default_configENS1_25partition_config_selectorILNS1_17partition_subalgoE6EdNS0_10empty_typeEbEEZZNS1_14partition_implILS5_6ELb0ES3_mN6thrust23THRUST_200600_302600_NS6detail15normal_iteratorINSA_10device_ptrIdEEEEPS6_SG_NS0_5tupleIJSF_S6_EEENSH_IJSG_SG_EEES6_PlJ7is_evenIdEEEE10hipError_tPvRmT3_T4_T5_T6_T7_T9_mT8_P12ihipStream_tbDpT10_ENKUlT_T0_E_clISt17integral_constantIbLb1EES15_IbLb0EEEEDaS11_S12_EUlS11_E_NS1_11comp_targetILNS1_3genE10ELNS1_11target_archE1200ELNS1_3gpuE4ELNS1_3repE0EEENS1_30default_config_static_selectorELNS0_4arch9wavefront6targetE0EEEvT1_,comdat
.Lfunc_end220:
	.size	_ZN7rocprim17ROCPRIM_400000_NS6detail17trampoline_kernelINS0_14default_configENS1_25partition_config_selectorILNS1_17partition_subalgoE6EdNS0_10empty_typeEbEEZZNS1_14partition_implILS5_6ELb0ES3_mN6thrust23THRUST_200600_302600_NS6detail15normal_iteratorINSA_10device_ptrIdEEEEPS6_SG_NS0_5tupleIJSF_S6_EEENSH_IJSG_SG_EEES6_PlJ7is_evenIdEEEE10hipError_tPvRmT3_T4_T5_T6_T7_T9_mT8_P12ihipStream_tbDpT10_ENKUlT_T0_E_clISt17integral_constantIbLb1EES15_IbLb0EEEEDaS11_S12_EUlS11_E_NS1_11comp_targetILNS1_3genE10ELNS1_11target_archE1200ELNS1_3gpuE4ELNS1_3repE0EEENS1_30default_config_static_selectorELNS0_4arch9wavefront6targetE0EEEvT1_, .Lfunc_end220-_ZN7rocprim17ROCPRIM_400000_NS6detail17trampoline_kernelINS0_14default_configENS1_25partition_config_selectorILNS1_17partition_subalgoE6EdNS0_10empty_typeEbEEZZNS1_14partition_implILS5_6ELb0ES3_mN6thrust23THRUST_200600_302600_NS6detail15normal_iteratorINSA_10device_ptrIdEEEEPS6_SG_NS0_5tupleIJSF_S6_EEENSH_IJSG_SG_EEES6_PlJ7is_evenIdEEEE10hipError_tPvRmT3_T4_T5_T6_T7_T9_mT8_P12ihipStream_tbDpT10_ENKUlT_T0_E_clISt17integral_constantIbLb1EES15_IbLb0EEEEDaS11_S12_EUlS11_E_NS1_11comp_targetILNS1_3genE10ELNS1_11target_archE1200ELNS1_3gpuE4ELNS1_3repE0EEENS1_30default_config_static_selectorELNS0_4arch9wavefront6targetE0EEEvT1_
                                        ; -- End function
	.section	.AMDGPU.csdata,"",@progbits
; Kernel info:
; codeLenInByte = 0
; NumSgprs: 0
; NumVgprs: 0
; ScratchSize: 0
; MemoryBound: 0
; FloatMode: 240
; IeeeMode: 1
; LDSByteSize: 0 bytes/workgroup (compile time only)
; SGPRBlocks: 0
; VGPRBlocks: 0
; NumSGPRsForWavesPerEU: 1
; NumVGPRsForWavesPerEU: 1
; Occupancy: 16
; WaveLimiterHint : 0
; COMPUTE_PGM_RSRC2:SCRATCH_EN: 0
; COMPUTE_PGM_RSRC2:USER_SGPR: 15
; COMPUTE_PGM_RSRC2:TRAP_HANDLER: 0
; COMPUTE_PGM_RSRC2:TGID_X_EN: 1
; COMPUTE_PGM_RSRC2:TGID_Y_EN: 0
; COMPUTE_PGM_RSRC2:TGID_Z_EN: 0
; COMPUTE_PGM_RSRC2:TIDIG_COMP_CNT: 0
	.section	.text._ZN7rocprim17ROCPRIM_400000_NS6detail17trampoline_kernelINS0_14default_configENS1_25partition_config_selectorILNS1_17partition_subalgoE6EdNS0_10empty_typeEbEEZZNS1_14partition_implILS5_6ELb0ES3_mN6thrust23THRUST_200600_302600_NS6detail15normal_iteratorINSA_10device_ptrIdEEEEPS6_SG_NS0_5tupleIJSF_S6_EEENSH_IJSG_SG_EEES6_PlJ7is_evenIdEEEE10hipError_tPvRmT3_T4_T5_T6_T7_T9_mT8_P12ihipStream_tbDpT10_ENKUlT_T0_E_clISt17integral_constantIbLb1EES15_IbLb0EEEEDaS11_S12_EUlS11_E_NS1_11comp_targetILNS1_3genE9ELNS1_11target_archE1100ELNS1_3gpuE3ELNS1_3repE0EEENS1_30default_config_static_selectorELNS0_4arch9wavefront6targetE0EEEvT1_,"axG",@progbits,_ZN7rocprim17ROCPRIM_400000_NS6detail17trampoline_kernelINS0_14default_configENS1_25partition_config_selectorILNS1_17partition_subalgoE6EdNS0_10empty_typeEbEEZZNS1_14partition_implILS5_6ELb0ES3_mN6thrust23THRUST_200600_302600_NS6detail15normal_iteratorINSA_10device_ptrIdEEEEPS6_SG_NS0_5tupleIJSF_S6_EEENSH_IJSG_SG_EEES6_PlJ7is_evenIdEEEE10hipError_tPvRmT3_T4_T5_T6_T7_T9_mT8_P12ihipStream_tbDpT10_ENKUlT_T0_E_clISt17integral_constantIbLb1EES15_IbLb0EEEEDaS11_S12_EUlS11_E_NS1_11comp_targetILNS1_3genE9ELNS1_11target_archE1100ELNS1_3gpuE3ELNS1_3repE0EEENS1_30default_config_static_selectorELNS0_4arch9wavefront6targetE0EEEvT1_,comdat
	.protected	_ZN7rocprim17ROCPRIM_400000_NS6detail17trampoline_kernelINS0_14default_configENS1_25partition_config_selectorILNS1_17partition_subalgoE6EdNS0_10empty_typeEbEEZZNS1_14partition_implILS5_6ELb0ES3_mN6thrust23THRUST_200600_302600_NS6detail15normal_iteratorINSA_10device_ptrIdEEEEPS6_SG_NS0_5tupleIJSF_S6_EEENSH_IJSG_SG_EEES6_PlJ7is_evenIdEEEE10hipError_tPvRmT3_T4_T5_T6_T7_T9_mT8_P12ihipStream_tbDpT10_ENKUlT_T0_E_clISt17integral_constantIbLb1EES15_IbLb0EEEEDaS11_S12_EUlS11_E_NS1_11comp_targetILNS1_3genE9ELNS1_11target_archE1100ELNS1_3gpuE3ELNS1_3repE0EEENS1_30default_config_static_selectorELNS0_4arch9wavefront6targetE0EEEvT1_ ; -- Begin function _ZN7rocprim17ROCPRIM_400000_NS6detail17trampoline_kernelINS0_14default_configENS1_25partition_config_selectorILNS1_17partition_subalgoE6EdNS0_10empty_typeEbEEZZNS1_14partition_implILS5_6ELb0ES3_mN6thrust23THRUST_200600_302600_NS6detail15normal_iteratorINSA_10device_ptrIdEEEEPS6_SG_NS0_5tupleIJSF_S6_EEENSH_IJSG_SG_EEES6_PlJ7is_evenIdEEEE10hipError_tPvRmT3_T4_T5_T6_T7_T9_mT8_P12ihipStream_tbDpT10_ENKUlT_T0_E_clISt17integral_constantIbLb1EES15_IbLb0EEEEDaS11_S12_EUlS11_E_NS1_11comp_targetILNS1_3genE9ELNS1_11target_archE1100ELNS1_3gpuE3ELNS1_3repE0EEENS1_30default_config_static_selectorELNS0_4arch9wavefront6targetE0EEEvT1_
	.globl	_ZN7rocprim17ROCPRIM_400000_NS6detail17trampoline_kernelINS0_14default_configENS1_25partition_config_selectorILNS1_17partition_subalgoE6EdNS0_10empty_typeEbEEZZNS1_14partition_implILS5_6ELb0ES3_mN6thrust23THRUST_200600_302600_NS6detail15normal_iteratorINSA_10device_ptrIdEEEEPS6_SG_NS0_5tupleIJSF_S6_EEENSH_IJSG_SG_EEES6_PlJ7is_evenIdEEEE10hipError_tPvRmT3_T4_T5_T6_T7_T9_mT8_P12ihipStream_tbDpT10_ENKUlT_T0_E_clISt17integral_constantIbLb1EES15_IbLb0EEEEDaS11_S12_EUlS11_E_NS1_11comp_targetILNS1_3genE9ELNS1_11target_archE1100ELNS1_3gpuE3ELNS1_3repE0EEENS1_30default_config_static_selectorELNS0_4arch9wavefront6targetE0EEEvT1_
	.p2align	8
	.type	_ZN7rocprim17ROCPRIM_400000_NS6detail17trampoline_kernelINS0_14default_configENS1_25partition_config_selectorILNS1_17partition_subalgoE6EdNS0_10empty_typeEbEEZZNS1_14partition_implILS5_6ELb0ES3_mN6thrust23THRUST_200600_302600_NS6detail15normal_iteratorINSA_10device_ptrIdEEEEPS6_SG_NS0_5tupleIJSF_S6_EEENSH_IJSG_SG_EEES6_PlJ7is_evenIdEEEE10hipError_tPvRmT3_T4_T5_T6_T7_T9_mT8_P12ihipStream_tbDpT10_ENKUlT_T0_E_clISt17integral_constantIbLb1EES15_IbLb0EEEEDaS11_S12_EUlS11_E_NS1_11comp_targetILNS1_3genE9ELNS1_11target_archE1100ELNS1_3gpuE3ELNS1_3repE0EEENS1_30default_config_static_selectorELNS0_4arch9wavefront6targetE0EEEvT1_,@function
_ZN7rocprim17ROCPRIM_400000_NS6detail17trampoline_kernelINS0_14default_configENS1_25partition_config_selectorILNS1_17partition_subalgoE6EdNS0_10empty_typeEbEEZZNS1_14partition_implILS5_6ELb0ES3_mN6thrust23THRUST_200600_302600_NS6detail15normal_iteratorINSA_10device_ptrIdEEEEPS6_SG_NS0_5tupleIJSF_S6_EEENSH_IJSG_SG_EEES6_PlJ7is_evenIdEEEE10hipError_tPvRmT3_T4_T5_T6_T7_T9_mT8_P12ihipStream_tbDpT10_ENKUlT_T0_E_clISt17integral_constantIbLb1EES15_IbLb0EEEEDaS11_S12_EUlS11_E_NS1_11comp_targetILNS1_3genE9ELNS1_11target_archE1100ELNS1_3gpuE3ELNS1_3repE0EEENS1_30default_config_static_selectorELNS0_4arch9wavefront6targetE0EEEvT1_: ; @_ZN7rocprim17ROCPRIM_400000_NS6detail17trampoline_kernelINS0_14default_configENS1_25partition_config_selectorILNS1_17partition_subalgoE6EdNS0_10empty_typeEbEEZZNS1_14partition_implILS5_6ELb0ES3_mN6thrust23THRUST_200600_302600_NS6detail15normal_iteratorINSA_10device_ptrIdEEEEPS6_SG_NS0_5tupleIJSF_S6_EEENSH_IJSG_SG_EEES6_PlJ7is_evenIdEEEE10hipError_tPvRmT3_T4_T5_T6_T7_T9_mT8_P12ihipStream_tbDpT10_ENKUlT_T0_E_clISt17integral_constantIbLb1EES15_IbLb0EEEEDaS11_S12_EUlS11_E_NS1_11comp_targetILNS1_3genE9ELNS1_11target_archE1100ELNS1_3gpuE3ELNS1_3repE0EEENS1_30default_config_static_selectorELNS0_4arch9wavefront6targetE0EEEvT1_
; %bb.0:
	s_clause 0x3
	s_load_b128 s[16:19], s[0:1], 0x8
	s_load_b128 s[8:11], s[0:1], 0x40
	s_load_b32 s12, s[0:1], 0x68
	s_load_b64 s[4:5], s[0:1], 0x50
	s_waitcnt lgkmcnt(0)
	s_lshl_b64 s[2:3], s[18:19], 3
	s_load_b64 s[6:7], s[10:11], 0x0
	s_mul_i32 s10, s12, 0x900
	s_add_u32 s14, s16, s2
	s_addc_u32 s16, s17, s3
	s_add_i32 s2, s10, s18
	s_add_i32 s12, s12, -1
	s_sub_i32 s2, s4, s2
	s_add_u32 s10, s18, s10
	s_addc_u32 s11, s19, 0
	s_cmp_eq_u32 s15, s12
	v_cmp_ge_u64_e64 s3, s[10:11], s[4:5]
	s_cselect_b32 s12, -1, 0
	s_mov_b32 s5, 0
	s_mul_i32 s4, s15, 0x900
	s_delay_alu instid0(SALU_CYCLE_1) | instskip(NEXT) | instid1(VALU_DEP_1)
	s_lshl_b64 s[4:5], s[4:5], 3
	s_and_b32 s3, s12, s3
	s_delay_alu instid0(SALU_CYCLE_1)
	s_xor_b32 s13, s3, -1
	s_add_u32 s3, s14, s4
	s_addc_u32 s4, s16, s5
	s_and_b32 vcc_lo, exec_lo, s13
	s_mov_b32 s5, -1
	s_cbranch_vccz .LBB221_2
; %bb.1:
	v_lshlrev_b32_e32 v13, 3, v0
	s_delay_alu instid0(VALU_DEP_1) | instskip(NEXT) | instid1(VALU_DEP_1)
	v_add_co_u32 v1, s5, s3, v13
	v_add_co_ci_u32_e64 v2, null, s4, 0, s5
	s_mov_b32 s5, 0
	s_delay_alu instid0(VALU_DEP_2) | instskip(NEXT) | instid1(VALU_DEP_2)
	v_add_co_u32 v3, vcc_lo, 0x1000, v1
	v_add_co_ci_u32_e32 v4, vcc_lo, 0, v2, vcc_lo
	v_add_co_u32 v5, vcc_lo, 0x2000, v1
	v_add_co_ci_u32_e32 v6, vcc_lo, 0, v2, vcc_lo
	v_add_co_u32 v7, vcc_lo, 0x3000, v1
	v_add_co_ci_u32_e32 v8, vcc_lo, 0, v2, vcc_lo
	s_clause 0x5
	flat_load_b64 v[9:10], v[1:2]
	flat_load_b64 v[1:2], v[1:2] offset:3072
	flat_load_b64 v[3:4], v[3:4] offset:2048
	;; [unrolled: 1-line block ×3, first 2 shown]
	flat_load_b64 v[11:12], v[7:8]
	flat_load_b64 v[7:8], v[7:8] offset:3072
	s_waitcnt vmcnt(4) lgkmcnt(0)
	ds_store_2addr_stride64_b64 v13, v[9:10], v[1:2] offset1:6
	s_waitcnt vmcnt(2)
	ds_store_2addr_stride64_b64 v13, v[3:4], v[5:6] offset0:12 offset1:18
	s_waitcnt vmcnt(0)
	ds_store_2addr_stride64_b64 v13, v[11:12], v[7:8] offset0:24 offset1:30
	s_waitcnt lgkmcnt(0)
	s_barrier
.LBB221_2:
	s_and_not1_b32 vcc_lo, exec_lo, s5
	s_addk_i32 s2, 0x900
	s_cbranch_vccnz .LBB221_16
; %bb.3:
	s_mov_b32 s5, exec_lo
                                        ; implicit-def: $vgpr1_vgpr2_vgpr3_vgpr4_vgpr5_vgpr6_vgpr7_vgpr8_vgpr9_vgpr10_vgpr11_vgpr12_vgpr13_vgpr14_vgpr15_vgpr16
	v_cmpx_gt_u32_e64 s2, v0
	s_cbranch_execz .LBB221_5
; %bb.4:
	v_lshlrev_b32_e32 v1, 3, v0
	s_delay_alu instid0(VALU_DEP_1) | instskip(NEXT) | instid1(VALU_DEP_1)
	v_add_co_u32 v1, s10, s3, v1
	v_add_co_ci_u32_e64 v2, null, s4, 0, s10
	flat_load_b64 v[1:2], v[1:2]
.LBB221_5:
	s_or_b32 exec_lo, exec_lo, s5
	v_add_nc_u32_e32 v13, 0x180, v0
	s_mov_b32 s5, exec_lo
	s_delay_alu instid0(VALU_DEP_1)
	v_cmpx_gt_u32_e64 s2, v13
	s_cbranch_execz .LBB221_7
; %bb.6:
	v_lshlrev_b32_e32 v3, 3, v0
	s_delay_alu instid0(VALU_DEP_1) | instskip(NEXT) | instid1(VALU_DEP_1)
	v_add_co_u32 v3, s10, s3, v3
	v_add_co_ci_u32_e64 v4, null, s4, 0, s10
	flat_load_b64 v[3:4], v[3:4] offset:3072
.LBB221_7:
	s_or_b32 exec_lo, exec_lo, s5
	v_add_nc_u32_e32 v13, 0x300, v0
	s_mov_b32 s5, exec_lo
	s_delay_alu instid0(VALU_DEP_1)
	v_cmpx_gt_u32_e64 s2, v13
	s_cbranch_execz .LBB221_9
; %bb.8:
	v_lshlrev_b32_e32 v5, 3, v13
	s_delay_alu instid0(VALU_DEP_1) | instskip(NEXT) | instid1(VALU_DEP_1)
	v_add_co_u32 v5, s10, s3, v5
	v_add_co_ci_u32_e64 v6, null, s4, 0, s10
	flat_load_b64 v[5:6], v[5:6]
.LBB221_9:
	s_or_b32 exec_lo, exec_lo, s5
	v_add_nc_u32_e32 v13, 0x480, v0
	s_mov_b32 s5, exec_lo
	s_delay_alu instid0(VALU_DEP_1)
	v_cmpx_gt_u32_e64 s2, v13
	s_cbranch_execz .LBB221_11
; %bb.10:
	v_lshlrev_b32_e32 v7, 3, v13
	s_delay_alu instid0(VALU_DEP_1) | instskip(NEXT) | instid1(VALU_DEP_1)
	v_add_co_u32 v7, s10, s3, v7
	v_add_co_ci_u32_e64 v8, null, s4, 0, s10
	flat_load_b64 v[7:8], v[7:8]
.LBB221_11:
	s_or_b32 exec_lo, exec_lo, s5
	v_or_b32_e32 v13, 0x600, v0
	s_mov_b32 s5, exec_lo
	s_delay_alu instid0(VALU_DEP_1)
	v_cmpx_gt_u32_e64 s2, v13
	s_cbranch_execz .LBB221_13
; %bb.12:
	v_lshlrev_b32_e32 v9, 3, v13
	s_delay_alu instid0(VALU_DEP_1) | instskip(NEXT) | instid1(VALU_DEP_1)
	v_add_co_u32 v9, s10, s3, v9
	v_add_co_ci_u32_e64 v10, null, s4, 0, s10
	flat_load_b64 v[9:10], v[9:10]
.LBB221_13:
	s_or_b32 exec_lo, exec_lo, s5
	v_add_nc_u32_e32 v13, 0x780, v0
	s_mov_b32 s5, exec_lo
	s_delay_alu instid0(VALU_DEP_1)
	v_cmpx_gt_u32_e64 s2, v13
	s_cbranch_execz .LBB221_15
; %bb.14:
	v_lshlrev_b32_e32 v11, 3, v13
	s_delay_alu instid0(VALU_DEP_1) | instskip(NEXT) | instid1(VALU_DEP_1)
	v_add_co_u32 v11, s3, s3, v11
	v_add_co_ci_u32_e64 v12, null, s4, 0, s3
	flat_load_b64 v[11:12], v[11:12]
.LBB221_15:
	s_or_b32 exec_lo, exec_lo, s5
	v_lshlrev_b32_e32 v13, 3, v0
	s_waitcnt vmcnt(0) lgkmcnt(0)
	ds_store_2addr_stride64_b64 v13, v[1:2], v[3:4] offset1:6
	ds_store_2addr_stride64_b64 v13, v[5:6], v[7:8] offset0:12 offset1:18
	ds_store_2addr_stride64_b64 v13, v[9:10], v[11:12] offset0:24 offset1:30
	s_waitcnt lgkmcnt(0)
	s_barrier
.LBB221_16:
	v_mul_u32_u24_e32 v13, 6, v0
	s_waitcnt lgkmcnt(0)
	buffer_gl0_inv
	s_and_not1_b32 vcc_lo, exec_lo, s13
	v_lshlrev_b32_e32 v35, 3, v13
	ds_load_b128 v[9:12], v35
	ds_load_b128 v[5:8], v35 offset:16
	ds_load_b128 v[1:4], v35 offset:32
	s_waitcnt lgkmcnt(0)
	s_barrier
	buffer_gl0_inv
	v_cvt_u32_f64_e32 v14, v[9:10]
	v_cvt_u32_f64_e32 v15, v[11:12]
	;; [unrolled: 1-line block ×6, first 2 shown]
	v_xor_b32_e32 v16, -1, v14
	v_xor_b32_e32 v18, -1, v15
	;; [unrolled: 1-line block ×6, first 2 shown]
	s_cbranch_vccnz .LBB221_18
; %bb.17:
	v_and_b32_e32 v20, 1, v18
	v_and_b32_e32 v21, 1, v19
	;; [unrolled: 1-line block ×5, first 2 shown]
	v_lshlrev_b16 v20, 8, v20
	v_lshlrev_b16 v21, 8, v21
	v_and_b32_e32 v31, 1, v15
	s_delay_alu instid0(VALU_DEP_3) | instskip(NEXT) | instid1(VALU_DEP_3)
	v_or_b32_e32 v20, v22, v20
	v_or_b32_e32 v21, v23, v21
	s_delay_alu instid0(VALU_DEP_2) | instskip(NEXT) | instid1(VALU_DEP_2)
	v_and_b32_e32 v20, 0xffff, v20
	v_lshlrev_b32_e32 v21, 16, v21
	s_delay_alu instid0(VALU_DEP_1)
	v_or_b32_e32 v34, v20, v21
	s_load_b64 s[10:11], s[0:1], 0x60
	s_cbranch_execz .LBB221_19
	s_branch .LBB221_20
.LBB221_18:
                                        ; implicit-def: $vgpr31
                                        ; implicit-def: $vgpr32
                                        ; implicit-def: $vgpr34
	s_load_b64 s[10:11], s[0:1], 0x60
.LBB221_19:
	v_or_b32_e32 v20, 1, v13
	v_add_nc_u32_e32 v21, 3, v13
	v_add_nc_u32_e32 v22, 2, v13
	s_delay_alu instid0(VALU_DEP_3) | instskip(SKIP_1) | instid1(VALU_DEP_4)
	v_cmp_gt_u32_e32 vcc_lo, s2, v20
	v_cndmask_b32_e64 v20, 0, 1, vcc_lo
	v_cmp_gt_u32_e32 vcc_lo, s2, v21
	s_delay_alu instid0(VALU_DEP_2)
	v_and_b32_e32 v18, v20, v18
	v_cndmask_b32_e64 v21, 0, 1, vcc_lo
	v_cmp_gt_u32_e32 vcc_lo, s2, v13
	v_add_nc_u32_e32 v20, 4, v13
	v_add_nc_u32_e32 v13, 5, v13
	v_lshlrev_b16 v18, 8, v18
	v_and_b32_e32 v19, v21, v19
	v_cndmask_b32_e64 v23, 0, 1, vcc_lo
	v_cmp_gt_u32_e32 vcc_lo, s2, v22
	s_delay_alu instid0(VALU_DEP_3) | instskip(NEXT) | instid1(VALU_DEP_3)
	v_lshlrev_b16 v19, 8, v19
	v_and_b32_e32 v16, v23, v16
	v_cndmask_b32_e64 v22, 0, 1, vcc_lo
	v_cmp_gt_u32_e32 vcc_lo, s2, v20
	s_delay_alu instid0(VALU_DEP_3) | instskip(NEXT) | instid1(VALU_DEP_3)
	v_or_b32_e32 v16, v16, v18
	v_and_b32_e32 v17, v22, v17
	v_cndmask_b32_e64 v18, 0, 1, vcc_lo
	v_cmp_gt_u32_e32 vcc_lo, s2, v13
	s_delay_alu instid0(VALU_DEP_4) | instskip(NEXT) | instid1(VALU_DEP_4)
	v_and_b32_e32 v16, 0xffff, v16
	v_or_b32_e32 v17, v17, v19
	s_delay_alu instid0(VALU_DEP_4) | instskip(SKIP_1) | instid1(VALU_DEP_3)
	v_and_b32_e32 v32, v18, v14
	v_cndmask_b32_e64 v13, 0, 1, vcc_lo
	v_lshlrev_b32_e32 v17, 16, v17
	s_delay_alu instid0(VALU_DEP_2) | instskip(NEXT) | instid1(VALU_DEP_2)
	v_and_b32_e32 v31, v13, v15
	v_or_b32_e32 v34, v16, v17
.LBB221_20:
	s_delay_alu instid0(VALU_DEP_1)
	v_dual_mov_b32 v14, 0 :: v_dual_and_b32 v39, 0xff, v34
	v_bfe_u32 v38, v34, 8, 8
	v_bfe_u32 v37, v34, 16, 8
	v_lshrrev_b32_e32 v33, 24, v34
	v_and_b32_e32 v36, 0xff, v32
	v_mbcnt_lo_u32_b32 v40, -1, 0
	v_add_co_u32 v13, s2, v38, v39
	s_delay_alu instid0(VALU_DEP_1) | instskip(SKIP_1) | instid1(VALU_DEP_3)
	v_add_co_ci_u32_e64 v15, null, 0, 0, s2
	v_and_b32_e32 v16, 0xff, v31
	v_add_co_u32 v13, vcc_lo, v13, v37
	s_delay_alu instid0(VALU_DEP_3) | instskip(SKIP_1) | instid1(VALU_DEP_3)
	v_add_co_ci_u32_e32 v15, vcc_lo, 0, v15, vcc_lo
	v_and_b32_e32 v41, 15, v40
	v_add_co_u32 v13, vcc_lo, v13, v33
	s_delay_alu instid0(VALU_DEP_3) | instskip(NEXT) | instid1(VALU_DEP_3)
	v_add_co_ci_u32_e32 v15, vcc_lo, 0, v15, vcc_lo
	v_cmp_ne_u32_e64 s2, 0, v41
	s_delay_alu instid0(VALU_DEP_3) | instskip(NEXT) | instid1(VALU_DEP_3)
	v_add_co_u32 v13, vcc_lo, v13, v36
	v_add_co_ci_u32_e32 v15, vcc_lo, 0, v15, vcc_lo
	s_cmp_lg_u32 s15, 0
	s_delay_alu instid0(VALU_DEP_2) | instskip(NEXT) | instid1(VALU_DEP_2)
	v_add_co_u32 v21, vcc_lo, v13, v16
	v_add_co_ci_u32_e32 v22, vcc_lo, 0, v15, vcc_lo
	s_mov_b32 s3, -1
	s_cbranch_scc0 .LBB221_89
; %bb.21:
	s_delay_alu instid0(VALU_DEP_2)
	v_mov_b32_e32 v15, v21
	v_mov_b32_dpp v13, v21 row_shr:1 row_mask:0xf bank_mask:0xf
	v_mov_b32_dpp v18, v14 row_shr:1 row_mask:0xf bank_mask:0xf
	v_dual_mov_b32 v17, v21 :: v_dual_mov_b32 v16, v22
	s_and_saveexec_b32 s3, s2
; %bb.22:
	s_delay_alu instid0(VALU_DEP_3) | instskip(SKIP_1) | instid1(VALU_DEP_2)
	v_add_co_u32 v17, vcc_lo, v21, v13
	v_add_co_ci_u32_e32 v14, vcc_lo, 0, v22, vcc_lo
	v_add_co_u32 v13, vcc_lo, 0, v17
	s_delay_alu instid0(VALU_DEP_2) | instskip(NEXT) | instid1(VALU_DEP_1)
	v_add_co_ci_u32_e32 v14, vcc_lo, v18, v14, vcc_lo
	v_dual_mov_b32 v16, v14 :: v_dual_mov_b32 v15, v13
; %bb.23:
	s_or_b32 exec_lo, exec_lo, s3
	v_mov_b32_dpp v13, v17 row_shr:2 row_mask:0xf bank_mask:0xf
	v_mov_b32_dpp v18, v14 row_shr:2 row_mask:0xf bank_mask:0xf
	v_cmp_lt_u32_e32 vcc_lo, 1, v41
	s_and_saveexec_b32 s4, vcc_lo
; %bb.24:
	s_delay_alu instid0(VALU_DEP_3) | instskip(NEXT) | instid1(VALU_DEP_1)
	v_add_co_u32 v17, s3, v15, v13
	v_add_co_ci_u32_e64 v14, s3, 0, v16, s3
	s_delay_alu instid0(VALU_DEP_2) | instskip(NEXT) | instid1(VALU_DEP_1)
	v_add_co_u32 v13, s3, 0, v17
	v_add_co_ci_u32_e64 v14, s3, v18, v14, s3
	s_delay_alu instid0(VALU_DEP_1)
	v_dual_mov_b32 v16, v14 :: v_dual_mov_b32 v15, v13
; %bb.25:
	s_or_b32 exec_lo, exec_lo, s4
	v_mov_b32_dpp v13, v17 row_shr:4 row_mask:0xf bank_mask:0xf
	v_mov_b32_dpp v18, v14 row_shr:4 row_mask:0xf bank_mask:0xf
	v_cmp_lt_u32_e64 s3, 3, v41
	s_delay_alu instid0(VALU_DEP_1)
	s_and_saveexec_b32 s5, s3
; %bb.26:
	s_delay_alu instid0(VALU_DEP_3) | instskip(NEXT) | instid1(VALU_DEP_1)
	v_add_co_u32 v17, s4, v15, v13
	v_add_co_ci_u32_e64 v14, s4, 0, v16, s4
	s_delay_alu instid0(VALU_DEP_2) | instskip(NEXT) | instid1(VALU_DEP_1)
	v_add_co_u32 v13, s4, 0, v17
	v_add_co_ci_u32_e64 v14, s4, v18, v14, s4
	s_delay_alu instid0(VALU_DEP_1)
	v_dual_mov_b32 v16, v14 :: v_dual_mov_b32 v15, v13
; %bb.27:
	s_or_b32 exec_lo, exec_lo, s5
	v_mov_b32_dpp v18, v17 row_shr:8 row_mask:0xf bank_mask:0xf
	v_mov_b32_dpp v13, v14 row_shr:8 row_mask:0xf bank_mask:0xf
	v_cmp_lt_u32_e64 s4, 7, v41
	s_delay_alu instid0(VALU_DEP_1)
	s_and_saveexec_b32 s14, s4
; %bb.28:
	s_delay_alu instid0(VALU_DEP_3) | instskip(NEXT) | instid1(VALU_DEP_1)
	v_add_co_u32 v17, s5, v15, v18
	v_add_co_ci_u32_e64 v14, s5, 0, v16, s5
	s_delay_alu instid0(VALU_DEP_2) | instskip(NEXT) | instid1(VALU_DEP_1)
	v_add_co_u32 v15, s5, 0, v17
	v_add_co_ci_u32_e64 v16, s5, v13, v14, s5
	s_delay_alu instid0(VALU_DEP_1)
	v_mov_b32_e32 v14, v16
; %bb.29:
	s_or_b32 exec_lo, exec_lo, s14
	ds_swizzle_b32 v13, v17 offset:swizzle(BROADCAST,32,15)
	ds_swizzle_b32 v18, v14 offset:swizzle(BROADCAST,32,15)
	v_and_b32_e32 v19, 16, v40
	s_mov_b32 s14, exec_lo
	s_delay_alu instid0(VALU_DEP_1)
	v_cmpx_ne_u32_e32 0, v19
	s_cbranch_execz .LBB221_31
; %bb.30:
	s_waitcnt lgkmcnt(0)
	v_add_co_u32 v17, s5, v15, v13
	s_delay_alu instid0(VALU_DEP_1) | instskip(NEXT) | instid1(VALU_DEP_2)
	v_add_co_ci_u32_e64 v14, s5, 0, v16, s5
	v_add_co_u32 v13, s5, 0, v17
	s_delay_alu instid0(VALU_DEP_1) | instskip(NEXT) | instid1(VALU_DEP_1)
	v_add_co_ci_u32_e64 v14, s5, v18, v14, s5
	v_dual_mov_b32 v16, v14 :: v_dual_mov_b32 v15, v13
.LBB221_31:
	s_or_b32 exec_lo, exec_lo, s14
	s_waitcnt lgkmcnt(0)
	v_and_b32_e32 v13, 0x1e0, v0
	s_mov_b32 s14, exec_lo
	s_delay_alu instid0(VALU_DEP_1) | instskip(NEXT) | instid1(VALU_DEP_1)
	v_min_u32_e32 v13, 0x160, v13
	v_or_b32_e32 v18, 31, v13
	v_lshrrev_b32_e32 v13, 5, v0
	s_delay_alu instid0(VALU_DEP_2)
	v_cmpx_eq_u32_e64 v18, v0
	s_cbranch_execz .LBB221_33
; %bb.32:
	s_delay_alu instid0(VALU_DEP_2)
	v_lshlrev_b32_e32 v18, 3, v13
	ds_store_b64 v18, v[15:16]
.LBB221_33:
	s_or_b32 exec_lo, exec_lo, s14
	s_delay_alu instid0(SALU_CYCLE_1)
	s_mov_b32 s14, exec_lo
	s_waitcnt lgkmcnt(0)
	s_barrier
	buffer_gl0_inv
	v_cmpx_gt_u32_e32 12, v0
	s_cbranch_execz .LBB221_43
; %bb.34:
	v_lshlrev_b32_e32 v18, 3, v0
	ds_load_b64 v[15:16], v18
	s_waitcnt lgkmcnt(0)
	v_mov_b32_e32 v19, v15
	v_mov_b32_dpp v23, v15 row_shr:1 row_mask:0xf bank_mask:0xf
	v_mov_b32_dpp v20, v16 row_shr:1 row_mask:0xf bank_mask:0xf
	s_and_saveexec_b32 s16, s2
; %bb.35:
	s_delay_alu instid0(VALU_DEP_2) | instskip(NEXT) | instid1(VALU_DEP_1)
	v_add_co_u32 v19, s5, v15, v23
	v_add_co_ci_u32_e64 v16, s5, 0, v16, s5
	s_delay_alu instid0(VALU_DEP_2) | instskip(NEXT) | instid1(VALU_DEP_1)
	v_add_co_u32 v15, s5, 0, v19
	v_add_co_ci_u32_e64 v16, s5, v20, v16, s5
; %bb.36:
	s_or_b32 exec_lo, exec_lo, s16
	v_mov_b32_dpp v23, v19 row_shr:2 row_mask:0xf bank_mask:0xf
	s_delay_alu instid0(VALU_DEP_2)
	v_mov_b32_dpp v20, v16 row_shr:2 row_mask:0xf bank_mask:0xf
	s_and_saveexec_b32 s5, vcc_lo
; %bb.37:
	s_delay_alu instid0(VALU_DEP_2) | instskip(SKIP_1) | instid1(VALU_DEP_2)
	v_add_co_u32 v19, vcc_lo, v15, v23
	v_add_co_ci_u32_e32 v16, vcc_lo, 0, v16, vcc_lo
	v_add_co_u32 v15, vcc_lo, 0, v19
	s_delay_alu instid0(VALU_DEP_2)
	v_add_co_ci_u32_e32 v16, vcc_lo, v20, v16, vcc_lo
; %bb.38:
	s_or_b32 exec_lo, exec_lo, s5
	v_mov_b32_dpp v23, v19 row_shr:4 row_mask:0xf bank_mask:0xf
	s_delay_alu instid0(VALU_DEP_2)
	v_mov_b32_dpp v20, v16 row_shr:4 row_mask:0xf bank_mask:0xf
	s_and_saveexec_b32 s5, s3
; %bb.39:
	s_delay_alu instid0(VALU_DEP_2) | instskip(SKIP_1) | instid1(VALU_DEP_2)
	v_add_co_u32 v19, vcc_lo, v15, v23
	v_add_co_ci_u32_e32 v16, vcc_lo, 0, v16, vcc_lo
	v_add_co_u32 v15, vcc_lo, 0, v19
	s_delay_alu instid0(VALU_DEP_2)
	v_add_co_ci_u32_e32 v16, vcc_lo, v20, v16, vcc_lo
; %bb.40:
	s_or_b32 exec_lo, exec_lo, s5
	v_mov_b32_dpp v20, v19 row_shr:8 row_mask:0xf bank_mask:0xf
	s_delay_alu instid0(VALU_DEP_2)
	v_mov_b32_dpp v19, v16 row_shr:8 row_mask:0xf bank_mask:0xf
	s_and_saveexec_b32 s3, s4
; %bb.41:
	s_delay_alu instid0(VALU_DEP_2) | instskip(SKIP_1) | instid1(VALU_DEP_2)
	v_add_co_u32 v15, vcc_lo, v15, v20
	v_add_co_ci_u32_e32 v16, vcc_lo, 0, v16, vcc_lo
	v_add_co_u32 v15, vcc_lo, v15, 0
	s_delay_alu instid0(VALU_DEP_2)
	v_add_co_ci_u32_e32 v16, vcc_lo, v16, v19, vcc_lo
; %bb.42:
	s_or_b32 exec_lo, exec_lo, s3
	ds_store_b64 v18, v[15:16]
.LBB221_43:
	s_or_b32 exec_lo, exec_lo, s14
	v_cmp_gt_u32_e32 vcc_lo, 32, v0
	s_mov_b32 s4, exec_lo
	s_waitcnt lgkmcnt(0)
	s_barrier
	buffer_gl0_inv
                                        ; implicit-def: $vgpr23_vgpr24
	v_cmpx_lt_u32_e32 31, v0
	s_cbranch_execz .LBB221_45
; %bb.44:
	v_lshl_add_u32 v13, v13, 3, -8
	ds_load_b64 v[23:24], v13
	s_waitcnt lgkmcnt(0)
	v_add_co_u32 v17, s3, v17, v23
	s_delay_alu instid0(VALU_DEP_1)
	v_add_co_ci_u32_e64 v14, s3, v14, v24, s3
.LBB221_45:
	s_or_b32 exec_lo, exec_lo, s4
	v_add_nc_u32_e32 v13, -1, v40
	s_delay_alu instid0(VALU_DEP_1) | instskip(NEXT) | instid1(VALU_DEP_1)
	v_cmp_gt_i32_e64 s3, 0, v13
	v_cndmask_b32_e64 v13, v13, v40, s3
	v_cmp_eq_u32_e64 s3, 0, v40
	s_delay_alu instid0(VALU_DEP_2)
	v_lshlrev_b32_e32 v13, 2, v13
	ds_bpermute_b32 v29, v13, v17
	ds_bpermute_b32 v30, v13, v14
	s_and_saveexec_b32 s4, vcc_lo
	s_cbranch_execz .LBB221_88
; %bb.46:
	v_mov_b32_e32 v16, 0
	ds_load_b64 v[13:14], v16 offset:88
	s_and_saveexec_b32 s5, s3
	s_cbranch_execz .LBB221_48
; %bb.47:
	s_add_i32 s16, s15, 32
	s_mov_b32 s17, 0
	s_delay_alu instid0(SALU_CYCLE_1) | instskip(NEXT) | instid1(SALU_CYCLE_1)
	s_lshl_b64 s[16:17], s[16:17], 4
	s_add_u32 s16, s10, s16
	s_addc_u32 s17, s11, s17
	s_delay_alu instid0(SALU_CYCLE_1)
	v_dual_mov_b32 v15, 1 :: v_dual_mov_b32 v18, s17
	v_mov_b32_e32 v17, s16
	s_waitcnt lgkmcnt(0)
	;;#ASMSTART
	global_store_dwordx4 v[17:18], v[13:16] off	
s_waitcnt vmcnt(0)
	;;#ASMEND
.LBB221_48:
	s_or_b32 exec_lo, exec_lo, s5
	v_xad_u32 v25, v40, -1, s15
	s_mov_b32 s14, 0
	s_mov_b32 s5, exec_lo
	s_delay_alu instid0(VALU_DEP_1) | instskip(NEXT) | instid1(VALU_DEP_1)
	v_add_nc_u32_e32 v15, 32, v25
	v_lshlrev_b64 v[15:16], 4, v[15:16]
	s_delay_alu instid0(VALU_DEP_1) | instskip(NEXT) | instid1(VALU_DEP_2)
	v_add_co_u32 v15, vcc_lo, s10, v15
	v_add_co_ci_u32_e32 v16, vcc_lo, s11, v16, vcc_lo
	;;#ASMSTART
	global_load_dwordx4 v[17:20], v[15:16] off glc	
s_waitcnt vmcnt(0)
	;;#ASMEND
	v_and_b32_e32 v20, 0xff, v18
	v_and_b32_e32 v26, 0xff00, v18
	v_or3_b32 v17, v17, 0, 0
	v_and_b32_e32 v27, 0xff000000, v18
	v_and_b32_e32 v18, 0xff0000, v18
	s_delay_alu instid0(VALU_DEP_4) | instskip(SKIP_2) | instid1(VALU_DEP_3)
	v_or3_b32 v20, 0, v20, v26
	v_and_b32_e32 v26, 0xff, v19
	v_or3_b32 v17, v17, 0, 0
	v_or3_b32 v18, v20, v18, v27
	s_delay_alu instid0(VALU_DEP_3)
	v_cmpx_eq_u16_e32 0, v26
	s_cbranch_execz .LBB221_54
; %bb.49:
	s_mov_b32 s16, 1
	.p2align	6
.LBB221_50:                             ; =>This Loop Header: Depth=1
                                        ;     Child Loop BB221_51 Depth 2
	s_delay_alu instid0(SALU_CYCLE_1)
	s_max_u32 s17, s16, 1
.LBB221_51:                             ;   Parent Loop BB221_50 Depth=1
                                        ; =>  This Inner Loop Header: Depth=2
	s_delay_alu instid0(SALU_CYCLE_1)
	s_add_i32 s17, s17, -1
	s_sleep 1
	s_cmp_eq_u32 s17, 0
	s_cbranch_scc0 .LBB221_51
; %bb.52:                               ;   in Loop: Header=BB221_50 Depth=1
	;;#ASMSTART
	global_load_dwordx4 v[17:20], v[15:16] off glc	
s_waitcnt vmcnt(0)
	;;#ASMEND
	v_and_b32_e32 v20, 0xff, v19
	s_cmp_lt_u32 s16, 32
	s_cselect_b32 s17, -1, 0
	s_delay_alu instid0(SALU_CYCLE_1) | instskip(NEXT) | instid1(VALU_DEP_1)
	s_cmp_lg_u32 s17, 0
	v_cmp_ne_u16_e32 vcc_lo, 0, v20
	s_addc_u32 s16, s16, 0
	s_or_b32 s14, vcc_lo, s14
	s_delay_alu instid0(SALU_CYCLE_1)
	s_and_not1_b32 exec_lo, exec_lo, s14
	s_cbranch_execnz .LBB221_50
; %bb.53:
	s_or_b32 exec_lo, exec_lo, s14
.LBB221_54:
	s_delay_alu instid0(SALU_CYCLE_1)
	s_or_b32 exec_lo, exec_lo, s5
	v_cmp_ne_u32_e32 vcc_lo, 31, v40
	v_and_b32_e32 v16, 0xff, v19
	v_lshlrev_b32_e64 v43, v40, -1
	s_mov_b32 s5, exec_lo
	v_add_co_ci_u32_e32 v15, vcc_lo, 0, v40, vcc_lo
	s_delay_alu instid0(VALU_DEP_3) | instskip(SKIP_1) | instid1(VALU_DEP_3)
	v_cmp_eq_u16_e32 vcc_lo, 2, v16
	v_mov_b32_e32 v16, v17
	v_lshlrev_b32_e32 v42, 2, v15
	v_and_or_b32 v15, vcc_lo, v43, 0x80000000
	ds_bpermute_b32 v26, v42, v17
	ds_bpermute_b32 v20, v42, v18
	v_ctz_i32_b32_e32 v15, v15
	s_delay_alu instid0(VALU_DEP_1)
	v_cmpx_lt_u32_e64 v40, v15
	s_cbranch_execz .LBB221_56
; %bb.55:
	s_waitcnt lgkmcnt(1)
	v_add_co_u32 v16, vcc_lo, v17, v26
	v_add_co_ci_u32_e32 v18, vcc_lo, 0, v18, vcc_lo
	s_delay_alu instid0(VALU_DEP_2) | instskip(SKIP_1) | instid1(VALU_DEP_2)
	v_add_co_u32 v17, vcc_lo, 0, v16
	s_waitcnt lgkmcnt(0)
	v_add_co_ci_u32_e32 v18, vcc_lo, v20, v18, vcc_lo
.LBB221_56:
	s_or_b32 exec_lo, exec_lo, s5
	v_cmp_gt_u32_e32 vcc_lo, 30, v40
	v_add_nc_u32_e32 v45, 2, v40
	s_mov_b32 s5, exec_lo
	s_waitcnt lgkmcnt(0)
	v_cndmask_b32_e64 v20, 0, 1, vcc_lo
	s_delay_alu instid0(VALU_DEP_1) | instskip(NEXT) | instid1(VALU_DEP_1)
	v_lshlrev_b32_e32 v20, 1, v20
	v_add_lshl_u32 v44, v20, v40, 2
	ds_bpermute_b32 v26, v44, v16
	ds_bpermute_b32 v20, v44, v18
	v_cmpx_le_u32_e64 v45, v15
	s_cbranch_execz .LBB221_58
; %bb.57:
	s_waitcnt lgkmcnt(1)
	v_add_co_u32 v16, vcc_lo, v17, v26
	v_add_co_ci_u32_e32 v18, vcc_lo, 0, v18, vcc_lo
	s_delay_alu instid0(VALU_DEP_2) | instskip(SKIP_1) | instid1(VALU_DEP_2)
	v_add_co_u32 v17, vcc_lo, 0, v16
	s_waitcnt lgkmcnt(0)
	v_add_co_ci_u32_e32 v18, vcc_lo, v20, v18, vcc_lo
.LBB221_58:
	s_or_b32 exec_lo, exec_lo, s5
	v_cmp_gt_u32_e32 vcc_lo, 28, v40
	v_add_nc_u32_e32 v47, 4, v40
	s_mov_b32 s5, exec_lo
	s_waitcnt lgkmcnt(0)
	v_cndmask_b32_e64 v20, 0, 1, vcc_lo
	s_delay_alu instid0(VALU_DEP_1) | instskip(NEXT) | instid1(VALU_DEP_1)
	v_lshlrev_b32_e32 v20, 2, v20
	v_add_lshl_u32 v46, v20, v40, 2
	ds_bpermute_b32 v26, v46, v16
	ds_bpermute_b32 v20, v46, v18
	v_cmpx_le_u32_e64 v47, v15
	;; [unrolled: 22-line block ×4, first 2 shown]
	s_cbranch_execz .LBB221_64
; %bb.63:
	s_waitcnt lgkmcnt(1)
	v_add_co_u32 v15, vcc_lo, v17, v20
	v_add_co_ci_u32_e32 v18, vcc_lo, 0, v18, vcc_lo
	s_delay_alu instid0(VALU_DEP_2) | instskip(SKIP_1) | instid1(VALU_DEP_2)
	v_add_co_u32 v17, vcc_lo, v15, 0
	s_waitcnt lgkmcnt(0)
	v_add_co_ci_u32_e32 v18, vcc_lo, v18, v16, vcc_lo
.LBB221_64:
	s_or_b32 exec_lo, exec_lo, s5
	v_mov_b32_e32 v26, 0
	s_branch .LBB221_66
.LBB221_65:                             ;   in Loop: Header=BB221_66 Depth=1
	s_or_b32 exec_lo, exec_lo, s5
	v_add_co_u32 v17, vcc_lo, v17, v15
	v_subrev_nc_u32_e32 v25, 32, v25
	v_add_co_ci_u32_e32 v18, vcc_lo, v18, v16, vcc_lo
.LBB221_66:                             ; =>This Loop Header: Depth=1
                                        ;     Child Loop BB221_69 Depth 2
                                        ;       Child Loop BB221_70 Depth 3
	v_and_b32_e32 v15, 0xff, v19
	s_delay_alu instid0(VALU_DEP_1) | instskip(SKIP_2) | instid1(VALU_DEP_1)
	v_cmp_ne_u16_e32 vcc_lo, 2, v15
	v_cndmask_b32_e64 v15, 0, 1, vcc_lo
	;;#ASMSTART
	;;#ASMEND
	v_cmp_ne_u32_e32 vcc_lo, 0, v15
	s_waitcnt lgkmcnt(0)
	v_dual_mov_b32 v15, v17 :: v_dual_mov_b32 v16, v18
	s_cmp_lg_u32 vcc_lo, exec_lo
	s_cbranch_scc1 .LBB221_83
; %bb.67:                               ;   in Loop: Header=BB221_66 Depth=1
	v_lshlrev_b64 v[17:18], 4, v[25:26]
	s_mov_b32 s5, exec_lo
	s_delay_alu instid0(VALU_DEP_1) | instskip(NEXT) | instid1(VALU_DEP_2)
	v_add_co_u32 v27, vcc_lo, s10, v17
	v_add_co_ci_u32_e32 v28, vcc_lo, s11, v18, vcc_lo
	;;#ASMSTART
	global_load_dwordx4 v[17:20], v[27:28] off glc	
s_waitcnt vmcnt(0)
	;;#ASMEND
	v_and_b32_e32 v20, 0xff, v18
	v_and_b32_e32 v52, 0xff00, v18
	v_or3_b32 v17, v17, 0, 0
	v_and_b32_e32 v53, 0xff000000, v18
	v_and_b32_e32 v18, 0xff0000, v18
	s_delay_alu instid0(VALU_DEP_4) | instskip(SKIP_2) | instid1(VALU_DEP_3)
	v_or3_b32 v20, 0, v20, v52
	v_and_b32_e32 v52, 0xff, v19
	v_or3_b32 v17, v17, 0, 0
	v_or3_b32 v18, v20, v18, v53
	s_delay_alu instid0(VALU_DEP_3)
	v_cmpx_eq_u16_e32 0, v52
	s_cbranch_execz .LBB221_73
; %bb.68:                               ;   in Loop: Header=BB221_66 Depth=1
	s_mov_b32 s16, 1
	s_mov_b32 s14, 0
	.p2align	6
.LBB221_69:                             ;   Parent Loop BB221_66 Depth=1
                                        ; =>  This Loop Header: Depth=2
                                        ;       Child Loop BB221_70 Depth 3
	s_max_u32 s17, s16, 1
.LBB221_70:                             ;   Parent Loop BB221_66 Depth=1
                                        ;     Parent Loop BB221_69 Depth=2
                                        ; =>    This Inner Loop Header: Depth=3
	s_delay_alu instid0(SALU_CYCLE_1)
	s_add_i32 s17, s17, -1
	s_sleep 1
	s_cmp_eq_u32 s17, 0
	s_cbranch_scc0 .LBB221_70
; %bb.71:                               ;   in Loop: Header=BB221_69 Depth=2
	;;#ASMSTART
	global_load_dwordx4 v[17:20], v[27:28] off glc	
s_waitcnt vmcnt(0)
	;;#ASMEND
	v_and_b32_e32 v20, 0xff, v19
	s_cmp_lt_u32 s16, 32
	s_cselect_b32 s17, -1, 0
	s_delay_alu instid0(SALU_CYCLE_1) | instskip(NEXT) | instid1(VALU_DEP_1)
	s_cmp_lg_u32 s17, 0
	v_cmp_ne_u16_e32 vcc_lo, 0, v20
	s_addc_u32 s16, s16, 0
	s_or_b32 s14, vcc_lo, s14
	s_delay_alu instid0(SALU_CYCLE_1)
	s_and_not1_b32 exec_lo, exec_lo, s14
	s_cbranch_execnz .LBB221_69
; %bb.72:                               ;   in Loop: Header=BB221_66 Depth=1
	s_or_b32 exec_lo, exec_lo, s14
.LBB221_73:                             ;   in Loop: Header=BB221_66 Depth=1
	s_delay_alu instid0(SALU_CYCLE_1)
	s_or_b32 exec_lo, exec_lo, s5
	v_dual_mov_b32 v27, v17 :: v_dual_and_b32 v20, 0xff, v19
	ds_bpermute_b32 v52, v42, v17
	ds_bpermute_b32 v28, v42, v18
	s_mov_b32 s5, exec_lo
	v_cmp_eq_u16_e32 vcc_lo, 2, v20
	v_and_or_b32 v20, vcc_lo, v43, 0x80000000
	s_delay_alu instid0(VALU_DEP_1) | instskip(NEXT) | instid1(VALU_DEP_1)
	v_ctz_i32_b32_e32 v20, v20
	v_cmpx_lt_u32_e64 v40, v20
	s_cbranch_execz .LBB221_75
; %bb.74:                               ;   in Loop: Header=BB221_66 Depth=1
	s_waitcnt lgkmcnt(1)
	v_add_co_u32 v27, vcc_lo, v17, v52
	v_add_co_ci_u32_e32 v18, vcc_lo, 0, v18, vcc_lo
	s_delay_alu instid0(VALU_DEP_2) | instskip(SKIP_1) | instid1(VALU_DEP_2)
	v_add_co_u32 v17, vcc_lo, 0, v27
	s_waitcnt lgkmcnt(0)
	v_add_co_ci_u32_e32 v18, vcc_lo, v28, v18, vcc_lo
.LBB221_75:                             ;   in Loop: Header=BB221_66 Depth=1
	s_or_b32 exec_lo, exec_lo, s5
	s_waitcnt lgkmcnt(1)
	ds_bpermute_b32 v52, v44, v27
	s_waitcnt lgkmcnt(1)
	ds_bpermute_b32 v28, v44, v18
	s_mov_b32 s5, exec_lo
	v_cmpx_le_u32_e64 v45, v20
	s_cbranch_execz .LBB221_77
; %bb.76:                               ;   in Loop: Header=BB221_66 Depth=1
	s_waitcnt lgkmcnt(1)
	v_add_co_u32 v27, vcc_lo, v17, v52
	v_add_co_ci_u32_e32 v18, vcc_lo, 0, v18, vcc_lo
	s_delay_alu instid0(VALU_DEP_2) | instskip(SKIP_1) | instid1(VALU_DEP_2)
	v_add_co_u32 v17, vcc_lo, 0, v27
	s_waitcnt lgkmcnt(0)
	v_add_co_ci_u32_e32 v18, vcc_lo, v28, v18, vcc_lo
.LBB221_77:                             ;   in Loop: Header=BB221_66 Depth=1
	s_or_b32 exec_lo, exec_lo, s5
	s_waitcnt lgkmcnt(1)
	ds_bpermute_b32 v52, v46, v27
	s_waitcnt lgkmcnt(1)
	ds_bpermute_b32 v28, v46, v18
	s_mov_b32 s5, exec_lo
	v_cmpx_le_u32_e64 v47, v20
	;; [unrolled: 17-line block ×3, first 2 shown]
	s_cbranch_execz .LBB221_81
; %bb.80:                               ;   in Loop: Header=BB221_66 Depth=1
	s_waitcnt lgkmcnt(1)
	v_add_co_u32 v27, vcc_lo, v17, v52
	v_add_co_ci_u32_e32 v18, vcc_lo, 0, v18, vcc_lo
	s_delay_alu instid0(VALU_DEP_2) | instskip(SKIP_1) | instid1(VALU_DEP_2)
	v_add_co_u32 v17, vcc_lo, 0, v27
	s_waitcnt lgkmcnt(0)
	v_add_co_ci_u32_e32 v18, vcc_lo, v28, v18, vcc_lo
.LBB221_81:                             ;   in Loop: Header=BB221_66 Depth=1
	s_or_b32 exec_lo, exec_lo, s5
	s_waitcnt lgkmcnt(0)
	ds_bpermute_b32 v28, v50, v27
	ds_bpermute_b32 v27, v50, v18
	s_mov_b32 s5, exec_lo
	v_cmpx_le_u32_e64 v51, v20
	s_cbranch_execz .LBB221_65
; %bb.82:                               ;   in Loop: Header=BB221_66 Depth=1
	s_waitcnt lgkmcnt(1)
	v_add_co_u32 v17, vcc_lo, v17, v28
	v_add_co_ci_u32_e32 v18, vcc_lo, 0, v18, vcc_lo
	s_delay_alu instid0(VALU_DEP_2) | instskip(SKIP_1) | instid1(VALU_DEP_2)
	v_add_co_u32 v17, vcc_lo, v17, 0
	s_waitcnt lgkmcnt(0)
	v_add_co_ci_u32_e32 v18, vcc_lo, v18, v27, vcc_lo
	s_branch .LBB221_65
.LBB221_83:                             ;   in Loop: Header=BB221_66 Depth=1
                                        ; implicit-def: $vgpr17_vgpr18
	s_cbranch_execz .LBB221_66
; %bb.84:
	s_and_saveexec_b32 s5, s3
	s_cbranch_execz .LBB221_86
; %bb.85:
	s_add_i32 s14, s15, 32
	s_mov_b32 s15, 0
	v_add_co_u32 v17, vcc_lo, v15, v13
	s_lshl_b64 s[14:15], s[14:15], 4
	v_dual_mov_b32 v19, 2 :: v_dual_mov_b32 v20, 0
	s_add_u32 s14, s10, s14
	s_addc_u32 s15, s11, s15
	v_add_co_ci_u32_e32 v18, vcc_lo, v16, v14, vcc_lo
	v_dual_mov_b32 v26, s15 :: v_dual_mov_b32 v25, s14
	;;#ASMSTART
	global_store_dwordx4 v[25:26], v[17:20] off	
s_waitcnt vmcnt(0)
	;;#ASMEND
	ds_store_b128 v20, v[13:16] offset:18432
.LBB221_86:
	s_or_b32 exec_lo, exec_lo, s5
	v_cmp_eq_u32_e32 vcc_lo, 0, v0
	s_and_b32 exec_lo, exec_lo, vcc_lo
	s_cbranch_execz .LBB221_88
; %bb.87:
	v_mov_b32_e32 v13, 0
	ds_store_b64 v13, v[15:16] offset:88
.LBB221_88:
	s_or_b32 exec_lo, exec_lo, s4
	s_waitcnt lgkmcnt(1)
	v_cndmask_b32_e64 v16, v29, v23, s3
	v_cmp_ne_u32_e32 vcc_lo, 0, v0
	v_mov_b32_e32 v15, 0
	s_waitcnt lgkmcnt(0)
	s_barrier
	buffer_gl0_inv
	v_cndmask_b32_e32 v16, 0, v16, vcc_lo
	ds_load_b64 v[13:14], v15 offset:88
	v_cndmask_b32_e64 v17, v30, v24, s3
	s_waitcnt lgkmcnt(0)
	s_barrier
	buffer_gl0_inv
	v_cndmask_b32_e32 v17, 0, v17, vcc_lo
	v_add_co_u32 v29, vcc_lo, v13, v16
	s_delay_alu instid0(VALU_DEP_2) | instskip(SKIP_3) | instid1(VALU_DEP_2)
	v_add_co_ci_u32_e32 v30, vcc_lo, v14, v17, vcc_lo
	ds_load_b128 v[13:16], v15 offset:18432
	v_add_co_u32 v27, vcc_lo, v29, v39
	v_add_co_ci_u32_e32 v28, vcc_lo, 0, v30, vcc_lo
	v_add_co_u32 v25, vcc_lo, v27, v38
	s_delay_alu instid0(VALU_DEP_2) | instskip(NEXT) | instid1(VALU_DEP_2)
	v_add_co_ci_u32_e32 v26, vcc_lo, 0, v28, vcc_lo
	v_add_co_u32 v23, vcc_lo, v25, v37
	s_delay_alu instid0(VALU_DEP_2) | instskip(NEXT) | instid1(VALU_DEP_2)
	;; [unrolled: 3-line block ×3, first 2 shown]
	v_add_co_ci_u32_e32 v20, vcc_lo, 0, v24, vcc_lo
	v_add_co_u32 v17, vcc_lo, v19, v36
	s_delay_alu instid0(VALU_DEP_2)
	v_add_co_ci_u32_e32 v18, vcc_lo, 0, v20, vcc_lo
	s_load_b64 s[4:5], s[0:1], 0x28
	s_branch .LBB221_117
.LBB221_89:
                                        ; implicit-def: $vgpr17_vgpr18
                                        ; implicit-def: $vgpr19_vgpr20
                                        ; implicit-def: $vgpr23_vgpr24
                                        ; implicit-def: $vgpr25_vgpr26
                                        ; implicit-def: $vgpr27_vgpr28
                                        ; implicit-def: $vgpr29_vgpr30
                                        ; implicit-def: $vgpr15_vgpr16
	s_load_b64 s[4:5], s[0:1], 0x28
	s_and_b32 vcc_lo, exec_lo, s3
	s_cbranch_vccz .LBB221_117
; %bb.90:
	s_waitcnt lgkmcnt(0)
	v_dual_mov_b32 v14, 0 :: v_dual_mov_b32 v15, v21
	v_mov_b32_dpp v16, v21 row_shr:1 row_mask:0xf bank_mask:0xf
	s_delay_alu instid0(VALU_DEP_2)
	v_mov_b32_dpp v13, v14 row_shr:1 row_mask:0xf bank_mask:0xf
	s_and_saveexec_b32 s0, s2
; %bb.91:
	s_delay_alu instid0(VALU_DEP_2) | instskip(SKIP_1) | instid1(VALU_DEP_2)
	v_add_co_u32 v15, vcc_lo, v21, v16
	v_add_co_ci_u32_e32 v14, vcc_lo, 0, v22, vcc_lo
	v_add_co_u32 v21, vcc_lo, 0, v15
	s_delay_alu instid0(VALU_DEP_2) | instskip(NEXT) | instid1(VALU_DEP_1)
	v_add_co_ci_u32_e32 v22, vcc_lo, v13, v14, vcc_lo
	v_mov_b32_e32 v14, v22
; %bb.92:
	s_or_b32 exec_lo, exec_lo, s0
	v_mov_b32_dpp v13, v15 row_shr:2 row_mask:0xf bank_mask:0xf
	s_delay_alu instid0(VALU_DEP_2)
	v_mov_b32_dpp v16, v14 row_shr:2 row_mask:0xf bank_mask:0xf
	v_cmp_lt_u32_e32 vcc_lo, 1, v41
	s_and_saveexec_b32 s1, vcc_lo
; %bb.93:
	s_delay_alu instid0(VALU_DEP_3) | instskip(NEXT) | instid1(VALU_DEP_1)
	v_add_co_u32 v15, s0, v21, v13
	v_add_co_ci_u32_e64 v14, s0, 0, v22, s0
	s_delay_alu instid0(VALU_DEP_2) | instskip(NEXT) | instid1(VALU_DEP_1)
	v_add_co_u32 v13, s0, 0, v15
	v_add_co_ci_u32_e64 v14, s0, v16, v14, s0
	s_delay_alu instid0(VALU_DEP_1)
	v_dual_mov_b32 v22, v14 :: v_dual_mov_b32 v21, v13
; %bb.94:
	s_or_b32 exec_lo, exec_lo, s1
	v_mov_b32_dpp v13, v15 row_shr:4 row_mask:0xf bank_mask:0xf
	v_mov_b32_dpp v16, v14 row_shr:4 row_mask:0xf bank_mask:0xf
	v_cmp_lt_u32_e64 s0, 3, v41
	s_delay_alu instid0(VALU_DEP_1)
	s_and_saveexec_b32 s3, s0
; %bb.95:
	s_delay_alu instid0(VALU_DEP_3) | instskip(NEXT) | instid1(VALU_DEP_1)
	v_add_co_u32 v15, s1, v21, v13
	v_add_co_ci_u32_e64 v14, s1, 0, v22, s1
	s_delay_alu instid0(VALU_DEP_2) | instskip(NEXT) | instid1(VALU_DEP_1)
	v_add_co_u32 v13, s1, 0, v15
	v_add_co_ci_u32_e64 v14, s1, v16, v14, s1
	s_delay_alu instid0(VALU_DEP_1)
	v_dual_mov_b32 v22, v14 :: v_dual_mov_b32 v21, v13
; %bb.96:
	s_or_b32 exec_lo, exec_lo, s3
	v_mov_b32_dpp v16, v15 row_shr:8 row_mask:0xf bank_mask:0xf
	v_mov_b32_dpp v13, v14 row_shr:8 row_mask:0xf bank_mask:0xf
	v_cmp_lt_u32_e64 s1, 7, v41
	s_delay_alu instid0(VALU_DEP_1)
	s_and_saveexec_b32 s14, s1
; %bb.97:
	s_delay_alu instid0(VALU_DEP_3) | instskip(NEXT) | instid1(VALU_DEP_1)
	v_add_co_u32 v15, s3, v21, v16
	v_add_co_ci_u32_e64 v14, s3, 0, v22, s3
	s_delay_alu instid0(VALU_DEP_2) | instskip(NEXT) | instid1(VALU_DEP_1)
	v_add_co_u32 v21, s3, 0, v15
	v_add_co_ci_u32_e64 v22, s3, v13, v14, s3
	s_delay_alu instid0(VALU_DEP_1)
	v_mov_b32_e32 v14, v22
; %bb.98:
	s_or_b32 exec_lo, exec_lo, s14
	ds_swizzle_b32 v15, v15 offset:swizzle(BROADCAST,32,15)
	ds_swizzle_b32 v13, v14 offset:swizzle(BROADCAST,32,15)
	v_and_b32_e32 v14, 16, v40
	s_mov_b32 s14, exec_lo
	s_delay_alu instid0(VALU_DEP_1)
	v_cmpx_ne_u32_e32 0, v14
	s_cbranch_execz .LBB221_100
; %bb.99:
	s_waitcnt lgkmcnt(1)
	v_add_co_u32 v14, s3, v21, v15
	s_delay_alu instid0(VALU_DEP_1) | instskip(NEXT) | instid1(VALU_DEP_2)
	v_add_co_ci_u32_e64 v15, s3, 0, v22, s3
	v_add_co_u32 v21, s3, v14, 0
	s_waitcnt lgkmcnt(0)
	s_delay_alu instid0(VALU_DEP_2)
	v_add_co_ci_u32_e64 v22, s3, v15, v13, s3
.LBB221_100:
	s_or_b32 exec_lo, exec_lo, s14
	s_waitcnt lgkmcnt(0)
	v_and_b32_e32 v13, 0x1e0, v0
	v_lshrrev_b32_e32 v15, 5, v0
	s_mov_b32 s14, exec_lo
	s_delay_alu instid0(VALU_DEP_2) | instskip(NEXT) | instid1(VALU_DEP_1)
	v_min_u32_e32 v13, 0x160, v13
	v_or_b32_e32 v13, 31, v13
	s_delay_alu instid0(VALU_DEP_1)
	v_cmpx_eq_u32_e64 v13, v0
	s_cbranch_execz .LBB221_102
; %bb.101:
	v_lshlrev_b32_e32 v13, 3, v15
	ds_store_b64 v13, v[21:22]
.LBB221_102:
	s_or_b32 exec_lo, exec_lo, s14
	s_delay_alu instid0(SALU_CYCLE_1)
	s_mov_b32 s14, exec_lo
	s_waitcnt lgkmcnt(0)
	s_barrier
	buffer_gl0_inv
	v_cmpx_gt_u32_e32 12, v0
	s_cbranch_execz .LBB221_112
; %bb.103:
	v_mad_i32_i24 v13, 0xffffffd8, v0, v35
	ds_load_b64 v[13:14], v13
	s_waitcnt lgkmcnt(0)
	v_mov_b32_dpp v18, v13 row_shr:1 row_mask:0xf bank_mask:0xf
	v_mov_b32_dpp v17, v14 row_shr:1 row_mask:0xf bank_mask:0xf
	v_mov_b32_e32 v16, v13
	s_and_saveexec_b32 s3, s2
; %bb.104:
	s_delay_alu instid0(VALU_DEP_3) | instskip(NEXT) | instid1(VALU_DEP_1)
	v_add_co_u32 v16, s2, v13, v18
	v_add_co_ci_u32_e64 v14, s2, 0, v14, s2
	s_delay_alu instid0(VALU_DEP_2) | instskip(NEXT) | instid1(VALU_DEP_1)
	v_add_co_u32 v13, s2, 0, v16
	v_add_co_ci_u32_e64 v14, s2, v17, v14, s2
; %bb.105:
	s_or_b32 exec_lo, exec_lo, s3
	v_mov_b32_dpp v18, v16 row_shr:2 row_mask:0xf bank_mask:0xf
	s_delay_alu instid0(VALU_DEP_2)
	v_mov_b32_dpp v17, v14 row_shr:2 row_mask:0xf bank_mask:0xf
	s_and_saveexec_b32 s2, vcc_lo
; %bb.106:
	s_delay_alu instid0(VALU_DEP_2) | instskip(SKIP_1) | instid1(VALU_DEP_2)
	v_add_co_u32 v16, vcc_lo, v13, v18
	v_add_co_ci_u32_e32 v14, vcc_lo, 0, v14, vcc_lo
	v_add_co_u32 v13, vcc_lo, 0, v16
	s_delay_alu instid0(VALU_DEP_2)
	v_add_co_ci_u32_e32 v14, vcc_lo, v17, v14, vcc_lo
; %bb.107:
	s_or_b32 exec_lo, exec_lo, s2
	v_mov_b32_dpp v18, v16 row_shr:4 row_mask:0xf bank_mask:0xf
	s_delay_alu instid0(VALU_DEP_2)
	v_mov_b32_dpp v17, v14 row_shr:4 row_mask:0xf bank_mask:0xf
	s_and_saveexec_b32 s2, s0
; %bb.108:
	s_delay_alu instid0(VALU_DEP_2) | instskip(SKIP_1) | instid1(VALU_DEP_2)
	v_add_co_u32 v16, vcc_lo, v13, v18
	v_add_co_ci_u32_e32 v14, vcc_lo, 0, v14, vcc_lo
	v_add_co_u32 v13, vcc_lo, 0, v16
	s_delay_alu instid0(VALU_DEP_2)
	v_add_co_ci_u32_e32 v14, vcc_lo, v17, v14, vcc_lo
; %bb.109:
	s_or_b32 exec_lo, exec_lo, s2
	v_mul_i32_i24_e32 v17, 0xffffffd8, v0
	v_mov_b32_dpp v18, v16 row_shr:8 row_mask:0xf bank_mask:0xf
	s_delay_alu instid0(VALU_DEP_3)
	v_mov_b32_dpp v16, v14 row_shr:8 row_mask:0xf bank_mask:0xf
	s_and_saveexec_b32 s0, s1
; %bb.110:
	s_delay_alu instid0(VALU_DEP_2) | instskip(SKIP_1) | instid1(VALU_DEP_2)
	v_add_co_u32 v13, vcc_lo, v13, v18
	v_add_co_ci_u32_e32 v14, vcc_lo, 0, v14, vcc_lo
	v_add_co_u32 v13, vcc_lo, v13, 0
	s_delay_alu instid0(VALU_DEP_2)
	v_add_co_ci_u32_e32 v14, vcc_lo, v14, v16, vcc_lo
; %bb.111:
	s_or_b32 exec_lo, exec_lo, s0
	v_add_nc_u32_e32 v16, v35, v17
	ds_store_b64 v16, v[13:14]
.LBB221_112:
	s_or_b32 exec_lo, exec_lo, s14
	v_mov_b32_e32 v17, 0
	v_mov_b32_e32 v18, 0
	s_mov_b32 s0, exec_lo
	s_waitcnt lgkmcnt(0)
	s_barrier
	buffer_gl0_inv
	v_cmpx_lt_u32_e32 31, v0
	s_cbranch_execz .LBB221_114
; %bb.113:
	v_lshl_add_u32 v13, v15, 3, -8
	ds_load_b64 v[17:18], v13
.LBB221_114:
	s_or_b32 exec_lo, exec_lo, s0
	v_dual_mov_b32 v16, 0 :: v_dual_add_nc_u32 v13, -1, v40
	s_delay_alu instid0(VALU_DEP_1) | instskip(SKIP_4) | instid1(VALU_DEP_3)
	v_cmp_gt_i32_e32 vcc_lo, 0, v13
	v_cndmask_b32_e32 v13, v13, v40, vcc_lo
	s_waitcnt lgkmcnt(0)
	v_add_co_u32 v14, vcc_lo, v17, v21
	v_add_co_ci_u32_e32 v15, vcc_lo, v18, v22, vcc_lo
	v_lshlrev_b32_e32 v13, 2, v13
	v_cmp_eq_u32_e32 vcc_lo, 0, v0
	ds_bpermute_b32 v19, v13, v14
	ds_bpermute_b32 v20, v13, v15
	ds_load_b64 v[13:14], v16 offset:88
	s_and_saveexec_b32 s0, vcc_lo
	s_cbranch_execz .LBB221_116
; %bb.115:
	s_add_u32 s2, s10, 0x200
	s_addc_u32 s3, s11, 0
	s_delay_alu instid0(SALU_CYCLE_1)
	v_dual_mov_b32 v15, 2 :: v_dual_mov_b32 v22, s3
	v_mov_b32_e32 v21, s2
	s_waitcnt lgkmcnt(0)
	;;#ASMSTART
	global_store_dwordx4 v[21:22], v[13:16] off	
s_waitcnt vmcnt(0)
	;;#ASMEND
.LBB221_116:
	s_or_b32 exec_lo, exec_lo, s0
	v_cmp_eq_u32_e64 s0, 0, v40
	s_waitcnt lgkmcnt(0)
	s_barrier
	buffer_gl0_inv
	v_cndmask_b32_e64 v15, v19, v17, s0
	v_cndmask_b32_e64 v16, v20, v18, s0
	s_delay_alu instid0(VALU_DEP_2) | instskip(NEXT) | instid1(VALU_DEP_2)
	v_cndmask_b32_e64 v29, v15, 0, vcc_lo
	v_cndmask_b32_e64 v30, v16, 0, vcc_lo
	v_mov_b32_e32 v15, 0
	v_mov_b32_e32 v16, 0
	s_delay_alu instid0(VALU_DEP_4) | instskip(NEXT) | instid1(VALU_DEP_4)
	v_add_co_u32 v27, vcc_lo, v29, v39
	v_add_co_ci_u32_e32 v28, vcc_lo, 0, v30, vcc_lo
	s_delay_alu instid0(VALU_DEP_2) | instskip(NEXT) | instid1(VALU_DEP_2)
	v_add_co_u32 v25, vcc_lo, v27, v38
	v_add_co_ci_u32_e32 v26, vcc_lo, 0, v28, vcc_lo
	s_delay_alu instid0(VALU_DEP_2) | instskip(NEXT) | instid1(VALU_DEP_2)
	;; [unrolled: 3-line block ×4, first 2 shown]
	v_add_co_u32 v17, vcc_lo, v19, v36
	v_add_co_ci_u32_e32 v18, vcc_lo, 0, v20, vcc_lo
.LBB221_117:
	s_waitcnt lgkmcnt(0)
	v_cmp_gt_u64_e32 vcc_lo, 0x181, v[13:14]
	v_lshrrev_b32_e32 v36, 8, v34
	v_lshrrev_b32_e32 v35, 16, v34
	s_mov_b32 s0, -1
	s_cbranch_vccnz .LBB221_121
; %bb.118:
	s_and_b32 vcc_lo, exec_lo, s0
	s_cbranch_vccnz .LBB221_140
.LBB221_119:
	v_cmp_eq_u32_e32 vcc_lo, 0, v0
	s_and_b32 s0, vcc_lo, s12
	s_delay_alu instid0(SALU_CYCLE_1)
	s_and_saveexec_b32 s1, s0
	s_cbranch_execnz .LBB221_156
.LBB221_120:
	s_nop 0
	s_sendmsg sendmsg(MSG_DEALLOC_VGPRS)
	s_endpgm
.LBB221_121:
	v_add_co_u32 v21, vcc_lo, v15, v13
	v_add_co_ci_u32_e32 v22, vcc_lo, v16, v14, vcc_lo
	s_lshl_b64 s[0:1], s[6:7], 3
	s_delay_alu instid0(SALU_CYCLE_1) | instskip(NEXT) | instid1(VALU_DEP_1)
	s_add_u32 s0, s4, s0
	v_cmp_lt_u64_e32 vcc_lo, v[29:30], v[21:22]
	s_addc_u32 s1, s5, s1
	s_or_b32 s3, s13, vcc_lo
	s_delay_alu instid0(SALU_CYCLE_1)
	s_and_saveexec_b32 s2, s3
	s_cbranch_execz .LBB221_124
; %bb.122:
	v_and_b32_e32 v37, 1, v34
	s_delay_alu instid0(VALU_DEP_1)
	v_cmp_eq_u32_e32 vcc_lo, 1, v37
	s_and_b32 exec_lo, exec_lo, vcc_lo
	s_cbranch_execz .LBB221_124
; %bb.123:
	v_lshlrev_b64 v[37:38], 3, v[29:30]
	s_delay_alu instid0(VALU_DEP_1) | instskip(NEXT) | instid1(VALU_DEP_2)
	v_add_co_u32 v37, vcc_lo, s0, v37
	v_add_co_ci_u32_e32 v38, vcc_lo, s1, v38, vcc_lo
	global_store_b64 v[37:38], v[9:10], off
.LBB221_124:
	s_or_b32 exec_lo, exec_lo, s2
	v_cmp_lt_u64_e32 vcc_lo, v[27:28], v[21:22]
	s_or_b32 s3, s13, vcc_lo
	s_delay_alu instid0(SALU_CYCLE_1)
	s_and_saveexec_b32 s2, s3
	s_cbranch_execz .LBB221_127
; %bb.125:
	v_and_b32_e32 v30, 1, v36
	s_delay_alu instid0(VALU_DEP_1)
	v_cmp_eq_u32_e32 vcc_lo, 1, v30
	s_and_b32 exec_lo, exec_lo, vcc_lo
	s_cbranch_execz .LBB221_127
; %bb.126:
	v_lshlrev_b64 v[37:38], 3, v[27:28]
	s_delay_alu instid0(VALU_DEP_1) | instskip(NEXT) | instid1(VALU_DEP_2)
	v_add_co_u32 v37, vcc_lo, s0, v37
	v_add_co_ci_u32_e32 v38, vcc_lo, s1, v38, vcc_lo
	global_store_b64 v[37:38], v[11:12], off
.LBB221_127:
	s_or_b32 exec_lo, exec_lo, s2
	v_cmp_lt_u64_e32 vcc_lo, v[25:26], v[21:22]
	;; [unrolled: 19-line block ×5, first 2 shown]
	s_or_b32 s3, s13, vcc_lo
	s_delay_alu instid0(SALU_CYCLE_1)
	s_and_saveexec_b32 s2, s3
	s_cbranch_execz .LBB221_139
; %bb.137:
	v_and_b32_e32 v20, 1, v31
	s_delay_alu instid0(VALU_DEP_1)
	v_cmp_eq_u32_e32 vcc_lo, 1, v20
	s_and_b32 exec_lo, exec_lo, vcc_lo
	s_cbranch_execz .LBB221_139
; %bb.138:
	v_lshlrev_b64 v[20:21], 3, v[17:18]
	s_delay_alu instid0(VALU_DEP_1) | instskip(NEXT) | instid1(VALU_DEP_2)
	v_add_co_u32 v20, vcc_lo, s0, v20
	v_add_co_ci_u32_e32 v21, vcc_lo, s1, v21, vcc_lo
	global_store_b64 v[20:21], v[3:4], off
.LBB221_139:
	s_or_b32 exec_lo, exec_lo, s2
	s_branch .LBB221_119
.LBB221_140:
	v_and_b32_e32 v18, 1, v34
	s_mov_b32 s0, exec_lo
	s_delay_alu instid0(VALU_DEP_1)
	v_cmpx_eq_u32_e32 1, v18
	s_cbranch_execz .LBB221_142
; %bb.141:
	v_sub_nc_u32_e32 v18, v29, v15
	s_delay_alu instid0(VALU_DEP_1)
	v_lshlrev_b32_e32 v18, 3, v18
	ds_store_b64 v18, v[9:10]
.LBB221_142:
	s_or_b32 exec_lo, exec_lo, s0
	v_and_b32_e32 v9, 1, v36
	s_mov_b32 s0, exec_lo
	s_delay_alu instid0(VALU_DEP_1)
	v_cmpx_eq_u32_e32 1, v9
	s_cbranch_execz .LBB221_144
; %bb.143:
	v_sub_nc_u32_e32 v9, v27, v15
	s_delay_alu instid0(VALU_DEP_1)
	v_lshlrev_b32_e32 v9, 3, v9
	ds_store_b64 v9, v[11:12]
.LBB221_144:
	s_or_b32 exec_lo, exec_lo, s0
	;; [unrolled: 12-line block ×6, first 2 shown]
	v_mov_b32_e32 v3, 0
	s_mov_b32 s1, exec_lo
	s_waitcnt lgkmcnt(0)
	s_waitcnt_vscnt null, 0x0
	s_barrier
	buffer_gl0_inv
	v_mov_b32_e32 v1, v3
	s_delay_alu instid0(VALU_DEP_1)
	v_cmpx_gt_u64_e64 v[13:14], v[0:1]
	s_cbranch_execz .LBB221_155
; %bb.153:
	v_lshlrev_b64 v[4:5], 3, v[15:16]
	s_lshl_b64 s[2:3], s[6:7], 3
	v_add_nc_u32_e32 v2, 0x180, v0
	s_delay_alu instid0(VALU_DEP_2) | instskip(NEXT) | instid1(VALU_DEP_3)
	v_add_co_u32 v4, vcc_lo, s4, v4
	v_add_co_ci_u32_e32 v5, vcc_lo, s5, v5, vcc_lo
	s_delay_alu instid0(VALU_DEP_2) | instskip(NEXT) | instid1(VALU_DEP_2)
	v_add_co_u32 v6, vcc_lo, v4, s2
	v_add_co_ci_u32_e32 v7, vcc_lo, s3, v5, vcc_lo
	v_dual_mov_b32 v5, v1 :: v_dual_mov_b32 v4, v0
	s_mov_b32 s2, 0
	.p2align	6
.LBB221_154:                            ; =>This Inner Loop Header: Depth=1
	s_delay_alu instid0(VALU_DEP_1) | instskip(NEXT) | instid1(VALU_DEP_2)
	v_lshlrev_b32_e32 v1, 3, v4
	v_lshlrev_b64 v[10:11], 3, v[4:5]
	v_dual_mov_b32 v5, v3 :: v_dual_mov_b32 v4, v2
	v_cmp_le_u64_e32 vcc_lo, v[13:14], v[2:3]
	v_add_nc_u32_e32 v2, 0x180, v2
	ds_load_b64 v[8:9], v1
	v_add_co_u32 v10, s0, v6, v10
	s_delay_alu instid0(VALU_DEP_1)
	v_add_co_ci_u32_e64 v11, s0, v7, v11, s0
	s_or_b32 s2, vcc_lo, s2
	s_waitcnt lgkmcnt(0)
	global_store_b64 v[10:11], v[8:9], off
	s_and_not1_b32 exec_lo, exec_lo, s2
	s_cbranch_execnz .LBB221_154
.LBB221_155:
	s_or_b32 exec_lo, exec_lo, s1
	v_cmp_eq_u32_e32 vcc_lo, 0, v0
	s_and_b32 s0, vcc_lo, s12
	s_delay_alu instid0(SALU_CYCLE_1)
	s_and_saveexec_b32 s1, s0
	s_cbranch_execz .LBB221_120
.LBB221_156:
	v_add_co_u32 v0, vcc_lo, v15, v13
	v_add_co_ci_u32_e32 v1, vcc_lo, v16, v14, vcc_lo
	v_mov_b32_e32 v2, 0
	s_delay_alu instid0(VALU_DEP_3) | instskip(NEXT) | instid1(VALU_DEP_3)
	v_add_co_u32 v0, vcc_lo, v0, s6
	v_add_co_ci_u32_e32 v1, vcc_lo, s7, v1, vcc_lo
	global_store_b64 v2, v[0:1], s[8:9]
	s_nop 0
	s_sendmsg sendmsg(MSG_DEALLOC_VGPRS)
	s_endpgm
	.section	.rodata,"a",@progbits
	.p2align	6, 0x0
	.amdhsa_kernel _ZN7rocprim17ROCPRIM_400000_NS6detail17trampoline_kernelINS0_14default_configENS1_25partition_config_selectorILNS1_17partition_subalgoE6EdNS0_10empty_typeEbEEZZNS1_14partition_implILS5_6ELb0ES3_mN6thrust23THRUST_200600_302600_NS6detail15normal_iteratorINSA_10device_ptrIdEEEEPS6_SG_NS0_5tupleIJSF_S6_EEENSH_IJSG_SG_EEES6_PlJ7is_evenIdEEEE10hipError_tPvRmT3_T4_T5_T6_T7_T9_mT8_P12ihipStream_tbDpT10_ENKUlT_T0_E_clISt17integral_constantIbLb1EES15_IbLb0EEEEDaS11_S12_EUlS11_E_NS1_11comp_targetILNS1_3genE9ELNS1_11target_archE1100ELNS1_3gpuE3ELNS1_3repE0EEENS1_30default_config_static_selectorELNS0_4arch9wavefront6targetE0EEEvT1_
		.amdhsa_group_segment_fixed_size 18448
		.amdhsa_private_segment_fixed_size 0
		.amdhsa_kernarg_size 112
		.amdhsa_user_sgpr_count 15
		.amdhsa_user_sgpr_dispatch_ptr 0
		.amdhsa_user_sgpr_queue_ptr 0
		.amdhsa_user_sgpr_kernarg_segment_ptr 1
		.amdhsa_user_sgpr_dispatch_id 0
		.amdhsa_user_sgpr_private_segment_size 0
		.amdhsa_wavefront_size32 1
		.amdhsa_uses_dynamic_stack 0
		.amdhsa_enable_private_segment 0
		.amdhsa_system_sgpr_workgroup_id_x 1
		.amdhsa_system_sgpr_workgroup_id_y 0
		.amdhsa_system_sgpr_workgroup_id_z 0
		.amdhsa_system_sgpr_workgroup_info 0
		.amdhsa_system_vgpr_workitem_id 0
		.amdhsa_next_free_vgpr 54
		.amdhsa_next_free_sgpr 20
		.amdhsa_reserve_vcc 1
		.amdhsa_float_round_mode_32 0
		.amdhsa_float_round_mode_16_64 0
		.amdhsa_float_denorm_mode_32 3
		.amdhsa_float_denorm_mode_16_64 3
		.amdhsa_dx10_clamp 1
		.amdhsa_ieee_mode 1
		.amdhsa_fp16_overflow 0
		.amdhsa_workgroup_processor_mode 1
		.amdhsa_memory_ordered 1
		.amdhsa_forward_progress 0
		.amdhsa_shared_vgpr_count 0
		.amdhsa_exception_fp_ieee_invalid_op 0
		.amdhsa_exception_fp_denorm_src 0
		.amdhsa_exception_fp_ieee_div_zero 0
		.amdhsa_exception_fp_ieee_overflow 0
		.amdhsa_exception_fp_ieee_underflow 0
		.amdhsa_exception_fp_ieee_inexact 0
		.amdhsa_exception_int_div_zero 0
	.end_amdhsa_kernel
	.section	.text._ZN7rocprim17ROCPRIM_400000_NS6detail17trampoline_kernelINS0_14default_configENS1_25partition_config_selectorILNS1_17partition_subalgoE6EdNS0_10empty_typeEbEEZZNS1_14partition_implILS5_6ELb0ES3_mN6thrust23THRUST_200600_302600_NS6detail15normal_iteratorINSA_10device_ptrIdEEEEPS6_SG_NS0_5tupleIJSF_S6_EEENSH_IJSG_SG_EEES6_PlJ7is_evenIdEEEE10hipError_tPvRmT3_T4_T5_T6_T7_T9_mT8_P12ihipStream_tbDpT10_ENKUlT_T0_E_clISt17integral_constantIbLb1EES15_IbLb0EEEEDaS11_S12_EUlS11_E_NS1_11comp_targetILNS1_3genE9ELNS1_11target_archE1100ELNS1_3gpuE3ELNS1_3repE0EEENS1_30default_config_static_selectorELNS0_4arch9wavefront6targetE0EEEvT1_,"axG",@progbits,_ZN7rocprim17ROCPRIM_400000_NS6detail17trampoline_kernelINS0_14default_configENS1_25partition_config_selectorILNS1_17partition_subalgoE6EdNS0_10empty_typeEbEEZZNS1_14partition_implILS5_6ELb0ES3_mN6thrust23THRUST_200600_302600_NS6detail15normal_iteratorINSA_10device_ptrIdEEEEPS6_SG_NS0_5tupleIJSF_S6_EEENSH_IJSG_SG_EEES6_PlJ7is_evenIdEEEE10hipError_tPvRmT3_T4_T5_T6_T7_T9_mT8_P12ihipStream_tbDpT10_ENKUlT_T0_E_clISt17integral_constantIbLb1EES15_IbLb0EEEEDaS11_S12_EUlS11_E_NS1_11comp_targetILNS1_3genE9ELNS1_11target_archE1100ELNS1_3gpuE3ELNS1_3repE0EEENS1_30default_config_static_selectorELNS0_4arch9wavefront6targetE0EEEvT1_,comdat
.Lfunc_end221:
	.size	_ZN7rocprim17ROCPRIM_400000_NS6detail17trampoline_kernelINS0_14default_configENS1_25partition_config_selectorILNS1_17partition_subalgoE6EdNS0_10empty_typeEbEEZZNS1_14partition_implILS5_6ELb0ES3_mN6thrust23THRUST_200600_302600_NS6detail15normal_iteratorINSA_10device_ptrIdEEEEPS6_SG_NS0_5tupleIJSF_S6_EEENSH_IJSG_SG_EEES6_PlJ7is_evenIdEEEE10hipError_tPvRmT3_T4_T5_T6_T7_T9_mT8_P12ihipStream_tbDpT10_ENKUlT_T0_E_clISt17integral_constantIbLb1EES15_IbLb0EEEEDaS11_S12_EUlS11_E_NS1_11comp_targetILNS1_3genE9ELNS1_11target_archE1100ELNS1_3gpuE3ELNS1_3repE0EEENS1_30default_config_static_selectorELNS0_4arch9wavefront6targetE0EEEvT1_, .Lfunc_end221-_ZN7rocprim17ROCPRIM_400000_NS6detail17trampoline_kernelINS0_14default_configENS1_25partition_config_selectorILNS1_17partition_subalgoE6EdNS0_10empty_typeEbEEZZNS1_14partition_implILS5_6ELb0ES3_mN6thrust23THRUST_200600_302600_NS6detail15normal_iteratorINSA_10device_ptrIdEEEEPS6_SG_NS0_5tupleIJSF_S6_EEENSH_IJSG_SG_EEES6_PlJ7is_evenIdEEEE10hipError_tPvRmT3_T4_T5_T6_T7_T9_mT8_P12ihipStream_tbDpT10_ENKUlT_T0_E_clISt17integral_constantIbLb1EES15_IbLb0EEEEDaS11_S12_EUlS11_E_NS1_11comp_targetILNS1_3genE9ELNS1_11target_archE1100ELNS1_3gpuE3ELNS1_3repE0EEENS1_30default_config_static_selectorELNS0_4arch9wavefront6targetE0EEEvT1_
                                        ; -- End function
	.section	.AMDGPU.csdata,"",@progbits
; Kernel info:
; codeLenInByte = 6648
; NumSgprs: 22
; NumVgprs: 54
; ScratchSize: 0
; MemoryBound: 0
; FloatMode: 240
; IeeeMode: 1
; LDSByteSize: 18448 bytes/workgroup (compile time only)
; SGPRBlocks: 2
; VGPRBlocks: 6
; NumSGPRsForWavesPerEU: 22
; NumVGPRsForWavesPerEU: 54
; Occupancy: 15
; WaveLimiterHint : 1
; COMPUTE_PGM_RSRC2:SCRATCH_EN: 0
; COMPUTE_PGM_RSRC2:USER_SGPR: 15
; COMPUTE_PGM_RSRC2:TRAP_HANDLER: 0
; COMPUTE_PGM_RSRC2:TGID_X_EN: 1
; COMPUTE_PGM_RSRC2:TGID_Y_EN: 0
; COMPUTE_PGM_RSRC2:TGID_Z_EN: 0
; COMPUTE_PGM_RSRC2:TIDIG_COMP_CNT: 0
	.section	.text._ZN7rocprim17ROCPRIM_400000_NS6detail17trampoline_kernelINS0_14default_configENS1_25partition_config_selectorILNS1_17partition_subalgoE6EdNS0_10empty_typeEbEEZZNS1_14partition_implILS5_6ELb0ES3_mN6thrust23THRUST_200600_302600_NS6detail15normal_iteratorINSA_10device_ptrIdEEEEPS6_SG_NS0_5tupleIJSF_S6_EEENSH_IJSG_SG_EEES6_PlJ7is_evenIdEEEE10hipError_tPvRmT3_T4_T5_T6_T7_T9_mT8_P12ihipStream_tbDpT10_ENKUlT_T0_E_clISt17integral_constantIbLb1EES15_IbLb0EEEEDaS11_S12_EUlS11_E_NS1_11comp_targetILNS1_3genE8ELNS1_11target_archE1030ELNS1_3gpuE2ELNS1_3repE0EEENS1_30default_config_static_selectorELNS0_4arch9wavefront6targetE0EEEvT1_,"axG",@progbits,_ZN7rocprim17ROCPRIM_400000_NS6detail17trampoline_kernelINS0_14default_configENS1_25partition_config_selectorILNS1_17partition_subalgoE6EdNS0_10empty_typeEbEEZZNS1_14partition_implILS5_6ELb0ES3_mN6thrust23THRUST_200600_302600_NS6detail15normal_iteratorINSA_10device_ptrIdEEEEPS6_SG_NS0_5tupleIJSF_S6_EEENSH_IJSG_SG_EEES6_PlJ7is_evenIdEEEE10hipError_tPvRmT3_T4_T5_T6_T7_T9_mT8_P12ihipStream_tbDpT10_ENKUlT_T0_E_clISt17integral_constantIbLb1EES15_IbLb0EEEEDaS11_S12_EUlS11_E_NS1_11comp_targetILNS1_3genE8ELNS1_11target_archE1030ELNS1_3gpuE2ELNS1_3repE0EEENS1_30default_config_static_selectorELNS0_4arch9wavefront6targetE0EEEvT1_,comdat
	.protected	_ZN7rocprim17ROCPRIM_400000_NS6detail17trampoline_kernelINS0_14default_configENS1_25partition_config_selectorILNS1_17partition_subalgoE6EdNS0_10empty_typeEbEEZZNS1_14partition_implILS5_6ELb0ES3_mN6thrust23THRUST_200600_302600_NS6detail15normal_iteratorINSA_10device_ptrIdEEEEPS6_SG_NS0_5tupleIJSF_S6_EEENSH_IJSG_SG_EEES6_PlJ7is_evenIdEEEE10hipError_tPvRmT3_T4_T5_T6_T7_T9_mT8_P12ihipStream_tbDpT10_ENKUlT_T0_E_clISt17integral_constantIbLb1EES15_IbLb0EEEEDaS11_S12_EUlS11_E_NS1_11comp_targetILNS1_3genE8ELNS1_11target_archE1030ELNS1_3gpuE2ELNS1_3repE0EEENS1_30default_config_static_selectorELNS0_4arch9wavefront6targetE0EEEvT1_ ; -- Begin function _ZN7rocprim17ROCPRIM_400000_NS6detail17trampoline_kernelINS0_14default_configENS1_25partition_config_selectorILNS1_17partition_subalgoE6EdNS0_10empty_typeEbEEZZNS1_14partition_implILS5_6ELb0ES3_mN6thrust23THRUST_200600_302600_NS6detail15normal_iteratorINSA_10device_ptrIdEEEEPS6_SG_NS0_5tupleIJSF_S6_EEENSH_IJSG_SG_EEES6_PlJ7is_evenIdEEEE10hipError_tPvRmT3_T4_T5_T6_T7_T9_mT8_P12ihipStream_tbDpT10_ENKUlT_T0_E_clISt17integral_constantIbLb1EES15_IbLb0EEEEDaS11_S12_EUlS11_E_NS1_11comp_targetILNS1_3genE8ELNS1_11target_archE1030ELNS1_3gpuE2ELNS1_3repE0EEENS1_30default_config_static_selectorELNS0_4arch9wavefront6targetE0EEEvT1_
	.globl	_ZN7rocprim17ROCPRIM_400000_NS6detail17trampoline_kernelINS0_14default_configENS1_25partition_config_selectorILNS1_17partition_subalgoE6EdNS0_10empty_typeEbEEZZNS1_14partition_implILS5_6ELb0ES3_mN6thrust23THRUST_200600_302600_NS6detail15normal_iteratorINSA_10device_ptrIdEEEEPS6_SG_NS0_5tupleIJSF_S6_EEENSH_IJSG_SG_EEES6_PlJ7is_evenIdEEEE10hipError_tPvRmT3_T4_T5_T6_T7_T9_mT8_P12ihipStream_tbDpT10_ENKUlT_T0_E_clISt17integral_constantIbLb1EES15_IbLb0EEEEDaS11_S12_EUlS11_E_NS1_11comp_targetILNS1_3genE8ELNS1_11target_archE1030ELNS1_3gpuE2ELNS1_3repE0EEENS1_30default_config_static_selectorELNS0_4arch9wavefront6targetE0EEEvT1_
	.p2align	8
	.type	_ZN7rocprim17ROCPRIM_400000_NS6detail17trampoline_kernelINS0_14default_configENS1_25partition_config_selectorILNS1_17partition_subalgoE6EdNS0_10empty_typeEbEEZZNS1_14partition_implILS5_6ELb0ES3_mN6thrust23THRUST_200600_302600_NS6detail15normal_iteratorINSA_10device_ptrIdEEEEPS6_SG_NS0_5tupleIJSF_S6_EEENSH_IJSG_SG_EEES6_PlJ7is_evenIdEEEE10hipError_tPvRmT3_T4_T5_T6_T7_T9_mT8_P12ihipStream_tbDpT10_ENKUlT_T0_E_clISt17integral_constantIbLb1EES15_IbLb0EEEEDaS11_S12_EUlS11_E_NS1_11comp_targetILNS1_3genE8ELNS1_11target_archE1030ELNS1_3gpuE2ELNS1_3repE0EEENS1_30default_config_static_selectorELNS0_4arch9wavefront6targetE0EEEvT1_,@function
_ZN7rocprim17ROCPRIM_400000_NS6detail17trampoline_kernelINS0_14default_configENS1_25partition_config_selectorILNS1_17partition_subalgoE6EdNS0_10empty_typeEbEEZZNS1_14partition_implILS5_6ELb0ES3_mN6thrust23THRUST_200600_302600_NS6detail15normal_iteratorINSA_10device_ptrIdEEEEPS6_SG_NS0_5tupleIJSF_S6_EEENSH_IJSG_SG_EEES6_PlJ7is_evenIdEEEE10hipError_tPvRmT3_T4_T5_T6_T7_T9_mT8_P12ihipStream_tbDpT10_ENKUlT_T0_E_clISt17integral_constantIbLb1EES15_IbLb0EEEEDaS11_S12_EUlS11_E_NS1_11comp_targetILNS1_3genE8ELNS1_11target_archE1030ELNS1_3gpuE2ELNS1_3repE0EEENS1_30default_config_static_selectorELNS0_4arch9wavefront6targetE0EEEvT1_: ; @_ZN7rocprim17ROCPRIM_400000_NS6detail17trampoline_kernelINS0_14default_configENS1_25partition_config_selectorILNS1_17partition_subalgoE6EdNS0_10empty_typeEbEEZZNS1_14partition_implILS5_6ELb0ES3_mN6thrust23THRUST_200600_302600_NS6detail15normal_iteratorINSA_10device_ptrIdEEEEPS6_SG_NS0_5tupleIJSF_S6_EEENSH_IJSG_SG_EEES6_PlJ7is_evenIdEEEE10hipError_tPvRmT3_T4_T5_T6_T7_T9_mT8_P12ihipStream_tbDpT10_ENKUlT_T0_E_clISt17integral_constantIbLb1EES15_IbLb0EEEEDaS11_S12_EUlS11_E_NS1_11comp_targetILNS1_3genE8ELNS1_11target_archE1030ELNS1_3gpuE2ELNS1_3repE0EEENS1_30default_config_static_selectorELNS0_4arch9wavefront6targetE0EEEvT1_
; %bb.0:
	.section	.rodata,"a",@progbits
	.p2align	6, 0x0
	.amdhsa_kernel _ZN7rocprim17ROCPRIM_400000_NS6detail17trampoline_kernelINS0_14default_configENS1_25partition_config_selectorILNS1_17partition_subalgoE6EdNS0_10empty_typeEbEEZZNS1_14partition_implILS5_6ELb0ES3_mN6thrust23THRUST_200600_302600_NS6detail15normal_iteratorINSA_10device_ptrIdEEEEPS6_SG_NS0_5tupleIJSF_S6_EEENSH_IJSG_SG_EEES6_PlJ7is_evenIdEEEE10hipError_tPvRmT3_T4_T5_T6_T7_T9_mT8_P12ihipStream_tbDpT10_ENKUlT_T0_E_clISt17integral_constantIbLb1EES15_IbLb0EEEEDaS11_S12_EUlS11_E_NS1_11comp_targetILNS1_3genE8ELNS1_11target_archE1030ELNS1_3gpuE2ELNS1_3repE0EEENS1_30default_config_static_selectorELNS0_4arch9wavefront6targetE0EEEvT1_
		.amdhsa_group_segment_fixed_size 0
		.amdhsa_private_segment_fixed_size 0
		.amdhsa_kernarg_size 112
		.amdhsa_user_sgpr_count 15
		.amdhsa_user_sgpr_dispatch_ptr 0
		.amdhsa_user_sgpr_queue_ptr 0
		.amdhsa_user_sgpr_kernarg_segment_ptr 1
		.amdhsa_user_sgpr_dispatch_id 0
		.amdhsa_user_sgpr_private_segment_size 0
		.amdhsa_wavefront_size32 1
		.amdhsa_uses_dynamic_stack 0
		.amdhsa_enable_private_segment 0
		.amdhsa_system_sgpr_workgroup_id_x 1
		.amdhsa_system_sgpr_workgroup_id_y 0
		.amdhsa_system_sgpr_workgroup_id_z 0
		.amdhsa_system_sgpr_workgroup_info 0
		.amdhsa_system_vgpr_workitem_id 0
		.amdhsa_next_free_vgpr 1
		.amdhsa_next_free_sgpr 1
		.amdhsa_reserve_vcc 0
		.amdhsa_float_round_mode_32 0
		.amdhsa_float_round_mode_16_64 0
		.amdhsa_float_denorm_mode_32 3
		.amdhsa_float_denorm_mode_16_64 3
		.amdhsa_dx10_clamp 1
		.amdhsa_ieee_mode 1
		.amdhsa_fp16_overflow 0
		.amdhsa_workgroup_processor_mode 1
		.amdhsa_memory_ordered 1
		.amdhsa_forward_progress 0
		.amdhsa_shared_vgpr_count 0
		.amdhsa_exception_fp_ieee_invalid_op 0
		.amdhsa_exception_fp_denorm_src 0
		.amdhsa_exception_fp_ieee_div_zero 0
		.amdhsa_exception_fp_ieee_overflow 0
		.amdhsa_exception_fp_ieee_underflow 0
		.amdhsa_exception_fp_ieee_inexact 0
		.amdhsa_exception_int_div_zero 0
	.end_amdhsa_kernel
	.section	.text._ZN7rocprim17ROCPRIM_400000_NS6detail17trampoline_kernelINS0_14default_configENS1_25partition_config_selectorILNS1_17partition_subalgoE6EdNS0_10empty_typeEbEEZZNS1_14partition_implILS5_6ELb0ES3_mN6thrust23THRUST_200600_302600_NS6detail15normal_iteratorINSA_10device_ptrIdEEEEPS6_SG_NS0_5tupleIJSF_S6_EEENSH_IJSG_SG_EEES6_PlJ7is_evenIdEEEE10hipError_tPvRmT3_T4_T5_T6_T7_T9_mT8_P12ihipStream_tbDpT10_ENKUlT_T0_E_clISt17integral_constantIbLb1EES15_IbLb0EEEEDaS11_S12_EUlS11_E_NS1_11comp_targetILNS1_3genE8ELNS1_11target_archE1030ELNS1_3gpuE2ELNS1_3repE0EEENS1_30default_config_static_selectorELNS0_4arch9wavefront6targetE0EEEvT1_,"axG",@progbits,_ZN7rocprim17ROCPRIM_400000_NS6detail17trampoline_kernelINS0_14default_configENS1_25partition_config_selectorILNS1_17partition_subalgoE6EdNS0_10empty_typeEbEEZZNS1_14partition_implILS5_6ELb0ES3_mN6thrust23THRUST_200600_302600_NS6detail15normal_iteratorINSA_10device_ptrIdEEEEPS6_SG_NS0_5tupleIJSF_S6_EEENSH_IJSG_SG_EEES6_PlJ7is_evenIdEEEE10hipError_tPvRmT3_T4_T5_T6_T7_T9_mT8_P12ihipStream_tbDpT10_ENKUlT_T0_E_clISt17integral_constantIbLb1EES15_IbLb0EEEEDaS11_S12_EUlS11_E_NS1_11comp_targetILNS1_3genE8ELNS1_11target_archE1030ELNS1_3gpuE2ELNS1_3repE0EEENS1_30default_config_static_selectorELNS0_4arch9wavefront6targetE0EEEvT1_,comdat
.Lfunc_end222:
	.size	_ZN7rocprim17ROCPRIM_400000_NS6detail17trampoline_kernelINS0_14default_configENS1_25partition_config_selectorILNS1_17partition_subalgoE6EdNS0_10empty_typeEbEEZZNS1_14partition_implILS5_6ELb0ES3_mN6thrust23THRUST_200600_302600_NS6detail15normal_iteratorINSA_10device_ptrIdEEEEPS6_SG_NS0_5tupleIJSF_S6_EEENSH_IJSG_SG_EEES6_PlJ7is_evenIdEEEE10hipError_tPvRmT3_T4_T5_T6_T7_T9_mT8_P12ihipStream_tbDpT10_ENKUlT_T0_E_clISt17integral_constantIbLb1EES15_IbLb0EEEEDaS11_S12_EUlS11_E_NS1_11comp_targetILNS1_3genE8ELNS1_11target_archE1030ELNS1_3gpuE2ELNS1_3repE0EEENS1_30default_config_static_selectorELNS0_4arch9wavefront6targetE0EEEvT1_, .Lfunc_end222-_ZN7rocprim17ROCPRIM_400000_NS6detail17trampoline_kernelINS0_14default_configENS1_25partition_config_selectorILNS1_17partition_subalgoE6EdNS0_10empty_typeEbEEZZNS1_14partition_implILS5_6ELb0ES3_mN6thrust23THRUST_200600_302600_NS6detail15normal_iteratorINSA_10device_ptrIdEEEEPS6_SG_NS0_5tupleIJSF_S6_EEENSH_IJSG_SG_EEES6_PlJ7is_evenIdEEEE10hipError_tPvRmT3_T4_T5_T6_T7_T9_mT8_P12ihipStream_tbDpT10_ENKUlT_T0_E_clISt17integral_constantIbLb1EES15_IbLb0EEEEDaS11_S12_EUlS11_E_NS1_11comp_targetILNS1_3genE8ELNS1_11target_archE1030ELNS1_3gpuE2ELNS1_3repE0EEENS1_30default_config_static_selectorELNS0_4arch9wavefront6targetE0EEEvT1_
                                        ; -- End function
	.section	.AMDGPU.csdata,"",@progbits
; Kernel info:
; codeLenInByte = 0
; NumSgprs: 0
; NumVgprs: 0
; ScratchSize: 0
; MemoryBound: 0
; FloatMode: 240
; IeeeMode: 1
; LDSByteSize: 0 bytes/workgroup (compile time only)
; SGPRBlocks: 0
; VGPRBlocks: 0
; NumSGPRsForWavesPerEU: 1
; NumVGPRsForWavesPerEU: 1
; Occupancy: 16
; WaveLimiterHint : 0
; COMPUTE_PGM_RSRC2:SCRATCH_EN: 0
; COMPUTE_PGM_RSRC2:USER_SGPR: 15
; COMPUTE_PGM_RSRC2:TRAP_HANDLER: 0
; COMPUTE_PGM_RSRC2:TGID_X_EN: 1
; COMPUTE_PGM_RSRC2:TGID_Y_EN: 0
; COMPUTE_PGM_RSRC2:TGID_Z_EN: 0
; COMPUTE_PGM_RSRC2:TIDIG_COMP_CNT: 0
	.section	.text._ZN7rocprim17ROCPRIM_400000_NS6detail31init_lookback_scan_state_kernelINS1_19lookback_scan_stateImLb0ELb1EEENS1_16block_id_wrapperIjLb1EEEEEvT_jT0_jPNS7_10value_typeE,"axG",@progbits,_ZN7rocprim17ROCPRIM_400000_NS6detail31init_lookback_scan_state_kernelINS1_19lookback_scan_stateImLb0ELb1EEENS1_16block_id_wrapperIjLb1EEEEEvT_jT0_jPNS7_10value_typeE,comdat
	.protected	_ZN7rocprim17ROCPRIM_400000_NS6detail31init_lookback_scan_state_kernelINS1_19lookback_scan_stateImLb0ELb1EEENS1_16block_id_wrapperIjLb1EEEEEvT_jT0_jPNS7_10value_typeE ; -- Begin function _ZN7rocprim17ROCPRIM_400000_NS6detail31init_lookback_scan_state_kernelINS1_19lookback_scan_stateImLb0ELb1EEENS1_16block_id_wrapperIjLb1EEEEEvT_jT0_jPNS7_10value_typeE
	.globl	_ZN7rocprim17ROCPRIM_400000_NS6detail31init_lookback_scan_state_kernelINS1_19lookback_scan_stateImLb0ELb1EEENS1_16block_id_wrapperIjLb1EEEEEvT_jT0_jPNS7_10value_typeE
	.p2align	8
	.type	_ZN7rocprim17ROCPRIM_400000_NS6detail31init_lookback_scan_state_kernelINS1_19lookback_scan_stateImLb0ELb1EEENS1_16block_id_wrapperIjLb1EEEEEvT_jT0_jPNS7_10value_typeE,@function
_ZN7rocprim17ROCPRIM_400000_NS6detail31init_lookback_scan_state_kernelINS1_19lookback_scan_stateImLb0ELb1EEENS1_16block_id_wrapperIjLb1EEEEEvT_jT0_jPNS7_10value_typeE: ; @_ZN7rocprim17ROCPRIM_400000_NS6detail31init_lookback_scan_state_kernelINS1_19lookback_scan_stateImLb0ELb1EEENS1_16block_id_wrapperIjLb1EEEEEvT_jT0_jPNS7_10value_typeE
; %bb.0:
	s_clause 0x3
	s_load_b32 s6, s[0:1], 0x34
	s_load_b64 s[4:5], s[0:1], 0x20
	s_load_b64 s[2:3], s[0:1], 0x0
	s_load_b32 s8, s[0:1], 0x8
	s_waitcnt lgkmcnt(0)
	s_and_b32 s6, s6, 0xffff
	s_cmp_eq_u64 s[4:5], 0
	v_mad_u64_u32 v[1:2], null, s15, s6, v[0:1]
	s_cbranch_scc1 .LBB223_8
; %bb.1:
	s_load_b32 s6, s[0:1], 0x18
	s_waitcnt lgkmcnt(0)
	s_cmp_lt_u32 s6, s8
	s_cselect_b32 s7, s6, 0
	s_delay_alu instid0(VALU_DEP_1) | instid1(SALU_CYCLE_1)
	v_cmp_eq_u32_e32 vcc_lo, s7, v1
	s_mov_b32 s7, 0
	s_and_saveexec_b32 s9, vcc_lo
	s_cbranch_execz .LBB223_7
; %bb.2:
	s_add_i32 s6, s6, 32
	s_mov_b32 s10, exec_lo
	s_lshl_b64 s[6:7], s[6:7], 4
	v_mov_b32_e32 v6, 0
	s_add_u32 s6, s2, s6
	s_addc_u32 s7, s3, s7
	s_delay_alu instid0(SALU_CYCLE_1) | instskip(SKIP_2) | instid1(VALU_DEP_1)
	v_dual_mov_b32 v2, s6 :: v_dual_mov_b32 v3, s7
	;;#ASMSTART
	global_load_dwordx4 v[2:5], v[2:3] off glc	
s_waitcnt vmcnt(0)
	;;#ASMEND
	v_and_b32_e32 v5, 0xff, v4
	v_cmpx_eq_u64_e32 0, v[5:6]
	s_cbranch_execz .LBB223_6
; %bb.3:
	v_dual_mov_b32 v8, s7 :: v_dual_mov_b32 v7, s6
	s_mov_b32 s6, 0
.LBB223_4:                              ; =>This Inner Loop Header: Depth=1
	;;#ASMSTART
	global_load_dwordx4 v[2:5], v[7:8] off glc	
s_waitcnt vmcnt(0)
	;;#ASMEND
	v_and_b32_e32 v5, 0xff, v4
	s_delay_alu instid0(VALU_DEP_1) | instskip(SKIP_1) | instid1(SALU_CYCLE_1)
	v_cmp_ne_u64_e32 vcc_lo, 0, v[5:6]
	s_or_b32 s6, vcc_lo, s6
	s_and_not1_b32 exec_lo, exec_lo, s6
	s_cbranch_execnz .LBB223_4
; %bb.5:
	s_or_b32 exec_lo, exec_lo, s6
.LBB223_6:
	s_delay_alu instid0(SALU_CYCLE_1)
	s_or_b32 exec_lo, exec_lo, s10
	v_mov_b32_e32 v0, 0
	global_store_b64 v0, v[2:3], s[4:5]
.LBB223_7:
	s_or_b32 exec_lo, exec_lo, s9
.LBB223_8:
	s_delay_alu instid0(SALU_CYCLE_1) | instskip(NEXT) | instid1(VALU_DEP_1)
	s_mov_b32 s4, exec_lo
	v_cmpx_eq_u32_e32 0, v1
	s_cbranch_execz .LBB223_10
; %bb.9:
	s_load_b64 s[0:1], s[0:1], 0x10
	v_mov_b32_e32 v0, 0
	s_waitcnt lgkmcnt(0)
	global_store_b32 v0, v0, s[0:1]
.LBB223_10:
	s_or_b32 exec_lo, exec_lo, s4
	s_delay_alu instid0(SALU_CYCLE_1)
	s_mov_b32 s0, exec_lo
	v_cmpx_gt_u32_e64 s8, v1
	s_cbranch_execz .LBB223_12
; %bb.11:
	v_dual_mov_b32 v3, 0 :: v_dual_add_nc_u32 v2, 32, v1
	s_delay_alu instid0(VALU_DEP_1) | instskip(SKIP_2) | instid1(VALU_DEP_3)
	v_lshlrev_b64 v[5:6], 4, v[2:3]
	v_mov_b32_e32 v2, v3
	v_mov_b32_e32 v4, v3
	v_add_co_u32 v7, vcc_lo, s2, v5
	s_delay_alu instid0(VALU_DEP_4)
	v_add_co_ci_u32_e32 v8, vcc_lo, s3, v6, vcc_lo
	v_mov_b32_e32 v5, v3
	global_store_b128 v[7:8], v[2:5], off
.LBB223_12:
	s_or_b32 exec_lo, exec_lo, s0
	s_delay_alu instid0(SALU_CYCLE_1)
	s_mov_b32 s0, exec_lo
	v_cmpx_gt_u32_e32 32, v1
	s_cbranch_execz .LBB223_14
; %bb.13:
	v_dual_mov_b32 v2, 0 :: v_dual_mov_b32 v3, 0xff
	s_delay_alu instid0(VALU_DEP_1) | instskip(SKIP_1) | instid1(VALU_DEP_2)
	v_lshlrev_b64 v[4:5], 4, v[1:2]
	v_mov_b32_e32 v1, v2
	v_add_co_u32 v6, vcc_lo, s2, v4
	s_delay_alu instid0(VALU_DEP_3)
	v_add_co_ci_u32_e32 v7, vcc_lo, s3, v5, vcc_lo
	v_mov_b32_e32 v4, v2
	global_store_b128 v[6:7], v[1:4], off
.LBB223_14:
	s_nop 0
	s_sendmsg sendmsg(MSG_DEALLOC_VGPRS)
	s_endpgm
	.section	.rodata,"a",@progbits
	.p2align	6, 0x0
	.amdhsa_kernel _ZN7rocprim17ROCPRIM_400000_NS6detail31init_lookback_scan_state_kernelINS1_19lookback_scan_stateImLb0ELb1EEENS1_16block_id_wrapperIjLb1EEEEEvT_jT0_jPNS7_10value_typeE
		.amdhsa_group_segment_fixed_size 0
		.amdhsa_private_segment_fixed_size 0
		.amdhsa_kernarg_size 296
		.amdhsa_user_sgpr_count 15
		.amdhsa_user_sgpr_dispatch_ptr 0
		.amdhsa_user_sgpr_queue_ptr 0
		.amdhsa_user_sgpr_kernarg_segment_ptr 1
		.amdhsa_user_sgpr_dispatch_id 0
		.amdhsa_user_sgpr_private_segment_size 0
		.amdhsa_wavefront_size32 1
		.amdhsa_uses_dynamic_stack 0
		.amdhsa_enable_private_segment 0
		.amdhsa_system_sgpr_workgroup_id_x 1
		.amdhsa_system_sgpr_workgroup_id_y 0
		.amdhsa_system_sgpr_workgroup_id_z 0
		.amdhsa_system_sgpr_workgroup_info 0
		.amdhsa_system_vgpr_workitem_id 0
		.amdhsa_next_free_vgpr 9
		.amdhsa_next_free_sgpr 16
		.amdhsa_reserve_vcc 1
		.amdhsa_float_round_mode_32 0
		.amdhsa_float_round_mode_16_64 0
		.amdhsa_float_denorm_mode_32 3
		.amdhsa_float_denorm_mode_16_64 3
		.amdhsa_dx10_clamp 1
		.amdhsa_ieee_mode 1
		.amdhsa_fp16_overflow 0
		.amdhsa_workgroup_processor_mode 1
		.amdhsa_memory_ordered 1
		.amdhsa_forward_progress 0
		.amdhsa_shared_vgpr_count 0
		.amdhsa_exception_fp_ieee_invalid_op 0
		.amdhsa_exception_fp_denorm_src 0
		.amdhsa_exception_fp_ieee_div_zero 0
		.amdhsa_exception_fp_ieee_overflow 0
		.amdhsa_exception_fp_ieee_underflow 0
		.amdhsa_exception_fp_ieee_inexact 0
		.amdhsa_exception_int_div_zero 0
	.end_amdhsa_kernel
	.section	.text._ZN7rocprim17ROCPRIM_400000_NS6detail31init_lookback_scan_state_kernelINS1_19lookback_scan_stateImLb0ELb1EEENS1_16block_id_wrapperIjLb1EEEEEvT_jT0_jPNS7_10value_typeE,"axG",@progbits,_ZN7rocprim17ROCPRIM_400000_NS6detail31init_lookback_scan_state_kernelINS1_19lookback_scan_stateImLb0ELb1EEENS1_16block_id_wrapperIjLb1EEEEEvT_jT0_jPNS7_10value_typeE,comdat
.Lfunc_end223:
	.size	_ZN7rocprim17ROCPRIM_400000_NS6detail31init_lookback_scan_state_kernelINS1_19lookback_scan_stateImLb0ELb1EEENS1_16block_id_wrapperIjLb1EEEEEvT_jT0_jPNS7_10value_typeE, .Lfunc_end223-_ZN7rocprim17ROCPRIM_400000_NS6detail31init_lookback_scan_state_kernelINS1_19lookback_scan_stateImLb0ELb1EEENS1_16block_id_wrapperIjLb1EEEEEvT_jT0_jPNS7_10value_typeE
                                        ; -- End function
	.section	.AMDGPU.csdata,"",@progbits
; Kernel info:
; codeLenInByte = 512
; NumSgprs: 18
; NumVgprs: 9
; ScratchSize: 0
; MemoryBound: 0
; FloatMode: 240
; IeeeMode: 1
; LDSByteSize: 0 bytes/workgroup (compile time only)
; SGPRBlocks: 2
; VGPRBlocks: 1
; NumSGPRsForWavesPerEU: 18
; NumVGPRsForWavesPerEU: 9
; Occupancy: 16
; WaveLimiterHint : 0
; COMPUTE_PGM_RSRC2:SCRATCH_EN: 0
; COMPUTE_PGM_RSRC2:USER_SGPR: 15
; COMPUTE_PGM_RSRC2:TRAP_HANDLER: 0
; COMPUTE_PGM_RSRC2:TGID_X_EN: 1
; COMPUTE_PGM_RSRC2:TGID_Y_EN: 0
; COMPUTE_PGM_RSRC2:TGID_Z_EN: 0
; COMPUTE_PGM_RSRC2:TIDIG_COMP_CNT: 0
	.section	.text._ZN7rocprim17ROCPRIM_400000_NS6detail17trampoline_kernelINS0_14default_configENS1_25partition_config_selectorILNS1_17partition_subalgoE6EdNS0_10empty_typeEbEEZZNS1_14partition_implILS5_6ELb0ES3_mN6thrust23THRUST_200600_302600_NS6detail15normal_iteratorINSA_10device_ptrIdEEEEPS6_SG_NS0_5tupleIJSF_S6_EEENSH_IJSG_SG_EEES6_PlJ7is_evenIdEEEE10hipError_tPvRmT3_T4_T5_T6_T7_T9_mT8_P12ihipStream_tbDpT10_ENKUlT_T0_E_clISt17integral_constantIbLb0EES15_IbLb1EEEEDaS11_S12_EUlS11_E_NS1_11comp_targetILNS1_3genE0ELNS1_11target_archE4294967295ELNS1_3gpuE0ELNS1_3repE0EEENS1_30default_config_static_selectorELNS0_4arch9wavefront6targetE0EEEvT1_,"axG",@progbits,_ZN7rocprim17ROCPRIM_400000_NS6detail17trampoline_kernelINS0_14default_configENS1_25partition_config_selectorILNS1_17partition_subalgoE6EdNS0_10empty_typeEbEEZZNS1_14partition_implILS5_6ELb0ES3_mN6thrust23THRUST_200600_302600_NS6detail15normal_iteratorINSA_10device_ptrIdEEEEPS6_SG_NS0_5tupleIJSF_S6_EEENSH_IJSG_SG_EEES6_PlJ7is_evenIdEEEE10hipError_tPvRmT3_T4_T5_T6_T7_T9_mT8_P12ihipStream_tbDpT10_ENKUlT_T0_E_clISt17integral_constantIbLb0EES15_IbLb1EEEEDaS11_S12_EUlS11_E_NS1_11comp_targetILNS1_3genE0ELNS1_11target_archE4294967295ELNS1_3gpuE0ELNS1_3repE0EEENS1_30default_config_static_selectorELNS0_4arch9wavefront6targetE0EEEvT1_,comdat
	.protected	_ZN7rocprim17ROCPRIM_400000_NS6detail17trampoline_kernelINS0_14default_configENS1_25partition_config_selectorILNS1_17partition_subalgoE6EdNS0_10empty_typeEbEEZZNS1_14partition_implILS5_6ELb0ES3_mN6thrust23THRUST_200600_302600_NS6detail15normal_iteratorINSA_10device_ptrIdEEEEPS6_SG_NS0_5tupleIJSF_S6_EEENSH_IJSG_SG_EEES6_PlJ7is_evenIdEEEE10hipError_tPvRmT3_T4_T5_T6_T7_T9_mT8_P12ihipStream_tbDpT10_ENKUlT_T0_E_clISt17integral_constantIbLb0EES15_IbLb1EEEEDaS11_S12_EUlS11_E_NS1_11comp_targetILNS1_3genE0ELNS1_11target_archE4294967295ELNS1_3gpuE0ELNS1_3repE0EEENS1_30default_config_static_selectorELNS0_4arch9wavefront6targetE0EEEvT1_ ; -- Begin function _ZN7rocprim17ROCPRIM_400000_NS6detail17trampoline_kernelINS0_14default_configENS1_25partition_config_selectorILNS1_17partition_subalgoE6EdNS0_10empty_typeEbEEZZNS1_14partition_implILS5_6ELb0ES3_mN6thrust23THRUST_200600_302600_NS6detail15normal_iteratorINSA_10device_ptrIdEEEEPS6_SG_NS0_5tupleIJSF_S6_EEENSH_IJSG_SG_EEES6_PlJ7is_evenIdEEEE10hipError_tPvRmT3_T4_T5_T6_T7_T9_mT8_P12ihipStream_tbDpT10_ENKUlT_T0_E_clISt17integral_constantIbLb0EES15_IbLb1EEEEDaS11_S12_EUlS11_E_NS1_11comp_targetILNS1_3genE0ELNS1_11target_archE4294967295ELNS1_3gpuE0ELNS1_3repE0EEENS1_30default_config_static_selectorELNS0_4arch9wavefront6targetE0EEEvT1_
	.globl	_ZN7rocprim17ROCPRIM_400000_NS6detail17trampoline_kernelINS0_14default_configENS1_25partition_config_selectorILNS1_17partition_subalgoE6EdNS0_10empty_typeEbEEZZNS1_14partition_implILS5_6ELb0ES3_mN6thrust23THRUST_200600_302600_NS6detail15normal_iteratorINSA_10device_ptrIdEEEEPS6_SG_NS0_5tupleIJSF_S6_EEENSH_IJSG_SG_EEES6_PlJ7is_evenIdEEEE10hipError_tPvRmT3_T4_T5_T6_T7_T9_mT8_P12ihipStream_tbDpT10_ENKUlT_T0_E_clISt17integral_constantIbLb0EES15_IbLb1EEEEDaS11_S12_EUlS11_E_NS1_11comp_targetILNS1_3genE0ELNS1_11target_archE4294967295ELNS1_3gpuE0ELNS1_3repE0EEENS1_30default_config_static_selectorELNS0_4arch9wavefront6targetE0EEEvT1_
	.p2align	8
	.type	_ZN7rocprim17ROCPRIM_400000_NS6detail17trampoline_kernelINS0_14default_configENS1_25partition_config_selectorILNS1_17partition_subalgoE6EdNS0_10empty_typeEbEEZZNS1_14partition_implILS5_6ELb0ES3_mN6thrust23THRUST_200600_302600_NS6detail15normal_iteratorINSA_10device_ptrIdEEEEPS6_SG_NS0_5tupleIJSF_S6_EEENSH_IJSG_SG_EEES6_PlJ7is_evenIdEEEE10hipError_tPvRmT3_T4_T5_T6_T7_T9_mT8_P12ihipStream_tbDpT10_ENKUlT_T0_E_clISt17integral_constantIbLb0EES15_IbLb1EEEEDaS11_S12_EUlS11_E_NS1_11comp_targetILNS1_3genE0ELNS1_11target_archE4294967295ELNS1_3gpuE0ELNS1_3repE0EEENS1_30default_config_static_selectorELNS0_4arch9wavefront6targetE0EEEvT1_,@function
_ZN7rocprim17ROCPRIM_400000_NS6detail17trampoline_kernelINS0_14default_configENS1_25partition_config_selectorILNS1_17partition_subalgoE6EdNS0_10empty_typeEbEEZZNS1_14partition_implILS5_6ELb0ES3_mN6thrust23THRUST_200600_302600_NS6detail15normal_iteratorINSA_10device_ptrIdEEEEPS6_SG_NS0_5tupleIJSF_S6_EEENSH_IJSG_SG_EEES6_PlJ7is_evenIdEEEE10hipError_tPvRmT3_T4_T5_T6_T7_T9_mT8_P12ihipStream_tbDpT10_ENKUlT_T0_E_clISt17integral_constantIbLb0EES15_IbLb1EEEEDaS11_S12_EUlS11_E_NS1_11comp_targetILNS1_3genE0ELNS1_11target_archE4294967295ELNS1_3gpuE0ELNS1_3repE0EEENS1_30default_config_static_selectorELNS0_4arch9wavefront6targetE0EEEvT1_: ; @_ZN7rocprim17ROCPRIM_400000_NS6detail17trampoline_kernelINS0_14default_configENS1_25partition_config_selectorILNS1_17partition_subalgoE6EdNS0_10empty_typeEbEEZZNS1_14partition_implILS5_6ELb0ES3_mN6thrust23THRUST_200600_302600_NS6detail15normal_iteratorINSA_10device_ptrIdEEEEPS6_SG_NS0_5tupleIJSF_S6_EEENSH_IJSG_SG_EEES6_PlJ7is_evenIdEEEE10hipError_tPvRmT3_T4_T5_T6_T7_T9_mT8_P12ihipStream_tbDpT10_ENKUlT_T0_E_clISt17integral_constantIbLb0EES15_IbLb1EEEEDaS11_S12_EUlS11_E_NS1_11comp_targetILNS1_3genE0ELNS1_11target_archE4294967295ELNS1_3gpuE0ELNS1_3repE0EEENS1_30default_config_static_selectorELNS0_4arch9wavefront6targetE0EEEvT1_
; %bb.0:
	.section	.rodata,"a",@progbits
	.p2align	6, 0x0
	.amdhsa_kernel _ZN7rocprim17ROCPRIM_400000_NS6detail17trampoline_kernelINS0_14default_configENS1_25partition_config_selectorILNS1_17partition_subalgoE6EdNS0_10empty_typeEbEEZZNS1_14partition_implILS5_6ELb0ES3_mN6thrust23THRUST_200600_302600_NS6detail15normal_iteratorINSA_10device_ptrIdEEEEPS6_SG_NS0_5tupleIJSF_S6_EEENSH_IJSG_SG_EEES6_PlJ7is_evenIdEEEE10hipError_tPvRmT3_T4_T5_T6_T7_T9_mT8_P12ihipStream_tbDpT10_ENKUlT_T0_E_clISt17integral_constantIbLb0EES15_IbLb1EEEEDaS11_S12_EUlS11_E_NS1_11comp_targetILNS1_3genE0ELNS1_11target_archE4294967295ELNS1_3gpuE0ELNS1_3repE0EEENS1_30default_config_static_selectorELNS0_4arch9wavefront6targetE0EEEvT1_
		.amdhsa_group_segment_fixed_size 0
		.amdhsa_private_segment_fixed_size 0
		.amdhsa_kernarg_size 128
		.amdhsa_user_sgpr_count 15
		.amdhsa_user_sgpr_dispatch_ptr 0
		.amdhsa_user_sgpr_queue_ptr 0
		.amdhsa_user_sgpr_kernarg_segment_ptr 1
		.amdhsa_user_sgpr_dispatch_id 0
		.amdhsa_user_sgpr_private_segment_size 0
		.amdhsa_wavefront_size32 1
		.amdhsa_uses_dynamic_stack 0
		.amdhsa_enable_private_segment 0
		.amdhsa_system_sgpr_workgroup_id_x 1
		.amdhsa_system_sgpr_workgroup_id_y 0
		.amdhsa_system_sgpr_workgroup_id_z 0
		.amdhsa_system_sgpr_workgroup_info 0
		.amdhsa_system_vgpr_workitem_id 0
		.amdhsa_next_free_vgpr 1
		.amdhsa_next_free_sgpr 1
		.amdhsa_reserve_vcc 0
		.amdhsa_float_round_mode_32 0
		.amdhsa_float_round_mode_16_64 0
		.amdhsa_float_denorm_mode_32 3
		.amdhsa_float_denorm_mode_16_64 3
		.amdhsa_dx10_clamp 1
		.amdhsa_ieee_mode 1
		.amdhsa_fp16_overflow 0
		.amdhsa_workgroup_processor_mode 1
		.amdhsa_memory_ordered 1
		.amdhsa_forward_progress 0
		.amdhsa_shared_vgpr_count 0
		.amdhsa_exception_fp_ieee_invalid_op 0
		.amdhsa_exception_fp_denorm_src 0
		.amdhsa_exception_fp_ieee_div_zero 0
		.amdhsa_exception_fp_ieee_overflow 0
		.amdhsa_exception_fp_ieee_underflow 0
		.amdhsa_exception_fp_ieee_inexact 0
		.amdhsa_exception_int_div_zero 0
	.end_amdhsa_kernel
	.section	.text._ZN7rocprim17ROCPRIM_400000_NS6detail17trampoline_kernelINS0_14default_configENS1_25partition_config_selectorILNS1_17partition_subalgoE6EdNS0_10empty_typeEbEEZZNS1_14partition_implILS5_6ELb0ES3_mN6thrust23THRUST_200600_302600_NS6detail15normal_iteratorINSA_10device_ptrIdEEEEPS6_SG_NS0_5tupleIJSF_S6_EEENSH_IJSG_SG_EEES6_PlJ7is_evenIdEEEE10hipError_tPvRmT3_T4_T5_T6_T7_T9_mT8_P12ihipStream_tbDpT10_ENKUlT_T0_E_clISt17integral_constantIbLb0EES15_IbLb1EEEEDaS11_S12_EUlS11_E_NS1_11comp_targetILNS1_3genE0ELNS1_11target_archE4294967295ELNS1_3gpuE0ELNS1_3repE0EEENS1_30default_config_static_selectorELNS0_4arch9wavefront6targetE0EEEvT1_,"axG",@progbits,_ZN7rocprim17ROCPRIM_400000_NS6detail17trampoline_kernelINS0_14default_configENS1_25partition_config_selectorILNS1_17partition_subalgoE6EdNS0_10empty_typeEbEEZZNS1_14partition_implILS5_6ELb0ES3_mN6thrust23THRUST_200600_302600_NS6detail15normal_iteratorINSA_10device_ptrIdEEEEPS6_SG_NS0_5tupleIJSF_S6_EEENSH_IJSG_SG_EEES6_PlJ7is_evenIdEEEE10hipError_tPvRmT3_T4_T5_T6_T7_T9_mT8_P12ihipStream_tbDpT10_ENKUlT_T0_E_clISt17integral_constantIbLb0EES15_IbLb1EEEEDaS11_S12_EUlS11_E_NS1_11comp_targetILNS1_3genE0ELNS1_11target_archE4294967295ELNS1_3gpuE0ELNS1_3repE0EEENS1_30default_config_static_selectorELNS0_4arch9wavefront6targetE0EEEvT1_,comdat
.Lfunc_end224:
	.size	_ZN7rocprim17ROCPRIM_400000_NS6detail17trampoline_kernelINS0_14default_configENS1_25partition_config_selectorILNS1_17partition_subalgoE6EdNS0_10empty_typeEbEEZZNS1_14partition_implILS5_6ELb0ES3_mN6thrust23THRUST_200600_302600_NS6detail15normal_iteratorINSA_10device_ptrIdEEEEPS6_SG_NS0_5tupleIJSF_S6_EEENSH_IJSG_SG_EEES6_PlJ7is_evenIdEEEE10hipError_tPvRmT3_T4_T5_T6_T7_T9_mT8_P12ihipStream_tbDpT10_ENKUlT_T0_E_clISt17integral_constantIbLb0EES15_IbLb1EEEEDaS11_S12_EUlS11_E_NS1_11comp_targetILNS1_3genE0ELNS1_11target_archE4294967295ELNS1_3gpuE0ELNS1_3repE0EEENS1_30default_config_static_selectorELNS0_4arch9wavefront6targetE0EEEvT1_, .Lfunc_end224-_ZN7rocprim17ROCPRIM_400000_NS6detail17trampoline_kernelINS0_14default_configENS1_25partition_config_selectorILNS1_17partition_subalgoE6EdNS0_10empty_typeEbEEZZNS1_14partition_implILS5_6ELb0ES3_mN6thrust23THRUST_200600_302600_NS6detail15normal_iteratorINSA_10device_ptrIdEEEEPS6_SG_NS0_5tupleIJSF_S6_EEENSH_IJSG_SG_EEES6_PlJ7is_evenIdEEEE10hipError_tPvRmT3_T4_T5_T6_T7_T9_mT8_P12ihipStream_tbDpT10_ENKUlT_T0_E_clISt17integral_constantIbLb0EES15_IbLb1EEEEDaS11_S12_EUlS11_E_NS1_11comp_targetILNS1_3genE0ELNS1_11target_archE4294967295ELNS1_3gpuE0ELNS1_3repE0EEENS1_30default_config_static_selectorELNS0_4arch9wavefront6targetE0EEEvT1_
                                        ; -- End function
	.section	.AMDGPU.csdata,"",@progbits
; Kernel info:
; codeLenInByte = 0
; NumSgprs: 0
; NumVgprs: 0
; ScratchSize: 0
; MemoryBound: 0
; FloatMode: 240
; IeeeMode: 1
; LDSByteSize: 0 bytes/workgroup (compile time only)
; SGPRBlocks: 0
; VGPRBlocks: 0
; NumSGPRsForWavesPerEU: 1
; NumVGPRsForWavesPerEU: 1
; Occupancy: 16
; WaveLimiterHint : 0
; COMPUTE_PGM_RSRC2:SCRATCH_EN: 0
; COMPUTE_PGM_RSRC2:USER_SGPR: 15
; COMPUTE_PGM_RSRC2:TRAP_HANDLER: 0
; COMPUTE_PGM_RSRC2:TGID_X_EN: 1
; COMPUTE_PGM_RSRC2:TGID_Y_EN: 0
; COMPUTE_PGM_RSRC2:TGID_Z_EN: 0
; COMPUTE_PGM_RSRC2:TIDIG_COMP_CNT: 0
	.section	.text._ZN7rocprim17ROCPRIM_400000_NS6detail17trampoline_kernelINS0_14default_configENS1_25partition_config_selectorILNS1_17partition_subalgoE6EdNS0_10empty_typeEbEEZZNS1_14partition_implILS5_6ELb0ES3_mN6thrust23THRUST_200600_302600_NS6detail15normal_iteratorINSA_10device_ptrIdEEEEPS6_SG_NS0_5tupleIJSF_S6_EEENSH_IJSG_SG_EEES6_PlJ7is_evenIdEEEE10hipError_tPvRmT3_T4_T5_T6_T7_T9_mT8_P12ihipStream_tbDpT10_ENKUlT_T0_E_clISt17integral_constantIbLb0EES15_IbLb1EEEEDaS11_S12_EUlS11_E_NS1_11comp_targetILNS1_3genE5ELNS1_11target_archE942ELNS1_3gpuE9ELNS1_3repE0EEENS1_30default_config_static_selectorELNS0_4arch9wavefront6targetE0EEEvT1_,"axG",@progbits,_ZN7rocprim17ROCPRIM_400000_NS6detail17trampoline_kernelINS0_14default_configENS1_25partition_config_selectorILNS1_17partition_subalgoE6EdNS0_10empty_typeEbEEZZNS1_14partition_implILS5_6ELb0ES3_mN6thrust23THRUST_200600_302600_NS6detail15normal_iteratorINSA_10device_ptrIdEEEEPS6_SG_NS0_5tupleIJSF_S6_EEENSH_IJSG_SG_EEES6_PlJ7is_evenIdEEEE10hipError_tPvRmT3_T4_T5_T6_T7_T9_mT8_P12ihipStream_tbDpT10_ENKUlT_T0_E_clISt17integral_constantIbLb0EES15_IbLb1EEEEDaS11_S12_EUlS11_E_NS1_11comp_targetILNS1_3genE5ELNS1_11target_archE942ELNS1_3gpuE9ELNS1_3repE0EEENS1_30default_config_static_selectorELNS0_4arch9wavefront6targetE0EEEvT1_,comdat
	.protected	_ZN7rocprim17ROCPRIM_400000_NS6detail17trampoline_kernelINS0_14default_configENS1_25partition_config_selectorILNS1_17partition_subalgoE6EdNS0_10empty_typeEbEEZZNS1_14partition_implILS5_6ELb0ES3_mN6thrust23THRUST_200600_302600_NS6detail15normal_iteratorINSA_10device_ptrIdEEEEPS6_SG_NS0_5tupleIJSF_S6_EEENSH_IJSG_SG_EEES6_PlJ7is_evenIdEEEE10hipError_tPvRmT3_T4_T5_T6_T7_T9_mT8_P12ihipStream_tbDpT10_ENKUlT_T0_E_clISt17integral_constantIbLb0EES15_IbLb1EEEEDaS11_S12_EUlS11_E_NS1_11comp_targetILNS1_3genE5ELNS1_11target_archE942ELNS1_3gpuE9ELNS1_3repE0EEENS1_30default_config_static_selectorELNS0_4arch9wavefront6targetE0EEEvT1_ ; -- Begin function _ZN7rocprim17ROCPRIM_400000_NS6detail17trampoline_kernelINS0_14default_configENS1_25partition_config_selectorILNS1_17partition_subalgoE6EdNS0_10empty_typeEbEEZZNS1_14partition_implILS5_6ELb0ES3_mN6thrust23THRUST_200600_302600_NS6detail15normal_iteratorINSA_10device_ptrIdEEEEPS6_SG_NS0_5tupleIJSF_S6_EEENSH_IJSG_SG_EEES6_PlJ7is_evenIdEEEE10hipError_tPvRmT3_T4_T5_T6_T7_T9_mT8_P12ihipStream_tbDpT10_ENKUlT_T0_E_clISt17integral_constantIbLb0EES15_IbLb1EEEEDaS11_S12_EUlS11_E_NS1_11comp_targetILNS1_3genE5ELNS1_11target_archE942ELNS1_3gpuE9ELNS1_3repE0EEENS1_30default_config_static_selectorELNS0_4arch9wavefront6targetE0EEEvT1_
	.globl	_ZN7rocprim17ROCPRIM_400000_NS6detail17trampoline_kernelINS0_14default_configENS1_25partition_config_selectorILNS1_17partition_subalgoE6EdNS0_10empty_typeEbEEZZNS1_14partition_implILS5_6ELb0ES3_mN6thrust23THRUST_200600_302600_NS6detail15normal_iteratorINSA_10device_ptrIdEEEEPS6_SG_NS0_5tupleIJSF_S6_EEENSH_IJSG_SG_EEES6_PlJ7is_evenIdEEEE10hipError_tPvRmT3_T4_T5_T6_T7_T9_mT8_P12ihipStream_tbDpT10_ENKUlT_T0_E_clISt17integral_constantIbLb0EES15_IbLb1EEEEDaS11_S12_EUlS11_E_NS1_11comp_targetILNS1_3genE5ELNS1_11target_archE942ELNS1_3gpuE9ELNS1_3repE0EEENS1_30default_config_static_selectorELNS0_4arch9wavefront6targetE0EEEvT1_
	.p2align	8
	.type	_ZN7rocprim17ROCPRIM_400000_NS6detail17trampoline_kernelINS0_14default_configENS1_25partition_config_selectorILNS1_17partition_subalgoE6EdNS0_10empty_typeEbEEZZNS1_14partition_implILS5_6ELb0ES3_mN6thrust23THRUST_200600_302600_NS6detail15normal_iteratorINSA_10device_ptrIdEEEEPS6_SG_NS0_5tupleIJSF_S6_EEENSH_IJSG_SG_EEES6_PlJ7is_evenIdEEEE10hipError_tPvRmT3_T4_T5_T6_T7_T9_mT8_P12ihipStream_tbDpT10_ENKUlT_T0_E_clISt17integral_constantIbLb0EES15_IbLb1EEEEDaS11_S12_EUlS11_E_NS1_11comp_targetILNS1_3genE5ELNS1_11target_archE942ELNS1_3gpuE9ELNS1_3repE0EEENS1_30default_config_static_selectorELNS0_4arch9wavefront6targetE0EEEvT1_,@function
_ZN7rocprim17ROCPRIM_400000_NS6detail17trampoline_kernelINS0_14default_configENS1_25partition_config_selectorILNS1_17partition_subalgoE6EdNS0_10empty_typeEbEEZZNS1_14partition_implILS5_6ELb0ES3_mN6thrust23THRUST_200600_302600_NS6detail15normal_iteratorINSA_10device_ptrIdEEEEPS6_SG_NS0_5tupleIJSF_S6_EEENSH_IJSG_SG_EEES6_PlJ7is_evenIdEEEE10hipError_tPvRmT3_T4_T5_T6_T7_T9_mT8_P12ihipStream_tbDpT10_ENKUlT_T0_E_clISt17integral_constantIbLb0EES15_IbLb1EEEEDaS11_S12_EUlS11_E_NS1_11comp_targetILNS1_3genE5ELNS1_11target_archE942ELNS1_3gpuE9ELNS1_3repE0EEENS1_30default_config_static_selectorELNS0_4arch9wavefront6targetE0EEEvT1_: ; @_ZN7rocprim17ROCPRIM_400000_NS6detail17trampoline_kernelINS0_14default_configENS1_25partition_config_selectorILNS1_17partition_subalgoE6EdNS0_10empty_typeEbEEZZNS1_14partition_implILS5_6ELb0ES3_mN6thrust23THRUST_200600_302600_NS6detail15normal_iteratorINSA_10device_ptrIdEEEEPS6_SG_NS0_5tupleIJSF_S6_EEENSH_IJSG_SG_EEES6_PlJ7is_evenIdEEEE10hipError_tPvRmT3_T4_T5_T6_T7_T9_mT8_P12ihipStream_tbDpT10_ENKUlT_T0_E_clISt17integral_constantIbLb0EES15_IbLb1EEEEDaS11_S12_EUlS11_E_NS1_11comp_targetILNS1_3genE5ELNS1_11target_archE942ELNS1_3gpuE9ELNS1_3repE0EEENS1_30default_config_static_selectorELNS0_4arch9wavefront6targetE0EEEvT1_
; %bb.0:
	.section	.rodata,"a",@progbits
	.p2align	6, 0x0
	.amdhsa_kernel _ZN7rocprim17ROCPRIM_400000_NS6detail17trampoline_kernelINS0_14default_configENS1_25partition_config_selectorILNS1_17partition_subalgoE6EdNS0_10empty_typeEbEEZZNS1_14partition_implILS5_6ELb0ES3_mN6thrust23THRUST_200600_302600_NS6detail15normal_iteratorINSA_10device_ptrIdEEEEPS6_SG_NS0_5tupleIJSF_S6_EEENSH_IJSG_SG_EEES6_PlJ7is_evenIdEEEE10hipError_tPvRmT3_T4_T5_T6_T7_T9_mT8_P12ihipStream_tbDpT10_ENKUlT_T0_E_clISt17integral_constantIbLb0EES15_IbLb1EEEEDaS11_S12_EUlS11_E_NS1_11comp_targetILNS1_3genE5ELNS1_11target_archE942ELNS1_3gpuE9ELNS1_3repE0EEENS1_30default_config_static_selectorELNS0_4arch9wavefront6targetE0EEEvT1_
		.amdhsa_group_segment_fixed_size 0
		.amdhsa_private_segment_fixed_size 0
		.amdhsa_kernarg_size 128
		.amdhsa_user_sgpr_count 15
		.amdhsa_user_sgpr_dispatch_ptr 0
		.amdhsa_user_sgpr_queue_ptr 0
		.amdhsa_user_sgpr_kernarg_segment_ptr 1
		.amdhsa_user_sgpr_dispatch_id 0
		.amdhsa_user_sgpr_private_segment_size 0
		.amdhsa_wavefront_size32 1
		.amdhsa_uses_dynamic_stack 0
		.amdhsa_enable_private_segment 0
		.amdhsa_system_sgpr_workgroup_id_x 1
		.amdhsa_system_sgpr_workgroup_id_y 0
		.amdhsa_system_sgpr_workgroup_id_z 0
		.amdhsa_system_sgpr_workgroup_info 0
		.amdhsa_system_vgpr_workitem_id 0
		.amdhsa_next_free_vgpr 1
		.amdhsa_next_free_sgpr 1
		.amdhsa_reserve_vcc 0
		.amdhsa_float_round_mode_32 0
		.amdhsa_float_round_mode_16_64 0
		.amdhsa_float_denorm_mode_32 3
		.amdhsa_float_denorm_mode_16_64 3
		.amdhsa_dx10_clamp 1
		.amdhsa_ieee_mode 1
		.amdhsa_fp16_overflow 0
		.amdhsa_workgroup_processor_mode 1
		.amdhsa_memory_ordered 1
		.amdhsa_forward_progress 0
		.amdhsa_shared_vgpr_count 0
		.amdhsa_exception_fp_ieee_invalid_op 0
		.amdhsa_exception_fp_denorm_src 0
		.amdhsa_exception_fp_ieee_div_zero 0
		.amdhsa_exception_fp_ieee_overflow 0
		.amdhsa_exception_fp_ieee_underflow 0
		.amdhsa_exception_fp_ieee_inexact 0
		.amdhsa_exception_int_div_zero 0
	.end_amdhsa_kernel
	.section	.text._ZN7rocprim17ROCPRIM_400000_NS6detail17trampoline_kernelINS0_14default_configENS1_25partition_config_selectorILNS1_17partition_subalgoE6EdNS0_10empty_typeEbEEZZNS1_14partition_implILS5_6ELb0ES3_mN6thrust23THRUST_200600_302600_NS6detail15normal_iteratorINSA_10device_ptrIdEEEEPS6_SG_NS0_5tupleIJSF_S6_EEENSH_IJSG_SG_EEES6_PlJ7is_evenIdEEEE10hipError_tPvRmT3_T4_T5_T6_T7_T9_mT8_P12ihipStream_tbDpT10_ENKUlT_T0_E_clISt17integral_constantIbLb0EES15_IbLb1EEEEDaS11_S12_EUlS11_E_NS1_11comp_targetILNS1_3genE5ELNS1_11target_archE942ELNS1_3gpuE9ELNS1_3repE0EEENS1_30default_config_static_selectorELNS0_4arch9wavefront6targetE0EEEvT1_,"axG",@progbits,_ZN7rocprim17ROCPRIM_400000_NS6detail17trampoline_kernelINS0_14default_configENS1_25partition_config_selectorILNS1_17partition_subalgoE6EdNS0_10empty_typeEbEEZZNS1_14partition_implILS5_6ELb0ES3_mN6thrust23THRUST_200600_302600_NS6detail15normal_iteratorINSA_10device_ptrIdEEEEPS6_SG_NS0_5tupleIJSF_S6_EEENSH_IJSG_SG_EEES6_PlJ7is_evenIdEEEE10hipError_tPvRmT3_T4_T5_T6_T7_T9_mT8_P12ihipStream_tbDpT10_ENKUlT_T0_E_clISt17integral_constantIbLb0EES15_IbLb1EEEEDaS11_S12_EUlS11_E_NS1_11comp_targetILNS1_3genE5ELNS1_11target_archE942ELNS1_3gpuE9ELNS1_3repE0EEENS1_30default_config_static_selectorELNS0_4arch9wavefront6targetE0EEEvT1_,comdat
.Lfunc_end225:
	.size	_ZN7rocprim17ROCPRIM_400000_NS6detail17trampoline_kernelINS0_14default_configENS1_25partition_config_selectorILNS1_17partition_subalgoE6EdNS0_10empty_typeEbEEZZNS1_14partition_implILS5_6ELb0ES3_mN6thrust23THRUST_200600_302600_NS6detail15normal_iteratorINSA_10device_ptrIdEEEEPS6_SG_NS0_5tupleIJSF_S6_EEENSH_IJSG_SG_EEES6_PlJ7is_evenIdEEEE10hipError_tPvRmT3_T4_T5_T6_T7_T9_mT8_P12ihipStream_tbDpT10_ENKUlT_T0_E_clISt17integral_constantIbLb0EES15_IbLb1EEEEDaS11_S12_EUlS11_E_NS1_11comp_targetILNS1_3genE5ELNS1_11target_archE942ELNS1_3gpuE9ELNS1_3repE0EEENS1_30default_config_static_selectorELNS0_4arch9wavefront6targetE0EEEvT1_, .Lfunc_end225-_ZN7rocprim17ROCPRIM_400000_NS6detail17trampoline_kernelINS0_14default_configENS1_25partition_config_selectorILNS1_17partition_subalgoE6EdNS0_10empty_typeEbEEZZNS1_14partition_implILS5_6ELb0ES3_mN6thrust23THRUST_200600_302600_NS6detail15normal_iteratorINSA_10device_ptrIdEEEEPS6_SG_NS0_5tupleIJSF_S6_EEENSH_IJSG_SG_EEES6_PlJ7is_evenIdEEEE10hipError_tPvRmT3_T4_T5_T6_T7_T9_mT8_P12ihipStream_tbDpT10_ENKUlT_T0_E_clISt17integral_constantIbLb0EES15_IbLb1EEEEDaS11_S12_EUlS11_E_NS1_11comp_targetILNS1_3genE5ELNS1_11target_archE942ELNS1_3gpuE9ELNS1_3repE0EEENS1_30default_config_static_selectorELNS0_4arch9wavefront6targetE0EEEvT1_
                                        ; -- End function
	.section	.AMDGPU.csdata,"",@progbits
; Kernel info:
; codeLenInByte = 0
; NumSgprs: 0
; NumVgprs: 0
; ScratchSize: 0
; MemoryBound: 0
; FloatMode: 240
; IeeeMode: 1
; LDSByteSize: 0 bytes/workgroup (compile time only)
; SGPRBlocks: 0
; VGPRBlocks: 0
; NumSGPRsForWavesPerEU: 1
; NumVGPRsForWavesPerEU: 1
; Occupancy: 16
; WaveLimiterHint : 0
; COMPUTE_PGM_RSRC2:SCRATCH_EN: 0
; COMPUTE_PGM_RSRC2:USER_SGPR: 15
; COMPUTE_PGM_RSRC2:TRAP_HANDLER: 0
; COMPUTE_PGM_RSRC2:TGID_X_EN: 1
; COMPUTE_PGM_RSRC2:TGID_Y_EN: 0
; COMPUTE_PGM_RSRC2:TGID_Z_EN: 0
; COMPUTE_PGM_RSRC2:TIDIG_COMP_CNT: 0
	.section	.text._ZN7rocprim17ROCPRIM_400000_NS6detail17trampoline_kernelINS0_14default_configENS1_25partition_config_selectorILNS1_17partition_subalgoE6EdNS0_10empty_typeEbEEZZNS1_14partition_implILS5_6ELb0ES3_mN6thrust23THRUST_200600_302600_NS6detail15normal_iteratorINSA_10device_ptrIdEEEEPS6_SG_NS0_5tupleIJSF_S6_EEENSH_IJSG_SG_EEES6_PlJ7is_evenIdEEEE10hipError_tPvRmT3_T4_T5_T6_T7_T9_mT8_P12ihipStream_tbDpT10_ENKUlT_T0_E_clISt17integral_constantIbLb0EES15_IbLb1EEEEDaS11_S12_EUlS11_E_NS1_11comp_targetILNS1_3genE4ELNS1_11target_archE910ELNS1_3gpuE8ELNS1_3repE0EEENS1_30default_config_static_selectorELNS0_4arch9wavefront6targetE0EEEvT1_,"axG",@progbits,_ZN7rocprim17ROCPRIM_400000_NS6detail17trampoline_kernelINS0_14default_configENS1_25partition_config_selectorILNS1_17partition_subalgoE6EdNS0_10empty_typeEbEEZZNS1_14partition_implILS5_6ELb0ES3_mN6thrust23THRUST_200600_302600_NS6detail15normal_iteratorINSA_10device_ptrIdEEEEPS6_SG_NS0_5tupleIJSF_S6_EEENSH_IJSG_SG_EEES6_PlJ7is_evenIdEEEE10hipError_tPvRmT3_T4_T5_T6_T7_T9_mT8_P12ihipStream_tbDpT10_ENKUlT_T0_E_clISt17integral_constantIbLb0EES15_IbLb1EEEEDaS11_S12_EUlS11_E_NS1_11comp_targetILNS1_3genE4ELNS1_11target_archE910ELNS1_3gpuE8ELNS1_3repE0EEENS1_30default_config_static_selectorELNS0_4arch9wavefront6targetE0EEEvT1_,comdat
	.protected	_ZN7rocprim17ROCPRIM_400000_NS6detail17trampoline_kernelINS0_14default_configENS1_25partition_config_selectorILNS1_17partition_subalgoE6EdNS0_10empty_typeEbEEZZNS1_14partition_implILS5_6ELb0ES3_mN6thrust23THRUST_200600_302600_NS6detail15normal_iteratorINSA_10device_ptrIdEEEEPS6_SG_NS0_5tupleIJSF_S6_EEENSH_IJSG_SG_EEES6_PlJ7is_evenIdEEEE10hipError_tPvRmT3_T4_T5_T6_T7_T9_mT8_P12ihipStream_tbDpT10_ENKUlT_T0_E_clISt17integral_constantIbLb0EES15_IbLb1EEEEDaS11_S12_EUlS11_E_NS1_11comp_targetILNS1_3genE4ELNS1_11target_archE910ELNS1_3gpuE8ELNS1_3repE0EEENS1_30default_config_static_selectorELNS0_4arch9wavefront6targetE0EEEvT1_ ; -- Begin function _ZN7rocprim17ROCPRIM_400000_NS6detail17trampoline_kernelINS0_14default_configENS1_25partition_config_selectorILNS1_17partition_subalgoE6EdNS0_10empty_typeEbEEZZNS1_14partition_implILS5_6ELb0ES3_mN6thrust23THRUST_200600_302600_NS6detail15normal_iteratorINSA_10device_ptrIdEEEEPS6_SG_NS0_5tupleIJSF_S6_EEENSH_IJSG_SG_EEES6_PlJ7is_evenIdEEEE10hipError_tPvRmT3_T4_T5_T6_T7_T9_mT8_P12ihipStream_tbDpT10_ENKUlT_T0_E_clISt17integral_constantIbLb0EES15_IbLb1EEEEDaS11_S12_EUlS11_E_NS1_11comp_targetILNS1_3genE4ELNS1_11target_archE910ELNS1_3gpuE8ELNS1_3repE0EEENS1_30default_config_static_selectorELNS0_4arch9wavefront6targetE0EEEvT1_
	.globl	_ZN7rocprim17ROCPRIM_400000_NS6detail17trampoline_kernelINS0_14default_configENS1_25partition_config_selectorILNS1_17partition_subalgoE6EdNS0_10empty_typeEbEEZZNS1_14partition_implILS5_6ELb0ES3_mN6thrust23THRUST_200600_302600_NS6detail15normal_iteratorINSA_10device_ptrIdEEEEPS6_SG_NS0_5tupleIJSF_S6_EEENSH_IJSG_SG_EEES6_PlJ7is_evenIdEEEE10hipError_tPvRmT3_T4_T5_T6_T7_T9_mT8_P12ihipStream_tbDpT10_ENKUlT_T0_E_clISt17integral_constantIbLb0EES15_IbLb1EEEEDaS11_S12_EUlS11_E_NS1_11comp_targetILNS1_3genE4ELNS1_11target_archE910ELNS1_3gpuE8ELNS1_3repE0EEENS1_30default_config_static_selectorELNS0_4arch9wavefront6targetE0EEEvT1_
	.p2align	8
	.type	_ZN7rocprim17ROCPRIM_400000_NS6detail17trampoline_kernelINS0_14default_configENS1_25partition_config_selectorILNS1_17partition_subalgoE6EdNS0_10empty_typeEbEEZZNS1_14partition_implILS5_6ELb0ES3_mN6thrust23THRUST_200600_302600_NS6detail15normal_iteratorINSA_10device_ptrIdEEEEPS6_SG_NS0_5tupleIJSF_S6_EEENSH_IJSG_SG_EEES6_PlJ7is_evenIdEEEE10hipError_tPvRmT3_T4_T5_T6_T7_T9_mT8_P12ihipStream_tbDpT10_ENKUlT_T0_E_clISt17integral_constantIbLb0EES15_IbLb1EEEEDaS11_S12_EUlS11_E_NS1_11comp_targetILNS1_3genE4ELNS1_11target_archE910ELNS1_3gpuE8ELNS1_3repE0EEENS1_30default_config_static_selectorELNS0_4arch9wavefront6targetE0EEEvT1_,@function
_ZN7rocprim17ROCPRIM_400000_NS6detail17trampoline_kernelINS0_14default_configENS1_25partition_config_selectorILNS1_17partition_subalgoE6EdNS0_10empty_typeEbEEZZNS1_14partition_implILS5_6ELb0ES3_mN6thrust23THRUST_200600_302600_NS6detail15normal_iteratorINSA_10device_ptrIdEEEEPS6_SG_NS0_5tupleIJSF_S6_EEENSH_IJSG_SG_EEES6_PlJ7is_evenIdEEEE10hipError_tPvRmT3_T4_T5_T6_T7_T9_mT8_P12ihipStream_tbDpT10_ENKUlT_T0_E_clISt17integral_constantIbLb0EES15_IbLb1EEEEDaS11_S12_EUlS11_E_NS1_11comp_targetILNS1_3genE4ELNS1_11target_archE910ELNS1_3gpuE8ELNS1_3repE0EEENS1_30default_config_static_selectorELNS0_4arch9wavefront6targetE0EEEvT1_: ; @_ZN7rocprim17ROCPRIM_400000_NS6detail17trampoline_kernelINS0_14default_configENS1_25partition_config_selectorILNS1_17partition_subalgoE6EdNS0_10empty_typeEbEEZZNS1_14partition_implILS5_6ELb0ES3_mN6thrust23THRUST_200600_302600_NS6detail15normal_iteratorINSA_10device_ptrIdEEEEPS6_SG_NS0_5tupleIJSF_S6_EEENSH_IJSG_SG_EEES6_PlJ7is_evenIdEEEE10hipError_tPvRmT3_T4_T5_T6_T7_T9_mT8_P12ihipStream_tbDpT10_ENKUlT_T0_E_clISt17integral_constantIbLb0EES15_IbLb1EEEEDaS11_S12_EUlS11_E_NS1_11comp_targetILNS1_3genE4ELNS1_11target_archE910ELNS1_3gpuE8ELNS1_3repE0EEENS1_30default_config_static_selectorELNS0_4arch9wavefront6targetE0EEEvT1_
; %bb.0:
	.section	.rodata,"a",@progbits
	.p2align	6, 0x0
	.amdhsa_kernel _ZN7rocprim17ROCPRIM_400000_NS6detail17trampoline_kernelINS0_14default_configENS1_25partition_config_selectorILNS1_17partition_subalgoE6EdNS0_10empty_typeEbEEZZNS1_14partition_implILS5_6ELb0ES3_mN6thrust23THRUST_200600_302600_NS6detail15normal_iteratorINSA_10device_ptrIdEEEEPS6_SG_NS0_5tupleIJSF_S6_EEENSH_IJSG_SG_EEES6_PlJ7is_evenIdEEEE10hipError_tPvRmT3_T4_T5_T6_T7_T9_mT8_P12ihipStream_tbDpT10_ENKUlT_T0_E_clISt17integral_constantIbLb0EES15_IbLb1EEEEDaS11_S12_EUlS11_E_NS1_11comp_targetILNS1_3genE4ELNS1_11target_archE910ELNS1_3gpuE8ELNS1_3repE0EEENS1_30default_config_static_selectorELNS0_4arch9wavefront6targetE0EEEvT1_
		.amdhsa_group_segment_fixed_size 0
		.amdhsa_private_segment_fixed_size 0
		.amdhsa_kernarg_size 128
		.amdhsa_user_sgpr_count 15
		.amdhsa_user_sgpr_dispatch_ptr 0
		.amdhsa_user_sgpr_queue_ptr 0
		.amdhsa_user_sgpr_kernarg_segment_ptr 1
		.amdhsa_user_sgpr_dispatch_id 0
		.amdhsa_user_sgpr_private_segment_size 0
		.amdhsa_wavefront_size32 1
		.amdhsa_uses_dynamic_stack 0
		.amdhsa_enable_private_segment 0
		.amdhsa_system_sgpr_workgroup_id_x 1
		.amdhsa_system_sgpr_workgroup_id_y 0
		.amdhsa_system_sgpr_workgroup_id_z 0
		.amdhsa_system_sgpr_workgroup_info 0
		.amdhsa_system_vgpr_workitem_id 0
		.amdhsa_next_free_vgpr 1
		.amdhsa_next_free_sgpr 1
		.amdhsa_reserve_vcc 0
		.amdhsa_float_round_mode_32 0
		.amdhsa_float_round_mode_16_64 0
		.amdhsa_float_denorm_mode_32 3
		.amdhsa_float_denorm_mode_16_64 3
		.amdhsa_dx10_clamp 1
		.amdhsa_ieee_mode 1
		.amdhsa_fp16_overflow 0
		.amdhsa_workgroup_processor_mode 1
		.amdhsa_memory_ordered 1
		.amdhsa_forward_progress 0
		.amdhsa_shared_vgpr_count 0
		.amdhsa_exception_fp_ieee_invalid_op 0
		.amdhsa_exception_fp_denorm_src 0
		.amdhsa_exception_fp_ieee_div_zero 0
		.amdhsa_exception_fp_ieee_overflow 0
		.amdhsa_exception_fp_ieee_underflow 0
		.amdhsa_exception_fp_ieee_inexact 0
		.amdhsa_exception_int_div_zero 0
	.end_amdhsa_kernel
	.section	.text._ZN7rocprim17ROCPRIM_400000_NS6detail17trampoline_kernelINS0_14default_configENS1_25partition_config_selectorILNS1_17partition_subalgoE6EdNS0_10empty_typeEbEEZZNS1_14partition_implILS5_6ELb0ES3_mN6thrust23THRUST_200600_302600_NS6detail15normal_iteratorINSA_10device_ptrIdEEEEPS6_SG_NS0_5tupleIJSF_S6_EEENSH_IJSG_SG_EEES6_PlJ7is_evenIdEEEE10hipError_tPvRmT3_T4_T5_T6_T7_T9_mT8_P12ihipStream_tbDpT10_ENKUlT_T0_E_clISt17integral_constantIbLb0EES15_IbLb1EEEEDaS11_S12_EUlS11_E_NS1_11comp_targetILNS1_3genE4ELNS1_11target_archE910ELNS1_3gpuE8ELNS1_3repE0EEENS1_30default_config_static_selectorELNS0_4arch9wavefront6targetE0EEEvT1_,"axG",@progbits,_ZN7rocprim17ROCPRIM_400000_NS6detail17trampoline_kernelINS0_14default_configENS1_25partition_config_selectorILNS1_17partition_subalgoE6EdNS0_10empty_typeEbEEZZNS1_14partition_implILS5_6ELb0ES3_mN6thrust23THRUST_200600_302600_NS6detail15normal_iteratorINSA_10device_ptrIdEEEEPS6_SG_NS0_5tupleIJSF_S6_EEENSH_IJSG_SG_EEES6_PlJ7is_evenIdEEEE10hipError_tPvRmT3_T4_T5_T6_T7_T9_mT8_P12ihipStream_tbDpT10_ENKUlT_T0_E_clISt17integral_constantIbLb0EES15_IbLb1EEEEDaS11_S12_EUlS11_E_NS1_11comp_targetILNS1_3genE4ELNS1_11target_archE910ELNS1_3gpuE8ELNS1_3repE0EEENS1_30default_config_static_selectorELNS0_4arch9wavefront6targetE0EEEvT1_,comdat
.Lfunc_end226:
	.size	_ZN7rocprim17ROCPRIM_400000_NS6detail17trampoline_kernelINS0_14default_configENS1_25partition_config_selectorILNS1_17partition_subalgoE6EdNS0_10empty_typeEbEEZZNS1_14partition_implILS5_6ELb0ES3_mN6thrust23THRUST_200600_302600_NS6detail15normal_iteratorINSA_10device_ptrIdEEEEPS6_SG_NS0_5tupleIJSF_S6_EEENSH_IJSG_SG_EEES6_PlJ7is_evenIdEEEE10hipError_tPvRmT3_T4_T5_T6_T7_T9_mT8_P12ihipStream_tbDpT10_ENKUlT_T0_E_clISt17integral_constantIbLb0EES15_IbLb1EEEEDaS11_S12_EUlS11_E_NS1_11comp_targetILNS1_3genE4ELNS1_11target_archE910ELNS1_3gpuE8ELNS1_3repE0EEENS1_30default_config_static_selectorELNS0_4arch9wavefront6targetE0EEEvT1_, .Lfunc_end226-_ZN7rocprim17ROCPRIM_400000_NS6detail17trampoline_kernelINS0_14default_configENS1_25partition_config_selectorILNS1_17partition_subalgoE6EdNS0_10empty_typeEbEEZZNS1_14partition_implILS5_6ELb0ES3_mN6thrust23THRUST_200600_302600_NS6detail15normal_iteratorINSA_10device_ptrIdEEEEPS6_SG_NS0_5tupleIJSF_S6_EEENSH_IJSG_SG_EEES6_PlJ7is_evenIdEEEE10hipError_tPvRmT3_T4_T5_T6_T7_T9_mT8_P12ihipStream_tbDpT10_ENKUlT_T0_E_clISt17integral_constantIbLb0EES15_IbLb1EEEEDaS11_S12_EUlS11_E_NS1_11comp_targetILNS1_3genE4ELNS1_11target_archE910ELNS1_3gpuE8ELNS1_3repE0EEENS1_30default_config_static_selectorELNS0_4arch9wavefront6targetE0EEEvT1_
                                        ; -- End function
	.section	.AMDGPU.csdata,"",@progbits
; Kernel info:
; codeLenInByte = 0
; NumSgprs: 0
; NumVgprs: 0
; ScratchSize: 0
; MemoryBound: 0
; FloatMode: 240
; IeeeMode: 1
; LDSByteSize: 0 bytes/workgroup (compile time only)
; SGPRBlocks: 0
; VGPRBlocks: 0
; NumSGPRsForWavesPerEU: 1
; NumVGPRsForWavesPerEU: 1
; Occupancy: 16
; WaveLimiterHint : 0
; COMPUTE_PGM_RSRC2:SCRATCH_EN: 0
; COMPUTE_PGM_RSRC2:USER_SGPR: 15
; COMPUTE_PGM_RSRC2:TRAP_HANDLER: 0
; COMPUTE_PGM_RSRC2:TGID_X_EN: 1
; COMPUTE_PGM_RSRC2:TGID_Y_EN: 0
; COMPUTE_PGM_RSRC2:TGID_Z_EN: 0
; COMPUTE_PGM_RSRC2:TIDIG_COMP_CNT: 0
	.section	.text._ZN7rocprim17ROCPRIM_400000_NS6detail17trampoline_kernelINS0_14default_configENS1_25partition_config_selectorILNS1_17partition_subalgoE6EdNS0_10empty_typeEbEEZZNS1_14partition_implILS5_6ELb0ES3_mN6thrust23THRUST_200600_302600_NS6detail15normal_iteratorINSA_10device_ptrIdEEEEPS6_SG_NS0_5tupleIJSF_S6_EEENSH_IJSG_SG_EEES6_PlJ7is_evenIdEEEE10hipError_tPvRmT3_T4_T5_T6_T7_T9_mT8_P12ihipStream_tbDpT10_ENKUlT_T0_E_clISt17integral_constantIbLb0EES15_IbLb1EEEEDaS11_S12_EUlS11_E_NS1_11comp_targetILNS1_3genE3ELNS1_11target_archE908ELNS1_3gpuE7ELNS1_3repE0EEENS1_30default_config_static_selectorELNS0_4arch9wavefront6targetE0EEEvT1_,"axG",@progbits,_ZN7rocprim17ROCPRIM_400000_NS6detail17trampoline_kernelINS0_14default_configENS1_25partition_config_selectorILNS1_17partition_subalgoE6EdNS0_10empty_typeEbEEZZNS1_14partition_implILS5_6ELb0ES3_mN6thrust23THRUST_200600_302600_NS6detail15normal_iteratorINSA_10device_ptrIdEEEEPS6_SG_NS0_5tupleIJSF_S6_EEENSH_IJSG_SG_EEES6_PlJ7is_evenIdEEEE10hipError_tPvRmT3_T4_T5_T6_T7_T9_mT8_P12ihipStream_tbDpT10_ENKUlT_T0_E_clISt17integral_constantIbLb0EES15_IbLb1EEEEDaS11_S12_EUlS11_E_NS1_11comp_targetILNS1_3genE3ELNS1_11target_archE908ELNS1_3gpuE7ELNS1_3repE0EEENS1_30default_config_static_selectorELNS0_4arch9wavefront6targetE0EEEvT1_,comdat
	.protected	_ZN7rocprim17ROCPRIM_400000_NS6detail17trampoline_kernelINS0_14default_configENS1_25partition_config_selectorILNS1_17partition_subalgoE6EdNS0_10empty_typeEbEEZZNS1_14partition_implILS5_6ELb0ES3_mN6thrust23THRUST_200600_302600_NS6detail15normal_iteratorINSA_10device_ptrIdEEEEPS6_SG_NS0_5tupleIJSF_S6_EEENSH_IJSG_SG_EEES6_PlJ7is_evenIdEEEE10hipError_tPvRmT3_T4_T5_T6_T7_T9_mT8_P12ihipStream_tbDpT10_ENKUlT_T0_E_clISt17integral_constantIbLb0EES15_IbLb1EEEEDaS11_S12_EUlS11_E_NS1_11comp_targetILNS1_3genE3ELNS1_11target_archE908ELNS1_3gpuE7ELNS1_3repE0EEENS1_30default_config_static_selectorELNS0_4arch9wavefront6targetE0EEEvT1_ ; -- Begin function _ZN7rocprim17ROCPRIM_400000_NS6detail17trampoline_kernelINS0_14default_configENS1_25partition_config_selectorILNS1_17partition_subalgoE6EdNS0_10empty_typeEbEEZZNS1_14partition_implILS5_6ELb0ES3_mN6thrust23THRUST_200600_302600_NS6detail15normal_iteratorINSA_10device_ptrIdEEEEPS6_SG_NS0_5tupleIJSF_S6_EEENSH_IJSG_SG_EEES6_PlJ7is_evenIdEEEE10hipError_tPvRmT3_T4_T5_T6_T7_T9_mT8_P12ihipStream_tbDpT10_ENKUlT_T0_E_clISt17integral_constantIbLb0EES15_IbLb1EEEEDaS11_S12_EUlS11_E_NS1_11comp_targetILNS1_3genE3ELNS1_11target_archE908ELNS1_3gpuE7ELNS1_3repE0EEENS1_30default_config_static_selectorELNS0_4arch9wavefront6targetE0EEEvT1_
	.globl	_ZN7rocprim17ROCPRIM_400000_NS6detail17trampoline_kernelINS0_14default_configENS1_25partition_config_selectorILNS1_17partition_subalgoE6EdNS0_10empty_typeEbEEZZNS1_14partition_implILS5_6ELb0ES3_mN6thrust23THRUST_200600_302600_NS6detail15normal_iteratorINSA_10device_ptrIdEEEEPS6_SG_NS0_5tupleIJSF_S6_EEENSH_IJSG_SG_EEES6_PlJ7is_evenIdEEEE10hipError_tPvRmT3_T4_T5_T6_T7_T9_mT8_P12ihipStream_tbDpT10_ENKUlT_T0_E_clISt17integral_constantIbLb0EES15_IbLb1EEEEDaS11_S12_EUlS11_E_NS1_11comp_targetILNS1_3genE3ELNS1_11target_archE908ELNS1_3gpuE7ELNS1_3repE0EEENS1_30default_config_static_selectorELNS0_4arch9wavefront6targetE0EEEvT1_
	.p2align	8
	.type	_ZN7rocprim17ROCPRIM_400000_NS6detail17trampoline_kernelINS0_14default_configENS1_25partition_config_selectorILNS1_17partition_subalgoE6EdNS0_10empty_typeEbEEZZNS1_14partition_implILS5_6ELb0ES3_mN6thrust23THRUST_200600_302600_NS6detail15normal_iteratorINSA_10device_ptrIdEEEEPS6_SG_NS0_5tupleIJSF_S6_EEENSH_IJSG_SG_EEES6_PlJ7is_evenIdEEEE10hipError_tPvRmT3_T4_T5_T6_T7_T9_mT8_P12ihipStream_tbDpT10_ENKUlT_T0_E_clISt17integral_constantIbLb0EES15_IbLb1EEEEDaS11_S12_EUlS11_E_NS1_11comp_targetILNS1_3genE3ELNS1_11target_archE908ELNS1_3gpuE7ELNS1_3repE0EEENS1_30default_config_static_selectorELNS0_4arch9wavefront6targetE0EEEvT1_,@function
_ZN7rocprim17ROCPRIM_400000_NS6detail17trampoline_kernelINS0_14default_configENS1_25partition_config_selectorILNS1_17partition_subalgoE6EdNS0_10empty_typeEbEEZZNS1_14partition_implILS5_6ELb0ES3_mN6thrust23THRUST_200600_302600_NS6detail15normal_iteratorINSA_10device_ptrIdEEEEPS6_SG_NS0_5tupleIJSF_S6_EEENSH_IJSG_SG_EEES6_PlJ7is_evenIdEEEE10hipError_tPvRmT3_T4_T5_T6_T7_T9_mT8_P12ihipStream_tbDpT10_ENKUlT_T0_E_clISt17integral_constantIbLb0EES15_IbLb1EEEEDaS11_S12_EUlS11_E_NS1_11comp_targetILNS1_3genE3ELNS1_11target_archE908ELNS1_3gpuE7ELNS1_3repE0EEENS1_30default_config_static_selectorELNS0_4arch9wavefront6targetE0EEEvT1_: ; @_ZN7rocprim17ROCPRIM_400000_NS6detail17trampoline_kernelINS0_14default_configENS1_25partition_config_selectorILNS1_17partition_subalgoE6EdNS0_10empty_typeEbEEZZNS1_14partition_implILS5_6ELb0ES3_mN6thrust23THRUST_200600_302600_NS6detail15normal_iteratorINSA_10device_ptrIdEEEEPS6_SG_NS0_5tupleIJSF_S6_EEENSH_IJSG_SG_EEES6_PlJ7is_evenIdEEEE10hipError_tPvRmT3_T4_T5_T6_T7_T9_mT8_P12ihipStream_tbDpT10_ENKUlT_T0_E_clISt17integral_constantIbLb0EES15_IbLb1EEEEDaS11_S12_EUlS11_E_NS1_11comp_targetILNS1_3genE3ELNS1_11target_archE908ELNS1_3gpuE7ELNS1_3repE0EEENS1_30default_config_static_selectorELNS0_4arch9wavefront6targetE0EEEvT1_
; %bb.0:
	.section	.rodata,"a",@progbits
	.p2align	6, 0x0
	.amdhsa_kernel _ZN7rocprim17ROCPRIM_400000_NS6detail17trampoline_kernelINS0_14default_configENS1_25partition_config_selectorILNS1_17partition_subalgoE6EdNS0_10empty_typeEbEEZZNS1_14partition_implILS5_6ELb0ES3_mN6thrust23THRUST_200600_302600_NS6detail15normal_iteratorINSA_10device_ptrIdEEEEPS6_SG_NS0_5tupleIJSF_S6_EEENSH_IJSG_SG_EEES6_PlJ7is_evenIdEEEE10hipError_tPvRmT3_T4_T5_T6_T7_T9_mT8_P12ihipStream_tbDpT10_ENKUlT_T0_E_clISt17integral_constantIbLb0EES15_IbLb1EEEEDaS11_S12_EUlS11_E_NS1_11comp_targetILNS1_3genE3ELNS1_11target_archE908ELNS1_3gpuE7ELNS1_3repE0EEENS1_30default_config_static_selectorELNS0_4arch9wavefront6targetE0EEEvT1_
		.amdhsa_group_segment_fixed_size 0
		.amdhsa_private_segment_fixed_size 0
		.amdhsa_kernarg_size 128
		.amdhsa_user_sgpr_count 15
		.amdhsa_user_sgpr_dispatch_ptr 0
		.amdhsa_user_sgpr_queue_ptr 0
		.amdhsa_user_sgpr_kernarg_segment_ptr 1
		.amdhsa_user_sgpr_dispatch_id 0
		.amdhsa_user_sgpr_private_segment_size 0
		.amdhsa_wavefront_size32 1
		.amdhsa_uses_dynamic_stack 0
		.amdhsa_enable_private_segment 0
		.amdhsa_system_sgpr_workgroup_id_x 1
		.amdhsa_system_sgpr_workgroup_id_y 0
		.amdhsa_system_sgpr_workgroup_id_z 0
		.amdhsa_system_sgpr_workgroup_info 0
		.amdhsa_system_vgpr_workitem_id 0
		.amdhsa_next_free_vgpr 1
		.amdhsa_next_free_sgpr 1
		.amdhsa_reserve_vcc 0
		.amdhsa_float_round_mode_32 0
		.amdhsa_float_round_mode_16_64 0
		.amdhsa_float_denorm_mode_32 3
		.amdhsa_float_denorm_mode_16_64 3
		.amdhsa_dx10_clamp 1
		.amdhsa_ieee_mode 1
		.amdhsa_fp16_overflow 0
		.amdhsa_workgroup_processor_mode 1
		.amdhsa_memory_ordered 1
		.amdhsa_forward_progress 0
		.amdhsa_shared_vgpr_count 0
		.amdhsa_exception_fp_ieee_invalid_op 0
		.amdhsa_exception_fp_denorm_src 0
		.amdhsa_exception_fp_ieee_div_zero 0
		.amdhsa_exception_fp_ieee_overflow 0
		.amdhsa_exception_fp_ieee_underflow 0
		.amdhsa_exception_fp_ieee_inexact 0
		.amdhsa_exception_int_div_zero 0
	.end_amdhsa_kernel
	.section	.text._ZN7rocprim17ROCPRIM_400000_NS6detail17trampoline_kernelINS0_14default_configENS1_25partition_config_selectorILNS1_17partition_subalgoE6EdNS0_10empty_typeEbEEZZNS1_14partition_implILS5_6ELb0ES3_mN6thrust23THRUST_200600_302600_NS6detail15normal_iteratorINSA_10device_ptrIdEEEEPS6_SG_NS0_5tupleIJSF_S6_EEENSH_IJSG_SG_EEES6_PlJ7is_evenIdEEEE10hipError_tPvRmT3_T4_T5_T6_T7_T9_mT8_P12ihipStream_tbDpT10_ENKUlT_T0_E_clISt17integral_constantIbLb0EES15_IbLb1EEEEDaS11_S12_EUlS11_E_NS1_11comp_targetILNS1_3genE3ELNS1_11target_archE908ELNS1_3gpuE7ELNS1_3repE0EEENS1_30default_config_static_selectorELNS0_4arch9wavefront6targetE0EEEvT1_,"axG",@progbits,_ZN7rocprim17ROCPRIM_400000_NS6detail17trampoline_kernelINS0_14default_configENS1_25partition_config_selectorILNS1_17partition_subalgoE6EdNS0_10empty_typeEbEEZZNS1_14partition_implILS5_6ELb0ES3_mN6thrust23THRUST_200600_302600_NS6detail15normal_iteratorINSA_10device_ptrIdEEEEPS6_SG_NS0_5tupleIJSF_S6_EEENSH_IJSG_SG_EEES6_PlJ7is_evenIdEEEE10hipError_tPvRmT3_T4_T5_T6_T7_T9_mT8_P12ihipStream_tbDpT10_ENKUlT_T0_E_clISt17integral_constantIbLb0EES15_IbLb1EEEEDaS11_S12_EUlS11_E_NS1_11comp_targetILNS1_3genE3ELNS1_11target_archE908ELNS1_3gpuE7ELNS1_3repE0EEENS1_30default_config_static_selectorELNS0_4arch9wavefront6targetE0EEEvT1_,comdat
.Lfunc_end227:
	.size	_ZN7rocprim17ROCPRIM_400000_NS6detail17trampoline_kernelINS0_14default_configENS1_25partition_config_selectorILNS1_17partition_subalgoE6EdNS0_10empty_typeEbEEZZNS1_14partition_implILS5_6ELb0ES3_mN6thrust23THRUST_200600_302600_NS6detail15normal_iteratorINSA_10device_ptrIdEEEEPS6_SG_NS0_5tupleIJSF_S6_EEENSH_IJSG_SG_EEES6_PlJ7is_evenIdEEEE10hipError_tPvRmT3_T4_T5_T6_T7_T9_mT8_P12ihipStream_tbDpT10_ENKUlT_T0_E_clISt17integral_constantIbLb0EES15_IbLb1EEEEDaS11_S12_EUlS11_E_NS1_11comp_targetILNS1_3genE3ELNS1_11target_archE908ELNS1_3gpuE7ELNS1_3repE0EEENS1_30default_config_static_selectorELNS0_4arch9wavefront6targetE0EEEvT1_, .Lfunc_end227-_ZN7rocprim17ROCPRIM_400000_NS6detail17trampoline_kernelINS0_14default_configENS1_25partition_config_selectorILNS1_17partition_subalgoE6EdNS0_10empty_typeEbEEZZNS1_14partition_implILS5_6ELb0ES3_mN6thrust23THRUST_200600_302600_NS6detail15normal_iteratorINSA_10device_ptrIdEEEEPS6_SG_NS0_5tupleIJSF_S6_EEENSH_IJSG_SG_EEES6_PlJ7is_evenIdEEEE10hipError_tPvRmT3_T4_T5_T6_T7_T9_mT8_P12ihipStream_tbDpT10_ENKUlT_T0_E_clISt17integral_constantIbLb0EES15_IbLb1EEEEDaS11_S12_EUlS11_E_NS1_11comp_targetILNS1_3genE3ELNS1_11target_archE908ELNS1_3gpuE7ELNS1_3repE0EEENS1_30default_config_static_selectorELNS0_4arch9wavefront6targetE0EEEvT1_
                                        ; -- End function
	.section	.AMDGPU.csdata,"",@progbits
; Kernel info:
; codeLenInByte = 0
; NumSgprs: 0
; NumVgprs: 0
; ScratchSize: 0
; MemoryBound: 0
; FloatMode: 240
; IeeeMode: 1
; LDSByteSize: 0 bytes/workgroup (compile time only)
; SGPRBlocks: 0
; VGPRBlocks: 0
; NumSGPRsForWavesPerEU: 1
; NumVGPRsForWavesPerEU: 1
; Occupancy: 16
; WaveLimiterHint : 0
; COMPUTE_PGM_RSRC2:SCRATCH_EN: 0
; COMPUTE_PGM_RSRC2:USER_SGPR: 15
; COMPUTE_PGM_RSRC2:TRAP_HANDLER: 0
; COMPUTE_PGM_RSRC2:TGID_X_EN: 1
; COMPUTE_PGM_RSRC2:TGID_Y_EN: 0
; COMPUTE_PGM_RSRC2:TGID_Z_EN: 0
; COMPUTE_PGM_RSRC2:TIDIG_COMP_CNT: 0
	.section	.text._ZN7rocprim17ROCPRIM_400000_NS6detail17trampoline_kernelINS0_14default_configENS1_25partition_config_selectorILNS1_17partition_subalgoE6EdNS0_10empty_typeEbEEZZNS1_14partition_implILS5_6ELb0ES3_mN6thrust23THRUST_200600_302600_NS6detail15normal_iteratorINSA_10device_ptrIdEEEEPS6_SG_NS0_5tupleIJSF_S6_EEENSH_IJSG_SG_EEES6_PlJ7is_evenIdEEEE10hipError_tPvRmT3_T4_T5_T6_T7_T9_mT8_P12ihipStream_tbDpT10_ENKUlT_T0_E_clISt17integral_constantIbLb0EES15_IbLb1EEEEDaS11_S12_EUlS11_E_NS1_11comp_targetILNS1_3genE2ELNS1_11target_archE906ELNS1_3gpuE6ELNS1_3repE0EEENS1_30default_config_static_selectorELNS0_4arch9wavefront6targetE0EEEvT1_,"axG",@progbits,_ZN7rocprim17ROCPRIM_400000_NS6detail17trampoline_kernelINS0_14default_configENS1_25partition_config_selectorILNS1_17partition_subalgoE6EdNS0_10empty_typeEbEEZZNS1_14partition_implILS5_6ELb0ES3_mN6thrust23THRUST_200600_302600_NS6detail15normal_iteratorINSA_10device_ptrIdEEEEPS6_SG_NS0_5tupleIJSF_S6_EEENSH_IJSG_SG_EEES6_PlJ7is_evenIdEEEE10hipError_tPvRmT3_T4_T5_T6_T7_T9_mT8_P12ihipStream_tbDpT10_ENKUlT_T0_E_clISt17integral_constantIbLb0EES15_IbLb1EEEEDaS11_S12_EUlS11_E_NS1_11comp_targetILNS1_3genE2ELNS1_11target_archE906ELNS1_3gpuE6ELNS1_3repE0EEENS1_30default_config_static_selectorELNS0_4arch9wavefront6targetE0EEEvT1_,comdat
	.protected	_ZN7rocprim17ROCPRIM_400000_NS6detail17trampoline_kernelINS0_14default_configENS1_25partition_config_selectorILNS1_17partition_subalgoE6EdNS0_10empty_typeEbEEZZNS1_14partition_implILS5_6ELb0ES3_mN6thrust23THRUST_200600_302600_NS6detail15normal_iteratorINSA_10device_ptrIdEEEEPS6_SG_NS0_5tupleIJSF_S6_EEENSH_IJSG_SG_EEES6_PlJ7is_evenIdEEEE10hipError_tPvRmT3_T4_T5_T6_T7_T9_mT8_P12ihipStream_tbDpT10_ENKUlT_T0_E_clISt17integral_constantIbLb0EES15_IbLb1EEEEDaS11_S12_EUlS11_E_NS1_11comp_targetILNS1_3genE2ELNS1_11target_archE906ELNS1_3gpuE6ELNS1_3repE0EEENS1_30default_config_static_selectorELNS0_4arch9wavefront6targetE0EEEvT1_ ; -- Begin function _ZN7rocprim17ROCPRIM_400000_NS6detail17trampoline_kernelINS0_14default_configENS1_25partition_config_selectorILNS1_17partition_subalgoE6EdNS0_10empty_typeEbEEZZNS1_14partition_implILS5_6ELb0ES3_mN6thrust23THRUST_200600_302600_NS6detail15normal_iteratorINSA_10device_ptrIdEEEEPS6_SG_NS0_5tupleIJSF_S6_EEENSH_IJSG_SG_EEES6_PlJ7is_evenIdEEEE10hipError_tPvRmT3_T4_T5_T6_T7_T9_mT8_P12ihipStream_tbDpT10_ENKUlT_T0_E_clISt17integral_constantIbLb0EES15_IbLb1EEEEDaS11_S12_EUlS11_E_NS1_11comp_targetILNS1_3genE2ELNS1_11target_archE906ELNS1_3gpuE6ELNS1_3repE0EEENS1_30default_config_static_selectorELNS0_4arch9wavefront6targetE0EEEvT1_
	.globl	_ZN7rocprim17ROCPRIM_400000_NS6detail17trampoline_kernelINS0_14default_configENS1_25partition_config_selectorILNS1_17partition_subalgoE6EdNS0_10empty_typeEbEEZZNS1_14partition_implILS5_6ELb0ES3_mN6thrust23THRUST_200600_302600_NS6detail15normal_iteratorINSA_10device_ptrIdEEEEPS6_SG_NS0_5tupleIJSF_S6_EEENSH_IJSG_SG_EEES6_PlJ7is_evenIdEEEE10hipError_tPvRmT3_T4_T5_T6_T7_T9_mT8_P12ihipStream_tbDpT10_ENKUlT_T0_E_clISt17integral_constantIbLb0EES15_IbLb1EEEEDaS11_S12_EUlS11_E_NS1_11comp_targetILNS1_3genE2ELNS1_11target_archE906ELNS1_3gpuE6ELNS1_3repE0EEENS1_30default_config_static_selectorELNS0_4arch9wavefront6targetE0EEEvT1_
	.p2align	8
	.type	_ZN7rocprim17ROCPRIM_400000_NS6detail17trampoline_kernelINS0_14default_configENS1_25partition_config_selectorILNS1_17partition_subalgoE6EdNS0_10empty_typeEbEEZZNS1_14partition_implILS5_6ELb0ES3_mN6thrust23THRUST_200600_302600_NS6detail15normal_iteratorINSA_10device_ptrIdEEEEPS6_SG_NS0_5tupleIJSF_S6_EEENSH_IJSG_SG_EEES6_PlJ7is_evenIdEEEE10hipError_tPvRmT3_T4_T5_T6_T7_T9_mT8_P12ihipStream_tbDpT10_ENKUlT_T0_E_clISt17integral_constantIbLb0EES15_IbLb1EEEEDaS11_S12_EUlS11_E_NS1_11comp_targetILNS1_3genE2ELNS1_11target_archE906ELNS1_3gpuE6ELNS1_3repE0EEENS1_30default_config_static_selectorELNS0_4arch9wavefront6targetE0EEEvT1_,@function
_ZN7rocprim17ROCPRIM_400000_NS6detail17trampoline_kernelINS0_14default_configENS1_25partition_config_selectorILNS1_17partition_subalgoE6EdNS0_10empty_typeEbEEZZNS1_14partition_implILS5_6ELb0ES3_mN6thrust23THRUST_200600_302600_NS6detail15normal_iteratorINSA_10device_ptrIdEEEEPS6_SG_NS0_5tupleIJSF_S6_EEENSH_IJSG_SG_EEES6_PlJ7is_evenIdEEEE10hipError_tPvRmT3_T4_T5_T6_T7_T9_mT8_P12ihipStream_tbDpT10_ENKUlT_T0_E_clISt17integral_constantIbLb0EES15_IbLb1EEEEDaS11_S12_EUlS11_E_NS1_11comp_targetILNS1_3genE2ELNS1_11target_archE906ELNS1_3gpuE6ELNS1_3repE0EEENS1_30default_config_static_selectorELNS0_4arch9wavefront6targetE0EEEvT1_: ; @_ZN7rocprim17ROCPRIM_400000_NS6detail17trampoline_kernelINS0_14default_configENS1_25partition_config_selectorILNS1_17partition_subalgoE6EdNS0_10empty_typeEbEEZZNS1_14partition_implILS5_6ELb0ES3_mN6thrust23THRUST_200600_302600_NS6detail15normal_iteratorINSA_10device_ptrIdEEEEPS6_SG_NS0_5tupleIJSF_S6_EEENSH_IJSG_SG_EEES6_PlJ7is_evenIdEEEE10hipError_tPvRmT3_T4_T5_T6_T7_T9_mT8_P12ihipStream_tbDpT10_ENKUlT_T0_E_clISt17integral_constantIbLb0EES15_IbLb1EEEEDaS11_S12_EUlS11_E_NS1_11comp_targetILNS1_3genE2ELNS1_11target_archE906ELNS1_3gpuE6ELNS1_3repE0EEENS1_30default_config_static_selectorELNS0_4arch9wavefront6targetE0EEEvT1_
; %bb.0:
	.section	.rodata,"a",@progbits
	.p2align	6, 0x0
	.amdhsa_kernel _ZN7rocprim17ROCPRIM_400000_NS6detail17trampoline_kernelINS0_14default_configENS1_25partition_config_selectorILNS1_17partition_subalgoE6EdNS0_10empty_typeEbEEZZNS1_14partition_implILS5_6ELb0ES3_mN6thrust23THRUST_200600_302600_NS6detail15normal_iteratorINSA_10device_ptrIdEEEEPS6_SG_NS0_5tupleIJSF_S6_EEENSH_IJSG_SG_EEES6_PlJ7is_evenIdEEEE10hipError_tPvRmT3_T4_T5_T6_T7_T9_mT8_P12ihipStream_tbDpT10_ENKUlT_T0_E_clISt17integral_constantIbLb0EES15_IbLb1EEEEDaS11_S12_EUlS11_E_NS1_11comp_targetILNS1_3genE2ELNS1_11target_archE906ELNS1_3gpuE6ELNS1_3repE0EEENS1_30default_config_static_selectorELNS0_4arch9wavefront6targetE0EEEvT1_
		.amdhsa_group_segment_fixed_size 0
		.amdhsa_private_segment_fixed_size 0
		.amdhsa_kernarg_size 128
		.amdhsa_user_sgpr_count 15
		.amdhsa_user_sgpr_dispatch_ptr 0
		.amdhsa_user_sgpr_queue_ptr 0
		.amdhsa_user_sgpr_kernarg_segment_ptr 1
		.amdhsa_user_sgpr_dispatch_id 0
		.amdhsa_user_sgpr_private_segment_size 0
		.amdhsa_wavefront_size32 1
		.amdhsa_uses_dynamic_stack 0
		.amdhsa_enable_private_segment 0
		.amdhsa_system_sgpr_workgroup_id_x 1
		.amdhsa_system_sgpr_workgroup_id_y 0
		.amdhsa_system_sgpr_workgroup_id_z 0
		.amdhsa_system_sgpr_workgroup_info 0
		.amdhsa_system_vgpr_workitem_id 0
		.amdhsa_next_free_vgpr 1
		.amdhsa_next_free_sgpr 1
		.amdhsa_reserve_vcc 0
		.amdhsa_float_round_mode_32 0
		.amdhsa_float_round_mode_16_64 0
		.amdhsa_float_denorm_mode_32 3
		.amdhsa_float_denorm_mode_16_64 3
		.amdhsa_dx10_clamp 1
		.amdhsa_ieee_mode 1
		.amdhsa_fp16_overflow 0
		.amdhsa_workgroup_processor_mode 1
		.amdhsa_memory_ordered 1
		.amdhsa_forward_progress 0
		.amdhsa_shared_vgpr_count 0
		.amdhsa_exception_fp_ieee_invalid_op 0
		.amdhsa_exception_fp_denorm_src 0
		.amdhsa_exception_fp_ieee_div_zero 0
		.amdhsa_exception_fp_ieee_overflow 0
		.amdhsa_exception_fp_ieee_underflow 0
		.amdhsa_exception_fp_ieee_inexact 0
		.amdhsa_exception_int_div_zero 0
	.end_amdhsa_kernel
	.section	.text._ZN7rocprim17ROCPRIM_400000_NS6detail17trampoline_kernelINS0_14default_configENS1_25partition_config_selectorILNS1_17partition_subalgoE6EdNS0_10empty_typeEbEEZZNS1_14partition_implILS5_6ELb0ES3_mN6thrust23THRUST_200600_302600_NS6detail15normal_iteratorINSA_10device_ptrIdEEEEPS6_SG_NS0_5tupleIJSF_S6_EEENSH_IJSG_SG_EEES6_PlJ7is_evenIdEEEE10hipError_tPvRmT3_T4_T5_T6_T7_T9_mT8_P12ihipStream_tbDpT10_ENKUlT_T0_E_clISt17integral_constantIbLb0EES15_IbLb1EEEEDaS11_S12_EUlS11_E_NS1_11comp_targetILNS1_3genE2ELNS1_11target_archE906ELNS1_3gpuE6ELNS1_3repE0EEENS1_30default_config_static_selectorELNS0_4arch9wavefront6targetE0EEEvT1_,"axG",@progbits,_ZN7rocprim17ROCPRIM_400000_NS6detail17trampoline_kernelINS0_14default_configENS1_25partition_config_selectorILNS1_17partition_subalgoE6EdNS0_10empty_typeEbEEZZNS1_14partition_implILS5_6ELb0ES3_mN6thrust23THRUST_200600_302600_NS6detail15normal_iteratorINSA_10device_ptrIdEEEEPS6_SG_NS0_5tupleIJSF_S6_EEENSH_IJSG_SG_EEES6_PlJ7is_evenIdEEEE10hipError_tPvRmT3_T4_T5_T6_T7_T9_mT8_P12ihipStream_tbDpT10_ENKUlT_T0_E_clISt17integral_constantIbLb0EES15_IbLb1EEEEDaS11_S12_EUlS11_E_NS1_11comp_targetILNS1_3genE2ELNS1_11target_archE906ELNS1_3gpuE6ELNS1_3repE0EEENS1_30default_config_static_selectorELNS0_4arch9wavefront6targetE0EEEvT1_,comdat
.Lfunc_end228:
	.size	_ZN7rocprim17ROCPRIM_400000_NS6detail17trampoline_kernelINS0_14default_configENS1_25partition_config_selectorILNS1_17partition_subalgoE6EdNS0_10empty_typeEbEEZZNS1_14partition_implILS5_6ELb0ES3_mN6thrust23THRUST_200600_302600_NS6detail15normal_iteratorINSA_10device_ptrIdEEEEPS6_SG_NS0_5tupleIJSF_S6_EEENSH_IJSG_SG_EEES6_PlJ7is_evenIdEEEE10hipError_tPvRmT3_T4_T5_T6_T7_T9_mT8_P12ihipStream_tbDpT10_ENKUlT_T0_E_clISt17integral_constantIbLb0EES15_IbLb1EEEEDaS11_S12_EUlS11_E_NS1_11comp_targetILNS1_3genE2ELNS1_11target_archE906ELNS1_3gpuE6ELNS1_3repE0EEENS1_30default_config_static_selectorELNS0_4arch9wavefront6targetE0EEEvT1_, .Lfunc_end228-_ZN7rocprim17ROCPRIM_400000_NS6detail17trampoline_kernelINS0_14default_configENS1_25partition_config_selectorILNS1_17partition_subalgoE6EdNS0_10empty_typeEbEEZZNS1_14partition_implILS5_6ELb0ES3_mN6thrust23THRUST_200600_302600_NS6detail15normal_iteratorINSA_10device_ptrIdEEEEPS6_SG_NS0_5tupleIJSF_S6_EEENSH_IJSG_SG_EEES6_PlJ7is_evenIdEEEE10hipError_tPvRmT3_T4_T5_T6_T7_T9_mT8_P12ihipStream_tbDpT10_ENKUlT_T0_E_clISt17integral_constantIbLb0EES15_IbLb1EEEEDaS11_S12_EUlS11_E_NS1_11comp_targetILNS1_3genE2ELNS1_11target_archE906ELNS1_3gpuE6ELNS1_3repE0EEENS1_30default_config_static_selectorELNS0_4arch9wavefront6targetE0EEEvT1_
                                        ; -- End function
	.section	.AMDGPU.csdata,"",@progbits
; Kernel info:
; codeLenInByte = 0
; NumSgprs: 0
; NumVgprs: 0
; ScratchSize: 0
; MemoryBound: 0
; FloatMode: 240
; IeeeMode: 1
; LDSByteSize: 0 bytes/workgroup (compile time only)
; SGPRBlocks: 0
; VGPRBlocks: 0
; NumSGPRsForWavesPerEU: 1
; NumVGPRsForWavesPerEU: 1
; Occupancy: 16
; WaveLimiterHint : 0
; COMPUTE_PGM_RSRC2:SCRATCH_EN: 0
; COMPUTE_PGM_RSRC2:USER_SGPR: 15
; COMPUTE_PGM_RSRC2:TRAP_HANDLER: 0
; COMPUTE_PGM_RSRC2:TGID_X_EN: 1
; COMPUTE_PGM_RSRC2:TGID_Y_EN: 0
; COMPUTE_PGM_RSRC2:TGID_Z_EN: 0
; COMPUTE_PGM_RSRC2:TIDIG_COMP_CNT: 0
	.section	.text._ZN7rocprim17ROCPRIM_400000_NS6detail17trampoline_kernelINS0_14default_configENS1_25partition_config_selectorILNS1_17partition_subalgoE6EdNS0_10empty_typeEbEEZZNS1_14partition_implILS5_6ELb0ES3_mN6thrust23THRUST_200600_302600_NS6detail15normal_iteratorINSA_10device_ptrIdEEEEPS6_SG_NS0_5tupleIJSF_S6_EEENSH_IJSG_SG_EEES6_PlJ7is_evenIdEEEE10hipError_tPvRmT3_T4_T5_T6_T7_T9_mT8_P12ihipStream_tbDpT10_ENKUlT_T0_E_clISt17integral_constantIbLb0EES15_IbLb1EEEEDaS11_S12_EUlS11_E_NS1_11comp_targetILNS1_3genE10ELNS1_11target_archE1200ELNS1_3gpuE4ELNS1_3repE0EEENS1_30default_config_static_selectorELNS0_4arch9wavefront6targetE0EEEvT1_,"axG",@progbits,_ZN7rocprim17ROCPRIM_400000_NS6detail17trampoline_kernelINS0_14default_configENS1_25partition_config_selectorILNS1_17partition_subalgoE6EdNS0_10empty_typeEbEEZZNS1_14partition_implILS5_6ELb0ES3_mN6thrust23THRUST_200600_302600_NS6detail15normal_iteratorINSA_10device_ptrIdEEEEPS6_SG_NS0_5tupleIJSF_S6_EEENSH_IJSG_SG_EEES6_PlJ7is_evenIdEEEE10hipError_tPvRmT3_T4_T5_T6_T7_T9_mT8_P12ihipStream_tbDpT10_ENKUlT_T0_E_clISt17integral_constantIbLb0EES15_IbLb1EEEEDaS11_S12_EUlS11_E_NS1_11comp_targetILNS1_3genE10ELNS1_11target_archE1200ELNS1_3gpuE4ELNS1_3repE0EEENS1_30default_config_static_selectorELNS0_4arch9wavefront6targetE0EEEvT1_,comdat
	.protected	_ZN7rocprim17ROCPRIM_400000_NS6detail17trampoline_kernelINS0_14default_configENS1_25partition_config_selectorILNS1_17partition_subalgoE6EdNS0_10empty_typeEbEEZZNS1_14partition_implILS5_6ELb0ES3_mN6thrust23THRUST_200600_302600_NS6detail15normal_iteratorINSA_10device_ptrIdEEEEPS6_SG_NS0_5tupleIJSF_S6_EEENSH_IJSG_SG_EEES6_PlJ7is_evenIdEEEE10hipError_tPvRmT3_T4_T5_T6_T7_T9_mT8_P12ihipStream_tbDpT10_ENKUlT_T0_E_clISt17integral_constantIbLb0EES15_IbLb1EEEEDaS11_S12_EUlS11_E_NS1_11comp_targetILNS1_3genE10ELNS1_11target_archE1200ELNS1_3gpuE4ELNS1_3repE0EEENS1_30default_config_static_selectorELNS0_4arch9wavefront6targetE0EEEvT1_ ; -- Begin function _ZN7rocprim17ROCPRIM_400000_NS6detail17trampoline_kernelINS0_14default_configENS1_25partition_config_selectorILNS1_17partition_subalgoE6EdNS0_10empty_typeEbEEZZNS1_14partition_implILS5_6ELb0ES3_mN6thrust23THRUST_200600_302600_NS6detail15normal_iteratorINSA_10device_ptrIdEEEEPS6_SG_NS0_5tupleIJSF_S6_EEENSH_IJSG_SG_EEES6_PlJ7is_evenIdEEEE10hipError_tPvRmT3_T4_T5_T6_T7_T9_mT8_P12ihipStream_tbDpT10_ENKUlT_T0_E_clISt17integral_constantIbLb0EES15_IbLb1EEEEDaS11_S12_EUlS11_E_NS1_11comp_targetILNS1_3genE10ELNS1_11target_archE1200ELNS1_3gpuE4ELNS1_3repE0EEENS1_30default_config_static_selectorELNS0_4arch9wavefront6targetE0EEEvT1_
	.globl	_ZN7rocprim17ROCPRIM_400000_NS6detail17trampoline_kernelINS0_14default_configENS1_25partition_config_selectorILNS1_17partition_subalgoE6EdNS0_10empty_typeEbEEZZNS1_14partition_implILS5_6ELb0ES3_mN6thrust23THRUST_200600_302600_NS6detail15normal_iteratorINSA_10device_ptrIdEEEEPS6_SG_NS0_5tupleIJSF_S6_EEENSH_IJSG_SG_EEES6_PlJ7is_evenIdEEEE10hipError_tPvRmT3_T4_T5_T6_T7_T9_mT8_P12ihipStream_tbDpT10_ENKUlT_T0_E_clISt17integral_constantIbLb0EES15_IbLb1EEEEDaS11_S12_EUlS11_E_NS1_11comp_targetILNS1_3genE10ELNS1_11target_archE1200ELNS1_3gpuE4ELNS1_3repE0EEENS1_30default_config_static_selectorELNS0_4arch9wavefront6targetE0EEEvT1_
	.p2align	8
	.type	_ZN7rocprim17ROCPRIM_400000_NS6detail17trampoline_kernelINS0_14default_configENS1_25partition_config_selectorILNS1_17partition_subalgoE6EdNS0_10empty_typeEbEEZZNS1_14partition_implILS5_6ELb0ES3_mN6thrust23THRUST_200600_302600_NS6detail15normal_iteratorINSA_10device_ptrIdEEEEPS6_SG_NS0_5tupleIJSF_S6_EEENSH_IJSG_SG_EEES6_PlJ7is_evenIdEEEE10hipError_tPvRmT3_T4_T5_T6_T7_T9_mT8_P12ihipStream_tbDpT10_ENKUlT_T0_E_clISt17integral_constantIbLb0EES15_IbLb1EEEEDaS11_S12_EUlS11_E_NS1_11comp_targetILNS1_3genE10ELNS1_11target_archE1200ELNS1_3gpuE4ELNS1_3repE0EEENS1_30default_config_static_selectorELNS0_4arch9wavefront6targetE0EEEvT1_,@function
_ZN7rocprim17ROCPRIM_400000_NS6detail17trampoline_kernelINS0_14default_configENS1_25partition_config_selectorILNS1_17partition_subalgoE6EdNS0_10empty_typeEbEEZZNS1_14partition_implILS5_6ELb0ES3_mN6thrust23THRUST_200600_302600_NS6detail15normal_iteratorINSA_10device_ptrIdEEEEPS6_SG_NS0_5tupleIJSF_S6_EEENSH_IJSG_SG_EEES6_PlJ7is_evenIdEEEE10hipError_tPvRmT3_T4_T5_T6_T7_T9_mT8_P12ihipStream_tbDpT10_ENKUlT_T0_E_clISt17integral_constantIbLb0EES15_IbLb1EEEEDaS11_S12_EUlS11_E_NS1_11comp_targetILNS1_3genE10ELNS1_11target_archE1200ELNS1_3gpuE4ELNS1_3repE0EEENS1_30default_config_static_selectorELNS0_4arch9wavefront6targetE0EEEvT1_: ; @_ZN7rocprim17ROCPRIM_400000_NS6detail17trampoline_kernelINS0_14default_configENS1_25partition_config_selectorILNS1_17partition_subalgoE6EdNS0_10empty_typeEbEEZZNS1_14partition_implILS5_6ELb0ES3_mN6thrust23THRUST_200600_302600_NS6detail15normal_iteratorINSA_10device_ptrIdEEEEPS6_SG_NS0_5tupleIJSF_S6_EEENSH_IJSG_SG_EEES6_PlJ7is_evenIdEEEE10hipError_tPvRmT3_T4_T5_T6_T7_T9_mT8_P12ihipStream_tbDpT10_ENKUlT_T0_E_clISt17integral_constantIbLb0EES15_IbLb1EEEEDaS11_S12_EUlS11_E_NS1_11comp_targetILNS1_3genE10ELNS1_11target_archE1200ELNS1_3gpuE4ELNS1_3repE0EEENS1_30default_config_static_selectorELNS0_4arch9wavefront6targetE0EEEvT1_
; %bb.0:
	.section	.rodata,"a",@progbits
	.p2align	6, 0x0
	.amdhsa_kernel _ZN7rocprim17ROCPRIM_400000_NS6detail17trampoline_kernelINS0_14default_configENS1_25partition_config_selectorILNS1_17partition_subalgoE6EdNS0_10empty_typeEbEEZZNS1_14partition_implILS5_6ELb0ES3_mN6thrust23THRUST_200600_302600_NS6detail15normal_iteratorINSA_10device_ptrIdEEEEPS6_SG_NS0_5tupleIJSF_S6_EEENSH_IJSG_SG_EEES6_PlJ7is_evenIdEEEE10hipError_tPvRmT3_T4_T5_T6_T7_T9_mT8_P12ihipStream_tbDpT10_ENKUlT_T0_E_clISt17integral_constantIbLb0EES15_IbLb1EEEEDaS11_S12_EUlS11_E_NS1_11comp_targetILNS1_3genE10ELNS1_11target_archE1200ELNS1_3gpuE4ELNS1_3repE0EEENS1_30default_config_static_selectorELNS0_4arch9wavefront6targetE0EEEvT1_
		.amdhsa_group_segment_fixed_size 0
		.amdhsa_private_segment_fixed_size 0
		.amdhsa_kernarg_size 128
		.amdhsa_user_sgpr_count 15
		.amdhsa_user_sgpr_dispatch_ptr 0
		.amdhsa_user_sgpr_queue_ptr 0
		.amdhsa_user_sgpr_kernarg_segment_ptr 1
		.amdhsa_user_sgpr_dispatch_id 0
		.amdhsa_user_sgpr_private_segment_size 0
		.amdhsa_wavefront_size32 1
		.amdhsa_uses_dynamic_stack 0
		.amdhsa_enable_private_segment 0
		.amdhsa_system_sgpr_workgroup_id_x 1
		.amdhsa_system_sgpr_workgroup_id_y 0
		.amdhsa_system_sgpr_workgroup_id_z 0
		.amdhsa_system_sgpr_workgroup_info 0
		.amdhsa_system_vgpr_workitem_id 0
		.amdhsa_next_free_vgpr 1
		.amdhsa_next_free_sgpr 1
		.amdhsa_reserve_vcc 0
		.amdhsa_float_round_mode_32 0
		.amdhsa_float_round_mode_16_64 0
		.amdhsa_float_denorm_mode_32 3
		.amdhsa_float_denorm_mode_16_64 3
		.amdhsa_dx10_clamp 1
		.amdhsa_ieee_mode 1
		.amdhsa_fp16_overflow 0
		.amdhsa_workgroup_processor_mode 1
		.amdhsa_memory_ordered 1
		.amdhsa_forward_progress 0
		.amdhsa_shared_vgpr_count 0
		.amdhsa_exception_fp_ieee_invalid_op 0
		.amdhsa_exception_fp_denorm_src 0
		.amdhsa_exception_fp_ieee_div_zero 0
		.amdhsa_exception_fp_ieee_overflow 0
		.amdhsa_exception_fp_ieee_underflow 0
		.amdhsa_exception_fp_ieee_inexact 0
		.amdhsa_exception_int_div_zero 0
	.end_amdhsa_kernel
	.section	.text._ZN7rocprim17ROCPRIM_400000_NS6detail17trampoline_kernelINS0_14default_configENS1_25partition_config_selectorILNS1_17partition_subalgoE6EdNS0_10empty_typeEbEEZZNS1_14partition_implILS5_6ELb0ES3_mN6thrust23THRUST_200600_302600_NS6detail15normal_iteratorINSA_10device_ptrIdEEEEPS6_SG_NS0_5tupleIJSF_S6_EEENSH_IJSG_SG_EEES6_PlJ7is_evenIdEEEE10hipError_tPvRmT3_T4_T5_T6_T7_T9_mT8_P12ihipStream_tbDpT10_ENKUlT_T0_E_clISt17integral_constantIbLb0EES15_IbLb1EEEEDaS11_S12_EUlS11_E_NS1_11comp_targetILNS1_3genE10ELNS1_11target_archE1200ELNS1_3gpuE4ELNS1_3repE0EEENS1_30default_config_static_selectorELNS0_4arch9wavefront6targetE0EEEvT1_,"axG",@progbits,_ZN7rocprim17ROCPRIM_400000_NS6detail17trampoline_kernelINS0_14default_configENS1_25partition_config_selectorILNS1_17partition_subalgoE6EdNS0_10empty_typeEbEEZZNS1_14partition_implILS5_6ELb0ES3_mN6thrust23THRUST_200600_302600_NS6detail15normal_iteratorINSA_10device_ptrIdEEEEPS6_SG_NS0_5tupleIJSF_S6_EEENSH_IJSG_SG_EEES6_PlJ7is_evenIdEEEE10hipError_tPvRmT3_T4_T5_T6_T7_T9_mT8_P12ihipStream_tbDpT10_ENKUlT_T0_E_clISt17integral_constantIbLb0EES15_IbLb1EEEEDaS11_S12_EUlS11_E_NS1_11comp_targetILNS1_3genE10ELNS1_11target_archE1200ELNS1_3gpuE4ELNS1_3repE0EEENS1_30default_config_static_selectorELNS0_4arch9wavefront6targetE0EEEvT1_,comdat
.Lfunc_end229:
	.size	_ZN7rocprim17ROCPRIM_400000_NS6detail17trampoline_kernelINS0_14default_configENS1_25partition_config_selectorILNS1_17partition_subalgoE6EdNS0_10empty_typeEbEEZZNS1_14partition_implILS5_6ELb0ES3_mN6thrust23THRUST_200600_302600_NS6detail15normal_iteratorINSA_10device_ptrIdEEEEPS6_SG_NS0_5tupleIJSF_S6_EEENSH_IJSG_SG_EEES6_PlJ7is_evenIdEEEE10hipError_tPvRmT3_T4_T5_T6_T7_T9_mT8_P12ihipStream_tbDpT10_ENKUlT_T0_E_clISt17integral_constantIbLb0EES15_IbLb1EEEEDaS11_S12_EUlS11_E_NS1_11comp_targetILNS1_3genE10ELNS1_11target_archE1200ELNS1_3gpuE4ELNS1_3repE0EEENS1_30default_config_static_selectorELNS0_4arch9wavefront6targetE0EEEvT1_, .Lfunc_end229-_ZN7rocprim17ROCPRIM_400000_NS6detail17trampoline_kernelINS0_14default_configENS1_25partition_config_selectorILNS1_17partition_subalgoE6EdNS0_10empty_typeEbEEZZNS1_14partition_implILS5_6ELb0ES3_mN6thrust23THRUST_200600_302600_NS6detail15normal_iteratorINSA_10device_ptrIdEEEEPS6_SG_NS0_5tupleIJSF_S6_EEENSH_IJSG_SG_EEES6_PlJ7is_evenIdEEEE10hipError_tPvRmT3_T4_T5_T6_T7_T9_mT8_P12ihipStream_tbDpT10_ENKUlT_T0_E_clISt17integral_constantIbLb0EES15_IbLb1EEEEDaS11_S12_EUlS11_E_NS1_11comp_targetILNS1_3genE10ELNS1_11target_archE1200ELNS1_3gpuE4ELNS1_3repE0EEENS1_30default_config_static_selectorELNS0_4arch9wavefront6targetE0EEEvT1_
                                        ; -- End function
	.section	.AMDGPU.csdata,"",@progbits
; Kernel info:
; codeLenInByte = 0
; NumSgprs: 0
; NumVgprs: 0
; ScratchSize: 0
; MemoryBound: 0
; FloatMode: 240
; IeeeMode: 1
; LDSByteSize: 0 bytes/workgroup (compile time only)
; SGPRBlocks: 0
; VGPRBlocks: 0
; NumSGPRsForWavesPerEU: 1
; NumVGPRsForWavesPerEU: 1
; Occupancy: 16
; WaveLimiterHint : 0
; COMPUTE_PGM_RSRC2:SCRATCH_EN: 0
; COMPUTE_PGM_RSRC2:USER_SGPR: 15
; COMPUTE_PGM_RSRC2:TRAP_HANDLER: 0
; COMPUTE_PGM_RSRC2:TGID_X_EN: 1
; COMPUTE_PGM_RSRC2:TGID_Y_EN: 0
; COMPUTE_PGM_RSRC2:TGID_Z_EN: 0
; COMPUTE_PGM_RSRC2:TIDIG_COMP_CNT: 0
	.section	.text._ZN7rocprim17ROCPRIM_400000_NS6detail17trampoline_kernelINS0_14default_configENS1_25partition_config_selectorILNS1_17partition_subalgoE6EdNS0_10empty_typeEbEEZZNS1_14partition_implILS5_6ELb0ES3_mN6thrust23THRUST_200600_302600_NS6detail15normal_iteratorINSA_10device_ptrIdEEEEPS6_SG_NS0_5tupleIJSF_S6_EEENSH_IJSG_SG_EEES6_PlJ7is_evenIdEEEE10hipError_tPvRmT3_T4_T5_T6_T7_T9_mT8_P12ihipStream_tbDpT10_ENKUlT_T0_E_clISt17integral_constantIbLb0EES15_IbLb1EEEEDaS11_S12_EUlS11_E_NS1_11comp_targetILNS1_3genE9ELNS1_11target_archE1100ELNS1_3gpuE3ELNS1_3repE0EEENS1_30default_config_static_selectorELNS0_4arch9wavefront6targetE0EEEvT1_,"axG",@progbits,_ZN7rocprim17ROCPRIM_400000_NS6detail17trampoline_kernelINS0_14default_configENS1_25partition_config_selectorILNS1_17partition_subalgoE6EdNS0_10empty_typeEbEEZZNS1_14partition_implILS5_6ELb0ES3_mN6thrust23THRUST_200600_302600_NS6detail15normal_iteratorINSA_10device_ptrIdEEEEPS6_SG_NS0_5tupleIJSF_S6_EEENSH_IJSG_SG_EEES6_PlJ7is_evenIdEEEE10hipError_tPvRmT3_T4_T5_T6_T7_T9_mT8_P12ihipStream_tbDpT10_ENKUlT_T0_E_clISt17integral_constantIbLb0EES15_IbLb1EEEEDaS11_S12_EUlS11_E_NS1_11comp_targetILNS1_3genE9ELNS1_11target_archE1100ELNS1_3gpuE3ELNS1_3repE0EEENS1_30default_config_static_selectorELNS0_4arch9wavefront6targetE0EEEvT1_,comdat
	.protected	_ZN7rocprim17ROCPRIM_400000_NS6detail17trampoline_kernelINS0_14default_configENS1_25partition_config_selectorILNS1_17partition_subalgoE6EdNS0_10empty_typeEbEEZZNS1_14partition_implILS5_6ELb0ES3_mN6thrust23THRUST_200600_302600_NS6detail15normal_iteratorINSA_10device_ptrIdEEEEPS6_SG_NS0_5tupleIJSF_S6_EEENSH_IJSG_SG_EEES6_PlJ7is_evenIdEEEE10hipError_tPvRmT3_T4_T5_T6_T7_T9_mT8_P12ihipStream_tbDpT10_ENKUlT_T0_E_clISt17integral_constantIbLb0EES15_IbLb1EEEEDaS11_S12_EUlS11_E_NS1_11comp_targetILNS1_3genE9ELNS1_11target_archE1100ELNS1_3gpuE3ELNS1_3repE0EEENS1_30default_config_static_selectorELNS0_4arch9wavefront6targetE0EEEvT1_ ; -- Begin function _ZN7rocprim17ROCPRIM_400000_NS6detail17trampoline_kernelINS0_14default_configENS1_25partition_config_selectorILNS1_17partition_subalgoE6EdNS0_10empty_typeEbEEZZNS1_14partition_implILS5_6ELb0ES3_mN6thrust23THRUST_200600_302600_NS6detail15normal_iteratorINSA_10device_ptrIdEEEEPS6_SG_NS0_5tupleIJSF_S6_EEENSH_IJSG_SG_EEES6_PlJ7is_evenIdEEEE10hipError_tPvRmT3_T4_T5_T6_T7_T9_mT8_P12ihipStream_tbDpT10_ENKUlT_T0_E_clISt17integral_constantIbLb0EES15_IbLb1EEEEDaS11_S12_EUlS11_E_NS1_11comp_targetILNS1_3genE9ELNS1_11target_archE1100ELNS1_3gpuE3ELNS1_3repE0EEENS1_30default_config_static_selectorELNS0_4arch9wavefront6targetE0EEEvT1_
	.globl	_ZN7rocprim17ROCPRIM_400000_NS6detail17trampoline_kernelINS0_14default_configENS1_25partition_config_selectorILNS1_17partition_subalgoE6EdNS0_10empty_typeEbEEZZNS1_14partition_implILS5_6ELb0ES3_mN6thrust23THRUST_200600_302600_NS6detail15normal_iteratorINSA_10device_ptrIdEEEEPS6_SG_NS0_5tupleIJSF_S6_EEENSH_IJSG_SG_EEES6_PlJ7is_evenIdEEEE10hipError_tPvRmT3_T4_T5_T6_T7_T9_mT8_P12ihipStream_tbDpT10_ENKUlT_T0_E_clISt17integral_constantIbLb0EES15_IbLb1EEEEDaS11_S12_EUlS11_E_NS1_11comp_targetILNS1_3genE9ELNS1_11target_archE1100ELNS1_3gpuE3ELNS1_3repE0EEENS1_30default_config_static_selectorELNS0_4arch9wavefront6targetE0EEEvT1_
	.p2align	8
	.type	_ZN7rocprim17ROCPRIM_400000_NS6detail17trampoline_kernelINS0_14default_configENS1_25partition_config_selectorILNS1_17partition_subalgoE6EdNS0_10empty_typeEbEEZZNS1_14partition_implILS5_6ELb0ES3_mN6thrust23THRUST_200600_302600_NS6detail15normal_iteratorINSA_10device_ptrIdEEEEPS6_SG_NS0_5tupleIJSF_S6_EEENSH_IJSG_SG_EEES6_PlJ7is_evenIdEEEE10hipError_tPvRmT3_T4_T5_T6_T7_T9_mT8_P12ihipStream_tbDpT10_ENKUlT_T0_E_clISt17integral_constantIbLb0EES15_IbLb1EEEEDaS11_S12_EUlS11_E_NS1_11comp_targetILNS1_3genE9ELNS1_11target_archE1100ELNS1_3gpuE3ELNS1_3repE0EEENS1_30default_config_static_selectorELNS0_4arch9wavefront6targetE0EEEvT1_,@function
_ZN7rocprim17ROCPRIM_400000_NS6detail17trampoline_kernelINS0_14default_configENS1_25partition_config_selectorILNS1_17partition_subalgoE6EdNS0_10empty_typeEbEEZZNS1_14partition_implILS5_6ELb0ES3_mN6thrust23THRUST_200600_302600_NS6detail15normal_iteratorINSA_10device_ptrIdEEEEPS6_SG_NS0_5tupleIJSF_S6_EEENSH_IJSG_SG_EEES6_PlJ7is_evenIdEEEE10hipError_tPvRmT3_T4_T5_T6_T7_T9_mT8_P12ihipStream_tbDpT10_ENKUlT_T0_E_clISt17integral_constantIbLb0EES15_IbLb1EEEEDaS11_S12_EUlS11_E_NS1_11comp_targetILNS1_3genE9ELNS1_11target_archE1100ELNS1_3gpuE3ELNS1_3repE0EEENS1_30default_config_static_selectorELNS0_4arch9wavefront6targetE0EEEvT1_: ; @_ZN7rocprim17ROCPRIM_400000_NS6detail17trampoline_kernelINS0_14default_configENS1_25partition_config_selectorILNS1_17partition_subalgoE6EdNS0_10empty_typeEbEEZZNS1_14partition_implILS5_6ELb0ES3_mN6thrust23THRUST_200600_302600_NS6detail15normal_iteratorINSA_10device_ptrIdEEEEPS6_SG_NS0_5tupleIJSF_S6_EEENSH_IJSG_SG_EEES6_PlJ7is_evenIdEEEE10hipError_tPvRmT3_T4_T5_T6_T7_T9_mT8_P12ihipStream_tbDpT10_ENKUlT_T0_E_clISt17integral_constantIbLb0EES15_IbLb1EEEEDaS11_S12_EUlS11_E_NS1_11comp_targetILNS1_3genE9ELNS1_11target_archE1100ELNS1_3gpuE3ELNS1_3repE0EEENS1_30default_config_static_selectorELNS0_4arch9wavefront6targetE0EEEvT1_
; %bb.0:
	s_clause 0x3
	s_load_b64 s[12:13], s[0:1], 0x28
	s_load_b128 s[8:11], s[0:1], 0x40
	s_load_b64 s[16:17], s[0:1], 0x50
	s_load_b64 s[14:15], s[0:1], 0x60
	v_cmp_eq_u32_e64 s2, 0, v0
	s_delay_alu instid0(VALU_DEP_1)
	s_and_saveexec_b32 s3, s2
	s_cbranch_execz .LBB230_4
; %bb.1:
	s_mov_b32 s5, exec_lo
	s_mov_b32 s4, exec_lo
	v_mbcnt_lo_u32_b32 v1, s5, 0
                                        ; implicit-def: $vgpr2
	s_delay_alu instid0(VALU_DEP_1)
	v_cmpx_eq_u32_e32 0, v1
	s_cbranch_execz .LBB230_3
; %bb.2:
	s_load_b64 s[6:7], s[0:1], 0x70
	s_bcnt1_i32_b32 s5, s5
	s_delay_alu instid0(SALU_CYCLE_1)
	v_dual_mov_b32 v2, 0 :: v_dual_mov_b32 v3, s5
	s_waitcnt lgkmcnt(0)
	global_atomic_add_u32 v2, v2, v3, s[6:7] glc
.LBB230_3:
	s_or_b32 exec_lo, exec_lo, s4
	s_waitcnt vmcnt(0)
	v_readfirstlane_b32 s4, v2
	s_delay_alu instid0(VALU_DEP_1)
	v_dual_mov_b32 v2, 0 :: v_dual_add_nc_u32 v1, s4, v1
	ds_store_b32 v2, v1
.LBB230_4:
	s_or_b32 exec_lo, exec_lo, s3
	v_mov_b32_e32 v2, 0
	s_clause 0x1
	s_load_b128 s[4:7], s[0:1], 0x8
	s_load_b32 s0, s[0:1], 0x68
	s_waitcnt lgkmcnt(0)
	s_barrier
	buffer_gl0_inv
	ds_load_b32 v1, v2
	s_waitcnt lgkmcnt(0)
	s_barrier
	buffer_gl0_inv
	global_load_b64 v[21:22], v2, s[10:11]
	s_lshl_b64 s[10:11], s[6:7], 3
	s_delay_alu instid0(SALU_CYCLE_1)
	s_add_u32 s1, s4, s10
	s_mul_i32 s4, s0, 0x900
	s_addc_u32 s3, s5, s11
	v_readfirstlane_b32 s10, v1
	v_mul_lo_u32 v1, 0x900, v1
	s_add_i32 s5, s4, s6
	s_add_i32 s11, s0, -1
	s_sub_i32 s0, s16, s5
	s_add_u32 s4, s6, s4
	s_addc_u32 s5, s7, 0
	s_cmp_eq_u32 s10, s11
	v_cmp_ge_u64_e64 s4, s[4:5], s[16:17]
	v_lshlrev_b64 v[1:2], 3, v[1:2]
	s_cselect_b32 s5, -1, 0
	s_delay_alu instid0(VALU_DEP_2) | instid1(SALU_CYCLE_1)
	s_and_b32 s4, s4, s5
	s_delay_alu instid0(VALU_DEP_1) | instskip(NEXT) | instid1(VALU_DEP_2)
	v_add_co_u32 v17, vcc_lo, s1, v1
	v_add_co_ci_u32_e32 v18, vcc_lo, s3, v2, vcc_lo
	s_xor_b32 s6, s4, -1
	s_mov_b32 s1, -1
	s_and_b32 vcc_lo, exec_lo, s6
	s_cbranch_vccz .LBB230_6
; %bb.5:
	v_lshlrev_b32_e32 v13, 3, v0
	s_mov_b32 s1, 0
	s_delay_alu instid0(VALU_DEP_1) | instskip(SKIP_1) | instid1(VALU_DEP_2)
	v_add_co_u32 v1, vcc_lo, v17, v13
	v_add_co_ci_u32_e32 v2, vcc_lo, 0, v18, vcc_lo
	v_add_co_u32 v3, vcc_lo, 0x1000, v1
	s_delay_alu instid0(VALU_DEP_2)
	v_add_co_ci_u32_e32 v4, vcc_lo, 0, v2, vcc_lo
	v_add_co_u32 v5, vcc_lo, 0x2000, v1
	v_add_co_ci_u32_e32 v6, vcc_lo, 0, v2, vcc_lo
	v_add_co_u32 v7, vcc_lo, 0x3000, v1
	v_add_co_ci_u32_e32 v8, vcc_lo, 0, v2, vcc_lo
	s_clause 0x5
	flat_load_b64 v[9:10], v[1:2]
	flat_load_b64 v[1:2], v[1:2] offset:3072
	flat_load_b64 v[3:4], v[3:4] offset:2048
	;; [unrolled: 1-line block ×3, first 2 shown]
	flat_load_b64 v[11:12], v[7:8]
	flat_load_b64 v[7:8], v[7:8] offset:3072
	s_waitcnt vmcnt(4) lgkmcnt(4)
	ds_store_2addr_stride64_b64 v13, v[9:10], v[1:2] offset1:6
	s_waitcnt vmcnt(2) lgkmcnt(3)
	ds_store_2addr_stride64_b64 v13, v[3:4], v[5:6] offset0:12 offset1:18
	s_waitcnt vmcnt(0) lgkmcnt(2)
	ds_store_2addr_stride64_b64 v13, v[11:12], v[7:8] offset0:24 offset1:30
	s_waitcnt lgkmcnt(0)
	s_barrier
.LBB230_6:
	s_and_not1_b32 vcc_lo, exec_lo, s1
	s_addk_i32 s0, 0x900
	s_cbranch_vccnz .LBB230_20
; %bb.7:
	s_mov_b32 s1, exec_lo
                                        ; implicit-def: $vgpr1_vgpr2_vgpr3_vgpr4_vgpr5_vgpr6_vgpr7_vgpr8_vgpr9_vgpr10_vgpr11_vgpr12_vgpr13_vgpr14_vgpr15_vgpr16
	v_cmpx_gt_u32_e64 s0, v0
	s_cbranch_execz .LBB230_9
; %bb.8:
	v_lshlrev_b32_e32 v1, 3, v0
	s_delay_alu instid0(VALU_DEP_1)
	v_add_co_u32 v1, vcc_lo, v17, v1
	v_add_co_ci_u32_e32 v2, vcc_lo, 0, v18, vcc_lo
	flat_load_b64 v[1:2], v[1:2]
.LBB230_9:
	s_or_b32 exec_lo, exec_lo, s1
	v_add_nc_u32_e32 v13, 0x180, v0
	s_mov_b32 s1, exec_lo
	s_delay_alu instid0(VALU_DEP_1)
	v_cmpx_gt_u32_e64 s0, v13
	s_cbranch_execz .LBB230_11
; %bb.10:
	v_lshlrev_b32_e32 v3, 3, v0
	s_delay_alu instid0(VALU_DEP_1)
	v_add_co_u32 v3, vcc_lo, v17, v3
	v_add_co_ci_u32_e32 v4, vcc_lo, 0, v18, vcc_lo
	flat_load_b64 v[3:4], v[3:4] offset:3072
.LBB230_11:
	s_or_b32 exec_lo, exec_lo, s1
	v_add_nc_u32_e32 v13, 0x300, v0
	s_mov_b32 s1, exec_lo
	s_delay_alu instid0(VALU_DEP_1)
	v_cmpx_gt_u32_e64 s0, v13
	s_cbranch_execz .LBB230_13
; %bb.12:
	v_lshlrev_b32_e32 v5, 3, v13
	s_delay_alu instid0(VALU_DEP_1)
	v_add_co_u32 v5, vcc_lo, v17, v5
	v_add_co_ci_u32_e32 v6, vcc_lo, 0, v18, vcc_lo
	flat_load_b64 v[5:6], v[5:6]
.LBB230_13:
	s_or_b32 exec_lo, exec_lo, s1
	v_add_nc_u32_e32 v13, 0x480, v0
	s_mov_b32 s1, exec_lo
	s_delay_alu instid0(VALU_DEP_1)
	v_cmpx_gt_u32_e64 s0, v13
	s_cbranch_execz .LBB230_15
; %bb.14:
	v_lshlrev_b32_e32 v7, 3, v13
	s_delay_alu instid0(VALU_DEP_1)
	v_add_co_u32 v7, vcc_lo, v17, v7
	v_add_co_ci_u32_e32 v8, vcc_lo, 0, v18, vcc_lo
	flat_load_b64 v[7:8], v[7:8]
.LBB230_15:
	s_or_b32 exec_lo, exec_lo, s1
	v_or_b32_e32 v13, 0x600, v0
	s_mov_b32 s1, exec_lo
	s_delay_alu instid0(VALU_DEP_1)
	v_cmpx_gt_u32_e64 s0, v13
	s_cbranch_execz .LBB230_17
; %bb.16:
	v_lshlrev_b32_e32 v9, 3, v13
	s_delay_alu instid0(VALU_DEP_1)
	v_add_co_u32 v9, vcc_lo, v17, v9
	v_add_co_ci_u32_e32 v10, vcc_lo, 0, v18, vcc_lo
	flat_load_b64 v[9:10], v[9:10]
.LBB230_17:
	s_or_b32 exec_lo, exec_lo, s1
	v_add_nc_u32_e32 v13, 0x780, v0
	s_mov_b32 s1, exec_lo
	s_delay_alu instid0(VALU_DEP_1)
	v_cmpx_gt_u32_e64 s0, v13
	s_cbranch_execz .LBB230_19
; %bb.18:
	v_lshlrev_b32_e32 v11, 3, v13
	s_delay_alu instid0(VALU_DEP_1)
	v_add_co_u32 v11, vcc_lo, v17, v11
	v_add_co_ci_u32_e32 v12, vcc_lo, 0, v18, vcc_lo
	flat_load_b64 v[11:12], v[11:12]
.LBB230_19:
	s_or_b32 exec_lo, exec_lo, s1
	v_lshlrev_b32_e32 v13, 3, v0
	s_waitcnt vmcnt(0) lgkmcnt(0)
	ds_store_2addr_stride64_b64 v13, v[1:2], v[3:4] offset1:6
	ds_store_2addr_stride64_b64 v13, v[5:6], v[7:8] offset0:12 offset1:18
	ds_store_2addr_stride64_b64 v13, v[9:10], v[11:12] offset0:24 offset1:30
	s_waitcnt lgkmcnt(0)
	s_barrier
.LBB230_20:
	v_mul_u32_u24_e32 v13, 6, v0
	s_waitcnt vmcnt(0)
	buffer_gl0_inv
	s_and_not1_b32 vcc_lo, exec_lo, s6
	v_lshlrev_b32_e32 v37, 3, v13
	ds_load_b128 v[9:12], v37
	ds_load_b128 v[5:8], v37 offset:16
	ds_load_b128 v[1:4], v37 offset:32
	s_waitcnt lgkmcnt(0)
	s_barrier
	buffer_gl0_inv
	v_cvt_u32_f64_e32 v14, v[9:10]
	v_cvt_u32_f64_e32 v15, v[11:12]
	;; [unrolled: 1-line block ×6, first 2 shown]
	v_xor_b32_e32 v16, -1, v14
	v_xor_b32_e32 v18, -1, v15
	;; [unrolled: 1-line block ×6, first 2 shown]
	s_cbranch_vccnz .LBB230_22
; %bb.21:
	v_and_b32_e32 v20, 1, v18
	v_and_b32_e32 v23, 1, v19
	;; [unrolled: 1-line block ×5, first 2 shown]
	v_lshlrev_b16 v20, 8, v20
	v_lshlrev_b16 v23, 8, v23
	v_and_b32_e32 v33, 1, v15
	s_delay_alu instid0(VALU_DEP_3) | instskip(NEXT) | instid1(VALU_DEP_3)
	v_or_b32_e32 v20, v24, v20
	v_or_b32_e32 v23, v25, v23
	s_delay_alu instid0(VALU_DEP_2) | instskip(NEXT) | instid1(VALU_DEP_2)
	v_and_b32_e32 v20, 0xffff, v20
	v_lshlrev_b32_e32 v23, 16, v23
	s_delay_alu instid0(VALU_DEP_1)
	v_or_b32_e32 v36, v20, v23
	s_cbranch_execz .LBB230_23
	s_branch .LBB230_24
.LBB230_22:
                                        ; implicit-def: $vgpr33
                                        ; implicit-def: $vgpr34
                                        ; implicit-def: $vgpr36
.LBB230_23:
	v_or_b32_e32 v20, 1, v13
	v_add_nc_u32_e32 v23, 3, v13
	v_add_nc_u32_e32 v24, 2, v13
	s_delay_alu instid0(VALU_DEP_3) | instskip(SKIP_1) | instid1(VALU_DEP_4)
	v_cmp_gt_u32_e32 vcc_lo, s0, v20
	v_cndmask_b32_e64 v20, 0, 1, vcc_lo
	v_cmp_gt_u32_e32 vcc_lo, s0, v23
	s_delay_alu instid0(VALU_DEP_2)
	v_and_b32_e32 v18, v20, v18
	v_cndmask_b32_e64 v23, 0, 1, vcc_lo
	v_cmp_gt_u32_e32 vcc_lo, s0, v13
	v_add_nc_u32_e32 v20, 4, v13
	v_add_nc_u32_e32 v13, 5, v13
	v_lshlrev_b16 v18, 8, v18
	v_and_b32_e32 v19, v23, v19
	v_cndmask_b32_e64 v25, 0, 1, vcc_lo
	v_cmp_gt_u32_e32 vcc_lo, s0, v24
	s_delay_alu instid0(VALU_DEP_3) | instskip(NEXT) | instid1(VALU_DEP_3)
	v_lshlrev_b16 v19, 8, v19
	v_and_b32_e32 v16, v25, v16
	v_cndmask_b32_e64 v24, 0, 1, vcc_lo
	v_cmp_gt_u32_e32 vcc_lo, s0, v20
	s_delay_alu instid0(VALU_DEP_3) | instskip(NEXT) | instid1(VALU_DEP_3)
	v_or_b32_e32 v16, v16, v18
	v_and_b32_e32 v17, v24, v17
	v_cndmask_b32_e64 v18, 0, 1, vcc_lo
	v_cmp_gt_u32_e32 vcc_lo, s0, v13
	s_delay_alu instid0(VALU_DEP_4) | instskip(NEXT) | instid1(VALU_DEP_4)
	v_and_b32_e32 v16, 0xffff, v16
	v_or_b32_e32 v17, v17, v19
	s_delay_alu instid0(VALU_DEP_4) | instskip(SKIP_1) | instid1(VALU_DEP_3)
	v_and_b32_e32 v34, v18, v14
	v_cndmask_b32_e64 v13, 0, 1, vcc_lo
	v_lshlrev_b32_e32 v17, 16, v17
	s_delay_alu instid0(VALU_DEP_2) | instskip(NEXT) | instid1(VALU_DEP_2)
	v_and_b32_e32 v33, v13, v15
	v_or_b32_e32 v36, v16, v17
.LBB230_24:
	s_delay_alu instid0(VALU_DEP_1)
	v_dual_mov_b32 v14, 0 :: v_dual_and_b32 v41, 0xff, v36
	v_bfe_u32 v40, v36, 8, 8
	v_bfe_u32 v39, v36, 16, 8
	v_lshrrev_b32_e32 v35, 24, v36
	v_and_b32_e32 v38, 0xff, v34
	v_mbcnt_lo_u32_b32 v42, -1, 0
	v_add_co_u32 v13, s0, v40, v41
	s_delay_alu instid0(VALU_DEP_1) | instskip(SKIP_1) | instid1(VALU_DEP_3)
	v_add_co_ci_u32_e64 v15, null, 0, 0, s0
	v_and_b32_e32 v16, 0xff, v33
	v_add_co_u32 v13, vcc_lo, v13, v39
	s_delay_alu instid0(VALU_DEP_3) | instskip(SKIP_1) | instid1(VALU_DEP_3)
	v_add_co_ci_u32_e32 v15, vcc_lo, 0, v15, vcc_lo
	v_and_b32_e32 v43, 15, v42
	v_add_co_u32 v13, vcc_lo, v13, v35
	s_delay_alu instid0(VALU_DEP_3) | instskip(NEXT) | instid1(VALU_DEP_3)
	v_add_co_ci_u32_e32 v15, vcc_lo, 0, v15, vcc_lo
	v_cmp_ne_u32_e64 s0, 0, v43
	s_delay_alu instid0(VALU_DEP_3) | instskip(NEXT) | instid1(VALU_DEP_3)
	v_add_co_u32 v13, vcc_lo, v13, v38
	v_add_co_ci_u32_e32 v15, vcc_lo, 0, v15, vcc_lo
	s_cmp_lg_u32 s10, 0
	s_delay_alu instid0(VALU_DEP_2) | instskip(NEXT) | instid1(VALU_DEP_2)
	v_add_co_u32 v23, vcc_lo, v13, v16
	v_add_co_ci_u32_e32 v24, vcc_lo, 0, v15, vcc_lo
	s_mov_b32 s1, -1
	s_cbranch_scc0 .LBB230_88
; %bb.25:
	s_delay_alu instid0(VALU_DEP_2)
	v_mov_b32_e32 v15, v23
	v_mov_b32_dpp v13, v23 row_shr:1 row_mask:0xf bank_mask:0xf
	v_mov_b32_dpp v18, v14 row_shr:1 row_mask:0xf bank_mask:0xf
	v_dual_mov_b32 v17, v23 :: v_dual_mov_b32 v16, v24
	s_and_saveexec_b32 s1, s0
; %bb.26:
	s_delay_alu instid0(VALU_DEP_3) | instskip(SKIP_1) | instid1(VALU_DEP_2)
	v_add_co_u32 v17, vcc_lo, v23, v13
	v_add_co_ci_u32_e32 v14, vcc_lo, 0, v24, vcc_lo
	v_add_co_u32 v13, vcc_lo, 0, v17
	s_delay_alu instid0(VALU_DEP_2) | instskip(NEXT) | instid1(VALU_DEP_1)
	v_add_co_ci_u32_e32 v14, vcc_lo, v18, v14, vcc_lo
	v_dual_mov_b32 v16, v14 :: v_dual_mov_b32 v15, v13
; %bb.27:
	s_or_b32 exec_lo, exec_lo, s1
	v_mov_b32_dpp v13, v17 row_shr:2 row_mask:0xf bank_mask:0xf
	v_mov_b32_dpp v18, v14 row_shr:2 row_mask:0xf bank_mask:0xf
	v_cmp_lt_u32_e32 vcc_lo, 1, v43
	s_and_saveexec_b32 s3, vcc_lo
; %bb.28:
	s_delay_alu instid0(VALU_DEP_3) | instskip(NEXT) | instid1(VALU_DEP_1)
	v_add_co_u32 v17, s1, v15, v13
	v_add_co_ci_u32_e64 v14, s1, 0, v16, s1
	s_delay_alu instid0(VALU_DEP_2) | instskip(NEXT) | instid1(VALU_DEP_1)
	v_add_co_u32 v13, s1, 0, v17
	v_add_co_ci_u32_e64 v14, s1, v18, v14, s1
	s_delay_alu instid0(VALU_DEP_1)
	v_dual_mov_b32 v16, v14 :: v_dual_mov_b32 v15, v13
; %bb.29:
	s_or_b32 exec_lo, exec_lo, s3
	v_mov_b32_dpp v13, v17 row_shr:4 row_mask:0xf bank_mask:0xf
	v_mov_b32_dpp v18, v14 row_shr:4 row_mask:0xf bank_mask:0xf
	v_cmp_lt_u32_e64 s1, 3, v43
	s_delay_alu instid0(VALU_DEP_1)
	s_and_saveexec_b32 s4, s1
; %bb.30:
	s_delay_alu instid0(VALU_DEP_3) | instskip(NEXT) | instid1(VALU_DEP_1)
	v_add_co_u32 v17, s3, v15, v13
	v_add_co_ci_u32_e64 v14, s3, 0, v16, s3
	s_delay_alu instid0(VALU_DEP_2) | instskip(NEXT) | instid1(VALU_DEP_1)
	v_add_co_u32 v13, s3, 0, v17
	v_add_co_ci_u32_e64 v14, s3, v18, v14, s3
	s_delay_alu instid0(VALU_DEP_1)
	v_dual_mov_b32 v16, v14 :: v_dual_mov_b32 v15, v13
; %bb.31:
	s_or_b32 exec_lo, exec_lo, s4
	v_mov_b32_dpp v18, v17 row_shr:8 row_mask:0xf bank_mask:0xf
	v_mov_b32_dpp v13, v14 row_shr:8 row_mask:0xf bank_mask:0xf
	v_cmp_lt_u32_e64 s3, 7, v43
	s_delay_alu instid0(VALU_DEP_1)
	s_and_saveexec_b32 s7, s3
; %bb.32:
	s_delay_alu instid0(VALU_DEP_3) | instskip(NEXT) | instid1(VALU_DEP_1)
	v_add_co_u32 v17, s4, v15, v18
	v_add_co_ci_u32_e64 v14, s4, 0, v16, s4
	s_delay_alu instid0(VALU_DEP_2) | instskip(NEXT) | instid1(VALU_DEP_1)
	v_add_co_u32 v15, s4, 0, v17
	v_add_co_ci_u32_e64 v16, s4, v13, v14, s4
	s_delay_alu instid0(VALU_DEP_1)
	v_mov_b32_e32 v14, v16
; %bb.33:
	s_or_b32 exec_lo, exec_lo, s7
	ds_swizzle_b32 v13, v17 offset:swizzle(BROADCAST,32,15)
	ds_swizzle_b32 v18, v14 offset:swizzle(BROADCAST,32,15)
	v_and_b32_e32 v19, 16, v42
	s_mov_b32 s7, exec_lo
	s_delay_alu instid0(VALU_DEP_1)
	v_cmpx_ne_u32_e32 0, v19
	s_cbranch_execz .LBB230_35
; %bb.34:
	s_waitcnt lgkmcnt(1)
	v_add_co_u32 v17, s4, v15, v13
	s_delay_alu instid0(VALU_DEP_1) | instskip(NEXT) | instid1(VALU_DEP_2)
	v_add_co_ci_u32_e64 v14, s4, 0, v16, s4
	v_add_co_u32 v13, s4, 0, v17
	s_waitcnt lgkmcnt(0)
	s_delay_alu instid0(VALU_DEP_2) | instskip(NEXT) | instid1(VALU_DEP_1)
	v_add_co_ci_u32_e64 v14, s4, v18, v14, s4
	v_dual_mov_b32 v16, v14 :: v_dual_mov_b32 v15, v13
.LBB230_35:
	s_or_b32 exec_lo, exec_lo, s7
	s_waitcnt lgkmcnt(1)
	v_and_b32_e32 v13, 0x1e0, v0
	s_mov_b32 s7, exec_lo
	s_delay_alu instid0(VALU_DEP_1) | instskip(SKIP_1) | instid1(VALU_DEP_1)
	v_min_u32_e32 v13, 0x160, v13
	s_waitcnt lgkmcnt(0)
	v_or_b32_e32 v18, 31, v13
	v_lshrrev_b32_e32 v13, 5, v0
	s_delay_alu instid0(VALU_DEP_2)
	v_cmpx_eq_u32_e64 v18, v0
	s_cbranch_execz .LBB230_37
; %bb.36:
	s_delay_alu instid0(VALU_DEP_2)
	v_lshlrev_b32_e32 v18, 3, v13
	ds_store_b64 v18, v[15:16]
.LBB230_37:
	s_or_b32 exec_lo, exec_lo, s7
	s_delay_alu instid0(SALU_CYCLE_1)
	s_mov_b32 s7, exec_lo
	s_waitcnt lgkmcnt(0)
	s_barrier
	buffer_gl0_inv
	v_cmpx_gt_u32_e32 12, v0
	s_cbranch_execz .LBB230_47
; %bb.38:
	v_lshlrev_b32_e32 v18, 3, v0
	ds_load_b64 v[15:16], v18
	s_waitcnt lgkmcnt(0)
	v_mov_b32_e32 v19, v15
	v_mov_b32_dpp v25, v15 row_shr:1 row_mask:0xf bank_mask:0xf
	v_mov_b32_dpp v20, v16 row_shr:1 row_mask:0xf bank_mask:0xf
	s_and_saveexec_b32 s11, s0
; %bb.39:
	s_delay_alu instid0(VALU_DEP_2) | instskip(NEXT) | instid1(VALU_DEP_1)
	v_add_co_u32 v19, s4, v15, v25
	v_add_co_ci_u32_e64 v16, s4, 0, v16, s4
	s_delay_alu instid0(VALU_DEP_2) | instskip(NEXT) | instid1(VALU_DEP_1)
	v_add_co_u32 v15, s4, 0, v19
	v_add_co_ci_u32_e64 v16, s4, v20, v16, s4
; %bb.40:
	s_or_b32 exec_lo, exec_lo, s11
	v_mov_b32_dpp v25, v19 row_shr:2 row_mask:0xf bank_mask:0xf
	s_delay_alu instid0(VALU_DEP_2)
	v_mov_b32_dpp v20, v16 row_shr:2 row_mask:0xf bank_mask:0xf
	s_and_saveexec_b32 s4, vcc_lo
; %bb.41:
	s_delay_alu instid0(VALU_DEP_2) | instskip(SKIP_1) | instid1(VALU_DEP_2)
	v_add_co_u32 v19, vcc_lo, v15, v25
	v_add_co_ci_u32_e32 v16, vcc_lo, 0, v16, vcc_lo
	v_add_co_u32 v15, vcc_lo, 0, v19
	s_delay_alu instid0(VALU_DEP_2)
	v_add_co_ci_u32_e32 v16, vcc_lo, v20, v16, vcc_lo
; %bb.42:
	s_or_b32 exec_lo, exec_lo, s4
	v_mov_b32_dpp v25, v19 row_shr:4 row_mask:0xf bank_mask:0xf
	s_delay_alu instid0(VALU_DEP_2)
	v_mov_b32_dpp v20, v16 row_shr:4 row_mask:0xf bank_mask:0xf
	s_and_saveexec_b32 s4, s1
; %bb.43:
	s_delay_alu instid0(VALU_DEP_2) | instskip(SKIP_1) | instid1(VALU_DEP_2)
	v_add_co_u32 v19, vcc_lo, v15, v25
	v_add_co_ci_u32_e32 v16, vcc_lo, 0, v16, vcc_lo
	v_add_co_u32 v15, vcc_lo, 0, v19
	s_delay_alu instid0(VALU_DEP_2)
	v_add_co_ci_u32_e32 v16, vcc_lo, v20, v16, vcc_lo
; %bb.44:
	s_or_b32 exec_lo, exec_lo, s4
	v_mov_b32_dpp v20, v19 row_shr:8 row_mask:0xf bank_mask:0xf
	s_delay_alu instid0(VALU_DEP_2)
	v_mov_b32_dpp v19, v16 row_shr:8 row_mask:0xf bank_mask:0xf
	s_and_saveexec_b32 s1, s3
; %bb.45:
	s_delay_alu instid0(VALU_DEP_2) | instskip(SKIP_1) | instid1(VALU_DEP_2)
	v_add_co_u32 v15, vcc_lo, v15, v20
	v_add_co_ci_u32_e32 v16, vcc_lo, 0, v16, vcc_lo
	v_add_co_u32 v15, vcc_lo, v15, 0
	s_delay_alu instid0(VALU_DEP_2)
	v_add_co_ci_u32_e32 v16, vcc_lo, v16, v19, vcc_lo
; %bb.46:
	s_or_b32 exec_lo, exec_lo, s1
	ds_store_b64 v18, v[15:16]
.LBB230_47:
	s_or_b32 exec_lo, exec_lo, s7
	v_cmp_gt_u32_e32 vcc_lo, 32, v0
	s_mov_b32 s3, exec_lo
	s_waitcnt lgkmcnt(0)
	s_barrier
	buffer_gl0_inv
                                        ; implicit-def: $vgpr25_vgpr26
	v_cmpx_lt_u32_e32 31, v0
	s_cbranch_execz .LBB230_49
; %bb.48:
	v_lshl_add_u32 v13, v13, 3, -8
	ds_load_b64 v[25:26], v13
	s_waitcnt lgkmcnt(0)
	v_add_co_u32 v17, s1, v17, v25
	s_delay_alu instid0(VALU_DEP_1)
	v_add_co_ci_u32_e64 v14, s1, v14, v26, s1
.LBB230_49:
	s_or_b32 exec_lo, exec_lo, s3
	v_add_nc_u32_e32 v13, -1, v42
	s_delay_alu instid0(VALU_DEP_1) | instskip(NEXT) | instid1(VALU_DEP_1)
	v_cmp_gt_i32_e64 s1, 0, v13
	v_cndmask_b32_e64 v13, v13, v42, s1
	v_cmp_eq_u32_e64 s1, 0, v42
	s_delay_alu instid0(VALU_DEP_2)
	v_lshlrev_b32_e32 v13, 2, v13
	ds_bpermute_b32 v31, v13, v17
	ds_bpermute_b32 v32, v13, v14
	s_and_saveexec_b32 s3, vcc_lo
	s_cbranch_execz .LBB230_87
; %bb.50:
	v_mov_b32_e32 v16, 0
	ds_load_b64 v[13:14], v16 offset:88
	s_and_saveexec_b32 s4, s1
	s_cbranch_execz .LBB230_52
; %bb.51:
	s_add_i32 s16, s10, 32
	s_mov_b32 s17, 0
	s_delay_alu instid0(SALU_CYCLE_1) | instskip(NEXT) | instid1(SALU_CYCLE_1)
	s_lshl_b64 s[16:17], s[16:17], 4
	s_add_u32 s16, s14, s16
	s_addc_u32 s17, s15, s17
	s_delay_alu instid0(SALU_CYCLE_1)
	v_dual_mov_b32 v15, 1 :: v_dual_mov_b32 v18, s17
	v_mov_b32_e32 v17, s16
	s_waitcnt lgkmcnt(0)
	;;#ASMSTART
	global_store_dwordx4 v[17:18], v[13:16] off	
s_waitcnt vmcnt(0)
	;;#ASMEND
.LBB230_52:
	s_or_b32 exec_lo, exec_lo, s4
	v_xad_u32 v27, v42, -1, s10
	s_mov_b32 s7, 0
	s_mov_b32 s4, exec_lo
	s_delay_alu instid0(VALU_DEP_1) | instskip(NEXT) | instid1(VALU_DEP_1)
	v_add_nc_u32_e32 v15, 32, v27
	v_lshlrev_b64 v[15:16], 4, v[15:16]
	s_delay_alu instid0(VALU_DEP_1) | instskip(NEXT) | instid1(VALU_DEP_2)
	v_add_co_u32 v15, vcc_lo, s14, v15
	v_add_co_ci_u32_e32 v16, vcc_lo, s15, v16, vcc_lo
	;;#ASMSTART
	global_load_dwordx4 v[17:20], v[15:16] off glc	
s_waitcnt vmcnt(0)
	;;#ASMEND
	v_and_b32_e32 v20, 0xff, v18
	v_and_b32_e32 v28, 0xff00, v18
	v_or3_b32 v17, v17, 0, 0
	v_and_b32_e32 v29, 0xff000000, v18
	v_and_b32_e32 v18, 0xff0000, v18
	s_delay_alu instid0(VALU_DEP_4) | instskip(SKIP_2) | instid1(VALU_DEP_3)
	v_or3_b32 v20, 0, v20, v28
	v_and_b32_e32 v28, 0xff, v19
	v_or3_b32 v17, v17, 0, 0
	v_or3_b32 v18, v20, v18, v29
	s_delay_alu instid0(VALU_DEP_3)
	v_cmpx_eq_u16_e32 0, v28
	s_cbranch_execz .LBB230_55
.LBB230_53:                             ; =>This Inner Loop Header: Depth=1
	;;#ASMSTART
	global_load_dwordx4 v[17:20], v[15:16] off glc	
s_waitcnt vmcnt(0)
	;;#ASMEND
	v_and_b32_e32 v20, 0xff, v19
	s_delay_alu instid0(VALU_DEP_1) | instskip(SKIP_1) | instid1(SALU_CYCLE_1)
	v_cmp_ne_u16_e32 vcc_lo, 0, v20
	s_or_b32 s7, vcc_lo, s7
	s_and_not1_b32 exec_lo, exec_lo, s7
	s_cbranch_execnz .LBB230_53
; %bb.54:
	s_or_b32 exec_lo, exec_lo, s7
.LBB230_55:
	s_delay_alu instid0(SALU_CYCLE_1)
	s_or_b32 exec_lo, exec_lo, s4
	v_cmp_ne_u32_e32 vcc_lo, 31, v42
	v_and_b32_e32 v16, 0xff, v19
	v_lshlrev_b32_e64 v45, v42, -1
	s_mov_b32 s4, exec_lo
	v_add_co_ci_u32_e32 v15, vcc_lo, 0, v42, vcc_lo
	s_delay_alu instid0(VALU_DEP_3) | instskip(SKIP_1) | instid1(VALU_DEP_3)
	v_cmp_eq_u16_e32 vcc_lo, 2, v16
	v_mov_b32_e32 v16, v17
	v_lshlrev_b32_e32 v44, 2, v15
	v_and_or_b32 v15, vcc_lo, v45, 0x80000000
	ds_bpermute_b32 v28, v44, v17
	ds_bpermute_b32 v20, v44, v18
	v_ctz_i32_b32_e32 v15, v15
	s_delay_alu instid0(VALU_DEP_1)
	v_cmpx_lt_u32_e64 v42, v15
	s_cbranch_execz .LBB230_57
; %bb.56:
	s_waitcnt lgkmcnt(1)
	v_add_co_u32 v16, vcc_lo, v17, v28
	v_add_co_ci_u32_e32 v18, vcc_lo, 0, v18, vcc_lo
	s_delay_alu instid0(VALU_DEP_2) | instskip(SKIP_1) | instid1(VALU_DEP_2)
	v_add_co_u32 v17, vcc_lo, 0, v16
	s_waitcnt lgkmcnt(0)
	v_add_co_ci_u32_e32 v18, vcc_lo, v20, v18, vcc_lo
.LBB230_57:
	s_or_b32 exec_lo, exec_lo, s4
	v_cmp_gt_u32_e32 vcc_lo, 30, v42
	v_add_nc_u32_e32 v47, 2, v42
	s_mov_b32 s4, exec_lo
	s_waitcnt lgkmcnt(0)
	v_cndmask_b32_e64 v20, 0, 1, vcc_lo
	s_delay_alu instid0(VALU_DEP_1) | instskip(NEXT) | instid1(VALU_DEP_1)
	v_lshlrev_b32_e32 v20, 1, v20
	v_add_lshl_u32 v46, v20, v42, 2
	ds_bpermute_b32 v28, v46, v16
	ds_bpermute_b32 v20, v46, v18
	v_cmpx_le_u32_e64 v47, v15
	s_cbranch_execz .LBB230_59
; %bb.58:
	s_waitcnt lgkmcnt(1)
	v_add_co_u32 v16, vcc_lo, v17, v28
	v_add_co_ci_u32_e32 v18, vcc_lo, 0, v18, vcc_lo
	s_delay_alu instid0(VALU_DEP_2) | instskip(SKIP_1) | instid1(VALU_DEP_2)
	v_add_co_u32 v17, vcc_lo, 0, v16
	s_waitcnt lgkmcnt(0)
	v_add_co_ci_u32_e32 v18, vcc_lo, v20, v18, vcc_lo
.LBB230_59:
	s_or_b32 exec_lo, exec_lo, s4
	v_cmp_gt_u32_e32 vcc_lo, 28, v42
	v_add_nc_u32_e32 v49, 4, v42
	s_mov_b32 s4, exec_lo
	s_waitcnt lgkmcnt(0)
	v_cndmask_b32_e64 v20, 0, 1, vcc_lo
	s_delay_alu instid0(VALU_DEP_1) | instskip(NEXT) | instid1(VALU_DEP_1)
	v_lshlrev_b32_e32 v20, 2, v20
	v_add_lshl_u32 v48, v20, v42, 2
	ds_bpermute_b32 v28, v48, v16
	ds_bpermute_b32 v20, v48, v18
	v_cmpx_le_u32_e64 v49, v15
	;; [unrolled: 22-line block ×4, first 2 shown]
	s_cbranch_execz .LBB230_65
; %bb.64:
	s_waitcnt lgkmcnt(1)
	v_add_co_u32 v15, vcc_lo, v17, v20
	v_add_co_ci_u32_e32 v18, vcc_lo, 0, v18, vcc_lo
	s_delay_alu instid0(VALU_DEP_2) | instskip(SKIP_1) | instid1(VALU_DEP_2)
	v_add_co_u32 v17, vcc_lo, v15, 0
	s_waitcnt lgkmcnt(0)
	v_add_co_ci_u32_e32 v18, vcc_lo, v18, v16, vcc_lo
.LBB230_65:
	s_or_b32 exec_lo, exec_lo, s4
	v_mov_b32_e32 v28, 0
	s_branch .LBB230_67
.LBB230_66:                             ;   in Loop: Header=BB230_67 Depth=1
	s_or_b32 exec_lo, exec_lo, s4
	v_add_co_u32 v17, vcc_lo, v17, v15
	v_subrev_nc_u32_e32 v27, 32, v27
	v_add_co_ci_u32_e32 v18, vcc_lo, v18, v16, vcc_lo
.LBB230_67:                             ; =>This Loop Header: Depth=1
                                        ;     Child Loop BB230_70 Depth 2
	v_and_b32_e32 v15, 0xff, v19
	s_delay_alu instid0(VALU_DEP_1) | instskip(SKIP_2) | instid1(VALU_DEP_1)
	v_cmp_ne_u16_e32 vcc_lo, 2, v15
	v_cndmask_b32_e64 v15, 0, 1, vcc_lo
	;;#ASMSTART
	;;#ASMEND
	v_cmp_ne_u32_e32 vcc_lo, 0, v15
	s_waitcnt lgkmcnt(0)
	v_dual_mov_b32 v15, v17 :: v_dual_mov_b32 v16, v18
	s_cmp_lg_u32 vcc_lo, exec_lo
	s_cbranch_scc1 .LBB230_82
; %bb.68:                               ;   in Loop: Header=BB230_67 Depth=1
	v_lshlrev_b64 v[17:18], 4, v[27:28]
	s_mov_b32 s4, exec_lo
	s_delay_alu instid0(VALU_DEP_1) | instskip(NEXT) | instid1(VALU_DEP_2)
	v_add_co_u32 v29, vcc_lo, s14, v17
	v_add_co_ci_u32_e32 v30, vcc_lo, s15, v18, vcc_lo
	;;#ASMSTART
	global_load_dwordx4 v[17:20], v[29:30] off glc	
s_waitcnt vmcnt(0)
	;;#ASMEND
	v_and_b32_e32 v20, 0xff, v18
	v_and_b32_e32 v54, 0xff00, v18
	v_or3_b32 v17, v17, 0, 0
	v_and_b32_e32 v55, 0xff000000, v18
	v_and_b32_e32 v18, 0xff0000, v18
	s_delay_alu instid0(VALU_DEP_4) | instskip(SKIP_2) | instid1(VALU_DEP_3)
	v_or3_b32 v20, 0, v20, v54
	v_and_b32_e32 v54, 0xff, v19
	v_or3_b32 v17, v17, 0, 0
	v_or3_b32 v18, v20, v18, v55
	s_delay_alu instid0(VALU_DEP_3)
	v_cmpx_eq_u16_e32 0, v54
	s_cbranch_execz .LBB230_72
; %bb.69:                               ;   in Loop: Header=BB230_67 Depth=1
	s_mov_b32 s7, 0
.LBB230_70:                             ;   Parent Loop BB230_67 Depth=1
                                        ; =>  This Inner Loop Header: Depth=2
	;;#ASMSTART
	global_load_dwordx4 v[17:20], v[29:30] off glc	
s_waitcnt vmcnt(0)
	;;#ASMEND
	v_and_b32_e32 v20, 0xff, v19
	s_delay_alu instid0(VALU_DEP_1) | instskip(SKIP_1) | instid1(SALU_CYCLE_1)
	v_cmp_ne_u16_e32 vcc_lo, 0, v20
	s_or_b32 s7, vcc_lo, s7
	s_and_not1_b32 exec_lo, exec_lo, s7
	s_cbranch_execnz .LBB230_70
; %bb.71:                               ;   in Loop: Header=BB230_67 Depth=1
	s_or_b32 exec_lo, exec_lo, s7
.LBB230_72:                             ;   in Loop: Header=BB230_67 Depth=1
	s_delay_alu instid0(SALU_CYCLE_1)
	s_or_b32 exec_lo, exec_lo, s4
	v_dual_mov_b32 v29, v17 :: v_dual_and_b32 v20, 0xff, v19
	ds_bpermute_b32 v54, v44, v17
	ds_bpermute_b32 v30, v44, v18
	s_mov_b32 s4, exec_lo
	v_cmp_eq_u16_e32 vcc_lo, 2, v20
	v_and_or_b32 v20, vcc_lo, v45, 0x80000000
	s_delay_alu instid0(VALU_DEP_1) | instskip(NEXT) | instid1(VALU_DEP_1)
	v_ctz_i32_b32_e32 v20, v20
	v_cmpx_lt_u32_e64 v42, v20
	s_cbranch_execz .LBB230_74
; %bb.73:                               ;   in Loop: Header=BB230_67 Depth=1
	s_waitcnt lgkmcnt(1)
	v_add_co_u32 v29, vcc_lo, v17, v54
	v_add_co_ci_u32_e32 v18, vcc_lo, 0, v18, vcc_lo
	s_delay_alu instid0(VALU_DEP_2) | instskip(SKIP_1) | instid1(VALU_DEP_2)
	v_add_co_u32 v17, vcc_lo, 0, v29
	s_waitcnt lgkmcnt(0)
	v_add_co_ci_u32_e32 v18, vcc_lo, v30, v18, vcc_lo
.LBB230_74:                             ;   in Loop: Header=BB230_67 Depth=1
	s_or_b32 exec_lo, exec_lo, s4
	s_waitcnt lgkmcnt(1)
	ds_bpermute_b32 v54, v46, v29
	s_waitcnt lgkmcnt(1)
	ds_bpermute_b32 v30, v46, v18
	s_mov_b32 s4, exec_lo
	v_cmpx_le_u32_e64 v47, v20
	s_cbranch_execz .LBB230_76
; %bb.75:                               ;   in Loop: Header=BB230_67 Depth=1
	s_waitcnt lgkmcnt(1)
	v_add_co_u32 v29, vcc_lo, v17, v54
	v_add_co_ci_u32_e32 v18, vcc_lo, 0, v18, vcc_lo
	s_delay_alu instid0(VALU_DEP_2) | instskip(SKIP_1) | instid1(VALU_DEP_2)
	v_add_co_u32 v17, vcc_lo, 0, v29
	s_waitcnt lgkmcnt(0)
	v_add_co_ci_u32_e32 v18, vcc_lo, v30, v18, vcc_lo
.LBB230_76:                             ;   in Loop: Header=BB230_67 Depth=1
	s_or_b32 exec_lo, exec_lo, s4
	s_waitcnt lgkmcnt(1)
	ds_bpermute_b32 v54, v48, v29
	s_waitcnt lgkmcnt(1)
	ds_bpermute_b32 v30, v48, v18
	s_mov_b32 s4, exec_lo
	v_cmpx_le_u32_e64 v49, v20
	;; [unrolled: 17-line block ×3, first 2 shown]
	s_cbranch_execz .LBB230_80
; %bb.79:                               ;   in Loop: Header=BB230_67 Depth=1
	s_waitcnt lgkmcnt(1)
	v_add_co_u32 v29, vcc_lo, v17, v54
	v_add_co_ci_u32_e32 v18, vcc_lo, 0, v18, vcc_lo
	s_delay_alu instid0(VALU_DEP_2) | instskip(SKIP_1) | instid1(VALU_DEP_2)
	v_add_co_u32 v17, vcc_lo, 0, v29
	s_waitcnt lgkmcnt(0)
	v_add_co_ci_u32_e32 v18, vcc_lo, v30, v18, vcc_lo
.LBB230_80:                             ;   in Loop: Header=BB230_67 Depth=1
	s_or_b32 exec_lo, exec_lo, s4
	s_waitcnt lgkmcnt(0)
	ds_bpermute_b32 v30, v52, v29
	ds_bpermute_b32 v29, v52, v18
	s_mov_b32 s4, exec_lo
	v_cmpx_le_u32_e64 v53, v20
	s_cbranch_execz .LBB230_66
; %bb.81:                               ;   in Loop: Header=BB230_67 Depth=1
	s_waitcnt lgkmcnt(1)
	v_add_co_u32 v17, vcc_lo, v17, v30
	v_add_co_ci_u32_e32 v18, vcc_lo, 0, v18, vcc_lo
	s_delay_alu instid0(VALU_DEP_2) | instskip(SKIP_1) | instid1(VALU_DEP_2)
	v_add_co_u32 v17, vcc_lo, v17, 0
	s_waitcnt lgkmcnt(0)
	v_add_co_ci_u32_e32 v18, vcc_lo, v18, v29, vcc_lo
	s_branch .LBB230_66
.LBB230_82:                             ;   in Loop: Header=BB230_67 Depth=1
                                        ; implicit-def: $vgpr17_vgpr18
	s_cbranch_execz .LBB230_67
; %bb.83:
	s_and_saveexec_b32 s4, s1
	s_cbranch_execz .LBB230_85
; %bb.84:
	s_add_i32 s10, s10, 32
	s_mov_b32 s11, 0
	v_add_co_u32 v17, vcc_lo, v15, v13
	s_lshl_b64 s[10:11], s[10:11], 4
	v_dual_mov_b32 v19, 2 :: v_dual_mov_b32 v20, 0
	s_add_u32 s10, s14, s10
	s_addc_u32 s11, s15, s11
	v_add_co_ci_u32_e32 v18, vcc_lo, v16, v14, vcc_lo
	v_dual_mov_b32 v28, s11 :: v_dual_mov_b32 v27, s10
	;;#ASMSTART
	global_store_dwordx4 v[27:28], v[17:20] off	
s_waitcnt vmcnt(0)
	;;#ASMEND
	ds_store_b128 v20, v[13:16] offset:18432
.LBB230_85:
	s_or_b32 exec_lo, exec_lo, s4
	s_delay_alu instid0(SALU_CYCLE_1)
	s_and_b32 exec_lo, exec_lo, s2
	s_cbranch_execz .LBB230_87
; %bb.86:
	v_mov_b32_e32 v13, 0
	ds_store_b64 v13, v[15:16] offset:88
.LBB230_87:
	s_or_b32 exec_lo, exec_lo, s3
	v_mov_b32_e32 v15, 0
	s_waitcnt lgkmcnt(0)
	s_barrier
	buffer_gl0_inv
	v_cndmask_b32_e64 v16, v31, v25, s1
	ds_load_b64 v[13:14], v15 offset:88
	v_cndmask_b32_e64 v17, v32, v26, s1
	s_waitcnt lgkmcnt(0)
	s_barrier
	v_cndmask_b32_e64 v16, v16, 0, s2
	buffer_gl0_inv
	v_cndmask_b32_e64 v17, v17, 0, s2
	v_add_co_u32 v31, vcc_lo, v13, v16
	s_delay_alu instid0(VALU_DEP_2) | instskip(SKIP_3) | instid1(VALU_DEP_2)
	v_add_co_ci_u32_e32 v32, vcc_lo, v14, v17, vcc_lo
	ds_load_b128 v[13:16], v15 offset:18432
	v_add_co_u32 v29, vcc_lo, v31, v41
	v_add_co_ci_u32_e32 v30, vcc_lo, 0, v32, vcc_lo
	v_add_co_u32 v27, vcc_lo, v29, v40
	s_delay_alu instid0(VALU_DEP_2) | instskip(NEXT) | instid1(VALU_DEP_2)
	v_add_co_ci_u32_e32 v28, vcc_lo, 0, v30, vcc_lo
	v_add_co_u32 v25, vcc_lo, v27, v39
	s_delay_alu instid0(VALU_DEP_2) | instskip(NEXT) | instid1(VALU_DEP_2)
	;; [unrolled: 3-line block ×3, first 2 shown]
	v_add_co_ci_u32_e32 v20, vcc_lo, 0, v26, vcc_lo
	v_add_co_u32 v17, vcc_lo, v19, v38
	s_delay_alu instid0(VALU_DEP_2)
	v_add_co_ci_u32_e32 v18, vcc_lo, 0, v20, vcc_lo
	s_branch .LBB230_116
.LBB230_88:
                                        ; implicit-def: $vgpr17_vgpr18
                                        ; implicit-def: $vgpr19_vgpr20
                                        ; implicit-def: $vgpr25_vgpr26
                                        ; implicit-def: $vgpr27_vgpr28
                                        ; implicit-def: $vgpr29_vgpr30
                                        ; implicit-def: $vgpr31_vgpr32
                                        ; implicit-def: $vgpr15_vgpr16
	s_and_b32 vcc_lo, exec_lo, s1
	s_cbranch_vccz .LBB230_116
; %bb.89:
	s_waitcnt lgkmcnt(0)
	v_dual_mov_b32 v14, 0 :: v_dual_mov_b32 v15, v23
	v_mov_b32_dpp v16, v23 row_shr:1 row_mask:0xf bank_mask:0xf
	s_delay_alu instid0(VALU_DEP_2)
	v_mov_b32_dpp v13, v14 row_shr:1 row_mask:0xf bank_mask:0xf
	s_and_saveexec_b32 s1, s0
; %bb.90:
	s_delay_alu instid0(VALU_DEP_2) | instskip(SKIP_1) | instid1(VALU_DEP_2)
	v_add_co_u32 v15, vcc_lo, v23, v16
	v_add_co_ci_u32_e32 v14, vcc_lo, 0, v24, vcc_lo
	v_add_co_u32 v23, vcc_lo, 0, v15
	s_delay_alu instid0(VALU_DEP_2) | instskip(NEXT) | instid1(VALU_DEP_1)
	v_add_co_ci_u32_e32 v24, vcc_lo, v13, v14, vcc_lo
	v_mov_b32_e32 v14, v24
; %bb.91:
	s_or_b32 exec_lo, exec_lo, s1
	v_mov_b32_dpp v13, v15 row_shr:2 row_mask:0xf bank_mask:0xf
	s_delay_alu instid0(VALU_DEP_2)
	v_mov_b32_dpp v16, v14 row_shr:2 row_mask:0xf bank_mask:0xf
	v_cmp_lt_u32_e32 vcc_lo, 1, v43
	s_and_saveexec_b32 s3, vcc_lo
; %bb.92:
	s_delay_alu instid0(VALU_DEP_3) | instskip(NEXT) | instid1(VALU_DEP_1)
	v_add_co_u32 v15, s1, v23, v13
	v_add_co_ci_u32_e64 v14, s1, 0, v24, s1
	s_delay_alu instid0(VALU_DEP_2) | instskip(NEXT) | instid1(VALU_DEP_1)
	v_add_co_u32 v13, s1, 0, v15
	v_add_co_ci_u32_e64 v14, s1, v16, v14, s1
	s_delay_alu instid0(VALU_DEP_1)
	v_dual_mov_b32 v24, v14 :: v_dual_mov_b32 v23, v13
; %bb.93:
	s_or_b32 exec_lo, exec_lo, s3
	v_mov_b32_dpp v13, v15 row_shr:4 row_mask:0xf bank_mask:0xf
	v_mov_b32_dpp v16, v14 row_shr:4 row_mask:0xf bank_mask:0xf
	v_cmp_lt_u32_e64 s1, 3, v43
	s_delay_alu instid0(VALU_DEP_1)
	s_and_saveexec_b32 s4, s1
; %bb.94:
	s_delay_alu instid0(VALU_DEP_3) | instskip(NEXT) | instid1(VALU_DEP_1)
	v_add_co_u32 v15, s3, v23, v13
	v_add_co_ci_u32_e64 v14, s3, 0, v24, s3
	s_delay_alu instid0(VALU_DEP_2) | instskip(NEXT) | instid1(VALU_DEP_1)
	v_add_co_u32 v13, s3, 0, v15
	v_add_co_ci_u32_e64 v14, s3, v16, v14, s3
	s_delay_alu instid0(VALU_DEP_1)
	v_dual_mov_b32 v24, v14 :: v_dual_mov_b32 v23, v13
; %bb.95:
	s_or_b32 exec_lo, exec_lo, s4
	v_mov_b32_dpp v16, v15 row_shr:8 row_mask:0xf bank_mask:0xf
	v_mov_b32_dpp v13, v14 row_shr:8 row_mask:0xf bank_mask:0xf
	v_cmp_lt_u32_e64 s3, 7, v43
	s_delay_alu instid0(VALU_DEP_1)
	s_and_saveexec_b32 s7, s3
; %bb.96:
	s_delay_alu instid0(VALU_DEP_3) | instskip(NEXT) | instid1(VALU_DEP_1)
	v_add_co_u32 v15, s4, v23, v16
	v_add_co_ci_u32_e64 v14, s4, 0, v24, s4
	s_delay_alu instid0(VALU_DEP_2) | instskip(NEXT) | instid1(VALU_DEP_1)
	v_add_co_u32 v23, s4, 0, v15
	v_add_co_ci_u32_e64 v24, s4, v13, v14, s4
	s_delay_alu instid0(VALU_DEP_1)
	v_mov_b32_e32 v14, v24
; %bb.97:
	s_or_b32 exec_lo, exec_lo, s7
	ds_swizzle_b32 v15, v15 offset:swizzle(BROADCAST,32,15)
	ds_swizzle_b32 v13, v14 offset:swizzle(BROADCAST,32,15)
	v_and_b32_e32 v14, 16, v42
	s_mov_b32 s7, exec_lo
	s_delay_alu instid0(VALU_DEP_1)
	v_cmpx_ne_u32_e32 0, v14
	s_cbranch_execz .LBB230_99
; %bb.98:
	s_waitcnt lgkmcnt(1)
	v_add_co_u32 v14, s4, v23, v15
	s_delay_alu instid0(VALU_DEP_1) | instskip(NEXT) | instid1(VALU_DEP_2)
	v_add_co_ci_u32_e64 v15, s4, 0, v24, s4
	v_add_co_u32 v23, s4, v14, 0
	s_waitcnt lgkmcnt(0)
	s_delay_alu instid0(VALU_DEP_2)
	v_add_co_ci_u32_e64 v24, s4, v15, v13, s4
.LBB230_99:
	s_or_b32 exec_lo, exec_lo, s7
	s_waitcnt lgkmcnt(0)
	v_and_b32_e32 v13, 0x1e0, v0
	v_lshrrev_b32_e32 v15, 5, v0
	s_mov_b32 s7, exec_lo
	s_delay_alu instid0(VALU_DEP_2) | instskip(NEXT) | instid1(VALU_DEP_1)
	v_min_u32_e32 v13, 0x160, v13
	v_or_b32_e32 v13, 31, v13
	s_delay_alu instid0(VALU_DEP_1)
	v_cmpx_eq_u32_e64 v13, v0
	s_cbranch_execz .LBB230_101
; %bb.100:
	v_lshlrev_b32_e32 v13, 3, v15
	ds_store_b64 v13, v[23:24]
.LBB230_101:
	s_or_b32 exec_lo, exec_lo, s7
	s_delay_alu instid0(SALU_CYCLE_1)
	s_mov_b32 s7, exec_lo
	s_waitcnt lgkmcnt(0)
	s_barrier
	buffer_gl0_inv
	v_cmpx_gt_u32_e32 12, v0
	s_cbranch_execz .LBB230_111
; %bb.102:
	v_mad_i32_i24 v13, 0xffffffd8, v0, v37
	ds_load_b64 v[13:14], v13
	s_waitcnt lgkmcnt(0)
	v_mov_b32_dpp v18, v13 row_shr:1 row_mask:0xf bank_mask:0xf
	v_mov_b32_dpp v17, v14 row_shr:1 row_mask:0xf bank_mask:0xf
	v_mov_b32_e32 v16, v13
	s_and_saveexec_b32 s4, s0
; %bb.103:
	s_delay_alu instid0(VALU_DEP_3) | instskip(NEXT) | instid1(VALU_DEP_1)
	v_add_co_u32 v16, s0, v13, v18
	v_add_co_ci_u32_e64 v14, s0, 0, v14, s0
	s_delay_alu instid0(VALU_DEP_2) | instskip(NEXT) | instid1(VALU_DEP_1)
	v_add_co_u32 v13, s0, 0, v16
	v_add_co_ci_u32_e64 v14, s0, v17, v14, s0
; %bb.104:
	s_or_b32 exec_lo, exec_lo, s4
	v_mov_b32_dpp v18, v16 row_shr:2 row_mask:0xf bank_mask:0xf
	s_delay_alu instid0(VALU_DEP_2)
	v_mov_b32_dpp v17, v14 row_shr:2 row_mask:0xf bank_mask:0xf
	s_and_saveexec_b32 s0, vcc_lo
; %bb.105:
	s_delay_alu instid0(VALU_DEP_2) | instskip(SKIP_1) | instid1(VALU_DEP_2)
	v_add_co_u32 v16, vcc_lo, v13, v18
	v_add_co_ci_u32_e32 v14, vcc_lo, 0, v14, vcc_lo
	v_add_co_u32 v13, vcc_lo, 0, v16
	s_delay_alu instid0(VALU_DEP_2)
	v_add_co_ci_u32_e32 v14, vcc_lo, v17, v14, vcc_lo
; %bb.106:
	s_or_b32 exec_lo, exec_lo, s0
	v_mov_b32_dpp v18, v16 row_shr:4 row_mask:0xf bank_mask:0xf
	s_delay_alu instid0(VALU_DEP_2)
	v_mov_b32_dpp v17, v14 row_shr:4 row_mask:0xf bank_mask:0xf
	s_and_saveexec_b32 s0, s1
; %bb.107:
	s_delay_alu instid0(VALU_DEP_2) | instskip(SKIP_1) | instid1(VALU_DEP_2)
	v_add_co_u32 v16, vcc_lo, v13, v18
	v_add_co_ci_u32_e32 v14, vcc_lo, 0, v14, vcc_lo
	v_add_co_u32 v13, vcc_lo, 0, v16
	s_delay_alu instid0(VALU_DEP_2)
	v_add_co_ci_u32_e32 v14, vcc_lo, v17, v14, vcc_lo
; %bb.108:
	s_or_b32 exec_lo, exec_lo, s0
	v_mul_i32_i24_e32 v17, 0xffffffd8, v0
	v_mov_b32_dpp v18, v16 row_shr:8 row_mask:0xf bank_mask:0xf
	s_delay_alu instid0(VALU_DEP_3)
	v_mov_b32_dpp v16, v14 row_shr:8 row_mask:0xf bank_mask:0xf
	s_and_saveexec_b32 s0, s3
; %bb.109:
	s_delay_alu instid0(VALU_DEP_2) | instskip(SKIP_1) | instid1(VALU_DEP_2)
	v_add_co_u32 v13, vcc_lo, v13, v18
	v_add_co_ci_u32_e32 v14, vcc_lo, 0, v14, vcc_lo
	v_add_co_u32 v13, vcc_lo, v13, 0
	s_delay_alu instid0(VALU_DEP_2)
	v_add_co_ci_u32_e32 v14, vcc_lo, v14, v16, vcc_lo
; %bb.110:
	s_or_b32 exec_lo, exec_lo, s0
	v_add_nc_u32_e32 v16, v37, v17
	ds_store_b64 v16, v[13:14]
.LBB230_111:
	s_or_b32 exec_lo, exec_lo, s7
	v_mov_b32_e32 v17, 0
	v_mov_b32_e32 v18, 0
	s_mov_b32 s0, exec_lo
	s_waitcnt lgkmcnt(0)
	s_barrier
	buffer_gl0_inv
	v_cmpx_lt_u32_e32 31, v0
	s_cbranch_execz .LBB230_113
; %bb.112:
	v_lshl_add_u32 v13, v15, 3, -8
	ds_load_b64 v[17:18], v13
.LBB230_113:
	s_or_b32 exec_lo, exec_lo, s0
	v_dual_mov_b32 v16, 0 :: v_dual_add_nc_u32 v13, -1, v42
	s_delay_alu instid0(VALU_DEP_1) | instskip(SKIP_4) | instid1(VALU_DEP_3)
	v_cmp_gt_i32_e32 vcc_lo, 0, v13
	v_cndmask_b32_e32 v13, v13, v42, vcc_lo
	s_waitcnt lgkmcnt(0)
	v_add_co_u32 v14, vcc_lo, v17, v23
	v_add_co_ci_u32_e32 v15, vcc_lo, v18, v24, vcc_lo
	v_lshlrev_b32_e32 v13, 2, v13
	ds_bpermute_b32 v19, v13, v14
	ds_bpermute_b32 v20, v13, v15
	ds_load_b64 v[13:14], v16 offset:88
	s_and_saveexec_b32 s0, s2
	s_cbranch_execz .LBB230_115
; %bb.114:
	s_add_u32 s10, s14, 0x200
	s_addc_u32 s11, s15, 0
	s_delay_alu instid0(SALU_CYCLE_1)
	v_dual_mov_b32 v15, 2 :: v_dual_mov_b32 v24, s11
	v_mov_b32_e32 v23, s10
	s_waitcnt lgkmcnt(0)
	;;#ASMSTART
	global_store_dwordx4 v[23:24], v[13:16] off	
s_waitcnt vmcnt(0)
	;;#ASMEND
.LBB230_115:
	s_or_b32 exec_lo, exec_lo, s0
	v_cmp_eq_u32_e32 vcc_lo, 0, v42
	s_waitcnt lgkmcnt(0)
	s_barrier
	buffer_gl0_inv
	v_dual_cndmask_b32 v15, v19, v17 :: v_dual_cndmask_b32 v16, v20, v18
	s_delay_alu instid0(VALU_DEP_1) | instskip(NEXT) | instid1(VALU_DEP_2)
	v_cndmask_b32_e64 v31, v15, 0, s2
	v_cndmask_b32_e64 v32, v16, 0, s2
	v_mov_b32_e32 v15, 0
	v_mov_b32_e32 v16, 0
	s_delay_alu instid0(VALU_DEP_4) | instskip(NEXT) | instid1(VALU_DEP_4)
	v_add_co_u32 v29, vcc_lo, v31, v41
	v_add_co_ci_u32_e32 v30, vcc_lo, 0, v32, vcc_lo
	s_delay_alu instid0(VALU_DEP_2) | instskip(NEXT) | instid1(VALU_DEP_2)
	v_add_co_u32 v27, vcc_lo, v29, v40
	v_add_co_ci_u32_e32 v28, vcc_lo, 0, v30, vcc_lo
	s_delay_alu instid0(VALU_DEP_2) | instskip(NEXT) | instid1(VALU_DEP_2)
	;; [unrolled: 3-line block ×4, first 2 shown]
	v_add_co_u32 v17, vcc_lo, v19, v38
	v_add_co_ci_u32_e32 v18, vcc_lo, 0, v20, vcc_lo
.LBB230_116:
	s_waitcnt lgkmcnt(0)
	v_cmp_gt_u64_e32 vcc_lo, 0x181, v[13:14]
	v_lshrrev_b32_e32 v38, 8, v36
	v_lshrrev_b32_e32 v37, 16, v36
	s_mov_b32 s0, -1
	s_cbranch_vccnz .LBB230_120
; %bb.117:
	s_and_b32 vcc_lo, exec_lo, s0
	s_cbranch_vccnz .LBB230_139
.LBB230_118:
	s_and_b32 s0, s2, s5
	s_delay_alu instid0(SALU_CYCLE_1)
	s_and_saveexec_b32 s1, s0
	s_cbranch_execnz .LBB230_155
.LBB230_119:
	s_nop 0
	s_sendmsg sendmsg(MSG_DEALLOC_VGPRS)
	s_endpgm
.LBB230_120:
	v_add_co_u32 v23, vcc_lo, v15, v13
	v_add_co_ci_u32_e32 v24, vcc_lo, v16, v14, vcc_lo
	v_lshlrev_b64 v[39:40], 3, v[21:22]
	s_delay_alu instid0(VALU_DEP_2) | instskip(NEXT) | instid1(VALU_DEP_2)
	v_cmp_lt_u64_e32 vcc_lo, v[31:32], v[23:24]
	v_add_co_u32 v39, s0, s12, v39
	s_delay_alu instid0(VALU_DEP_1) | instskip(SKIP_1) | instid1(SALU_CYCLE_1)
	v_add_co_ci_u32_e64 v40, s0, s13, v40, s0
	s_or_b32 s1, s6, vcc_lo
	s_and_saveexec_b32 s0, s1
	s_cbranch_execz .LBB230_123
; %bb.121:
	v_and_b32_e32 v41, 1, v36
	s_delay_alu instid0(VALU_DEP_1)
	v_cmp_eq_u32_e32 vcc_lo, 1, v41
	s_and_b32 exec_lo, exec_lo, vcc_lo
	s_cbranch_execz .LBB230_123
; %bb.122:
	v_lshlrev_b64 v[41:42], 3, v[31:32]
	s_delay_alu instid0(VALU_DEP_1) | instskip(NEXT) | instid1(VALU_DEP_2)
	v_add_co_u32 v41, vcc_lo, v39, v41
	v_add_co_ci_u32_e32 v42, vcc_lo, v40, v42, vcc_lo
	global_store_b64 v[41:42], v[9:10], off
.LBB230_123:
	s_or_b32 exec_lo, exec_lo, s0
	v_cmp_lt_u64_e32 vcc_lo, v[29:30], v[23:24]
	s_or_b32 s1, s6, vcc_lo
	s_delay_alu instid0(SALU_CYCLE_1)
	s_and_saveexec_b32 s0, s1
	s_cbranch_execz .LBB230_126
; %bb.124:
	v_and_b32_e32 v32, 1, v38
	s_delay_alu instid0(VALU_DEP_1)
	v_cmp_eq_u32_e32 vcc_lo, 1, v32
	s_and_b32 exec_lo, exec_lo, vcc_lo
	s_cbranch_execz .LBB230_126
; %bb.125:
	v_lshlrev_b64 v[41:42], 3, v[29:30]
	s_delay_alu instid0(VALU_DEP_1) | instskip(NEXT) | instid1(VALU_DEP_2)
	v_add_co_u32 v41, vcc_lo, v39, v41
	v_add_co_ci_u32_e32 v42, vcc_lo, v40, v42, vcc_lo
	global_store_b64 v[41:42], v[11:12], off
.LBB230_126:
	s_or_b32 exec_lo, exec_lo, s0
	v_cmp_lt_u64_e32 vcc_lo, v[27:28], v[23:24]
	s_or_b32 s1, s6, vcc_lo
	s_delay_alu instid0(SALU_CYCLE_1)
	;; [unrolled: 19-line block ×5, first 2 shown]
	s_and_saveexec_b32 s0, s1
	s_cbranch_execz .LBB230_138
; %bb.136:
	v_and_b32_e32 v20, 1, v33
	s_delay_alu instid0(VALU_DEP_1)
	v_cmp_eq_u32_e32 vcc_lo, 1, v20
	s_and_b32 exec_lo, exec_lo, vcc_lo
	s_cbranch_execz .LBB230_138
; %bb.137:
	v_lshlrev_b64 v[23:24], 3, v[17:18]
	s_delay_alu instid0(VALU_DEP_1) | instskip(NEXT) | instid1(VALU_DEP_2)
	v_add_co_u32 v23, vcc_lo, v39, v23
	v_add_co_ci_u32_e32 v24, vcc_lo, v40, v24, vcc_lo
	global_store_b64 v[23:24], v[3:4], off
.LBB230_138:
	s_or_b32 exec_lo, exec_lo, s0
	s_branch .LBB230_118
.LBB230_139:
	v_and_b32_e32 v18, 1, v36
	s_mov_b32 s0, exec_lo
	s_delay_alu instid0(VALU_DEP_1)
	v_cmpx_eq_u32_e32 1, v18
	s_cbranch_execz .LBB230_141
; %bb.140:
	v_sub_nc_u32_e32 v18, v31, v15
	s_delay_alu instid0(VALU_DEP_1)
	v_lshlrev_b32_e32 v18, 3, v18
	ds_store_b64 v18, v[9:10]
.LBB230_141:
	s_or_b32 exec_lo, exec_lo, s0
	v_and_b32_e32 v9, 1, v38
	s_mov_b32 s0, exec_lo
	s_delay_alu instid0(VALU_DEP_1)
	v_cmpx_eq_u32_e32 1, v9
	s_cbranch_execz .LBB230_143
; %bb.142:
	v_sub_nc_u32_e32 v9, v29, v15
	s_delay_alu instid0(VALU_DEP_1)
	v_lshlrev_b32_e32 v9, 3, v9
	ds_store_b64 v9, v[11:12]
.LBB230_143:
	s_or_b32 exec_lo, exec_lo, s0
	;; [unrolled: 12-line block ×6, first 2 shown]
	v_mov_b32_e32 v1, 0
	s_mov_b32 s1, exec_lo
	s_waitcnt lgkmcnt(0)
	s_waitcnt_vscnt null, 0x0
	s_barrier
	buffer_gl0_inv
	v_cmpx_gt_u64_e64 v[13:14], v[0:1]
	s_cbranch_execz .LBB230_154
; %bb.152:
	v_lshlrev_b64 v[2:3], 3, v[15:16]
	v_lshlrev_b64 v[4:5], 3, v[21:22]
	s_mov_b32 s3, 0
	s_delay_alu instid0(VALU_DEP_2) | instskip(NEXT) | instid1(VALU_DEP_3)
	v_add_co_u32 v6, vcc_lo, s12, v2
	v_add_co_ci_u32_e32 v7, vcc_lo, s13, v3, vcc_lo
	v_dual_mov_b32 v3, v1 :: v_dual_mov_b32 v2, v0
	s_delay_alu instid0(VALU_DEP_3) | instskip(NEXT) | instid1(VALU_DEP_3)
	v_add_co_u32 v4, vcc_lo, v6, v4
	v_add_co_ci_u32_e32 v5, vcc_lo, v7, v5, vcc_lo
	v_add_nc_u32_e32 v0, 0x180, v0
	.p2align	6
.LBB230_153:                            ; =>This Inner Loop Header: Depth=1
	s_delay_alu instid0(VALU_DEP_4) | instskip(SKIP_2) | instid1(VALU_DEP_4)
	v_lshlrev_b32_e32 v6, 3, v2
	v_lshlrev_b64 v[8:9], 3, v[2:3]
	v_mov_b32_e32 v3, v1
	v_cmp_le_u64_e32 vcc_lo, v[13:14], v[0:1]
	v_mov_b32_e32 v2, v0
	ds_load_b64 v[6:7], v6
	v_add_nc_u32_e32 v0, 0x180, v0
	v_add_co_u32 v8, s0, v4, v8
	s_delay_alu instid0(VALU_DEP_1)
	v_add_co_ci_u32_e64 v9, s0, v5, v9, s0
	s_or_b32 s3, vcc_lo, s3
	s_waitcnt lgkmcnt(0)
	global_store_b64 v[8:9], v[6:7], off
	s_and_not1_b32 exec_lo, exec_lo, s3
	s_cbranch_execnz .LBB230_153
.LBB230_154:
	s_or_b32 exec_lo, exec_lo, s1
	s_and_b32 s0, s2, s5
	s_delay_alu instid0(SALU_CYCLE_1)
	s_and_saveexec_b32 s1, s0
	s_cbranch_execz .LBB230_119
.LBB230_155:
	v_add_co_u32 v0, vcc_lo, v15, v13
	v_add_co_ci_u32_e32 v1, vcc_lo, v16, v14, vcc_lo
	v_mov_b32_e32 v2, 0
	s_delay_alu instid0(VALU_DEP_3) | instskip(NEXT) | instid1(VALU_DEP_3)
	v_add_co_u32 v0, vcc_lo, v0, v21
	v_add_co_ci_u32_e32 v1, vcc_lo, v1, v22, vcc_lo
	global_store_b64 v2, v[0:1], s[8:9]
	s_nop 0
	s_sendmsg sendmsg(MSG_DEALLOC_VGPRS)
	s_endpgm
	.section	.rodata,"a",@progbits
	.p2align	6, 0x0
	.amdhsa_kernel _ZN7rocprim17ROCPRIM_400000_NS6detail17trampoline_kernelINS0_14default_configENS1_25partition_config_selectorILNS1_17partition_subalgoE6EdNS0_10empty_typeEbEEZZNS1_14partition_implILS5_6ELb0ES3_mN6thrust23THRUST_200600_302600_NS6detail15normal_iteratorINSA_10device_ptrIdEEEEPS6_SG_NS0_5tupleIJSF_S6_EEENSH_IJSG_SG_EEES6_PlJ7is_evenIdEEEE10hipError_tPvRmT3_T4_T5_T6_T7_T9_mT8_P12ihipStream_tbDpT10_ENKUlT_T0_E_clISt17integral_constantIbLb0EES15_IbLb1EEEEDaS11_S12_EUlS11_E_NS1_11comp_targetILNS1_3genE9ELNS1_11target_archE1100ELNS1_3gpuE3ELNS1_3repE0EEENS1_30default_config_static_selectorELNS0_4arch9wavefront6targetE0EEEvT1_
		.amdhsa_group_segment_fixed_size 18448
		.amdhsa_private_segment_fixed_size 0
		.amdhsa_kernarg_size 128
		.amdhsa_user_sgpr_count 15
		.amdhsa_user_sgpr_dispatch_ptr 0
		.amdhsa_user_sgpr_queue_ptr 0
		.amdhsa_user_sgpr_kernarg_segment_ptr 1
		.amdhsa_user_sgpr_dispatch_id 0
		.amdhsa_user_sgpr_private_segment_size 0
		.amdhsa_wavefront_size32 1
		.amdhsa_uses_dynamic_stack 0
		.amdhsa_enable_private_segment 0
		.amdhsa_system_sgpr_workgroup_id_x 1
		.amdhsa_system_sgpr_workgroup_id_y 0
		.amdhsa_system_sgpr_workgroup_id_z 0
		.amdhsa_system_sgpr_workgroup_info 0
		.amdhsa_system_vgpr_workitem_id 0
		.amdhsa_next_free_vgpr 56
		.amdhsa_next_free_sgpr 18
		.amdhsa_reserve_vcc 1
		.amdhsa_float_round_mode_32 0
		.amdhsa_float_round_mode_16_64 0
		.amdhsa_float_denorm_mode_32 3
		.amdhsa_float_denorm_mode_16_64 3
		.amdhsa_dx10_clamp 1
		.amdhsa_ieee_mode 1
		.amdhsa_fp16_overflow 0
		.amdhsa_workgroup_processor_mode 1
		.amdhsa_memory_ordered 1
		.amdhsa_forward_progress 0
		.amdhsa_shared_vgpr_count 0
		.amdhsa_exception_fp_ieee_invalid_op 0
		.amdhsa_exception_fp_denorm_src 0
		.amdhsa_exception_fp_ieee_div_zero 0
		.amdhsa_exception_fp_ieee_overflow 0
		.amdhsa_exception_fp_ieee_underflow 0
		.amdhsa_exception_fp_ieee_inexact 0
		.amdhsa_exception_int_div_zero 0
	.end_amdhsa_kernel
	.section	.text._ZN7rocprim17ROCPRIM_400000_NS6detail17trampoline_kernelINS0_14default_configENS1_25partition_config_selectorILNS1_17partition_subalgoE6EdNS0_10empty_typeEbEEZZNS1_14partition_implILS5_6ELb0ES3_mN6thrust23THRUST_200600_302600_NS6detail15normal_iteratorINSA_10device_ptrIdEEEEPS6_SG_NS0_5tupleIJSF_S6_EEENSH_IJSG_SG_EEES6_PlJ7is_evenIdEEEE10hipError_tPvRmT3_T4_T5_T6_T7_T9_mT8_P12ihipStream_tbDpT10_ENKUlT_T0_E_clISt17integral_constantIbLb0EES15_IbLb1EEEEDaS11_S12_EUlS11_E_NS1_11comp_targetILNS1_3genE9ELNS1_11target_archE1100ELNS1_3gpuE3ELNS1_3repE0EEENS1_30default_config_static_selectorELNS0_4arch9wavefront6targetE0EEEvT1_,"axG",@progbits,_ZN7rocprim17ROCPRIM_400000_NS6detail17trampoline_kernelINS0_14default_configENS1_25partition_config_selectorILNS1_17partition_subalgoE6EdNS0_10empty_typeEbEEZZNS1_14partition_implILS5_6ELb0ES3_mN6thrust23THRUST_200600_302600_NS6detail15normal_iteratorINSA_10device_ptrIdEEEEPS6_SG_NS0_5tupleIJSF_S6_EEENSH_IJSG_SG_EEES6_PlJ7is_evenIdEEEE10hipError_tPvRmT3_T4_T5_T6_T7_T9_mT8_P12ihipStream_tbDpT10_ENKUlT_T0_E_clISt17integral_constantIbLb0EES15_IbLb1EEEEDaS11_S12_EUlS11_E_NS1_11comp_targetILNS1_3genE9ELNS1_11target_archE1100ELNS1_3gpuE3ELNS1_3repE0EEENS1_30default_config_static_selectorELNS0_4arch9wavefront6targetE0EEEvT1_,comdat
.Lfunc_end230:
	.size	_ZN7rocprim17ROCPRIM_400000_NS6detail17trampoline_kernelINS0_14default_configENS1_25partition_config_selectorILNS1_17partition_subalgoE6EdNS0_10empty_typeEbEEZZNS1_14partition_implILS5_6ELb0ES3_mN6thrust23THRUST_200600_302600_NS6detail15normal_iteratorINSA_10device_ptrIdEEEEPS6_SG_NS0_5tupleIJSF_S6_EEENSH_IJSG_SG_EEES6_PlJ7is_evenIdEEEE10hipError_tPvRmT3_T4_T5_T6_T7_T9_mT8_P12ihipStream_tbDpT10_ENKUlT_T0_E_clISt17integral_constantIbLb0EES15_IbLb1EEEEDaS11_S12_EUlS11_E_NS1_11comp_targetILNS1_3genE9ELNS1_11target_archE1100ELNS1_3gpuE3ELNS1_3repE0EEENS1_30default_config_static_selectorELNS0_4arch9wavefront6targetE0EEEvT1_, .Lfunc_end230-_ZN7rocprim17ROCPRIM_400000_NS6detail17trampoline_kernelINS0_14default_configENS1_25partition_config_selectorILNS1_17partition_subalgoE6EdNS0_10empty_typeEbEEZZNS1_14partition_implILS5_6ELb0ES3_mN6thrust23THRUST_200600_302600_NS6detail15normal_iteratorINSA_10device_ptrIdEEEEPS6_SG_NS0_5tupleIJSF_S6_EEENSH_IJSG_SG_EEES6_PlJ7is_evenIdEEEE10hipError_tPvRmT3_T4_T5_T6_T7_T9_mT8_P12ihipStream_tbDpT10_ENKUlT_T0_E_clISt17integral_constantIbLb0EES15_IbLb1EEEEDaS11_S12_EUlS11_E_NS1_11comp_targetILNS1_3genE9ELNS1_11target_archE1100ELNS1_3gpuE3ELNS1_3repE0EEENS1_30default_config_static_selectorELNS0_4arch9wavefront6targetE0EEEvT1_
                                        ; -- End function
	.section	.AMDGPU.csdata,"",@progbits
; Kernel info:
; codeLenInByte = 6676
; NumSgprs: 20
; NumVgprs: 56
; ScratchSize: 0
; MemoryBound: 0
; FloatMode: 240
; IeeeMode: 1
; LDSByteSize: 18448 bytes/workgroup (compile time only)
; SGPRBlocks: 2
; VGPRBlocks: 6
; NumSGPRsForWavesPerEU: 20
; NumVGPRsForWavesPerEU: 56
; Occupancy: 15
; WaveLimiterHint : 1
; COMPUTE_PGM_RSRC2:SCRATCH_EN: 0
; COMPUTE_PGM_RSRC2:USER_SGPR: 15
; COMPUTE_PGM_RSRC2:TRAP_HANDLER: 0
; COMPUTE_PGM_RSRC2:TGID_X_EN: 1
; COMPUTE_PGM_RSRC2:TGID_Y_EN: 0
; COMPUTE_PGM_RSRC2:TGID_Z_EN: 0
; COMPUTE_PGM_RSRC2:TIDIG_COMP_CNT: 0
	.section	.text._ZN7rocprim17ROCPRIM_400000_NS6detail17trampoline_kernelINS0_14default_configENS1_25partition_config_selectorILNS1_17partition_subalgoE6EdNS0_10empty_typeEbEEZZNS1_14partition_implILS5_6ELb0ES3_mN6thrust23THRUST_200600_302600_NS6detail15normal_iteratorINSA_10device_ptrIdEEEEPS6_SG_NS0_5tupleIJSF_S6_EEENSH_IJSG_SG_EEES6_PlJ7is_evenIdEEEE10hipError_tPvRmT3_T4_T5_T6_T7_T9_mT8_P12ihipStream_tbDpT10_ENKUlT_T0_E_clISt17integral_constantIbLb0EES15_IbLb1EEEEDaS11_S12_EUlS11_E_NS1_11comp_targetILNS1_3genE8ELNS1_11target_archE1030ELNS1_3gpuE2ELNS1_3repE0EEENS1_30default_config_static_selectorELNS0_4arch9wavefront6targetE0EEEvT1_,"axG",@progbits,_ZN7rocprim17ROCPRIM_400000_NS6detail17trampoline_kernelINS0_14default_configENS1_25partition_config_selectorILNS1_17partition_subalgoE6EdNS0_10empty_typeEbEEZZNS1_14partition_implILS5_6ELb0ES3_mN6thrust23THRUST_200600_302600_NS6detail15normal_iteratorINSA_10device_ptrIdEEEEPS6_SG_NS0_5tupleIJSF_S6_EEENSH_IJSG_SG_EEES6_PlJ7is_evenIdEEEE10hipError_tPvRmT3_T4_T5_T6_T7_T9_mT8_P12ihipStream_tbDpT10_ENKUlT_T0_E_clISt17integral_constantIbLb0EES15_IbLb1EEEEDaS11_S12_EUlS11_E_NS1_11comp_targetILNS1_3genE8ELNS1_11target_archE1030ELNS1_3gpuE2ELNS1_3repE0EEENS1_30default_config_static_selectorELNS0_4arch9wavefront6targetE0EEEvT1_,comdat
	.protected	_ZN7rocprim17ROCPRIM_400000_NS6detail17trampoline_kernelINS0_14default_configENS1_25partition_config_selectorILNS1_17partition_subalgoE6EdNS0_10empty_typeEbEEZZNS1_14partition_implILS5_6ELb0ES3_mN6thrust23THRUST_200600_302600_NS6detail15normal_iteratorINSA_10device_ptrIdEEEEPS6_SG_NS0_5tupleIJSF_S6_EEENSH_IJSG_SG_EEES6_PlJ7is_evenIdEEEE10hipError_tPvRmT3_T4_T5_T6_T7_T9_mT8_P12ihipStream_tbDpT10_ENKUlT_T0_E_clISt17integral_constantIbLb0EES15_IbLb1EEEEDaS11_S12_EUlS11_E_NS1_11comp_targetILNS1_3genE8ELNS1_11target_archE1030ELNS1_3gpuE2ELNS1_3repE0EEENS1_30default_config_static_selectorELNS0_4arch9wavefront6targetE0EEEvT1_ ; -- Begin function _ZN7rocprim17ROCPRIM_400000_NS6detail17trampoline_kernelINS0_14default_configENS1_25partition_config_selectorILNS1_17partition_subalgoE6EdNS0_10empty_typeEbEEZZNS1_14partition_implILS5_6ELb0ES3_mN6thrust23THRUST_200600_302600_NS6detail15normal_iteratorINSA_10device_ptrIdEEEEPS6_SG_NS0_5tupleIJSF_S6_EEENSH_IJSG_SG_EEES6_PlJ7is_evenIdEEEE10hipError_tPvRmT3_T4_T5_T6_T7_T9_mT8_P12ihipStream_tbDpT10_ENKUlT_T0_E_clISt17integral_constantIbLb0EES15_IbLb1EEEEDaS11_S12_EUlS11_E_NS1_11comp_targetILNS1_3genE8ELNS1_11target_archE1030ELNS1_3gpuE2ELNS1_3repE0EEENS1_30default_config_static_selectorELNS0_4arch9wavefront6targetE0EEEvT1_
	.globl	_ZN7rocprim17ROCPRIM_400000_NS6detail17trampoline_kernelINS0_14default_configENS1_25partition_config_selectorILNS1_17partition_subalgoE6EdNS0_10empty_typeEbEEZZNS1_14partition_implILS5_6ELb0ES3_mN6thrust23THRUST_200600_302600_NS6detail15normal_iteratorINSA_10device_ptrIdEEEEPS6_SG_NS0_5tupleIJSF_S6_EEENSH_IJSG_SG_EEES6_PlJ7is_evenIdEEEE10hipError_tPvRmT3_T4_T5_T6_T7_T9_mT8_P12ihipStream_tbDpT10_ENKUlT_T0_E_clISt17integral_constantIbLb0EES15_IbLb1EEEEDaS11_S12_EUlS11_E_NS1_11comp_targetILNS1_3genE8ELNS1_11target_archE1030ELNS1_3gpuE2ELNS1_3repE0EEENS1_30default_config_static_selectorELNS0_4arch9wavefront6targetE0EEEvT1_
	.p2align	8
	.type	_ZN7rocprim17ROCPRIM_400000_NS6detail17trampoline_kernelINS0_14default_configENS1_25partition_config_selectorILNS1_17partition_subalgoE6EdNS0_10empty_typeEbEEZZNS1_14partition_implILS5_6ELb0ES3_mN6thrust23THRUST_200600_302600_NS6detail15normal_iteratorINSA_10device_ptrIdEEEEPS6_SG_NS0_5tupleIJSF_S6_EEENSH_IJSG_SG_EEES6_PlJ7is_evenIdEEEE10hipError_tPvRmT3_T4_T5_T6_T7_T9_mT8_P12ihipStream_tbDpT10_ENKUlT_T0_E_clISt17integral_constantIbLb0EES15_IbLb1EEEEDaS11_S12_EUlS11_E_NS1_11comp_targetILNS1_3genE8ELNS1_11target_archE1030ELNS1_3gpuE2ELNS1_3repE0EEENS1_30default_config_static_selectorELNS0_4arch9wavefront6targetE0EEEvT1_,@function
_ZN7rocprim17ROCPRIM_400000_NS6detail17trampoline_kernelINS0_14default_configENS1_25partition_config_selectorILNS1_17partition_subalgoE6EdNS0_10empty_typeEbEEZZNS1_14partition_implILS5_6ELb0ES3_mN6thrust23THRUST_200600_302600_NS6detail15normal_iteratorINSA_10device_ptrIdEEEEPS6_SG_NS0_5tupleIJSF_S6_EEENSH_IJSG_SG_EEES6_PlJ7is_evenIdEEEE10hipError_tPvRmT3_T4_T5_T6_T7_T9_mT8_P12ihipStream_tbDpT10_ENKUlT_T0_E_clISt17integral_constantIbLb0EES15_IbLb1EEEEDaS11_S12_EUlS11_E_NS1_11comp_targetILNS1_3genE8ELNS1_11target_archE1030ELNS1_3gpuE2ELNS1_3repE0EEENS1_30default_config_static_selectorELNS0_4arch9wavefront6targetE0EEEvT1_: ; @_ZN7rocprim17ROCPRIM_400000_NS6detail17trampoline_kernelINS0_14default_configENS1_25partition_config_selectorILNS1_17partition_subalgoE6EdNS0_10empty_typeEbEEZZNS1_14partition_implILS5_6ELb0ES3_mN6thrust23THRUST_200600_302600_NS6detail15normal_iteratorINSA_10device_ptrIdEEEEPS6_SG_NS0_5tupleIJSF_S6_EEENSH_IJSG_SG_EEES6_PlJ7is_evenIdEEEE10hipError_tPvRmT3_T4_T5_T6_T7_T9_mT8_P12ihipStream_tbDpT10_ENKUlT_T0_E_clISt17integral_constantIbLb0EES15_IbLb1EEEEDaS11_S12_EUlS11_E_NS1_11comp_targetILNS1_3genE8ELNS1_11target_archE1030ELNS1_3gpuE2ELNS1_3repE0EEENS1_30default_config_static_selectorELNS0_4arch9wavefront6targetE0EEEvT1_
; %bb.0:
	.section	.rodata,"a",@progbits
	.p2align	6, 0x0
	.amdhsa_kernel _ZN7rocprim17ROCPRIM_400000_NS6detail17trampoline_kernelINS0_14default_configENS1_25partition_config_selectorILNS1_17partition_subalgoE6EdNS0_10empty_typeEbEEZZNS1_14partition_implILS5_6ELb0ES3_mN6thrust23THRUST_200600_302600_NS6detail15normal_iteratorINSA_10device_ptrIdEEEEPS6_SG_NS0_5tupleIJSF_S6_EEENSH_IJSG_SG_EEES6_PlJ7is_evenIdEEEE10hipError_tPvRmT3_T4_T5_T6_T7_T9_mT8_P12ihipStream_tbDpT10_ENKUlT_T0_E_clISt17integral_constantIbLb0EES15_IbLb1EEEEDaS11_S12_EUlS11_E_NS1_11comp_targetILNS1_3genE8ELNS1_11target_archE1030ELNS1_3gpuE2ELNS1_3repE0EEENS1_30default_config_static_selectorELNS0_4arch9wavefront6targetE0EEEvT1_
		.amdhsa_group_segment_fixed_size 0
		.amdhsa_private_segment_fixed_size 0
		.amdhsa_kernarg_size 128
		.amdhsa_user_sgpr_count 15
		.amdhsa_user_sgpr_dispatch_ptr 0
		.amdhsa_user_sgpr_queue_ptr 0
		.amdhsa_user_sgpr_kernarg_segment_ptr 1
		.amdhsa_user_sgpr_dispatch_id 0
		.amdhsa_user_sgpr_private_segment_size 0
		.amdhsa_wavefront_size32 1
		.amdhsa_uses_dynamic_stack 0
		.amdhsa_enable_private_segment 0
		.amdhsa_system_sgpr_workgroup_id_x 1
		.amdhsa_system_sgpr_workgroup_id_y 0
		.amdhsa_system_sgpr_workgroup_id_z 0
		.amdhsa_system_sgpr_workgroup_info 0
		.amdhsa_system_vgpr_workitem_id 0
		.amdhsa_next_free_vgpr 1
		.amdhsa_next_free_sgpr 1
		.amdhsa_reserve_vcc 0
		.amdhsa_float_round_mode_32 0
		.amdhsa_float_round_mode_16_64 0
		.amdhsa_float_denorm_mode_32 3
		.amdhsa_float_denorm_mode_16_64 3
		.amdhsa_dx10_clamp 1
		.amdhsa_ieee_mode 1
		.amdhsa_fp16_overflow 0
		.amdhsa_workgroup_processor_mode 1
		.amdhsa_memory_ordered 1
		.amdhsa_forward_progress 0
		.amdhsa_shared_vgpr_count 0
		.amdhsa_exception_fp_ieee_invalid_op 0
		.amdhsa_exception_fp_denorm_src 0
		.amdhsa_exception_fp_ieee_div_zero 0
		.amdhsa_exception_fp_ieee_overflow 0
		.amdhsa_exception_fp_ieee_underflow 0
		.amdhsa_exception_fp_ieee_inexact 0
		.amdhsa_exception_int_div_zero 0
	.end_amdhsa_kernel
	.section	.text._ZN7rocprim17ROCPRIM_400000_NS6detail17trampoline_kernelINS0_14default_configENS1_25partition_config_selectorILNS1_17partition_subalgoE6EdNS0_10empty_typeEbEEZZNS1_14partition_implILS5_6ELb0ES3_mN6thrust23THRUST_200600_302600_NS6detail15normal_iteratorINSA_10device_ptrIdEEEEPS6_SG_NS0_5tupleIJSF_S6_EEENSH_IJSG_SG_EEES6_PlJ7is_evenIdEEEE10hipError_tPvRmT3_T4_T5_T6_T7_T9_mT8_P12ihipStream_tbDpT10_ENKUlT_T0_E_clISt17integral_constantIbLb0EES15_IbLb1EEEEDaS11_S12_EUlS11_E_NS1_11comp_targetILNS1_3genE8ELNS1_11target_archE1030ELNS1_3gpuE2ELNS1_3repE0EEENS1_30default_config_static_selectorELNS0_4arch9wavefront6targetE0EEEvT1_,"axG",@progbits,_ZN7rocprim17ROCPRIM_400000_NS6detail17trampoline_kernelINS0_14default_configENS1_25partition_config_selectorILNS1_17partition_subalgoE6EdNS0_10empty_typeEbEEZZNS1_14partition_implILS5_6ELb0ES3_mN6thrust23THRUST_200600_302600_NS6detail15normal_iteratorINSA_10device_ptrIdEEEEPS6_SG_NS0_5tupleIJSF_S6_EEENSH_IJSG_SG_EEES6_PlJ7is_evenIdEEEE10hipError_tPvRmT3_T4_T5_T6_T7_T9_mT8_P12ihipStream_tbDpT10_ENKUlT_T0_E_clISt17integral_constantIbLb0EES15_IbLb1EEEEDaS11_S12_EUlS11_E_NS1_11comp_targetILNS1_3genE8ELNS1_11target_archE1030ELNS1_3gpuE2ELNS1_3repE0EEENS1_30default_config_static_selectorELNS0_4arch9wavefront6targetE0EEEvT1_,comdat
.Lfunc_end231:
	.size	_ZN7rocprim17ROCPRIM_400000_NS6detail17trampoline_kernelINS0_14default_configENS1_25partition_config_selectorILNS1_17partition_subalgoE6EdNS0_10empty_typeEbEEZZNS1_14partition_implILS5_6ELb0ES3_mN6thrust23THRUST_200600_302600_NS6detail15normal_iteratorINSA_10device_ptrIdEEEEPS6_SG_NS0_5tupleIJSF_S6_EEENSH_IJSG_SG_EEES6_PlJ7is_evenIdEEEE10hipError_tPvRmT3_T4_T5_T6_T7_T9_mT8_P12ihipStream_tbDpT10_ENKUlT_T0_E_clISt17integral_constantIbLb0EES15_IbLb1EEEEDaS11_S12_EUlS11_E_NS1_11comp_targetILNS1_3genE8ELNS1_11target_archE1030ELNS1_3gpuE2ELNS1_3repE0EEENS1_30default_config_static_selectorELNS0_4arch9wavefront6targetE0EEEvT1_, .Lfunc_end231-_ZN7rocprim17ROCPRIM_400000_NS6detail17trampoline_kernelINS0_14default_configENS1_25partition_config_selectorILNS1_17partition_subalgoE6EdNS0_10empty_typeEbEEZZNS1_14partition_implILS5_6ELb0ES3_mN6thrust23THRUST_200600_302600_NS6detail15normal_iteratorINSA_10device_ptrIdEEEEPS6_SG_NS0_5tupleIJSF_S6_EEENSH_IJSG_SG_EEES6_PlJ7is_evenIdEEEE10hipError_tPvRmT3_T4_T5_T6_T7_T9_mT8_P12ihipStream_tbDpT10_ENKUlT_T0_E_clISt17integral_constantIbLb0EES15_IbLb1EEEEDaS11_S12_EUlS11_E_NS1_11comp_targetILNS1_3genE8ELNS1_11target_archE1030ELNS1_3gpuE2ELNS1_3repE0EEENS1_30default_config_static_selectorELNS0_4arch9wavefront6targetE0EEEvT1_
                                        ; -- End function
	.section	.AMDGPU.csdata,"",@progbits
; Kernel info:
; codeLenInByte = 0
; NumSgprs: 0
; NumVgprs: 0
; ScratchSize: 0
; MemoryBound: 0
; FloatMode: 240
; IeeeMode: 1
; LDSByteSize: 0 bytes/workgroup (compile time only)
; SGPRBlocks: 0
; VGPRBlocks: 0
; NumSGPRsForWavesPerEU: 1
; NumVGPRsForWavesPerEU: 1
; Occupancy: 16
; WaveLimiterHint : 0
; COMPUTE_PGM_RSRC2:SCRATCH_EN: 0
; COMPUTE_PGM_RSRC2:USER_SGPR: 15
; COMPUTE_PGM_RSRC2:TRAP_HANDLER: 0
; COMPUTE_PGM_RSRC2:TGID_X_EN: 1
; COMPUTE_PGM_RSRC2:TGID_Y_EN: 0
; COMPUTE_PGM_RSRC2:TGID_Z_EN: 0
; COMPUTE_PGM_RSRC2:TIDIG_COMP_CNT: 0
	.section	.text._ZN7rocprim17ROCPRIM_400000_NS6detail17trampoline_kernelINS0_14default_configENS1_25partition_config_selectorILNS1_17partition_subalgoE6EfNS0_10empty_typeEbEEZZNS1_14partition_implILS5_6ELb0ES3_mN6thrust23THRUST_200600_302600_NS6detail15normal_iteratorINSA_10device_ptrIfEEEEPS6_SG_NS0_5tupleIJSF_S6_EEENSH_IJSG_SG_EEES6_PlJ7is_evenIfEEEE10hipError_tPvRmT3_T4_T5_T6_T7_T9_mT8_P12ihipStream_tbDpT10_ENKUlT_T0_E_clISt17integral_constantIbLb0EES16_EEDaS11_S12_EUlS11_E_NS1_11comp_targetILNS1_3genE0ELNS1_11target_archE4294967295ELNS1_3gpuE0ELNS1_3repE0EEENS1_30default_config_static_selectorELNS0_4arch9wavefront6targetE0EEEvT1_,"axG",@progbits,_ZN7rocprim17ROCPRIM_400000_NS6detail17trampoline_kernelINS0_14default_configENS1_25partition_config_selectorILNS1_17partition_subalgoE6EfNS0_10empty_typeEbEEZZNS1_14partition_implILS5_6ELb0ES3_mN6thrust23THRUST_200600_302600_NS6detail15normal_iteratorINSA_10device_ptrIfEEEEPS6_SG_NS0_5tupleIJSF_S6_EEENSH_IJSG_SG_EEES6_PlJ7is_evenIfEEEE10hipError_tPvRmT3_T4_T5_T6_T7_T9_mT8_P12ihipStream_tbDpT10_ENKUlT_T0_E_clISt17integral_constantIbLb0EES16_EEDaS11_S12_EUlS11_E_NS1_11comp_targetILNS1_3genE0ELNS1_11target_archE4294967295ELNS1_3gpuE0ELNS1_3repE0EEENS1_30default_config_static_selectorELNS0_4arch9wavefront6targetE0EEEvT1_,comdat
	.protected	_ZN7rocprim17ROCPRIM_400000_NS6detail17trampoline_kernelINS0_14default_configENS1_25partition_config_selectorILNS1_17partition_subalgoE6EfNS0_10empty_typeEbEEZZNS1_14partition_implILS5_6ELb0ES3_mN6thrust23THRUST_200600_302600_NS6detail15normal_iteratorINSA_10device_ptrIfEEEEPS6_SG_NS0_5tupleIJSF_S6_EEENSH_IJSG_SG_EEES6_PlJ7is_evenIfEEEE10hipError_tPvRmT3_T4_T5_T6_T7_T9_mT8_P12ihipStream_tbDpT10_ENKUlT_T0_E_clISt17integral_constantIbLb0EES16_EEDaS11_S12_EUlS11_E_NS1_11comp_targetILNS1_3genE0ELNS1_11target_archE4294967295ELNS1_3gpuE0ELNS1_3repE0EEENS1_30default_config_static_selectorELNS0_4arch9wavefront6targetE0EEEvT1_ ; -- Begin function _ZN7rocprim17ROCPRIM_400000_NS6detail17trampoline_kernelINS0_14default_configENS1_25partition_config_selectorILNS1_17partition_subalgoE6EfNS0_10empty_typeEbEEZZNS1_14partition_implILS5_6ELb0ES3_mN6thrust23THRUST_200600_302600_NS6detail15normal_iteratorINSA_10device_ptrIfEEEEPS6_SG_NS0_5tupleIJSF_S6_EEENSH_IJSG_SG_EEES6_PlJ7is_evenIfEEEE10hipError_tPvRmT3_T4_T5_T6_T7_T9_mT8_P12ihipStream_tbDpT10_ENKUlT_T0_E_clISt17integral_constantIbLb0EES16_EEDaS11_S12_EUlS11_E_NS1_11comp_targetILNS1_3genE0ELNS1_11target_archE4294967295ELNS1_3gpuE0ELNS1_3repE0EEENS1_30default_config_static_selectorELNS0_4arch9wavefront6targetE0EEEvT1_
	.globl	_ZN7rocprim17ROCPRIM_400000_NS6detail17trampoline_kernelINS0_14default_configENS1_25partition_config_selectorILNS1_17partition_subalgoE6EfNS0_10empty_typeEbEEZZNS1_14partition_implILS5_6ELb0ES3_mN6thrust23THRUST_200600_302600_NS6detail15normal_iteratorINSA_10device_ptrIfEEEEPS6_SG_NS0_5tupleIJSF_S6_EEENSH_IJSG_SG_EEES6_PlJ7is_evenIfEEEE10hipError_tPvRmT3_T4_T5_T6_T7_T9_mT8_P12ihipStream_tbDpT10_ENKUlT_T0_E_clISt17integral_constantIbLb0EES16_EEDaS11_S12_EUlS11_E_NS1_11comp_targetILNS1_3genE0ELNS1_11target_archE4294967295ELNS1_3gpuE0ELNS1_3repE0EEENS1_30default_config_static_selectorELNS0_4arch9wavefront6targetE0EEEvT1_
	.p2align	8
	.type	_ZN7rocprim17ROCPRIM_400000_NS6detail17trampoline_kernelINS0_14default_configENS1_25partition_config_selectorILNS1_17partition_subalgoE6EfNS0_10empty_typeEbEEZZNS1_14partition_implILS5_6ELb0ES3_mN6thrust23THRUST_200600_302600_NS6detail15normal_iteratorINSA_10device_ptrIfEEEEPS6_SG_NS0_5tupleIJSF_S6_EEENSH_IJSG_SG_EEES6_PlJ7is_evenIfEEEE10hipError_tPvRmT3_T4_T5_T6_T7_T9_mT8_P12ihipStream_tbDpT10_ENKUlT_T0_E_clISt17integral_constantIbLb0EES16_EEDaS11_S12_EUlS11_E_NS1_11comp_targetILNS1_3genE0ELNS1_11target_archE4294967295ELNS1_3gpuE0ELNS1_3repE0EEENS1_30default_config_static_selectorELNS0_4arch9wavefront6targetE0EEEvT1_,@function
_ZN7rocprim17ROCPRIM_400000_NS6detail17trampoline_kernelINS0_14default_configENS1_25partition_config_selectorILNS1_17partition_subalgoE6EfNS0_10empty_typeEbEEZZNS1_14partition_implILS5_6ELb0ES3_mN6thrust23THRUST_200600_302600_NS6detail15normal_iteratorINSA_10device_ptrIfEEEEPS6_SG_NS0_5tupleIJSF_S6_EEENSH_IJSG_SG_EEES6_PlJ7is_evenIfEEEE10hipError_tPvRmT3_T4_T5_T6_T7_T9_mT8_P12ihipStream_tbDpT10_ENKUlT_T0_E_clISt17integral_constantIbLb0EES16_EEDaS11_S12_EUlS11_E_NS1_11comp_targetILNS1_3genE0ELNS1_11target_archE4294967295ELNS1_3gpuE0ELNS1_3repE0EEENS1_30default_config_static_selectorELNS0_4arch9wavefront6targetE0EEEvT1_: ; @_ZN7rocprim17ROCPRIM_400000_NS6detail17trampoline_kernelINS0_14default_configENS1_25partition_config_selectorILNS1_17partition_subalgoE6EfNS0_10empty_typeEbEEZZNS1_14partition_implILS5_6ELb0ES3_mN6thrust23THRUST_200600_302600_NS6detail15normal_iteratorINSA_10device_ptrIfEEEEPS6_SG_NS0_5tupleIJSF_S6_EEENSH_IJSG_SG_EEES6_PlJ7is_evenIfEEEE10hipError_tPvRmT3_T4_T5_T6_T7_T9_mT8_P12ihipStream_tbDpT10_ENKUlT_T0_E_clISt17integral_constantIbLb0EES16_EEDaS11_S12_EUlS11_E_NS1_11comp_targetILNS1_3genE0ELNS1_11target_archE4294967295ELNS1_3gpuE0ELNS1_3repE0EEENS1_30default_config_static_selectorELNS0_4arch9wavefront6targetE0EEEvT1_
; %bb.0:
	.section	.rodata,"a",@progbits
	.p2align	6, 0x0
	.amdhsa_kernel _ZN7rocprim17ROCPRIM_400000_NS6detail17trampoline_kernelINS0_14default_configENS1_25partition_config_selectorILNS1_17partition_subalgoE6EfNS0_10empty_typeEbEEZZNS1_14partition_implILS5_6ELb0ES3_mN6thrust23THRUST_200600_302600_NS6detail15normal_iteratorINSA_10device_ptrIfEEEEPS6_SG_NS0_5tupleIJSF_S6_EEENSH_IJSG_SG_EEES6_PlJ7is_evenIfEEEE10hipError_tPvRmT3_T4_T5_T6_T7_T9_mT8_P12ihipStream_tbDpT10_ENKUlT_T0_E_clISt17integral_constantIbLb0EES16_EEDaS11_S12_EUlS11_E_NS1_11comp_targetILNS1_3genE0ELNS1_11target_archE4294967295ELNS1_3gpuE0ELNS1_3repE0EEENS1_30default_config_static_selectorELNS0_4arch9wavefront6targetE0EEEvT1_
		.amdhsa_group_segment_fixed_size 0
		.amdhsa_private_segment_fixed_size 0
		.amdhsa_kernarg_size 112
		.amdhsa_user_sgpr_count 15
		.amdhsa_user_sgpr_dispatch_ptr 0
		.amdhsa_user_sgpr_queue_ptr 0
		.amdhsa_user_sgpr_kernarg_segment_ptr 1
		.amdhsa_user_sgpr_dispatch_id 0
		.amdhsa_user_sgpr_private_segment_size 0
		.amdhsa_wavefront_size32 1
		.amdhsa_uses_dynamic_stack 0
		.amdhsa_enable_private_segment 0
		.amdhsa_system_sgpr_workgroup_id_x 1
		.amdhsa_system_sgpr_workgroup_id_y 0
		.amdhsa_system_sgpr_workgroup_id_z 0
		.amdhsa_system_sgpr_workgroup_info 0
		.amdhsa_system_vgpr_workitem_id 0
		.amdhsa_next_free_vgpr 1
		.amdhsa_next_free_sgpr 1
		.amdhsa_reserve_vcc 0
		.amdhsa_float_round_mode_32 0
		.amdhsa_float_round_mode_16_64 0
		.amdhsa_float_denorm_mode_32 3
		.amdhsa_float_denorm_mode_16_64 3
		.amdhsa_dx10_clamp 1
		.amdhsa_ieee_mode 1
		.amdhsa_fp16_overflow 0
		.amdhsa_workgroup_processor_mode 1
		.amdhsa_memory_ordered 1
		.amdhsa_forward_progress 0
		.amdhsa_shared_vgpr_count 0
		.amdhsa_exception_fp_ieee_invalid_op 0
		.amdhsa_exception_fp_denorm_src 0
		.amdhsa_exception_fp_ieee_div_zero 0
		.amdhsa_exception_fp_ieee_overflow 0
		.amdhsa_exception_fp_ieee_underflow 0
		.amdhsa_exception_fp_ieee_inexact 0
		.amdhsa_exception_int_div_zero 0
	.end_amdhsa_kernel
	.section	.text._ZN7rocprim17ROCPRIM_400000_NS6detail17trampoline_kernelINS0_14default_configENS1_25partition_config_selectorILNS1_17partition_subalgoE6EfNS0_10empty_typeEbEEZZNS1_14partition_implILS5_6ELb0ES3_mN6thrust23THRUST_200600_302600_NS6detail15normal_iteratorINSA_10device_ptrIfEEEEPS6_SG_NS0_5tupleIJSF_S6_EEENSH_IJSG_SG_EEES6_PlJ7is_evenIfEEEE10hipError_tPvRmT3_T4_T5_T6_T7_T9_mT8_P12ihipStream_tbDpT10_ENKUlT_T0_E_clISt17integral_constantIbLb0EES16_EEDaS11_S12_EUlS11_E_NS1_11comp_targetILNS1_3genE0ELNS1_11target_archE4294967295ELNS1_3gpuE0ELNS1_3repE0EEENS1_30default_config_static_selectorELNS0_4arch9wavefront6targetE0EEEvT1_,"axG",@progbits,_ZN7rocprim17ROCPRIM_400000_NS6detail17trampoline_kernelINS0_14default_configENS1_25partition_config_selectorILNS1_17partition_subalgoE6EfNS0_10empty_typeEbEEZZNS1_14partition_implILS5_6ELb0ES3_mN6thrust23THRUST_200600_302600_NS6detail15normal_iteratorINSA_10device_ptrIfEEEEPS6_SG_NS0_5tupleIJSF_S6_EEENSH_IJSG_SG_EEES6_PlJ7is_evenIfEEEE10hipError_tPvRmT3_T4_T5_T6_T7_T9_mT8_P12ihipStream_tbDpT10_ENKUlT_T0_E_clISt17integral_constantIbLb0EES16_EEDaS11_S12_EUlS11_E_NS1_11comp_targetILNS1_3genE0ELNS1_11target_archE4294967295ELNS1_3gpuE0ELNS1_3repE0EEENS1_30default_config_static_selectorELNS0_4arch9wavefront6targetE0EEEvT1_,comdat
.Lfunc_end232:
	.size	_ZN7rocprim17ROCPRIM_400000_NS6detail17trampoline_kernelINS0_14default_configENS1_25partition_config_selectorILNS1_17partition_subalgoE6EfNS0_10empty_typeEbEEZZNS1_14partition_implILS5_6ELb0ES3_mN6thrust23THRUST_200600_302600_NS6detail15normal_iteratorINSA_10device_ptrIfEEEEPS6_SG_NS0_5tupleIJSF_S6_EEENSH_IJSG_SG_EEES6_PlJ7is_evenIfEEEE10hipError_tPvRmT3_T4_T5_T6_T7_T9_mT8_P12ihipStream_tbDpT10_ENKUlT_T0_E_clISt17integral_constantIbLb0EES16_EEDaS11_S12_EUlS11_E_NS1_11comp_targetILNS1_3genE0ELNS1_11target_archE4294967295ELNS1_3gpuE0ELNS1_3repE0EEENS1_30default_config_static_selectorELNS0_4arch9wavefront6targetE0EEEvT1_, .Lfunc_end232-_ZN7rocprim17ROCPRIM_400000_NS6detail17trampoline_kernelINS0_14default_configENS1_25partition_config_selectorILNS1_17partition_subalgoE6EfNS0_10empty_typeEbEEZZNS1_14partition_implILS5_6ELb0ES3_mN6thrust23THRUST_200600_302600_NS6detail15normal_iteratorINSA_10device_ptrIfEEEEPS6_SG_NS0_5tupleIJSF_S6_EEENSH_IJSG_SG_EEES6_PlJ7is_evenIfEEEE10hipError_tPvRmT3_T4_T5_T6_T7_T9_mT8_P12ihipStream_tbDpT10_ENKUlT_T0_E_clISt17integral_constantIbLb0EES16_EEDaS11_S12_EUlS11_E_NS1_11comp_targetILNS1_3genE0ELNS1_11target_archE4294967295ELNS1_3gpuE0ELNS1_3repE0EEENS1_30default_config_static_selectorELNS0_4arch9wavefront6targetE0EEEvT1_
                                        ; -- End function
	.section	.AMDGPU.csdata,"",@progbits
; Kernel info:
; codeLenInByte = 0
; NumSgprs: 0
; NumVgprs: 0
; ScratchSize: 0
; MemoryBound: 0
; FloatMode: 240
; IeeeMode: 1
; LDSByteSize: 0 bytes/workgroup (compile time only)
; SGPRBlocks: 0
; VGPRBlocks: 0
; NumSGPRsForWavesPerEU: 1
; NumVGPRsForWavesPerEU: 1
; Occupancy: 16
; WaveLimiterHint : 0
; COMPUTE_PGM_RSRC2:SCRATCH_EN: 0
; COMPUTE_PGM_RSRC2:USER_SGPR: 15
; COMPUTE_PGM_RSRC2:TRAP_HANDLER: 0
; COMPUTE_PGM_RSRC2:TGID_X_EN: 1
; COMPUTE_PGM_RSRC2:TGID_Y_EN: 0
; COMPUTE_PGM_RSRC2:TGID_Z_EN: 0
; COMPUTE_PGM_RSRC2:TIDIG_COMP_CNT: 0
	.section	.text._ZN7rocprim17ROCPRIM_400000_NS6detail17trampoline_kernelINS0_14default_configENS1_25partition_config_selectorILNS1_17partition_subalgoE6EfNS0_10empty_typeEbEEZZNS1_14partition_implILS5_6ELb0ES3_mN6thrust23THRUST_200600_302600_NS6detail15normal_iteratorINSA_10device_ptrIfEEEEPS6_SG_NS0_5tupleIJSF_S6_EEENSH_IJSG_SG_EEES6_PlJ7is_evenIfEEEE10hipError_tPvRmT3_T4_T5_T6_T7_T9_mT8_P12ihipStream_tbDpT10_ENKUlT_T0_E_clISt17integral_constantIbLb0EES16_EEDaS11_S12_EUlS11_E_NS1_11comp_targetILNS1_3genE5ELNS1_11target_archE942ELNS1_3gpuE9ELNS1_3repE0EEENS1_30default_config_static_selectorELNS0_4arch9wavefront6targetE0EEEvT1_,"axG",@progbits,_ZN7rocprim17ROCPRIM_400000_NS6detail17trampoline_kernelINS0_14default_configENS1_25partition_config_selectorILNS1_17partition_subalgoE6EfNS0_10empty_typeEbEEZZNS1_14partition_implILS5_6ELb0ES3_mN6thrust23THRUST_200600_302600_NS6detail15normal_iteratorINSA_10device_ptrIfEEEEPS6_SG_NS0_5tupleIJSF_S6_EEENSH_IJSG_SG_EEES6_PlJ7is_evenIfEEEE10hipError_tPvRmT3_T4_T5_T6_T7_T9_mT8_P12ihipStream_tbDpT10_ENKUlT_T0_E_clISt17integral_constantIbLb0EES16_EEDaS11_S12_EUlS11_E_NS1_11comp_targetILNS1_3genE5ELNS1_11target_archE942ELNS1_3gpuE9ELNS1_3repE0EEENS1_30default_config_static_selectorELNS0_4arch9wavefront6targetE0EEEvT1_,comdat
	.protected	_ZN7rocprim17ROCPRIM_400000_NS6detail17trampoline_kernelINS0_14default_configENS1_25partition_config_selectorILNS1_17partition_subalgoE6EfNS0_10empty_typeEbEEZZNS1_14partition_implILS5_6ELb0ES3_mN6thrust23THRUST_200600_302600_NS6detail15normal_iteratorINSA_10device_ptrIfEEEEPS6_SG_NS0_5tupleIJSF_S6_EEENSH_IJSG_SG_EEES6_PlJ7is_evenIfEEEE10hipError_tPvRmT3_T4_T5_T6_T7_T9_mT8_P12ihipStream_tbDpT10_ENKUlT_T0_E_clISt17integral_constantIbLb0EES16_EEDaS11_S12_EUlS11_E_NS1_11comp_targetILNS1_3genE5ELNS1_11target_archE942ELNS1_3gpuE9ELNS1_3repE0EEENS1_30default_config_static_selectorELNS0_4arch9wavefront6targetE0EEEvT1_ ; -- Begin function _ZN7rocprim17ROCPRIM_400000_NS6detail17trampoline_kernelINS0_14default_configENS1_25partition_config_selectorILNS1_17partition_subalgoE6EfNS0_10empty_typeEbEEZZNS1_14partition_implILS5_6ELb0ES3_mN6thrust23THRUST_200600_302600_NS6detail15normal_iteratorINSA_10device_ptrIfEEEEPS6_SG_NS0_5tupleIJSF_S6_EEENSH_IJSG_SG_EEES6_PlJ7is_evenIfEEEE10hipError_tPvRmT3_T4_T5_T6_T7_T9_mT8_P12ihipStream_tbDpT10_ENKUlT_T0_E_clISt17integral_constantIbLb0EES16_EEDaS11_S12_EUlS11_E_NS1_11comp_targetILNS1_3genE5ELNS1_11target_archE942ELNS1_3gpuE9ELNS1_3repE0EEENS1_30default_config_static_selectorELNS0_4arch9wavefront6targetE0EEEvT1_
	.globl	_ZN7rocprim17ROCPRIM_400000_NS6detail17trampoline_kernelINS0_14default_configENS1_25partition_config_selectorILNS1_17partition_subalgoE6EfNS0_10empty_typeEbEEZZNS1_14partition_implILS5_6ELb0ES3_mN6thrust23THRUST_200600_302600_NS6detail15normal_iteratorINSA_10device_ptrIfEEEEPS6_SG_NS0_5tupleIJSF_S6_EEENSH_IJSG_SG_EEES6_PlJ7is_evenIfEEEE10hipError_tPvRmT3_T4_T5_T6_T7_T9_mT8_P12ihipStream_tbDpT10_ENKUlT_T0_E_clISt17integral_constantIbLb0EES16_EEDaS11_S12_EUlS11_E_NS1_11comp_targetILNS1_3genE5ELNS1_11target_archE942ELNS1_3gpuE9ELNS1_3repE0EEENS1_30default_config_static_selectorELNS0_4arch9wavefront6targetE0EEEvT1_
	.p2align	8
	.type	_ZN7rocprim17ROCPRIM_400000_NS6detail17trampoline_kernelINS0_14default_configENS1_25partition_config_selectorILNS1_17partition_subalgoE6EfNS0_10empty_typeEbEEZZNS1_14partition_implILS5_6ELb0ES3_mN6thrust23THRUST_200600_302600_NS6detail15normal_iteratorINSA_10device_ptrIfEEEEPS6_SG_NS0_5tupleIJSF_S6_EEENSH_IJSG_SG_EEES6_PlJ7is_evenIfEEEE10hipError_tPvRmT3_T4_T5_T6_T7_T9_mT8_P12ihipStream_tbDpT10_ENKUlT_T0_E_clISt17integral_constantIbLb0EES16_EEDaS11_S12_EUlS11_E_NS1_11comp_targetILNS1_3genE5ELNS1_11target_archE942ELNS1_3gpuE9ELNS1_3repE0EEENS1_30default_config_static_selectorELNS0_4arch9wavefront6targetE0EEEvT1_,@function
_ZN7rocprim17ROCPRIM_400000_NS6detail17trampoline_kernelINS0_14default_configENS1_25partition_config_selectorILNS1_17partition_subalgoE6EfNS0_10empty_typeEbEEZZNS1_14partition_implILS5_6ELb0ES3_mN6thrust23THRUST_200600_302600_NS6detail15normal_iteratorINSA_10device_ptrIfEEEEPS6_SG_NS0_5tupleIJSF_S6_EEENSH_IJSG_SG_EEES6_PlJ7is_evenIfEEEE10hipError_tPvRmT3_T4_T5_T6_T7_T9_mT8_P12ihipStream_tbDpT10_ENKUlT_T0_E_clISt17integral_constantIbLb0EES16_EEDaS11_S12_EUlS11_E_NS1_11comp_targetILNS1_3genE5ELNS1_11target_archE942ELNS1_3gpuE9ELNS1_3repE0EEENS1_30default_config_static_selectorELNS0_4arch9wavefront6targetE0EEEvT1_: ; @_ZN7rocprim17ROCPRIM_400000_NS6detail17trampoline_kernelINS0_14default_configENS1_25partition_config_selectorILNS1_17partition_subalgoE6EfNS0_10empty_typeEbEEZZNS1_14partition_implILS5_6ELb0ES3_mN6thrust23THRUST_200600_302600_NS6detail15normal_iteratorINSA_10device_ptrIfEEEEPS6_SG_NS0_5tupleIJSF_S6_EEENSH_IJSG_SG_EEES6_PlJ7is_evenIfEEEE10hipError_tPvRmT3_T4_T5_T6_T7_T9_mT8_P12ihipStream_tbDpT10_ENKUlT_T0_E_clISt17integral_constantIbLb0EES16_EEDaS11_S12_EUlS11_E_NS1_11comp_targetILNS1_3genE5ELNS1_11target_archE942ELNS1_3gpuE9ELNS1_3repE0EEENS1_30default_config_static_selectorELNS0_4arch9wavefront6targetE0EEEvT1_
; %bb.0:
	.section	.rodata,"a",@progbits
	.p2align	6, 0x0
	.amdhsa_kernel _ZN7rocprim17ROCPRIM_400000_NS6detail17trampoline_kernelINS0_14default_configENS1_25partition_config_selectorILNS1_17partition_subalgoE6EfNS0_10empty_typeEbEEZZNS1_14partition_implILS5_6ELb0ES3_mN6thrust23THRUST_200600_302600_NS6detail15normal_iteratorINSA_10device_ptrIfEEEEPS6_SG_NS0_5tupleIJSF_S6_EEENSH_IJSG_SG_EEES6_PlJ7is_evenIfEEEE10hipError_tPvRmT3_T4_T5_T6_T7_T9_mT8_P12ihipStream_tbDpT10_ENKUlT_T0_E_clISt17integral_constantIbLb0EES16_EEDaS11_S12_EUlS11_E_NS1_11comp_targetILNS1_3genE5ELNS1_11target_archE942ELNS1_3gpuE9ELNS1_3repE0EEENS1_30default_config_static_selectorELNS0_4arch9wavefront6targetE0EEEvT1_
		.amdhsa_group_segment_fixed_size 0
		.amdhsa_private_segment_fixed_size 0
		.amdhsa_kernarg_size 112
		.amdhsa_user_sgpr_count 15
		.amdhsa_user_sgpr_dispatch_ptr 0
		.amdhsa_user_sgpr_queue_ptr 0
		.amdhsa_user_sgpr_kernarg_segment_ptr 1
		.amdhsa_user_sgpr_dispatch_id 0
		.amdhsa_user_sgpr_private_segment_size 0
		.amdhsa_wavefront_size32 1
		.amdhsa_uses_dynamic_stack 0
		.amdhsa_enable_private_segment 0
		.amdhsa_system_sgpr_workgroup_id_x 1
		.amdhsa_system_sgpr_workgroup_id_y 0
		.amdhsa_system_sgpr_workgroup_id_z 0
		.amdhsa_system_sgpr_workgroup_info 0
		.amdhsa_system_vgpr_workitem_id 0
		.amdhsa_next_free_vgpr 1
		.amdhsa_next_free_sgpr 1
		.amdhsa_reserve_vcc 0
		.amdhsa_float_round_mode_32 0
		.amdhsa_float_round_mode_16_64 0
		.amdhsa_float_denorm_mode_32 3
		.amdhsa_float_denorm_mode_16_64 3
		.amdhsa_dx10_clamp 1
		.amdhsa_ieee_mode 1
		.amdhsa_fp16_overflow 0
		.amdhsa_workgroup_processor_mode 1
		.amdhsa_memory_ordered 1
		.amdhsa_forward_progress 0
		.amdhsa_shared_vgpr_count 0
		.amdhsa_exception_fp_ieee_invalid_op 0
		.amdhsa_exception_fp_denorm_src 0
		.amdhsa_exception_fp_ieee_div_zero 0
		.amdhsa_exception_fp_ieee_overflow 0
		.amdhsa_exception_fp_ieee_underflow 0
		.amdhsa_exception_fp_ieee_inexact 0
		.amdhsa_exception_int_div_zero 0
	.end_amdhsa_kernel
	.section	.text._ZN7rocprim17ROCPRIM_400000_NS6detail17trampoline_kernelINS0_14default_configENS1_25partition_config_selectorILNS1_17partition_subalgoE6EfNS0_10empty_typeEbEEZZNS1_14partition_implILS5_6ELb0ES3_mN6thrust23THRUST_200600_302600_NS6detail15normal_iteratorINSA_10device_ptrIfEEEEPS6_SG_NS0_5tupleIJSF_S6_EEENSH_IJSG_SG_EEES6_PlJ7is_evenIfEEEE10hipError_tPvRmT3_T4_T5_T6_T7_T9_mT8_P12ihipStream_tbDpT10_ENKUlT_T0_E_clISt17integral_constantIbLb0EES16_EEDaS11_S12_EUlS11_E_NS1_11comp_targetILNS1_3genE5ELNS1_11target_archE942ELNS1_3gpuE9ELNS1_3repE0EEENS1_30default_config_static_selectorELNS0_4arch9wavefront6targetE0EEEvT1_,"axG",@progbits,_ZN7rocprim17ROCPRIM_400000_NS6detail17trampoline_kernelINS0_14default_configENS1_25partition_config_selectorILNS1_17partition_subalgoE6EfNS0_10empty_typeEbEEZZNS1_14partition_implILS5_6ELb0ES3_mN6thrust23THRUST_200600_302600_NS6detail15normal_iteratorINSA_10device_ptrIfEEEEPS6_SG_NS0_5tupleIJSF_S6_EEENSH_IJSG_SG_EEES6_PlJ7is_evenIfEEEE10hipError_tPvRmT3_T4_T5_T6_T7_T9_mT8_P12ihipStream_tbDpT10_ENKUlT_T0_E_clISt17integral_constantIbLb0EES16_EEDaS11_S12_EUlS11_E_NS1_11comp_targetILNS1_3genE5ELNS1_11target_archE942ELNS1_3gpuE9ELNS1_3repE0EEENS1_30default_config_static_selectorELNS0_4arch9wavefront6targetE0EEEvT1_,comdat
.Lfunc_end233:
	.size	_ZN7rocprim17ROCPRIM_400000_NS6detail17trampoline_kernelINS0_14default_configENS1_25partition_config_selectorILNS1_17partition_subalgoE6EfNS0_10empty_typeEbEEZZNS1_14partition_implILS5_6ELb0ES3_mN6thrust23THRUST_200600_302600_NS6detail15normal_iteratorINSA_10device_ptrIfEEEEPS6_SG_NS0_5tupleIJSF_S6_EEENSH_IJSG_SG_EEES6_PlJ7is_evenIfEEEE10hipError_tPvRmT3_T4_T5_T6_T7_T9_mT8_P12ihipStream_tbDpT10_ENKUlT_T0_E_clISt17integral_constantIbLb0EES16_EEDaS11_S12_EUlS11_E_NS1_11comp_targetILNS1_3genE5ELNS1_11target_archE942ELNS1_3gpuE9ELNS1_3repE0EEENS1_30default_config_static_selectorELNS0_4arch9wavefront6targetE0EEEvT1_, .Lfunc_end233-_ZN7rocprim17ROCPRIM_400000_NS6detail17trampoline_kernelINS0_14default_configENS1_25partition_config_selectorILNS1_17partition_subalgoE6EfNS0_10empty_typeEbEEZZNS1_14partition_implILS5_6ELb0ES3_mN6thrust23THRUST_200600_302600_NS6detail15normal_iteratorINSA_10device_ptrIfEEEEPS6_SG_NS0_5tupleIJSF_S6_EEENSH_IJSG_SG_EEES6_PlJ7is_evenIfEEEE10hipError_tPvRmT3_T4_T5_T6_T7_T9_mT8_P12ihipStream_tbDpT10_ENKUlT_T0_E_clISt17integral_constantIbLb0EES16_EEDaS11_S12_EUlS11_E_NS1_11comp_targetILNS1_3genE5ELNS1_11target_archE942ELNS1_3gpuE9ELNS1_3repE0EEENS1_30default_config_static_selectorELNS0_4arch9wavefront6targetE0EEEvT1_
                                        ; -- End function
	.section	.AMDGPU.csdata,"",@progbits
; Kernel info:
; codeLenInByte = 0
; NumSgprs: 0
; NumVgprs: 0
; ScratchSize: 0
; MemoryBound: 0
; FloatMode: 240
; IeeeMode: 1
; LDSByteSize: 0 bytes/workgroup (compile time only)
; SGPRBlocks: 0
; VGPRBlocks: 0
; NumSGPRsForWavesPerEU: 1
; NumVGPRsForWavesPerEU: 1
; Occupancy: 16
; WaveLimiterHint : 0
; COMPUTE_PGM_RSRC2:SCRATCH_EN: 0
; COMPUTE_PGM_RSRC2:USER_SGPR: 15
; COMPUTE_PGM_RSRC2:TRAP_HANDLER: 0
; COMPUTE_PGM_RSRC2:TGID_X_EN: 1
; COMPUTE_PGM_RSRC2:TGID_Y_EN: 0
; COMPUTE_PGM_RSRC2:TGID_Z_EN: 0
; COMPUTE_PGM_RSRC2:TIDIG_COMP_CNT: 0
	.section	.text._ZN7rocprim17ROCPRIM_400000_NS6detail17trampoline_kernelINS0_14default_configENS1_25partition_config_selectorILNS1_17partition_subalgoE6EfNS0_10empty_typeEbEEZZNS1_14partition_implILS5_6ELb0ES3_mN6thrust23THRUST_200600_302600_NS6detail15normal_iteratorINSA_10device_ptrIfEEEEPS6_SG_NS0_5tupleIJSF_S6_EEENSH_IJSG_SG_EEES6_PlJ7is_evenIfEEEE10hipError_tPvRmT3_T4_T5_T6_T7_T9_mT8_P12ihipStream_tbDpT10_ENKUlT_T0_E_clISt17integral_constantIbLb0EES16_EEDaS11_S12_EUlS11_E_NS1_11comp_targetILNS1_3genE4ELNS1_11target_archE910ELNS1_3gpuE8ELNS1_3repE0EEENS1_30default_config_static_selectorELNS0_4arch9wavefront6targetE0EEEvT1_,"axG",@progbits,_ZN7rocprim17ROCPRIM_400000_NS6detail17trampoline_kernelINS0_14default_configENS1_25partition_config_selectorILNS1_17partition_subalgoE6EfNS0_10empty_typeEbEEZZNS1_14partition_implILS5_6ELb0ES3_mN6thrust23THRUST_200600_302600_NS6detail15normal_iteratorINSA_10device_ptrIfEEEEPS6_SG_NS0_5tupleIJSF_S6_EEENSH_IJSG_SG_EEES6_PlJ7is_evenIfEEEE10hipError_tPvRmT3_T4_T5_T6_T7_T9_mT8_P12ihipStream_tbDpT10_ENKUlT_T0_E_clISt17integral_constantIbLb0EES16_EEDaS11_S12_EUlS11_E_NS1_11comp_targetILNS1_3genE4ELNS1_11target_archE910ELNS1_3gpuE8ELNS1_3repE0EEENS1_30default_config_static_selectorELNS0_4arch9wavefront6targetE0EEEvT1_,comdat
	.protected	_ZN7rocprim17ROCPRIM_400000_NS6detail17trampoline_kernelINS0_14default_configENS1_25partition_config_selectorILNS1_17partition_subalgoE6EfNS0_10empty_typeEbEEZZNS1_14partition_implILS5_6ELb0ES3_mN6thrust23THRUST_200600_302600_NS6detail15normal_iteratorINSA_10device_ptrIfEEEEPS6_SG_NS0_5tupleIJSF_S6_EEENSH_IJSG_SG_EEES6_PlJ7is_evenIfEEEE10hipError_tPvRmT3_T4_T5_T6_T7_T9_mT8_P12ihipStream_tbDpT10_ENKUlT_T0_E_clISt17integral_constantIbLb0EES16_EEDaS11_S12_EUlS11_E_NS1_11comp_targetILNS1_3genE4ELNS1_11target_archE910ELNS1_3gpuE8ELNS1_3repE0EEENS1_30default_config_static_selectorELNS0_4arch9wavefront6targetE0EEEvT1_ ; -- Begin function _ZN7rocprim17ROCPRIM_400000_NS6detail17trampoline_kernelINS0_14default_configENS1_25partition_config_selectorILNS1_17partition_subalgoE6EfNS0_10empty_typeEbEEZZNS1_14partition_implILS5_6ELb0ES3_mN6thrust23THRUST_200600_302600_NS6detail15normal_iteratorINSA_10device_ptrIfEEEEPS6_SG_NS0_5tupleIJSF_S6_EEENSH_IJSG_SG_EEES6_PlJ7is_evenIfEEEE10hipError_tPvRmT3_T4_T5_T6_T7_T9_mT8_P12ihipStream_tbDpT10_ENKUlT_T0_E_clISt17integral_constantIbLb0EES16_EEDaS11_S12_EUlS11_E_NS1_11comp_targetILNS1_3genE4ELNS1_11target_archE910ELNS1_3gpuE8ELNS1_3repE0EEENS1_30default_config_static_selectorELNS0_4arch9wavefront6targetE0EEEvT1_
	.globl	_ZN7rocprim17ROCPRIM_400000_NS6detail17trampoline_kernelINS0_14default_configENS1_25partition_config_selectorILNS1_17partition_subalgoE6EfNS0_10empty_typeEbEEZZNS1_14partition_implILS5_6ELb0ES3_mN6thrust23THRUST_200600_302600_NS6detail15normal_iteratorINSA_10device_ptrIfEEEEPS6_SG_NS0_5tupleIJSF_S6_EEENSH_IJSG_SG_EEES6_PlJ7is_evenIfEEEE10hipError_tPvRmT3_T4_T5_T6_T7_T9_mT8_P12ihipStream_tbDpT10_ENKUlT_T0_E_clISt17integral_constantIbLb0EES16_EEDaS11_S12_EUlS11_E_NS1_11comp_targetILNS1_3genE4ELNS1_11target_archE910ELNS1_3gpuE8ELNS1_3repE0EEENS1_30default_config_static_selectorELNS0_4arch9wavefront6targetE0EEEvT1_
	.p2align	8
	.type	_ZN7rocprim17ROCPRIM_400000_NS6detail17trampoline_kernelINS0_14default_configENS1_25partition_config_selectorILNS1_17partition_subalgoE6EfNS0_10empty_typeEbEEZZNS1_14partition_implILS5_6ELb0ES3_mN6thrust23THRUST_200600_302600_NS6detail15normal_iteratorINSA_10device_ptrIfEEEEPS6_SG_NS0_5tupleIJSF_S6_EEENSH_IJSG_SG_EEES6_PlJ7is_evenIfEEEE10hipError_tPvRmT3_T4_T5_T6_T7_T9_mT8_P12ihipStream_tbDpT10_ENKUlT_T0_E_clISt17integral_constantIbLb0EES16_EEDaS11_S12_EUlS11_E_NS1_11comp_targetILNS1_3genE4ELNS1_11target_archE910ELNS1_3gpuE8ELNS1_3repE0EEENS1_30default_config_static_selectorELNS0_4arch9wavefront6targetE0EEEvT1_,@function
_ZN7rocprim17ROCPRIM_400000_NS6detail17trampoline_kernelINS0_14default_configENS1_25partition_config_selectorILNS1_17partition_subalgoE6EfNS0_10empty_typeEbEEZZNS1_14partition_implILS5_6ELb0ES3_mN6thrust23THRUST_200600_302600_NS6detail15normal_iteratorINSA_10device_ptrIfEEEEPS6_SG_NS0_5tupleIJSF_S6_EEENSH_IJSG_SG_EEES6_PlJ7is_evenIfEEEE10hipError_tPvRmT3_T4_T5_T6_T7_T9_mT8_P12ihipStream_tbDpT10_ENKUlT_T0_E_clISt17integral_constantIbLb0EES16_EEDaS11_S12_EUlS11_E_NS1_11comp_targetILNS1_3genE4ELNS1_11target_archE910ELNS1_3gpuE8ELNS1_3repE0EEENS1_30default_config_static_selectorELNS0_4arch9wavefront6targetE0EEEvT1_: ; @_ZN7rocprim17ROCPRIM_400000_NS6detail17trampoline_kernelINS0_14default_configENS1_25partition_config_selectorILNS1_17partition_subalgoE6EfNS0_10empty_typeEbEEZZNS1_14partition_implILS5_6ELb0ES3_mN6thrust23THRUST_200600_302600_NS6detail15normal_iteratorINSA_10device_ptrIfEEEEPS6_SG_NS0_5tupleIJSF_S6_EEENSH_IJSG_SG_EEES6_PlJ7is_evenIfEEEE10hipError_tPvRmT3_T4_T5_T6_T7_T9_mT8_P12ihipStream_tbDpT10_ENKUlT_T0_E_clISt17integral_constantIbLb0EES16_EEDaS11_S12_EUlS11_E_NS1_11comp_targetILNS1_3genE4ELNS1_11target_archE910ELNS1_3gpuE8ELNS1_3repE0EEENS1_30default_config_static_selectorELNS0_4arch9wavefront6targetE0EEEvT1_
; %bb.0:
	.section	.rodata,"a",@progbits
	.p2align	6, 0x0
	.amdhsa_kernel _ZN7rocprim17ROCPRIM_400000_NS6detail17trampoline_kernelINS0_14default_configENS1_25partition_config_selectorILNS1_17partition_subalgoE6EfNS0_10empty_typeEbEEZZNS1_14partition_implILS5_6ELb0ES3_mN6thrust23THRUST_200600_302600_NS6detail15normal_iteratorINSA_10device_ptrIfEEEEPS6_SG_NS0_5tupleIJSF_S6_EEENSH_IJSG_SG_EEES6_PlJ7is_evenIfEEEE10hipError_tPvRmT3_T4_T5_T6_T7_T9_mT8_P12ihipStream_tbDpT10_ENKUlT_T0_E_clISt17integral_constantIbLb0EES16_EEDaS11_S12_EUlS11_E_NS1_11comp_targetILNS1_3genE4ELNS1_11target_archE910ELNS1_3gpuE8ELNS1_3repE0EEENS1_30default_config_static_selectorELNS0_4arch9wavefront6targetE0EEEvT1_
		.amdhsa_group_segment_fixed_size 0
		.amdhsa_private_segment_fixed_size 0
		.amdhsa_kernarg_size 112
		.amdhsa_user_sgpr_count 15
		.amdhsa_user_sgpr_dispatch_ptr 0
		.amdhsa_user_sgpr_queue_ptr 0
		.amdhsa_user_sgpr_kernarg_segment_ptr 1
		.amdhsa_user_sgpr_dispatch_id 0
		.amdhsa_user_sgpr_private_segment_size 0
		.amdhsa_wavefront_size32 1
		.amdhsa_uses_dynamic_stack 0
		.amdhsa_enable_private_segment 0
		.amdhsa_system_sgpr_workgroup_id_x 1
		.amdhsa_system_sgpr_workgroup_id_y 0
		.amdhsa_system_sgpr_workgroup_id_z 0
		.amdhsa_system_sgpr_workgroup_info 0
		.amdhsa_system_vgpr_workitem_id 0
		.amdhsa_next_free_vgpr 1
		.amdhsa_next_free_sgpr 1
		.amdhsa_reserve_vcc 0
		.amdhsa_float_round_mode_32 0
		.amdhsa_float_round_mode_16_64 0
		.amdhsa_float_denorm_mode_32 3
		.amdhsa_float_denorm_mode_16_64 3
		.amdhsa_dx10_clamp 1
		.amdhsa_ieee_mode 1
		.amdhsa_fp16_overflow 0
		.amdhsa_workgroup_processor_mode 1
		.amdhsa_memory_ordered 1
		.amdhsa_forward_progress 0
		.amdhsa_shared_vgpr_count 0
		.amdhsa_exception_fp_ieee_invalid_op 0
		.amdhsa_exception_fp_denorm_src 0
		.amdhsa_exception_fp_ieee_div_zero 0
		.amdhsa_exception_fp_ieee_overflow 0
		.amdhsa_exception_fp_ieee_underflow 0
		.amdhsa_exception_fp_ieee_inexact 0
		.amdhsa_exception_int_div_zero 0
	.end_amdhsa_kernel
	.section	.text._ZN7rocprim17ROCPRIM_400000_NS6detail17trampoline_kernelINS0_14default_configENS1_25partition_config_selectorILNS1_17partition_subalgoE6EfNS0_10empty_typeEbEEZZNS1_14partition_implILS5_6ELb0ES3_mN6thrust23THRUST_200600_302600_NS6detail15normal_iteratorINSA_10device_ptrIfEEEEPS6_SG_NS0_5tupleIJSF_S6_EEENSH_IJSG_SG_EEES6_PlJ7is_evenIfEEEE10hipError_tPvRmT3_T4_T5_T6_T7_T9_mT8_P12ihipStream_tbDpT10_ENKUlT_T0_E_clISt17integral_constantIbLb0EES16_EEDaS11_S12_EUlS11_E_NS1_11comp_targetILNS1_3genE4ELNS1_11target_archE910ELNS1_3gpuE8ELNS1_3repE0EEENS1_30default_config_static_selectorELNS0_4arch9wavefront6targetE0EEEvT1_,"axG",@progbits,_ZN7rocprim17ROCPRIM_400000_NS6detail17trampoline_kernelINS0_14default_configENS1_25partition_config_selectorILNS1_17partition_subalgoE6EfNS0_10empty_typeEbEEZZNS1_14partition_implILS5_6ELb0ES3_mN6thrust23THRUST_200600_302600_NS6detail15normal_iteratorINSA_10device_ptrIfEEEEPS6_SG_NS0_5tupleIJSF_S6_EEENSH_IJSG_SG_EEES6_PlJ7is_evenIfEEEE10hipError_tPvRmT3_T4_T5_T6_T7_T9_mT8_P12ihipStream_tbDpT10_ENKUlT_T0_E_clISt17integral_constantIbLb0EES16_EEDaS11_S12_EUlS11_E_NS1_11comp_targetILNS1_3genE4ELNS1_11target_archE910ELNS1_3gpuE8ELNS1_3repE0EEENS1_30default_config_static_selectorELNS0_4arch9wavefront6targetE0EEEvT1_,comdat
.Lfunc_end234:
	.size	_ZN7rocprim17ROCPRIM_400000_NS6detail17trampoline_kernelINS0_14default_configENS1_25partition_config_selectorILNS1_17partition_subalgoE6EfNS0_10empty_typeEbEEZZNS1_14partition_implILS5_6ELb0ES3_mN6thrust23THRUST_200600_302600_NS6detail15normal_iteratorINSA_10device_ptrIfEEEEPS6_SG_NS0_5tupleIJSF_S6_EEENSH_IJSG_SG_EEES6_PlJ7is_evenIfEEEE10hipError_tPvRmT3_T4_T5_T6_T7_T9_mT8_P12ihipStream_tbDpT10_ENKUlT_T0_E_clISt17integral_constantIbLb0EES16_EEDaS11_S12_EUlS11_E_NS1_11comp_targetILNS1_3genE4ELNS1_11target_archE910ELNS1_3gpuE8ELNS1_3repE0EEENS1_30default_config_static_selectorELNS0_4arch9wavefront6targetE0EEEvT1_, .Lfunc_end234-_ZN7rocprim17ROCPRIM_400000_NS6detail17trampoline_kernelINS0_14default_configENS1_25partition_config_selectorILNS1_17partition_subalgoE6EfNS0_10empty_typeEbEEZZNS1_14partition_implILS5_6ELb0ES3_mN6thrust23THRUST_200600_302600_NS6detail15normal_iteratorINSA_10device_ptrIfEEEEPS6_SG_NS0_5tupleIJSF_S6_EEENSH_IJSG_SG_EEES6_PlJ7is_evenIfEEEE10hipError_tPvRmT3_T4_T5_T6_T7_T9_mT8_P12ihipStream_tbDpT10_ENKUlT_T0_E_clISt17integral_constantIbLb0EES16_EEDaS11_S12_EUlS11_E_NS1_11comp_targetILNS1_3genE4ELNS1_11target_archE910ELNS1_3gpuE8ELNS1_3repE0EEENS1_30default_config_static_selectorELNS0_4arch9wavefront6targetE0EEEvT1_
                                        ; -- End function
	.section	.AMDGPU.csdata,"",@progbits
; Kernel info:
; codeLenInByte = 0
; NumSgprs: 0
; NumVgprs: 0
; ScratchSize: 0
; MemoryBound: 0
; FloatMode: 240
; IeeeMode: 1
; LDSByteSize: 0 bytes/workgroup (compile time only)
; SGPRBlocks: 0
; VGPRBlocks: 0
; NumSGPRsForWavesPerEU: 1
; NumVGPRsForWavesPerEU: 1
; Occupancy: 16
; WaveLimiterHint : 0
; COMPUTE_PGM_RSRC2:SCRATCH_EN: 0
; COMPUTE_PGM_RSRC2:USER_SGPR: 15
; COMPUTE_PGM_RSRC2:TRAP_HANDLER: 0
; COMPUTE_PGM_RSRC2:TGID_X_EN: 1
; COMPUTE_PGM_RSRC2:TGID_Y_EN: 0
; COMPUTE_PGM_RSRC2:TGID_Z_EN: 0
; COMPUTE_PGM_RSRC2:TIDIG_COMP_CNT: 0
	.section	.text._ZN7rocprim17ROCPRIM_400000_NS6detail17trampoline_kernelINS0_14default_configENS1_25partition_config_selectorILNS1_17partition_subalgoE6EfNS0_10empty_typeEbEEZZNS1_14partition_implILS5_6ELb0ES3_mN6thrust23THRUST_200600_302600_NS6detail15normal_iteratorINSA_10device_ptrIfEEEEPS6_SG_NS0_5tupleIJSF_S6_EEENSH_IJSG_SG_EEES6_PlJ7is_evenIfEEEE10hipError_tPvRmT3_T4_T5_T6_T7_T9_mT8_P12ihipStream_tbDpT10_ENKUlT_T0_E_clISt17integral_constantIbLb0EES16_EEDaS11_S12_EUlS11_E_NS1_11comp_targetILNS1_3genE3ELNS1_11target_archE908ELNS1_3gpuE7ELNS1_3repE0EEENS1_30default_config_static_selectorELNS0_4arch9wavefront6targetE0EEEvT1_,"axG",@progbits,_ZN7rocprim17ROCPRIM_400000_NS6detail17trampoline_kernelINS0_14default_configENS1_25partition_config_selectorILNS1_17partition_subalgoE6EfNS0_10empty_typeEbEEZZNS1_14partition_implILS5_6ELb0ES3_mN6thrust23THRUST_200600_302600_NS6detail15normal_iteratorINSA_10device_ptrIfEEEEPS6_SG_NS0_5tupleIJSF_S6_EEENSH_IJSG_SG_EEES6_PlJ7is_evenIfEEEE10hipError_tPvRmT3_T4_T5_T6_T7_T9_mT8_P12ihipStream_tbDpT10_ENKUlT_T0_E_clISt17integral_constantIbLb0EES16_EEDaS11_S12_EUlS11_E_NS1_11comp_targetILNS1_3genE3ELNS1_11target_archE908ELNS1_3gpuE7ELNS1_3repE0EEENS1_30default_config_static_selectorELNS0_4arch9wavefront6targetE0EEEvT1_,comdat
	.protected	_ZN7rocprim17ROCPRIM_400000_NS6detail17trampoline_kernelINS0_14default_configENS1_25partition_config_selectorILNS1_17partition_subalgoE6EfNS0_10empty_typeEbEEZZNS1_14partition_implILS5_6ELb0ES3_mN6thrust23THRUST_200600_302600_NS6detail15normal_iteratorINSA_10device_ptrIfEEEEPS6_SG_NS0_5tupleIJSF_S6_EEENSH_IJSG_SG_EEES6_PlJ7is_evenIfEEEE10hipError_tPvRmT3_T4_T5_T6_T7_T9_mT8_P12ihipStream_tbDpT10_ENKUlT_T0_E_clISt17integral_constantIbLb0EES16_EEDaS11_S12_EUlS11_E_NS1_11comp_targetILNS1_3genE3ELNS1_11target_archE908ELNS1_3gpuE7ELNS1_3repE0EEENS1_30default_config_static_selectorELNS0_4arch9wavefront6targetE0EEEvT1_ ; -- Begin function _ZN7rocprim17ROCPRIM_400000_NS6detail17trampoline_kernelINS0_14default_configENS1_25partition_config_selectorILNS1_17partition_subalgoE6EfNS0_10empty_typeEbEEZZNS1_14partition_implILS5_6ELb0ES3_mN6thrust23THRUST_200600_302600_NS6detail15normal_iteratorINSA_10device_ptrIfEEEEPS6_SG_NS0_5tupleIJSF_S6_EEENSH_IJSG_SG_EEES6_PlJ7is_evenIfEEEE10hipError_tPvRmT3_T4_T5_T6_T7_T9_mT8_P12ihipStream_tbDpT10_ENKUlT_T0_E_clISt17integral_constantIbLb0EES16_EEDaS11_S12_EUlS11_E_NS1_11comp_targetILNS1_3genE3ELNS1_11target_archE908ELNS1_3gpuE7ELNS1_3repE0EEENS1_30default_config_static_selectorELNS0_4arch9wavefront6targetE0EEEvT1_
	.globl	_ZN7rocprim17ROCPRIM_400000_NS6detail17trampoline_kernelINS0_14default_configENS1_25partition_config_selectorILNS1_17partition_subalgoE6EfNS0_10empty_typeEbEEZZNS1_14partition_implILS5_6ELb0ES3_mN6thrust23THRUST_200600_302600_NS6detail15normal_iteratorINSA_10device_ptrIfEEEEPS6_SG_NS0_5tupleIJSF_S6_EEENSH_IJSG_SG_EEES6_PlJ7is_evenIfEEEE10hipError_tPvRmT3_T4_T5_T6_T7_T9_mT8_P12ihipStream_tbDpT10_ENKUlT_T0_E_clISt17integral_constantIbLb0EES16_EEDaS11_S12_EUlS11_E_NS1_11comp_targetILNS1_3genE3ELNS1_11target_archE908ELNS1_3gpuE7ELNS1_3repE0EEENS1_30default_config_static_selectorELNS0_4arch9wavefront6targetE0EEEvT1_
	.p2align	8
	.type	_ZN7rocprim17ROCPRIM_400000_NS6detail17trampoline_kernelINS0_14default_configENS1_25partition_config_selectorILNS1_17partition_subalgoE6EfNS0_10empty_typeEbEEZZNS1_14partition_implILS5_6ELb0ES3_mN6thrust23THRUST_200600_302600_NS6detail15normal_iteratorINSA_10device_ptrIfEEEEPS6_SG_NS0_5tupleIJSF_S6_EEENSH_IJSG_SG_EEES6_PlJ7is_evenIfEEEE10hipError_tPvRmT3_T4_T5_T6_T7_T9_mT8_P12ihipStream_tbDpT10_ENKUlT_T0_E_clISt17integral_constantIbLb0EES16_EEDaS11_S12_EUlS11_E_NS1_11comp_targetILNS1_3genE3ELNS1_11target_archE908ELNS1_3gpuE7ELNS1_3repE0EEENS1_30default_config_static_selectorELNS0_4arch9wavefront6targetE0EEEvT1_,@function
_ZN7rocprim17ROCPRIM_400000_NS6detail17trampoline_kernelINS0_14default_configENS1_25partition_config_selectorILNS1_17partition_subalgoE6EfNS0_10empty_typeEbEEZZNS1_14partition_implILS5_6ELb0ES3_mN6thrust23THRUST_200600_302600_NS6detail15normal_iteratorINSA_10device_ptrIfEEEEPS6_SG_NS0_5tupleIJSF_S6_EEENSH_IJSG_SG_EEES6_PlJ7is_evenIfEEEE10hipError_tPvRmT3_T4_T5_T6_T7_T9_mT8_P12ihipStream_tbDpT10_ENKUlT_T0_E_clISt17integral_constantIbLb0EES16_EEDaS11_S12_EUlS11_E_NS1_11comp_targetILNS1_3genE3ELNS1_11target_archE908ELNS1_3gpuE7ELNS1_3repE0EEENS1_30default_config_static_selectorELNS0_4arch9wavefront6targetE0EEEvT1_: ; @_ZN7rocprim17ROCPRIM_400000_NS6detail17trampoline_kernelINS0_14default_configENS1_25partition_config_selectorILNS1_17partition_subalgoE6EfNS0_10empty_typeEbEEZZNS1_14partition_implILS5_6ELb0ES3_mN6thrust23THRUST_200600_302600_NS6detail15normal_iteratorINSA_10device_ptrIfEEEEPS6_SG_NS0_5tupleIJSF_S6_EEENSH_IJSG_SG_EEES6_PlJ7is_evenIfEEEE10hipError_tPvRmT3_T4_T5_T6_T7_T9_mT8_P12ihipStream_tbDpT10_ENKUlT_T0_E_clISt17integral_constantIbLb0EES16_EEDaS11_S12_EUlS11_E_NS1_11comp_targetILNS1_3genE3ELNS1_11target_archE908ELNS1_3gpuE7ELNS1_3repE0EEENS1_30default_config_static_selectorELNS0_4arch9wavefront6targetE0EEEvT1_
; %bb.0:
	.section	.rodata,"a",@progbits
	.p2align	6, 0x0
	.amdhsa_kernel _ZN7rocprim17ROCPRIM_400000_NS6detail17trampoline_kernelINS0_14default_configENS1_25partition_config_selectorILNS1_17partition_subalgoE6EfNS0_10empty_typeEbEEZZNS1_14partition_implILS5_6ELb0ES3_mN6thrust23THRUST_200600_302600_NS6detail15normal_iteratorINSA_10device_ptrIfEEEEPS6_SG_NS0_5tupleIJSF_S6_EEENSH_IJSG_SG_EEES6_PlJ7is_evenIfEEEE10hipError_tPvRmT3_T4_T5_T6_T7_T9_mT8_P12ihipStream_tbDpT10_ENKUlT_T0_E_clISt17integral_constantIbLb0EES16_EEDaS11_S12_EUlS11_E_NS1_11comp_targetILNS1_3genE3ELNS1_11target_archE908ELNS1_3gpuE7ELNS1_3repE0EEENS1_30default_config_static_selectorELNS0_4arch9wavefront6targetE0EEEvT1_
		.amdhsa_group_segment_fixed_size 0
		.amdhsa_private_segment_fixed_size 0
		.amdhsa_kernarg_size 112
		.amdhsa_user_sgpr_count 15
		.amdhsa_user_sgpr_dispatch_ptr 0
		.amdhsa_user_sgpr_queue_ptr 0
		.amdhsa_user_sgpr_kernarg_segment_ptr 1
		.amdhsa_user_sgpr_dispatch_id 0
		.amdhsa_user_sgpr_private_segment_size 0
		.amdhsa_wavefront_size32 1
		.amdhsa_uses_dynamic_stack 0
		.amdhsa_enable_private_segment 0
		.amdhsa_system_sgpr_workgroup_id_x 1
		.amdhsa_system_sgpr_workgroup_id_y 0
		.amdhsa_system_sgpr_workgroup_id_z 0
		.amdhsa_system_sgpr_workgroup_info 0
		.amdhsa_system_vgpr_workitem_id 0
		.amdhsa_next_free_vgpr 1
		.amdhsa_next_free_sgpr 1
		.amdhsa_reserve_vcc 0
		.amdhsa_float_round_mode_32 0
		.amdhsa_float_round_mode_16_64 0
		.amdhsa_float_denorm_mode_32 3
		.amdhsa_float_denorm_mode_16_64 3
		.amdhsa_dx10_clamp 1
		.amdhsa_ieee_mode 1
		.amdhsa_fp16_overflow 0
		.amdhsa_workgroup_processor_mode 1
		.amdhsa_memory_ordered 1
		.amdhsa_forward_progress 0
		.amdhsa_shared_vgpr_count 0
		.amdhsa_exception_fp_ieee_invalid_op 0
		.amdhsa_exception_fp_denorm_src 0
		.amdhsa_exception_fp_ieee_div_zero 0
		.amdhsa_exception_fp_ieee_overflow 0
		.amdhsa_exception_fp_ieee_underflow 0
		.amdhsa_exception_fp_ieee_inexact 0
		.amdhsa_exception_int_div_zero 0
	.end_amdhsa_kernel
	.section	.text._ZN7rocprim17ROCPRIM_400000_NS6detail17trampoline_kernelINS0_14default_configENS1_25partition_config_selectorILNS1_17partition_subalgoE6EfNS0_10empty_typeEbEEZZNS1_14partition_implILS5_6ELb0ES3_mN6thrust23THRUST_200600_302600_NS6detail15normal_iteratorINSA_10device_ptrIfEEEEPS6_SG_NS0_5tupleIJSF_S6_EEENSH_IJSG_SG_EEES6_PlJ7is_evenIfEEEE10hipError_tPvRmT3_T4_T5_T6_T7_T9_mT8_P12ihipStream_tbDpT10_ENKUlT_T0_E_clISt17integral_constantIbLb0EES16_EEDaS11_S12_EUlS11_E_NS1_11comp_targetILNS1_3genE3ELNS1_11target_archE908ELNS1_3gpuE7ELNS1_3repE0EEENS1_30default_config_static_selectorELNS0_4arch9wavefront6targetE0EEEvT1_,"axG",@progbits,_ZN7rocprim17ROCPRIM_400000_NS6detail17trampoline_kernelINS0_14default_configENS1_25partition_config_selectorILNS1_17partition_subalgoE6EfNS0_10empty_typeEbEEZZNS1_14partition_implILS5_6ELb0ES3_mN6thrust23THRUST_200600_302600_NS6detail15normal_iteratorINSA_10device_ptrIfEEEEPS6_SG_NS0_5tupleIJSF_S6_EEENSH_IJSG_SG_EEES6_PlJ7is_evenIfEEEE10hipError_tPvRmT3_T4_T5_T6_T7_T9_mT8_P12ihipStream_tbDpT10_ENKUlT_T0_E_clISt17integral_constantIbLb0EES16_EEDaS11_S12_EUlS11_E_NS1_11comp_targetILNS1_3genE3ELNS1_11target_archE908ELNS1_3gpuE7ELNS1_3repE0EEENS1_30default_config_static_selectorELNS0_4arch9wavefront6targetE0EEEvT1_,comdat
.Lfunc_end235:
	.size	_ZN7rocprim17ROCPRIM_400000_NS6detail17trampoline_kernelINS0_14default_configENS1_25partition_config_selectorILNS1_17partition_subalgoE6EfNS0_10empty_typeEbEEZZNS1_14partition_implILS5_6ELb0ES3_mN6thrust23THRUST_200600_302600_NS6detail15normal_iteratorINSA_10device_ptrIfEEEEPS6_SG_NS0_5tupleIJSF_S6_EEENSH_IJSG_SG_EEES6_PlJ7is_evenIfEEEE10hipError_tPvRmT3_T4_T5_T6_T7_T9_mT8_P12ihipStream_tbDpT10_ENKUlT_T0_E_clISt17integral_constantIbLb0EES16_EEDaS11_S12_EUlS11_E_NS1_11comp_targetILNS1_3genE3ELNS1_11target_archE908ELNS1_3gpuE7ELNS1_3repE0EEENS1_30default_config_static_selectorELNS0_4arch9wavefront6targetE0EEEvT1_, .Lfunc_end235-_ZN7rocprim17ROCPRIM_400000_NS6detail17trampoline_kernelINS0_14default_configENS1_25partition_config_selectorILNS1_17partition_subalgoE6EfNS0_10empty_typeEbEEZZNS1_14partition_implILS5_6ELb0ES3_mN6thrust23THRUST_200600_302600_NS6detail15normal_iteratorINSA_10device_ptrIfEEEEPS6_SG_NS0_5tupleIJSF_S6_EEENSH_IJSG_SG_EEES6_PlJ7is_evenIfEEEE10hipError_tPvRmT3_T4_T5_T6_T7_T9_mT8_P12ihipStream_tbDpT10_ENKUlT_T0_E_clISt17integral_constantIbLb0EES16_EEDaS11_S12_EUlS11_E_NS1_11comp_targetILNS1_3genE3ELNS1_11target_archE908ELNS1_3gpuE7ELNS1_3repE0EEENS1_30default_config_static_selectorELNS0_4arch9wavefront6targetE0EEEvT1_
                                        ; -- End function
	.section	.AMDGPU.csdata,"",@progbits
; Kernel info:
; codeLenInByte = 0
; NumSgprs: 0
; NumVgprs: 0
; ScratchSize: 0
; MemoryBound: 0
; FloatMode: 240
; IeeeMode: 1
; LDSByteSize: 0 bytes/workgroup (compile time only)
; SGPRBlocks: 0
; VGPRBlocks: 0
; NumSGPRsForWavesPerEU: 1
; NumVGPRsForWavesPerEU: 1
; Occupancy: 16
; WaveLimiterHint : 0
; COMPUTE_PGM_RSRC2:SCRATCH_EN: 0
; COMPUTE_PGM_RSRC2:USER_SGPR: 15
; COMPUTE_PGM_RSRC2:TRAP_HANDLER: 0
; COMPUTE_PGM_RSRC2:TGID_X_EN: 1
; COMPUTE_PGM_RSRC2:TGID_Y_EN: 0
; COMPUTE_PGM_RSRC2:TGID_Z_EN: 0
; COMPUTE_PGM_RSRC2:TIDIG_COMP_CNT: 0
	.section	.text._ZN7rocprim17ROCPRIM_400000_NS6detail17trampoline_kernelINS0_14default_configENS1_25partition_config_selectorILNS1_17partition_subalgoE6EfNS0_10empty_typeEbEEZZNS1_14partition_implILS5_6ELb0ES3_mN6thrust23THRUST_200600_302600_NS6detail15normal_iteratorINSA_10device_ptrIfEEEEPS6_SG_NS0_5tupleIJSF_S6_EEENSH_IJSG_SG_EEES6_PlJ7is_evenIfEEEE10hipError_tPvRmT3_T4_T5_T6_T7_T9_mT8_P12ihipStream_tbDpT10_ENKUlT_T0_E_clISt17integral_constantIbLb0EES16_EEDaS11_S12_EUlS11_E_NS1_11comp_targetILNS1_3genE2ELNS1_11target_archE906ELNS1_3gpuE6ELNS1_3repE0EEENS1_30default_config_static_selectorELNS0_4arch9wavefront6targetE0EEEvT1_,"axG",@progbits,_ZN7rocprim17ROCPRIM_400000_NS6detail17trampoline_kernelINS0_14default_configENS1_25partition_config_selectorILNS1_17partition_subalgoE6EfNS0_10empty_typeEbEEZZNS1_14partition_implILS5_6ELb0ES3_mN6thrust23THRUST_200600_302600_NS6detail15normal_iteratorINSA_10device_ptrIfEEEEPS6_SG_NS0_5tupleIJSF_S6_EEENSH_IJSG_SG_EEES6_PlJ7is_evenIfEEEE10hipError_tPvRmT3_T4_T5_T6_T7_T9_mT8_P12ihipStream_tbDpT10_ENKUlT_T0_E_clISt17integral_constantIbLb0EES16_EEDaS11_S12_EUlS11_E_NS1_11comp_targetILNS1_3genE2ELNS1_11target_archE906ELNS1_3gpuE6ELNS1_3repE0EEENS1_30default_config_static_selectorELNS0_4arch9wavefront6targetE0EEEvT1_,comdat
	.protected	_ZN7rocprim17ROCPRIM_400000_NS6detail17trampoline_kernelINS0_14default_configENS1_25partition_config_selectorILNS1_17partition_subalgoE6EfNS0_10empty_typeEbEEZZNS1_14partition_implILS5_6ELb0ES3_mN6thrust23THRUST_200600_302600_NS6detail15normal_iteratorINSA_10device_ptrIfEEEEPS6_SG_NS0_5tupleIJSF_S6_EEENSH_IJSG_SG_EEES6_PlJ7is_evenIfEEEE10hipError_tPvRmT3_T4_T5_T6_T7_T9_mT8_P12ihipStream_tbDpT10_ENKUlT_T0_E_clISt17integral_constantIbLb0EES16_EEDaS11_S12_EUlS11_E_NS1_11comp_targetILNS1_3genE2ELNS1_11target_archE906ELNS1_3gpuE6ELNS1_3repE0EEENS1_30default_config_static_selectorELNS0_4arch9wavefront6targetE0EEEvT1_ ; -- Begin function _ZN7rocprim17ROCPRIM_400000_NS6detail17trampoline_kernelINS0_14default_configENS1_25partition_config_selectorILNS1_17partition_subalgoE6EfNS0_10empty_typeEbEEZZNS1_14partition_implILS5_6ELb0ES3_mN6thrust23THRUST_200600_302600_NS6detail15normal_iteratorINSA_10device_ptrIfEEEEPS6_SG_NS0_5tupleIJSF_S6_EEENSH_IJSG_SG_EEES6_PlJ7is_evenIfEEEE10hipError_tPvRmT3_T4_T5_T6_T7_T9_mT8_P12ihipStream_tbDpT10_ENKUlT_T0_E_clISt17integral_constantIbLb0EES16_EEDaS11_S12_EUlS11_E_NS1_11comp_targetILNS1_3genE2ELNS1_11target_archE906ELNS1_3gpuE6ELNS1_3repE0EEENS1_30default_config_static_selectorELNS0_4arch9wavefront6targetE0EEEvT1_
	.globl	_ZN7rocprim17ROCPRIM_400000_NS6detail17trampoline_kernelINS0_14default_configENS1_25partition_config_selectorILNS1_17partition_subalgoE6EfNS0_10empty_typeEbEEZZNS1_14partition_implILS5_6ELb0ES3_mN6thrust23THRUST_200600_302600_NS6detail15normal_iteratorINSA_10device_ptrIfEEEEPS6_SG_NS0_5tupleIJSF_S6_EEENSH_IJSG_SG_EEES6_PlJ7is_evenIfEEEE10hipError_tPvRmT3_T4_T5_T6_T7_T9_mT8_P12ihipStream_tbDpT10_ENKUlT_T0_E_clISt17integral_constantIbLb0EES16_EEDaS11_S12_EUlS11_E_NS1_11comp_targetILNS1_3genE2ELNS1_11target_archE906ELNS1_3gpuE6ELNS1_3repE0EEENS1_30default_config_static_selectorELNS0_4arch9wavefront6targetE0EEEvT1_
	.p2align	8
	.type	_ZN7rocprim17ROCPRIM_400000_NS6detail17trampoline_kernelINS0_14default_configENS1_25partition_config_selectorILNS1_17partition_subalgoE6EfNS0_10empty_typeEbEEZZNS1_14partition_implILS5_6ELb0ES3_mN6thrust23THRUST_200600_302600_NS6detail15normal_iteratorINSA_10device_ptrIfEEEEPS6_SG_NS0_5tupleIJSF_S6_EEENSH_IJSG_SG_EEES6_PlJ7is_evenIfEEEE10hipError_tPvRmT3_T4_T5_T6_T7_T9_mT8_P12ihipStream_tbDpT10_ENKUlT_T0_E_clISt17integral_constantIbLb0EES16_EEDaS11_S12_EUlS11_E_NS1_11comp_targetILNS1_3genE2ELNS1_11target_archE906ELNS1_3gpuE6ELNS1_3repE0EEENS1_30default_config_static_selectorELNS0_4arch9wavefront6targetE0EEEvT1_,@function
_ZN7rocprim17ROCPRIM_400000_NS6detail17trampoline_kernelINS0_14default_configENS1_25partition_config_selectorILNS1_17partition_subalgoE6EfNS0_10empty_typeEbEEZZNS1_14partition_implILS5_6ELb0ES3_mN6thrust23THRUST_200600_302600_NS6detail15normal_iteratorINSA_10device_ptrIfEEEEPS6_SG_NS0_5tupleIJSF_S6_EEENSH_IJSG_SG_EEES6_PlJ7is_evenIfEEEE10hipError_tPvRmT3_T4_T5_T6_T7_T9_mT8_P12ihipStream_tbDpT10_ENKUlT_T0_E_clISt17integral_constantIbLb0EES16_EEDaS11_S12_EUlS11_E_NS1_11comp_targetILNS1_3genE2ELNS1_11target_archE906ELNS1_3gpuE6ELNS1_3repE0EEENS1_30default_config_static_selectorELNS0_4arch9wavefront6targetE0EEEvT1_: ; @_ZN7rocprim17ROCPRIM_400000_NS6detail17trampoline_kernelINS0_14default_configENS1_25partition_config_selectorILNS1_17partition_subalgoE6EfNS0_10empty_typeEbEEZZNS1_14partition_implILS5_6ELb0ES3_mN6thrust23THRUST_200600_302600_NS6detail15normal_iteratorINSA_10device_ptrIfEEEEPS6_SG_NS0_5tupleIJSF_S6_EEENSH_IJSG_SG_EEES6_PlJ7is_evenIfEEEE10hipError_tPvRmT3_T4_T5_T6_T7_T9_mT8_P12ihipStream_tbDpT10_ENKUlT_T0_E_clISt17integral_constantIbLb0EES16_EEDaS11_S12_EUlS11_E_NS1_11comp_targetILNS1_3genE2ELNS1_11target_archE906ELNS1_3gpuE6ELNS1_3repE0EEENS1_30default_config_static_selectorELNS0_4arch9wavefront6targetE0EEEvT1_
; %bb.0:
	.section	.rodata,"a",@progbits
	.p2align	6, 0x0
	.amdhsa_kernel _ZN7rocprim17ROCPRIM_400000_NS6detail17trampoline_kernelINS0_14default_configENS1_25partition_config_selectorILNS1_17partition_subalgoE6EfNS0_10empty_typeEbEEZZNS1_14partition_implILS5_6ELb0ES3_mN6thrust23THRUST_200600_302600_NS6detail15normal_iteratorINSA_10device_ptrIfEEEEPS6_SG_NS0_5tupleIJSF_S6_EEENSH_IJSG_SG_EEES6_PlJ7is_evenIfEEEE10hipError_tPvRmT3_T4_T5_T6_T7_T9_mT8_P12ihipStream_tbDpT10_ENKUlT_T0_E_clISt17integral_constantIbLb0EES16_EEDaS11_S12_EUlS11_E_NS1_11comp_targetILNS1_3genE2ELNS1_11target_archE906ELNS1_3gpuE6ELNS1_3repE0EEENS1_30default_config_static_selectorELNS0_4arch9wavefront6targetE0EEEvT1_
		.amdhsa_group_segment_fixed_size 0
		.amdhsa_private_segment_fixed_size 0
		.amdhsa_kernarg_size 112
		.amdhsa_user_sgpr_count 15
		.amdhsa_user_sgpr_dispatch_ptr 0
		.amdhsa_user_sgpr_queue_ptr 0
		.amdhsa_user_sgpr_kernarg_segment_ptr 1
		.amdhsa_user_sgpr_dispatch_id 0
		.amdhsa_user_sgpr_private_segment_size 0
		.amdhsa_wavefront_size32 1
		.amdhsa_uses_dynamic_stack 0
		.amdhsa_enable_private_segment 0
		.amdhsa_system_sgpr_workgroup_id_x 1
		.amdhsa_system_sgpr_workgroup_id_y 0
		.amdhsa_system_sgpr_workgroup_id_z 0
		.amdhsa_system_sgpr_workgroup_info 0
		.amdhsa_system_vgpr_workitem_id 0
		.amdhsa_next_free_vgpr 1
		.amdhsa_next_free_sgpr 1
		.amdhsa_reserve_vcc 0
		.amdhsa_float_round_mode_32 0
		.amdhsa_float_round_mode_16_64 0
		.amdhsa_float_denorm_mode_32 3
		.amdhsa_float_denorm_mode_16_64 3
		.amdhsa_dx10_clamp 1
		.amdhsa_ieee_mode 1
		.amdhsa_fp16_overflow 0
		.amdhsa_workgroup_processor_mode 1
		.amdhsa_memory_ordered 1
		.amdhsa_forward_progress 0
		.amdhsa_shared_vgpr_count 0
		.amdhsa_exception_fp_ieee_invalid_op 0
		.amdhsa_exception_fp_denorm_src 0
		.amdhsa_exception_fp_ieee_div_zero 0
		.amdhsa_exception_fp_ieee_overflow 0
		.amdhsa_exception_fp_ieee_underflow 0
		.amdhsa_exception_fp_ieee_inexact 0
		.amdhsa_exception_int_div_zero 0
	.end_amdhsa_kernel
	.section	.text._ZN7rocprim17ROCPRIM_400000_NS6detail17trampoline_kernelINS0_14default_configENS1_25partition_config_selectorILNS1_17partition_subalgoE6EfNS0_10empty_typeEbEEZZNS1_14partition_implILS5_6ELb0ES3_mN6thrust23THRUST_200600_302600_NS6detail15normal_iteratorINSA_10device_ptrIfEEEEPS6_SG_NS0_5tupleIJSF_S6_EEENSH_IJSG_SG_EEES6_PlJ7is_evenIfEEEE10hipError_tPvRmT3_T4_T5_T6_T7_T9_mT8_P12ihipStream_tbDpT10_ENKUlT_T0_E_clISt17integral_constantIbLb0EES16_EEDaS11_S12_EUlS11_E_NS1_11comp_targetILNS1_3genE2ELNS1_11target_archE906ELNS1_3gpuE6ELNS1_3repE0EEENS1_30default_config_static_selectorELNS0_4arch9wavefront6targetE0EEEvT1_,"axG",@progbits,_ZN7rocprim17ROCPRIM_400000_NS6detail17trampoline_kernelINS0_14default_configENS1_25partition_config_selectorILNS1_17partition_subalgoE6EfNS0_10empty_typeEbEEZZNS1_14partition_implILS5_6ELb0ES3_mN6thrust23THRUST_200600_302600_NS6detail15normal_iteratorINSA_10device_ptrIfEEEEPS6_SG_NS0_5tupleIJSF_S6_EEENSH_IJSG_SG_EEES6_PlJ7is_evenIfEEEE10hipError_tPvRmT3_T4_T5_T6_T7_T9_mT8_P12ihipStream_tbDpT10_ENKUlT_T0_E_clISt17integral_constantIbLb0EES16_EEDaS11_S12_EUlS11_E_NS1_11comp_targetILNS1_3genE2ELNS1_11target_archE906ELNS1_3gpuE6ELNS1_3repE0EEENS1_30default_config_static_selectorELNS0_4arch9wavefront6targetE0EEEvT1_,comdat
.Lfunc_end236:
	.size	_ZN7rocprim17ROCPRIM_400000_NS6detail17trampoline_kernelINS0_14default_configENS1_25partition_config_selectorILNS1_17partition_subalgoE6EfNS0_10empty_typeEbEEZZNS1_14partition_implILS5_6ELb0ES3_mN6thrust23THRUST_200600_302600_NS6detail15normal_iteratorINSA_10device_ptrIfEEEEPS6_SG_NS0_5tupleIJSF_S6_EEENSH_IJSG_SG_EEES6_PlJ7is_evenIfEEEE10hipError_tPvRmT3_T4_T5_T6_T7_T9_mT8_P12ihipStream_tbDpT10_ENKUlT_T0_E_clISt17integral_constantIbLb0EES16_EEDaS11_S12_EUlS11_E_NS1_11comp_targetILNS1_3genE2ELNS1_11target_archE906ELNS1_3gpuE6ELNS1_3repE0EEENS1_30default_config_static_selectorELNS0_4arch9wavefront6targetE0EEEvT1_, .Lfunc_end236-_ZN7rocprim17ROCPRIM_400000_NS6detail17trampoline_kernelINS0_14default_configENS1_25partition_config_selectorILNS1_17partition_subalgoE6EfNS0_10empty_typeEbEEZZNS1_14partition_implILS5_6ELb0ES3_mN6thrust23THRUST_200600_302600_NS6detail15normal_iteratorINSA_10device_ptrIfEEEEPS6_SG_NS0_5tupleIJSF_S6_EEENSH_IJSG_SG_EEES6_PlJ7is_evenIfEEEE10hipError_tPvRmT3_T4_T5_T6_T7_T9_mT8_P12ihipStream_tbDpT10_ENKUlT_T0_E_clISt17integral_constantIbLb0EES16_EEDaS11_S12_EUlS11_E_NS1_11comp_targetILNS1_3genE2ELNS1_11target_archE906ELNS1_3gpuE6ELNS1_3repE0EEENS1_30default_config_static_selectorELNS0_4arch9wavefront6targetE0EEEvT1_
                                        ; -- End function
	.section	.AMDGPU.csdata,"",@progbits
; Kernel info:
; codeLenInByte = 0
; NumSgprs: 0
; NumVgprs: 0
; ScratchSize: 0
; MemoryBound: 0
; FloatMode: 240
; IeeeMode: 1
; LDSByteSize: 0 bytes/workgroup (compile time only)
; SGPRBlocks: 0
; VGPRBlocks: 0
; NumSGPRsForWavesPerEU: 1
; NumVGPRsForWavesPerEU: 1
; Occupancy: 16
; WaveLimiterHint : 0
; COMPUTE_PGM_RSRC2:SCRATCH_EN: 0
; COMPUTE_PGM_RSRC2:USER_SGPR: 15
; COMPUTE_PGM_RSRC2:TRAP_HANDLER: 0
; COMPUTE_PGM_RSRC2:TGID_X_EN: 1
; COMPUTE_PGM_RSRC2:TGID_Y_EN: 0
; COMPUTE_PGM_RSRC2:TGID_Z_EN: 0
; COMPUTE_PGM_RSRC2:TIDIG_COMP_CNT: 0
	.section	.text._ZN7rocprim17ROCPRIM_400000_NS6detail17trampoline_kernelINS0_14default_configENS1_25partition_config_selectorILNS1_17partition_subalgoE6EfNS0_10empty_typeEbEEZZNS1_14partition_implILS5_6ELb0ES3_mN6thrust23THRUST_200600_302600_NS6detail15normal_iteratorINSA_10device_ptrIfEEEEPS6_SG_NS0_5tupleIJSF_S6_EEENSH_IJSG_SG_EEES6_PlJ7is_evenIfEEEE10hipError_tPvRmT3_T4_T5_T6_T7_T9_mT8_P12ihipStream_tbDpT10_ENKUlT_T0_E_clISt17integral_constantIbLb0EES16_EEDaS11_S12_EUlS11_E_NS1_11comp_targetILNS1_3genE10ELNS1_11target_archE1200ELNS1_3gpuE4ELNS1_3repE0EEENS1_30default_config_static_selectorELNS0_4arch9wavefront6targetE0EEEvT1_,"axG",@progbits,_ZN7rocprim17ROCPRIM_400000_NS6detail17trampoline_kernelINS0_14default_configENS1_25partition_config_selectorILNS1_17partition_subalgoE6EfNS0_10empty_typeEbEEZZNS1_14partition_implILS5_6ELb0ES3_mN6thrust23THRUST_200600_302600_NS6detail15normal_iteratorINSA_10device_ptrIfEEEEPS6_SG_NS0_5tupleIJSF_S6_EEENSH_IJSG_SG_EEES6_PlJ7is_evenIfEEEE10hipError_tPvRmT3_T4_T5_T6_T7_T9_mT8_P12ihipStream_tbDpT10_ENKUlT_T0_E_clISt17integral_constantIbLb0EES16_EEDaS11_S12_EUlS11_E_NS1_11comp_targetILNS1_3genE10ELNS1_11target_archE1200ELNS1_3gpuE4ELNS1_3repE0EEENS1_30default_config_static_selectorELNS0_4arch9wavefront6targetE0EEEvT1_,comdat
	.protected	_ZN7rocprim17ROCPRIM_400000_NS6detail17trampoline_kernelINS0_14default_configENS1_25partition_config_selectorILNS1_17partition_subalgoE6EfNS0_10empty_typeEbEEZZNS1_14partition_implILS5_6ELb0ES3_mN6thrust23THRUST_200600_302600_NS6detail15normal_iteratorINSA_10device_ptrIfEEEEPS6_SG_NS0_5tupleIJSF_S6_EEENSH_IJSG_SG_EEES6_PlJ7is_evenIfEEEE10hipError_tPvRmT3_T4_T5_T6_T7_T9_mT8_P12ihipStream_tbDpT10_ENKUlT_T0_E_clISt17integral_constantIbLb0EES16_EEDaS11_S12_EUlS11_E_NS1_11comp_targetILNS1_3genE10ELNS1_11target_archE1200ELNS1_3gpuE4ELNS1_3repE0EEENS1_30default_config_static_selectorELNS0_4arch9wavefront6targetE0EEEvT1_ ; -- Begin function _ZN7rocprim17ROCPRIM_400000_NS6detail17trampoline_kernelINS0_14default_configENS1_25partition_config_selectorILNS1_17partition_subalgoE6EfNS0_10empty_typeEbEEZZNS1_14partition_implILS5_6ELb0ES3_mN6thrust23THRUST_200600_302600_NS6detail15normal_iteratorINSA_10device_ptrIfEEEEPS6_SG_NS0_5tupleIJSF_S6_EEENSH_IJSG_SG_EEES6_PlJ7is_evenIfEEEE10hipError_tPvRmT3_T4_T5_T6_T7_T9_mT8_P12ihipStream_tbDpT10_ENKUlT_T0_E_clISt17integral_constantIbLb0EES16_EEDaS11_S12_EUlS11_E_NS1_11comp_targetILNS1_3genE10ELNS1_11target_archE1200ELNS1_3gpuE4ELNS1_3repE0EEENS1_30default_config_static_selectorELNS0_4arch9wavefront6targetE0EEEvT1_
	.globl	_ZN7rocprim17ROCPRIM_400000_NS6detail17trampoline_kernelINS0_14default_configENS1_25partition_config_selectorILNS1_17partition_subalgoE6EfNS0_10empty_typeEbEEZZNS1_14partition_implILS5_6ELb0ES3_mN6thrust23THRUST_200600_302600_NS6detail15normal_iteratorINSA_10device_ptrIfEEEEPS6_SG_NS0_5tupleIJSF_S6_EEENSH_IJSG_SG_EEES6_PlJ7is_evenIfEEEE10hipError_tPvRmT3_T4_T5_T6_T7_T9_mT8_P12ihipStream_tbDpT10_ENKUlT_T0_E_clISt17integral_constantIbLb0EES16_EEDaS11_S12_EUlS11_E_NS1_11comp_targetILNS1_3genE10ELNS1_11target_archE1200ELNS1_3gpuE4ELNS1_3repE0EEENS1_30default_config_static_selectorELNS0_4arch9wavefront6targetE0EEEvT1_
	.p2align	8
	.type	_ZN7rocprim17ROCPRIM_400000_NS6detail17trampoline_kernelINS0_14default_configENS1_25partition_config_selectorILNS1_17partition_subalgoE6EfNS0_10empty_typeEbEEZZNS1_14partition_implILS5_6ELb0ES3_mN6thrust23THRUST_200600_302600_NS6detail15normal_iteratorINSA_10device_ptrIfEEEEPS6_SG_NS0_5tupleIJSF_S6_EEENSH_IJSG_SG_EEES6_PlJ7is_evenIfEEEE10hipError_tPvRmT3_T4_T5_T6_T7_T9_mT8_P12ihipStream_tbDpT10_ENKUlT_T0_E_clISt17integral_constantIbLb0EES16_EEDaS11_S12_EUlS11_E_NS1_11comp_targetILNS1_3genE10ELNS1_11target_archE1200ELNS1_3gpuE4ELNS1_3repE0EEENS1_30default_config_static_selectorELNS0_4arch9wavefront6targetE0EEEvT1_,@function
_ZN7rocprim17ROCPRIM_400000_NS6detail17trampoline_kernelINS0_14default_configENS1_25partition_config_selectorILNS1_17partition_subalgoE6EfNS0_10empty_typeEbEEZZNS1_14partition_implILS5_6ELb0ES3_mN6thrust23THRUST_200600_302600_NS6detail15normal_iteratorINSA_10device_ptrIfEEEEPS6_SG_NS0_5tupleIJSF_S6_EEENSH_IJSG_SG_EEES6_PlJ7is_evenIfEEEE10hipError_tPvRmT3_T4_T5_T6_T7_T9_mT8_P12ihipStream_tbDpT10_ENKUlT_T0_E_clISt17integral_constantIbLb0EES16_EEDaS11_S12_EUlS11_E_NS1_11comp_targetILNS1_3genE10ELNS1_11target_archE1200ELNS1_3gpuE4ELNS1_3repE0EEENS1_30default_config_static_selectorELNS0_4arch9wavefront6targetE0EEEvT1_: ; @_ZN7rocprim17ROCPRIM_400000_NS6detail17trampoline_kernelINS0_14default_configENS1_25partition_config_selectorILNS1_17partition_subalgoE6EfNS0_10empty_typeEbEEZZNS1_14partition_implILS5_6ELb0ES3_mN6thrust23THRUST_200600_302600_NS6detail15normal_iteratorINSA_10device_ptrIfEEEEPS6_SG_NS0_5tupleIJSF_S6_EEENSH_IJSG_SG_EEES6_PlJ7is_evenIfEEEE10hipError_tPvRmT3_T4_T5_T6_T7_T9_mT8_P12ihipStream_tbDpT10_ENKUlT_T0_E_clISt17integral_constantIbLb0EES16_EEDaS11_S12_EUlS11_E_NS1_11comp_targetILNS1_3genE10ELNS1_11target_archE1200ELNS1_3gpuE4ELNS1_3repE0EEENS1_30default_config_static_selectorELNS0_4arch9wavefront6targetE0EEEvT1_
; %bb.0:
	.section	.rodata,"a",@progbits
	.p2align	6, 0x0
	.amdhsa_kernel _ZN7rocprim17ROCPRIM_400000_NS6detail17trampoline_kernelINS0_14default_configENS1_25partition_config_selectorILNS1_17partition_subalgoE6EfNS0_10empty_typeEbEEZZNS1_14partition_implILS5_6ELb0ES3_mN6thrust23THRUST_200600_302600_NS6detail15normal_iteratorINSA_10device_ptrIfEEEEPS6_SG_NS0_5tupleIJSF_S6_EEENSH_IJSG_SG_EEES6_PlJ7is_evenIfEEEE10hipError_tPvRmT3_T4_T5_T6_T7_T9_mT8_P12ihipStream_tbDpT10_ENKUlT_T0_E_clISt17integral_constantIbLb0EES16_EEDaS11_S12_EUlS11_E_NS1_11comp_targetILNS1_3genE10ELNS1_11target_archE1200ELNS1_3gpuE4ELNS1_3repE0EEENS1_30default_config_static_selectorELNS0_4arch9wavefront6targetE0EEEvT1_
		.amdhsa_group_segment_fixed_size 0
		.amdhsa_private_segment_fixed_size 0
		.amdhsa_kernarg_size 112
		.amdhsa_user_sgpr_count 15
		.amdhsa_user_sgpr_dispatch_ptr 0
		.amdhsa_user_sgpr_queue_ptr 0
		.amdhsa_user_sgpr_kernarg_segment_ptr 1
		.amdhsa_user_sgpr_dispatch_id 0
		.amdhsa_user_sgpr_private_segment_size 0
		.amdhsa_wavefront_size32 1
		.amdhsa_uses_dynamic_stack 0
		.amdhsa_enable_private_segment 0
		.amdhsa_system_sgpr_workgroup_id_x 1
		.amdhsa_system_sgpr_workgroup_id_y 0
		.amdhsa_system_sgpr_workgroup_id_z 0
		.amdhsa_system_sgpr_workgroup_info 0
		.amdhsa_system_vgpr_workitem_id 0
		.amdhsa_next_free_vgpr 1
		.amdhsa_next_free_sgpr 1
		.amdhsa_reserve_vcc 0
		.amdhsa_float_round_mode_32 0
		.amdhsa_float_round_mode_16_64 0
		.amdhsa_float_denorm_mode_32 3
		.amdhsa_float_denorm_mode_16_64 3
		.amdhsa_dx10_clamp 1
		.amdhsa_ieee_mode 1
		.amdhsa_fp16_overflow 0
		.amdhsa_workgroup_processor_mode 1
		.amdhsa_memory_ordered 1
		.amdhsa_forward_progress 0
		.amdhsa_shared_vgpr_count 0
		.amdhsa_exception_fp_ieee_invalid_op 0
		.amdhsa_exception_fp_denorm_src 0
		.amdhsa_exception_fp_ieee_div_zero 0
		.amdhsa_exception_fp_ieee_overflow 0
		.amdhsa_exception_fp_ieee_underflow 0
		.amdhsa_exception_fp_ieee_inexact 0
		.amdhsa_exception_int_div_zero 0
	.end_amdhsa_kernel
	.section	.text._ZN7rocprim17ROCPRIM_400000_NS6detail17trampoline_kernelINS0_14default_configENS1_25partition_config_selectorILNS1_17partition_subalgoE6EfNS0_10empty_typeEbEEZZNS1_14partition_implILS5_6ELb0ES3_mN6thrust23THRUST_200600_302600_NS6detail15normal_iteratorINSA_10device_ptrIfEEEEPS6_SG_NS0_5tupleIJSF_S6_EEENSH_IJSG_SG_EEES6_PlJ7is_evenIfEEEE10hipError_tPvRmT3_T4_T5_T6_T7_T9_mT8_P12ihipStream_tbDpT10_ENKUlT_T0_E_clISt17integral_constantIbLb0EES16_EEDaS11_S12_EUlS11_E_NS1_11comp_targetILNS1_3genE10ELNS1_11target_archE1200ELNS1_3gpuE4ELNS1_3repE0EEENS1_30default_config_static_selectorELNS0_4arch9wavefront6targetE0EEEvT1_,"axG",@progbits,_ZN7rocprim17ROCPRIM_400000_NS6detail17trampoline_kernelINS0_14default_configENS1_25partition_config_selectorILNS1_17partition_subalgoE6EfNS0_10empty_typeEbEEZZNS1_14partition_implILS5_6ELb0ES3_mN6thrust23THRUST_200600_302600_NS6detail15normal_iteratorINSA_10device_ptrIfEEEEPS6_SG_NS0_5tupleIJSF_S6_EEENSH_IJSG_SG_EEES6_PlJ7is_evenIfEEEE10hipError_tPvRmT3_T4_T5_T6_T7_T9_mT8_P12ihipStream_tbDpT10_ENKUlT_T0_E_clISt17integral_constantIbLb0EES16_EEDaS11_S12_EUlS11_E_NS1_11comp_targetILNS1_3genE10ELNS1_11target_archE1200ELNS1_3gpuE4ELNS1_3repE0EEENS1_30default_config_static_selectorELNS0_4arch9wavefront6targetE0EEEvT1_,comdat
.Lfunc_end237:
	.size	_ZN7rocprim17ROCPRIM_400000_NS6detail17trampoline_kernelINS0_14default_configENS1_25partition_config_selectorILNS1_17partition_subalgoE6EfNS0_10empty_typeEbEEZZNS1_14partition_implILS5_6ELb0ES3_mN6thrust23THRUST_200600_302600_NS6detail15normal_iteratorINSA_10device_ptrIfEEEEPS6_SG_NS0_5tupleIJSF_S6_EEENSH_IJSG_SG_EEES6_PlJ7is_evenIfEEEE10hipError_tPvRmT3_T4_T5_T6_T7_T9_mT8_P12ihipStream_tbDpT10_ENKUlT_T0_E_clISt17integral_constantIbLb0EES16_EEDaS11_S12_EUlS11_E_NS1_11comp_targetILNS1_3genE10ELNS1_11target_archE1200ELNS1_3gpuE4ELNS1_3repE0EEENS1_30default_config_static_selectorELNS0_4arch9wavefront6targetE0EEEvT1_, .Lfunc_end237-_ZN7rocprim17ROCPRIM_400000_NS6detail17trampoline_kernelINS0_14default_configENS1_25partition_config_selectorILNS1_17partition_subalgoE6EfNS0_10empty_typeEbEEZZNS1_14partition_implILS5_6ELb0ES3_mN6thrust23THRUST_200600_302600_NS6detail15normal_iteratorINSA_10device_ptrIfEEEEPS6_SG_NS0_5tupleIJSF_S6_EEENSH_IJSG_SG_EEES6_PlJ7is_evenIfEEEE10hipError_tPvRmT3_T4_T5_T6_T7_T9_mT8_P12ihipStream_tbDpT10_ENKUlT_T0_E_clISt17integral_constantIbLb0EES16_EEDaS11_S12_EUlS11_E_NS1_11comp_targetILNS1_3genE10ELNS1_11target_archE1200ELNS1_3gpuE4ELNS1_3repE0EEENS1_30default_config_static_selectorELNS0_4arch9wavefront6targetE0EEEvT1_
                                        ; -- End function
	.section	.AMDGPU.csdata,"",@progbits
; Kernel info:
; codeLenInByte = 0
; NumSgprs: 0
; NumVgprs: 0
; ScratchSize: 0
; MemoryBound: 0
; FloatMode: 240
; IeeeMode: 1
; LDSByteSize: 0 bytes/workgroup (compile time only)
; SGPRBlocks: 0
; VGPRBlocks: 0
; NumSGPRsForWavesPerEU: 1
; NumVGPRsForWavesPerEU: 1
; Occupancy: 15
; WaveLimiterHint : 0
; COMPUTE_PGM_RSRC2:SCRATCH_EN: 0
; COMPUTE_PGM_RSRC2:USER_SGPR: 15
; COMPUTE_PGM_RSRC2:TRAP_HANDLER: 0
; COMPUTE_PGM_RSRC2:TGID_X_EN: 1
; COMPUTE_PGM_RSRC2:TGID_Y_EN: 0
; COMPUTE_PGM_RSRC2:TGID_Z_EN: 0
; COMPUTE_PGM_RSRC2:TIDIG_COMP_CNT: 0
	.section	.text._ZN7rocprim17ROCPRIM_400000_NS6detail17trampoline_kernelINS0_14default_configENS1_25partition_config_selectorILNS1_17partition_subalgoE6EfNS0_10empty_typeEbEEZZNS1_14partition_implILS5_6ELb0ES3_mN6thrust23THRUST_200600_302600_NS6detail15normal_iteratorINSA_10device_ptrIfEEEEPS6_SG_NS0_5tupleIJSF_S6_EEENSH_IJSG_SG_EEES6_PlJ7is_evenIfEEEE10hipError_tPvRmT3_T4_T5_T6_T7_T9_mT8_P12ihipStream_tbDpT10_ENKUlT_T0_E_clISt17integral_constantIbLb0EES16_EEDaS11_S12_EUlS11_E_NS1_11comp_targetILNS1_3genE9ELNS1_11target_archE1100ELNS1_3gpuE3ELNS1_3repE0EEENS1_30default_config_static_selectorELNS0_4arch9wavefront6targetE0EEEvT1_,"axG",@progbits,_ZN7rocprim17ROCPRIM_400000_NS6detail17trampoline_kernelINS0_14default_configENS1_25partition_config_selectorILNS1_17partition_subalgoE6EfNS0_10empty_typeEbEEZZNS1_14partition_implILS5_6ELb0ES3_mN6thrust23THRUST_200600_302600_NS6detail15normal_iteratorINSA_10device_ptrIfEEEEPS6_SG_NS0_5tupleIJSF_S6_EEENSH_IJSG_SG_EEES6_PlJ7is_evenIfEEEE10hipError_tPvRmT3_T4_T5_T6_T7_T9_mT8_P12ihipStream_tbDpT10_ENKUlT_T0_E_clISt17integral_constantIbLb0EES16_EEDaS11_S12_EUlS11_E_NS1_11comp_targetILNS1_3genE9ELNS1_11target_archE1100ELNS1_3gpuE3ELNS1_3repE0EEENS1_30default_config_static_selectorELNS0_4arch9wavefront6targetE0EEEvT1_,comdat
	.protected	_ZN7rocprim17ROCPRIM_400000_NS6detail17trampoline_kernelINS0_14default_configENS1_25partition_config_selectorILNS1_17partition_subalgoE6EfNS0_10empty_typeEbEEZZNS1_14partition_implILS5_6ELb0ES3_mN6thrust23THRUST_200600_302600_NS6detail15normal_iteratorINSA_10device_ptrIfEEEEPS6_SG_NS0_5tupleIJSF_S6_EEENSH_IJSG_SG_EEES6_PlJ7is_evenIfEEEE10hipError_tPvRmT3_T4_T5_T6_T7_T9_mT8_P12ihipStream_tbDpT10_ENKUlT_T0_E_clISt17integral_constantIbLb0EES16_EEDaS11_S12_EUlS11_E_NS1_11comp_targetILNS1_3genE9ELNS1_11target_archE1100ELNS1_3gpuE3ELNS1_3repE0EEENS1_30default_config_static_selectorELNS0_4arch9wavefront6targetE0EEEvT1_ ; -- Begin function _ZN7rocprim17ROCPRIM_400000_NS6detail17trampoline_kernelINS0_14default_configENS1_25partition_config_selectorILNS1_17partition_subalgoE6EfNS0_10empty_typeEbEEZZNS1_14partition_implILS5_6ELb0ES3_mN6thrust23THRUST_200600_302600_NS6detail15normal_iteratorINSA_10device_ptrIfEEEEPS6_SG_NS0_5tupleIJSF_S6_EEENSH_IJSG_SG_EEES6_PlJ7is_evenIfEEEE10hipError_tPvRmT3_T4_T5_T6_T7_T9_mT8_P12ihipStream_tbDpT10_ENKUlT_T0_E_clISt17integral_constantIbLb0EES16_EEDaS11_S12_EUlS11_E_NS1_11comp_targetILNS1_3genE9ELNS1_11target_archE1100ELNS1_3gpuE3ELNS1_3repE0EEENS1_30default_config_static_selectorELNS0_4arch9wavefront6targetE0EEEvT1_
	.globl	_ZN7rocprim17ROCPRIM_400000_NS6detail17trampoline_kernelINS0_14default_configENS1_25partition_config_selectorILNS1_17partition_subalgoE6EfNS0_10empty_typeEbEEZZNS1_14partition_implILS5_6ELb0ES3_mN6thrust23THRUST_200600_302600_NS6detail15normal_iteratorINSA_10device_ptrIfEEEEPS6_SG_NS0_5tupleIJSF_S6_EEENSH_IJSG_SG_EEES6_PlJ7is_evenIfEEEE10hipError_tPvRmT3_T4_T5_T6_T7_T9_mT8_P12ihipStream_tbDpT10_ENKUlT_T0_E_clISt17integral_constantIbLb0EES16_EEDaS11_S12_EUlS11_E_NS1_11comp_targetILNS1_3genE9ELNS1_11target_archE1100ELNS1_3gpuE3ELNS1_3repE0EEENS1_30default_config_static_selectorELNS0_4arch9wavefront6targetE0EEEvT1_
	.p2align	8
	.type	_ZN7rocprim17ROCPRIM_400000_NS6detail17trampoline_kernelINS0_14default_configENS1_25partition_config_selectorILNS1_17partition_subalgoE6EfNS0_10empty_typeEbEEZZNS1_14partition_implILS5_6ELb0ES3_mN6thrust23THRUST_200600_302600_NS6detail15normal_iteratorINSA_10device_ptrIfEEEEPS6_SG_NS0_5tupleIJSF_S6_EEENSH_IJSG_SG_EEES6_PlJ7is_evenIfEEEE10hipError_tPvRmT3_T4_T5_T6_T7_T9_mT8_P12ihipStream_tbDpT10_ENKUlT_T0_E_clISt17integral_constantIbLb0EES16_EEDaS11_S12_EUlS11_E_NS1_11comp_targetILNS1_3genE9ELNS1_11target_archE1100ELNS1_3gpuE3ELNS1_3repE0EEENS1_30default_config_static_selectorELNS0_4arch9wavefront6targetE0EEEvT1_,@function
_ZN7rocprim17ROCPRIM_400000_NS6detail17trampoline_kernelINS0_14default_configENS1_25partition_config_selectorILNS1_17partition_subalgoE6EfNS0_10empty_typeEbEEZZNS1_14partition_implILS5_6ELb0ES3_mN6thrust23THRUST_200600_302600_NS6detail15normal_iteratorINSA_10device_ptrIfEEEEPS6_SG_NS0_5tupleIJSF_S6_EEENSH_IJSG_SG_EEES6_PlJ7is_evenIfEEEE10hipError_tPvRmT3_T4_T5_T6_T7_T9_mT8_P12ihipStream_tbDpT10_ENKUlT_T0_E_clISt17integral_constantIbLb0EES16_EEDaS11_S12_EUlS11_E_NS1_11comp_targetILNS1_3genE9ELNS1_11target_archE1100ELNS1_3gpuE3ELNS1_3repE0EEENS1_30default_config_static_selectorELNS0_4arch9wavefront6targetE0EEEvT1_: ; @_ZN7rocprim17ROCPRIM_400000_NS6detail17trampoline_kernelINS0_14default_configENS1_25partition_config_selectorILNS1_17partition_subalgoE6EfNS0_10empty_typeEbEEZZNS1_14partition_implILS5_6ELb0ES3_mN6thrust23THRUST_200600_302600_NS6detail15normal_iteratorINSA_10device_ptrIfEEEEPS6_SG_NS0_5tupleIJSF_S6_EEENSH_IJSG_SG_EEES6_PlJ7is_evenIfEEEE10hipError_tPvRmT3_T4_T5_T6_T7_T9_mT8_P12ihipStream_tbDpT10_ENKUlT_T0_E_clISt17integral_constantIbLb0EES16_EEDaS11_S12_EUlS11_E_NS1_11comp_targetILNS1_3genE9ELNS1_11target_archE1100ELNS1_3gpuE3ELNS1_3repE0EEENS1_30default_config_static_selectorELNS0_4arch9wavefront6targetE0EEEvT1_
; %bb.0:
	s_clause 0x3
	s_load_b128 s[8:11], s[0:1], 0x8
	s_load_b128 s[4:7], s[0:1], 0x40
	s_load_b32 s14, s[0:1], 0x68
	s_load_b64 s[12:13], s[0:1], 0x50
	v_lshlrev_b32_e32 v17, 2, v0
	s_waitcnt lgkmcnt(0)
	s_lshl_b64 s[2:3], s[10:11], 2
	s_load_b64 s[6:7], s[6:7], 0x0
	s_mul_i32 s16, s14, 0x700
	s_add_u32 s17, s8, s2
	s_addc_u32 s18, s9, s3
	s_add_i32 s2, s16, s10
	s_add_i32 s14, s14, -1
	s_sub_i32 s2, s12, s2
	s_add_u32 s8, s10, s16
	s_addc_u32 s9, s11, 0
	s_cmp_eq_u32 s15, s14
	v_cmp_ge_u64_e64 s3, s[8:9], s[12:13]
	s_cselect_b32 s12, -1, 0
	s_mov_b32 s9, 0
	s_mul_i32 s8, s15, 0x700
	s_delay_alu instid0(SALU_CYCLE_1) | instskip(NEXT) | instid1(VALU_DEP_1)
	s_lshl_b64 s[8:9], s[8:9], 2
	s_and_b32 s3, s12, s3
	s_delay_alu instid0(SALU_CYCLE_1)
	s_xor_b32 s13, s3, -1
	s_add_u32 s3, s17, s8
	s_addc_u32 s8, s18, s9
	s_and_b32 vcc_lo, exec_lo, s13
	s_mov_b32 s9, -1
	s_cbranch_vccz .LBB238_2
; %bb.1:
	v_add_co_u32 v1, s9, s3, v17
	s_delay_alu instid0(VALU_DEP_1) | instskip(SKIP_1) | instid1(VALU_DEP_2)
	v_add_co_ci_u32_e64 v2, null, s8, 0, s9
	s_mov_b32 s9, 0
	v_add_co_u32 v3, vcc_lo, 0x1000, v1
	s_delay_alu instid0(VALU_DEP_2)
	v_add_co_ci_u32_e32 v4, vcc_lo, 0, v2, vcc_lo
	s_clause 0xd
	flat_load_b32 v5, v[1:2]
	flat_load_b32 v6, v[1:2] offset:512
	flat_load_b32 v7, v[1:2] offset:1024
	;; [unrolled: 1-line block ×7, first 2 shown]
	flat_load_b32 v2, v[3:4]
	flat_load_b32 v12, v[3:4] offset:512
	flat_load_b32 v13, v[3:4] offset:1024
	;; [unrolled: 1-line block ×5, first 2 shown]
	s_waitcnt vmcnt(12) lgkmcnt(0)
	ds_store_2addr_stride64_b32 v17, v5, v6 offset1:2
	s_waitcnt vmcnt(10)
	ds_store_2addr_stride64_b32 v17, v7, v8 offset0:4 offset1:6
	s_waitcnt vmcnt(8)
	ds_store_2addr_stride64_b32 v17, v9, v10 offset0:8 offset1:10
	;; [unrolled: 2-line block ×6, first 2 shown]
	s_waitcnt lgkmcnt(0)
	s_barrier
.LBB238_2:
	s_and_not1_b32 vcc_lo, exec_lo, s9
	s_addk_i32 s2, 0x700
	s_cbranch_vccnz .LBB238_32
; %bb.3:
	s_mov_b32 s9, exec_lo
                                        ; implicit-def: $vgpr1_vgpr2_vgpr3_vgpr4_vgpr5_vgpr6_vgpr7_vgpr8_vgpr9_vgpr10_vgpr11_vgpr12_vgpr13_vgpr14_vgpr15_vgpr16
	v_cmpx_gt_u32_e64 s2, v0
	s_cbranch_execz .LBB238_5
; %bb.4:
	v_add_co_u32 v1, s10, s3, v17
	s_delay_alu instid0(VALU_DEP_1)
	v_add_co_ci_u32_e64 v2, null, s8, 0, s10
	flat_load_b32 v1, v[1:2]
.LBB238_5:
	s_or_b32 exec_lo, exec_lo, s9
	v_or_b32_e32 v15, 0x80, v0
	s_mov_b32 s9, exec_lo
	s_delay_alu instid0(VALU_DEP_1)
	v_cmpx_gt_u32_e64 s2, v15
	s_cbranch_execz .LBB238_7
; %bb.6:
	v_add_co_u32 v15, s10, s3, v17
	s_delay_alu instid0(VALU_DEP_1)
	v_add_co_ci_u32_e64 v16, null, s8, 0, s10
	flat_load_b32 v2, v[15:16] offset:512
.LBB238_7:
	s_or_b32 exec_lo, exec_lo, s9
	v_or_b32_e32 v15, 0x100, v0
	s_mov_b32 s9, exec_lo
	s_delay_alu instid0(VALU_DEP_1)
	v_cmpx_gt_u32_e64 s2, v15
	s_cbranch_execz .LBB238_9
; %bb.8:
	v_add_co_u32 v15, s10, s3, v17
	s_delay_alu instid0(VALU_DEP_1)
	v_add_co_ci_u32_e64 v16, null, s8, 0, s10
	flat_load_b32 v3, v[15:16] offset:1024
.LBB238_9:
	;; [unrolled: 12-line block ×7, first 2 shown]
	s_or_b32 exec_lo, exec_lo, s9
	v_or_b32_e32 v15, 0x400, v0
	s_mov_b32 s9, exec_lo
	s_delay_alu instid0(VALU_DEP_1)
	v_cmpx_gt_u32_e64 s2, v15
	s_cbranch_execz .LBB238_21
; %bb.20:
	v_lshlrev_b32_e32 v9, 2, v15
	s_delay_alu instid0(VALU_DEP_1) | instskip(NEXT) | instid1(VALU_DEP_1)
	v_add_co_u32 v15, s10, s3, v9
	v_add_co_ci_u32_e64 v16, null, s8, 0, s10
	flat_load_b32 v9, v[15:16]
.LBB238_21:
	s_or_b32 exec_lo, exec_lo, s9
	v_or_b32_e32 v15, 0x480, v0
	s_mov_b32 s9, exec_lo
	s_delay_alu instid0(VALU_DEP_1)
	v_cmpx_gt_u32_e64 s2, v15
	s_cbranch_execz .LBB238_23
; %bb.22:
	v_lshlrev_b32_e32 v10, 2, v15
	s_delay_alu instid0(VALU_DEP_1) | instskip(NEXT) | instid1(VALU_DEP_1)
	v_add_co_u32 v15, s10, s3, v10
	v_add_co_ci_u32_e64 v16, null, s8, 0, s10
	flat_load_b32 v10, v[15:16]
.LBB238_23:
	;; [unrolled: 13-line block ×6, first 2 shown]
	s_or_b32 exec_lo, exec_lo, s9
	s_waitcnt vmcnt(0) lgkmcnt(0)
	ds_store_2addr_stride64_b32 v17, v1, v2 offset1:2
	ds_store_2addr_stride64_b32 v17, v3, v4 offset0:4 offset1:6
	ds_store_2addr_stride64_b32 v17, v5, v6 offset0:8 offset1:10
	;; [unrolled: 1-line block ×6, first 2 shown]
	s_waitcnt lgkmcnt(0)
	s_barrier
.LBB238_32:
	v_mul_u32_u24_e32 v7, 14, v0
	s_waitcnt lgkmcnt(0)
	buffer_gl0_inv
	s_and_not1_b32 vcc_lo, exec_lo, s13
	v_lshlrev_b32_e32 v61, 2, v7
	ds_load_2addr_b64 v[41:44], v61 offset1:1
	ds_load_2addr_b64 v[37:40], v61 offset0:2 offset1:3
	ds_load_2addr_b64 v[33:36], v61 offset0:4 offset1:5
	ds_load_b64 v[49:50], v61 offset:48
	s_waitcnt lgkmcnt(0)
	s_barrier
	buffer_gl0_inv
	v_cvt_u32_f32_e32 v1, v41
	v_cvt_u32_f32_e32 v2, v42
	;; [unrolled: 1-line block ×14, first 2 shown]
	v_xor_b32_e32 v13, -1, v1
	v_xor_b32_e32 v14, -1, v2
	;; [unrolled: 1-line block ×14, first 2 shown]
	s_cbranch_vccnz .LBB238_34
; %bb.33:
	v_and_b32_e32 v16, 1, v14
	v_and_b32_e32 v17, 1, v13
	;; [unrolled: 1-line block ×5, first 2 shown]
	v_lshlrev_b16 v16, 8, v16
	v_and_b32_e32 v26, 1, v6
	v_and_b32_e32 v18, 1, v15
	;; [unrolled: 1-line block ×4, first 2 shown]
	v_or_b32_e32 v16, v17, v16
	v_and_b32_e32 v17, 1, v4
	v_and_b32_e32 v24, 1, v3
	;; [unrolled: 1-line block ×3, first 2 shown]
	v_lshlrev_b16 v19, 8, v19
	v_lshlrev_b16 v21, 8, v21
	;; [unrolled: 1-line block ×5, first 2 shown]
	v_or_b32_e32 v18, v18, v19
	v_or_b32_e32 v19, v20, v21
	;; [unrolled: 1-line block ×5, first 2 shown]
	v_and_b32_e32 v16, 0xffff, v16
	v_lshlrev_b32_e32 v18, 16, v18
	v_and_b32_e32 v19, 0xffff, v19
	v_lshlrev_b32_e32 v20, 16, v20
	;; [unrolled: 2-line block ×3, first 2 shown]
	v_and_b32_e32 v54, 1, v1
	v_and_b32_e32 v53, 1, v2
	v_or_b32_e32 v59, v16, v18
	v_or_b32_e32 v56, v19, v20
	;; [unrolled: 1-line block ×3, first 2 shown]
	s_load_b64 s[8:9], s[0:1], 0x60
	s_cbranch_execz .LBB238_35
	s_branch .LBB238_36
.LBB238_34:
                                        ; implicit-def: $vgpr53
                                        ; implicit-def: $vgpr54
                                        ; implicit-def: $vgpr55
                                        ; implicit-def: $vgpr56
                                        ; implicit-def: $vgpr59
	s_load_b64 s[8:9], s[0:1], 0x60
.LBB238_35:
	v_or_b32_e32 v16, 1, v7
	v_cmp_gt_u32_e32 vcc_lo, s2, v7
	v_add_nc_u32_e32 v17, 2, v7
	v_add_nc_u32_e32 v18, 3, v7
	;; [unrolled: 1-line block ×4, first 2 shown]
	v_cndmask_b32_e64 v27, 0, 1, vcc_lo
	v_cmp_gt_u32_e32 vcc_lo, s2, v16
	v_add_nc_u32_e32 v21, 6, v7
	v_add_nc_u32_e32 v22, 7, v7
	;; [unrolled: 1-line block ×4, first 2 shown]
	v_cndmask_b32_e64 v16, 0, 1, vcc_lo
	v_cmp_gt_u32_e32 vcc_lo, s2, v17
	v_add_nc_u32_e32 v25, 10, v7
	v_add_nc_u32_e32 v26, 11, v7
	;; [unrolled: 1-line block ×3, first 2 shown]
	v_and_b32_e32 v14, v16, v14
	v_cndmask_b32_e64 v17, 0, 1, vcc_lo
	v_cmp_gt_u32_e32 vcc_lo, s2, v18
	v_add_nc_u32_e32 v7, 13, v7
	v_and_b32_e32 v13, v27, v13
	v_lshlrev_b16 v14, 8, v14
	v_and_b32_e32 v15, v17, v15
	v_cndmask_b32_e64 v16, 0, 1, vcc_lo
	v_cmp_gt_u32_e32 vcc_lo, s2, v19
	s_delay_alu instid0(VALU_DEP_4) | instskip(NEXT) | instid1(VALU_DEP_3)
	v_or_b32_e32 v13, v13, v14
	v_and_b32_e32 v8, v16, v8
	v_cndmask_b32_e64 v17, 0, 1, vcc_lo
	v_cmp_gt_u32_e32 vcc_lo, s2, v20
	s_delay_alu instid0(VALU_DEP_4) | instskip(NEXT) | instid1(VALU_DEP_4)
	v_and_b32_e32 v13, 0xffff, v13
	v_lshlrev_b16 v8, 8, v8
	s_delay_alu instid0(VALU_DEP_4) | instskip(SKIP_2) | instid1(VALU_DEP_4)
	v_and_b32_e32 v9, v17, v9
	v_cndmask_b32_e64 v18, 0, 1, vcc_lo
	v_cmp_gt_u32_e32 vcc_lo, s2, v21
	v_or_b32_e32 v8, v15, v8
	s_delay_alu instid0(VALU_DEP_3) | instskip(SKIP_2) | instid1(VALU_DEP_3)
	v_and_b32_e32 v10, v18, v10
	v_cndmask_b32_e64 v19, 0, 1, vcc_lo
	v_cmp_gt_u32_e32 vcc_lo, s2, v22
	v_lshlrev_b16 v10, 8, v10
	s_delay_alu instid0(VALU_DEP_3) | instskip(SKIP_2) | instid1(VALU_DEP_4)
	v_and_b32_e32 v11, v19, v11
	v_cndmask_b32_e64 v20, 0, 1, vcc_lo
	v_cmp_gt_u32_e32 vcc_lo, s2, v23
	v_or_b32_e32 v9, v9, v10
	s_delay_alu instid0(VALU_DEP_3) | instskip(SKIP_2) | instid1(VALU_DEP_3)
	v_and_b32_e32 v12, v20, v12
	v_cndmask_b32_e64 v16, 0, 1, vcc_lo
	v_cmp_gt_u32_e32 vcc_lo, s2, v24
	v_lshlrev_b16 v12, 8, v12
	s_delay_alu instid0(VALU_DEP_3) | instskip(SKIP_2) | instid1(VALU_DEP_4)
	;; [unrolled: 10-line block ×3, first 2 shown]
	v_and_b32_e32 v5, v18, v5
	v_cndmask_b32_e64 v19, 0, 1, vcc_lo
	v_cmp_gt_u32_e32 vcc_lo, s2, v28
	v_or_b32_e32 v3, v3, v4
	s_delay_alu instid0(VALU_DEP_3) | instskip(SKIP_2) | instid1(VALU_DEP_4)
	v_and_b32_e32 v6, v19, v6
	v_cndmask_b32_e64 v14, 0, 1, vcc_lo
	v_cmp_gt_u32_e32 vcc_lo, s2, v7
	v_and_b32_e32 v3, 0xffff, v3
	s_delay_alu instid0(VALU_DEP_4) | instskip(NEXT) | instid1(VALU_DEP_4)
	v_lshlrev_b16 v6, 8, v6
	v_and_b32_e32 v54, v14, v1
	v_cndmask_b32_e64 v7, 0, 1, vcc_lo
	s_delay_alu instid0(VALU_DEP_3)
	v_or_b32_e32 v4, v5, v6
	v_lshlrev_b32_e32 v5, 16, v8
	v_and_b32_e32 v6, 0xffff, v9
	v_lshlrev_b32_e32 v8, 16, v10
	v_and_b32_e32 v53, v7, v2
	v_lshlrev_b32_e32 v4, 16, v4
	v_or_b32_e32 v59, v13, v5
	s_delay_alu instid0(VALU_DEP_4) | instskip(NEXT) | instid1(VALU_DEP_3)
	v_or_b32_e32 v56, v6, v8
	v_or_b32_e32 v55, v3, v4
.LBB238_36:
	s_delay_alu instid0(VALU_DEP_3)
	v_dual_mov_b32 v2, 0 :: v_dual_and_b32 v63, 0xff, v59
	v_bfe_u32 v64, v59, 8, 8
	v_bfe_u32 v65, v59, 16, 8
	v_lshrrev_b32_e32 v60, 24, v59
	v_and_b32_e32 v66, 0xff, v56
	v_bfe_u32 v67, v56, 8, 8
	v_add_co_u32 v1, s2, v64, v63
	s_delay_alu instid0(VALU_DEP_1) | instskip(SKIP_1) | instid1(VALU_DEP_3)
	v_add_co_ci_u32_e64 v3, null, 0, 0, s2
	v_bfe_u32 v68, v56, 16, 8
	v_add_co_u32 v1, vcc_lo, v1, v65
	s_delay_alu instid0(VALU_DEP_3) | instskip(SKIP_1) | instid1(VALU_DEP_3)
	v_add_co_ci_u32_e32 v3, vcc_lo, 0, v3, vcc_lo
	v_lshrrev_b32_e32 v58, 24, v56
	v_add_co_u32 v1, vcc_lo, v1, v60
	s_delay_alu instid0(VALU_DEP_3) | instskip(SKIP_1) | instid1(VALU_DEP_3)
	v_add_co_ci_u32_e32 v3, vcc_lo, 0, v3, vcc_lo
	v_and_b32_e32 v69, 0xff, v55
	v_add_co_u32 v1, vcc_lo, v1, v66
	s_delay_alu instid0(VALU_DEP_3) | instskip(SKIP_1) | instid1(VALU_DEP_3)
	v_add_co_ci_u32_e32 v3, vcc_lo, 0, v3, vcc_lo
	v_bfe_u32 v70, v55, 8, 8
	v_add_co_u32 v1, vcc_lo, v1, v67
	s_delay_alu instid0(VALU_DEP_3) | instskip(SKIP_1) | instid1(VALU_DEP_3)
	v_add_co_ci_u32_e32 v3, vcc_lo, 0, v3, vcc_lo
	v_bfe_u32 v71, v55, 16, 8
	v_add_co_u32 v1, vcc_lo, v1, v68
	s_delay_alu instid0(VALU_DEP_3) | instskip(SKIP_1) | instid1(VALU_DEP_3)
	v_add_co_ci_u32_e32 v3, vcc_lo, 0, v3, vcc_lo
	v_lshrrev_b32_e32 v57, 24, v55
	v_add_co_u32 v1, vcc_lo, v1, v58
	s_delay_alu instid0(VALU_DEP_3) | instskip(SKIP_1) | instid1(VALU_DEP_3)
	v_add_co_ci_u32_e32 v3, vcc_lo, 0, v3, vcc_lo
	v_and_b32_e32 v62, 0xff, v54
	v_add_co_u32 v1, vcc_lo, v1, v69
	s_delay_alu instid0(VALU_DEP_3) | instskip(SKIP_1) | instid1(VALU_DEP_3)
	v_add_co_ci_u32_e32 v3, vcc_lo, 0, v3, vcc_lo
	v_mbcnt_lo_u32_b32 v72, -1, 0
	v_add_co_u32 v1, vcc_lo, v1, v70
	s_delay_alu instid0(VALU_DEP_3) | instskip(SKIP_1) | instid1(VALU_DEP_3)
	v_add_co_ci_u32_e32 v3, vcc_lo, 0, v3, vcc_lo
	v_and_b32_e32 v4, 0xff, v53
	v_add_co_u32 v1, vcc_lo, v1, v71
	s_delay_alu instid0(VALU_DEP_3) | instskip(SKIP_1) | instid1(VALU_DEP_3)
	v_add_co_ci_u32_e32 v3, vcc_lo, 0, v3, vcc_lo
	v_and_b32_e32 v73, 15, v72
	v_add_co_u32 v1, vcc_lo, v1, v57
	s_delay_alu instid0(VALU_DEP_3) | instskip(NEXT) | instid1(VALU_DEP_3)
	v_add_co_ci_u32_e32 v3, vcc_lo, 0, v3, vcc_lo
	v_cmp_ne_u32_e64 s2, 0, v73
	s_delay_alu instid0(VALU_DEP_3) | instskip(NEXT) | instid1(VALU_DEP_3)
	v_add_co_u32 v1, vcc_lo, v1, v62
	v_add_co_ci_u32_e32 v3, vcc_lo, 0, v3, vcc_lo
	s_cmp_lg_u32 s15, 0
	s_delay_alu instid0(VALU_DEP_2) | instskip(NEXT) | instid1(VALU_DEP_2)
	v_add_co_u32 v51, vcc_lo, v1, v4
	v_add_co_ci_u32_e32 v52, vcc_lo, 0, v3, vcc_lo
	s_mov_b32 s3, -1
	s_cbranch_scc0 .LBB238_96
; %bb.37:
	s_delay_alu instid0(VALU_DEP_2)
	v_mov_b32_e32 v3, v51
	v_mov_b32_dpp v1, v51 row_shr:1 row_mask:0xf bank_mask:0xf
	v_mov_b32_dpp v6, v2 row_shr:1 row_mask:0xf bank_mask:0xf
	v_dual_mov_b32 v5, v51 :: v_dual_mov_b32 v4, v52
	s_and_saveexec_b32 s3, s2
; %bb.38:
	s_delay_alu instid0(VALU_DEP_3) | instskip(SKIP_1) | instid1(VALU_DEP_2)
	v_add_co_u32 v5, vcc_lo, v51, v1
	v_add_co_ci_u32_e32 v2, vcc_lo, 0, v52, vcc_lo
	v_add_co_u32 v1, vcc_lo, 0, v5
	s_delay_alu instid0(VALU_DEP_2) | instskip(NEXT) | instid1(VALU_DEP_1)
	v_add_co_ci_u32_e32 v2, vcc_lo, v6, v2, vcc_lo
	v_dual_mov_b32 v4, v2 :: v_dual_mov_b32 v3, v1
; %bb.39:
	s_or_b32 exec_lo, exec_lo, s3
	v_mov_b32_dpp v1, v5 row_shr:2 row_mask:0xf bank_mask:0xf
	v_mov_b32_dpp v6, v2 row_shr:2 row_mask:0xf bank_mask:0xf
	s_mov_b32 s3, exec_lo
	v_cmpx_lt_u32_e32 1, v73
; %bb.40:
	s_delay_alu instid0(VALU_DEP_3) | instskip(SKIP_1) | instid1(VALU_DEP_2)
	v_add_co_u32 v5, vcc_lo, v3, v1
	v_add_co_ci_u32_e32 v2, vcc_lo, 0, v4, vcc_lo
	v_add_co_u32 v1, vcc_lo, 0, v5
	s_delay_alu instid0(VALU_DEP_2) | instskip(NEXT) | instid1(VALU_DEP_1)
	v_add_co_ci_u32_e32 v2, vcc_lo, v6, v2, vcc_lo
	v_dual_mov_b32 v4, v2 :: v_dual_mov_b32 v3, v1
; %bb.41:
	s_or_b32 exec_lo, exec_lo, s3
	v_mov_b32_dpp v1, v5 row_shr:4 row_mask:0xf bank_mask:0xf
	v_mov_b32_dpp v6, v2 row_shr:4 row_mask:0xf bank_mask:0xf
	s_mov_b32 s3, exec_lo
	v_cmpx_lt_u32_e32 3, v73
; %bb.42:
	s_delay_alu instid0(VALU_DEP_3) | instskip(SKIP_1) | instid1(VALU_DEP_2)
	v_add_co_u32 v5, vcc_lo, v3, v1
	v_add_co_ci_u32_e32 v2, vcc_lo, 0, v4, vcc_lo
	v_add_co_u32 v1, vcc_lo, 0, v5
	s_delay_alu instid0(VALU_DEP_2) | instskip(NEXT) | instid1(VALU_DEP_1)
	v_add_co_ci_u32_e32 v2, vcc_lo, v6, v2, vcc_lo
	v_dual_mov_b32 v4, v2 :: v_dual_mov_b32 v3, v1
; %bb.43:
	s_or_b32 exec_lo, exec_lo, s3
	v_mov_b32_dpp v6, v5 row_shr:8 row_mask:0xf bank_mask:0xf
	v_mov_b32_dpp v1, v2 row_shr:8 row_mask:0xf bank_mask:0xf
	s_mov_b32 s3, exec_lo
	v_cmpx_lt_u32_e32 7, v73
; %bb.44:
	s_delay_alu instid0(VALU_DEP_3) | instskip(SKIP_1) | instid1(VALU_DEP_2)
	v_add_co_u32 v5, vcc_lo, v3, v6
	v_add_co_ci_u32_e32 v2, vcc_lo, 0, v4, vcc_lo
	v_add_co_u32 v3, vcc_lo, 0, v5
	s_delay_alu instid0(VALU_DEP_2) | instskip(NEXT) | instid1(VALU_DEP_1)
	v_add_co_ci_u32_e32 v4, vcc_lo, v1, v2, vcc_lo
	v_mov_b32_e32 v2, v4
; %bb.45:
	s_or_b32 exec_lo, exec_lo, s3
	ds_swizzle_b32 v1, v5 offset:swizzle(BROADCAST,32,15)
	ds_swizzle_b32 v6, v2 offset:swizzle(BROADCAST,32,15)
	v_and_b32_e32 v7, 16, v72
	s_mov_b32 s3, exec_lo
	s_delay_alu instid0(VALU_DEP_1)
	v_cmpx_ne_u32_e32 0, v7
	s_cbranch_execz .LBB238_47
; %bb.46:
	s_waitcnt lgkmcnt(0)
	v_add_co_u32 v5, vcc_lo, v3, v1
	v_add_co_ci_u32_e32 v2, vcc_lo, 0, v4, vcc_lo
	s_delay_alu instid0(VALU_DEP_2) | instskip(NEXT) | instid1(VALU_DEP_2)
	v_add_co_u32 v1, vcc_lo, 0, v5
	v_add_co_ci_u32_e32 v2, vcc_lo, v6, v2, vcc_lo
	s_delay_alu instid0(VALU_DEP_1)
	v_dual_mov_b32 v4, v2 :: v_dual_mov_b32 v3, v1
.LBB238_47:
	s_or_b32 exec_lo, exec_lo, s3
	s_waitcnt lgkmcnt(0)
	v_or_b32_e32 v6, 31, v0
	v_lshrrev_b32_e32 v1, 5, v0
	s_mov_b32 s3, exec_lo
	s_delay_alu instid0(VALU_DEP_2)
	v_cmpx_eq_u32_e64 v6, v0
	s_cbranch_execz .LBB238_49
; %bb.48:
	s_delay_alu instid0(VALU_DEP_2)
	v_lshlrev_b32_e32 v6, 3, v1
	ds_store_b64 v6, v[3:4]
.LBB238_49:
	s_or_b32 exec_lo, exec_lo, s3
	s_delay_alu instid0(SALU_CYCLE_1)
	s_mov_b32 s3, exec_lo
	s_waitcnt lgkmcnt(0)
	s_barrier
	buffer_gl0_inv
	v_cmpx_gt_u32_e32 4, v0
	s_cbranch_execz .LBB238_55
; %bb.50:
	v_lshlrev_b32_e32 v6, 3, v0
	s_mov_b32 s10, exec_lo
	ds_load_b64 v[3:4], v6
	s_waitcnt lgkmcnt(0)
	v_dual_mov_b32 v8, v3 :: v_dual_and_b32 v7, 3, v72
	v_mov_b32_dpp v10, v3 row_shr:1 row_mask:0xf bank_mask:0xf
	v_mov_b32_dpp v9, v4 row_shr:1 row_mask:0xf bank_mask:0xf
	s_delay_alu instid0(VALU_DEP_3)
	v_cmpx_ne_u32_e32 0, v7
; %bb.51:
	s_delay_alu instid0(VALU_DEP_3) | instskip(SKIP_1) | instid1(VALU_DEP_2)
	v_add_co_u32 v8, vcc_lo, v3, v10
	v_add_co_ci_u32_e32 v4, vcc_lo, 0, v4, vcc_lo
	v_add_co_u32 v3, vcc_lo, 0, v8
	s_delay_alu instid0(VALU_DEP_2)
	v_add_co_ci_u32_e32 v4, vcc_lo, v9, v4, vcc_lo
; %bb.52:
	s_or_b32 exec_lo, exec_lo, s10
	v_mov_b32_dpp v9, v8 row_shr:2 row_mask:0xf bank_mask:0xf
	s_delay_alu instid0(VALU_DEP_2)
	v_mov_b32_dpp v8, v4 row_shr:2 row_mask:0xf bank_mask:0xf
	s_mov_b32 s10, exec_lo
	v_cmpx_lt_u32_e32 1, v7
; %bb.53:
	s_delay_alu instid0(VALU_DEP_3) | instskip(SKIP_1) | instid1(VALU_DEP_2)
	v_add_co_u32 v3, vcc_lo, v3, v9
	v_add_co_ci_u32_e32 v4, vcc_lo, 0, v4, vcc_lo
	v_add_co_u32 v3, vcc_lo, v3, 0
	s_delay_alu instid0(VALU_DEP_2)
	v_add_co_ci_u32_e32 v4, vcc_lo, v4, v8, vcc_lo
; %bb.54:
	s_or_b32 exec_lo, exec_lo, s10
	ds_store_b64 v6, v[3:4]
.LBB238_55:
	s_or_b32 exec_lo, exec_lo, s3
	v_cmp_gt_u32_e32 vcc_lo, 32, v0
	s_mov_b32 s10, exec_lo
	s_waitcnt lgkmcnt(0)
	s_barrier
	buffer_gl0_inv
                                        ; implicit-def: $vgpr9_vgpr10
	v_cmpx_lt_u32_e32 31, v0
	s_cbranch_execz .LBB238_57
; %bb.56:
	v_lshl_add_u32 v1, v1, 3, -8
	ds_load_b64 v[9:10], v1
	s_waitcnt lgkmcnt(0)
	v_add_co_u32 v5, s3, v5, v9
	s_delay_alu instid0(VALU_DEP_1)
	v_add_co_ci_u32_e64 v2, s3, v2, v10, s3
.LBB238_57:
	s_or_b32 exec_lo, exec_lo, s10
	v_add_nc_u32_e32 v1, -1, v72
	s_delay_alu instid0(VALU_DEP_1) | instskip(NEXT) | instid1(VALU_DEP_1)
	v_cmp_gt_i32_e64 s3, 0, v1
	v_cndmask_b32_e64 v1, v1, v72, s3
	v_cmp_eq_u32_e64 s3, 0, v72
	s_delay_alu instid0(VALU_DEP_2)
	v_lshlrev_b32_e32 v1, 2, v1
	ds_bpermute_b32 v15, v1, v5
	ds_bpermute_b32 v16, v1, v2
	s_and_saveexec_b32 s10, vcc_lo
	s_cbranch_execz .LBB238_95
; %bb.58:
	v_mov_b32_e32 v4, 0
	ds_load_b64 v[1:2], v4 offset:24
	s_and_saveexec_b32 s11, s3
	s_cbranch_execz .LBB238_60
; %bb.59:
	s_add_i32 s16, s15, 32
	s_mov_b32 s17, 0
	s_delay_alu instid0(SALU_CYCLE_1) | instskip(NEXT) | instid1(SALU_CYCLE_1)
	s_lshl_b64 s[16:17], s[16:17], 4
	s_add_u32 s16, s8, s16
	s_addc_u32 s17, s9, s17
	v_mov_b32_e32 v5, s16
	v_dual_mov_b32 v3, 1 :: v_dual_mov_b32 v6, s17
	s_waitcnt lgkmcnt(0)
	;;#ASMSTART
	global_store_dwordx4 v[5:6], v[1:4] off	
s_waitcnt vmcnt(0)
	;;#ASMEND
.LBB238_60:
	s_or_b32 exec_lo, exec_lo, s11
	v_xad_u32 v11, v72, -1, s15
	s_mov_b32 s14, 0
	s_mov_b32 s11, exec_lo
	s_delay_alu instid0(VALU_DEP_1) | instskip(NEXT) | instid1(VALU_DEP_1)
	v_add_nc_u32_e32 v3, 32, v11
	v_lshlrev_b64 v[3:4], 4, v[3:4]
	s_delay_alu instid0(VALU_DEP_1) | instskip(NEXT) | instid1(VALU_DEP_2)
	v_add_co_u32 v3, vcc_lo, s8, v3
	v_add_co_ci_u32_e32 v4, vcc_lo, s9, v4, vcc_lo
	;;#ASMSTART
	global_load_dwordx4 v[5:8], v[3:4] off glc	
s_waitcnt vmcnt(0)
	;;#ASMEND
	v_and_b32_e32 v8, 0xff, v6
	v_and_b32_e32 v12, 0xff00, v6
	v_or3_b32 v5, v5, 0, 0
	v_and_b32_e32 v13, 0xff000000, v6
	v_and_b32_e32 v6, 0xff0000, v6
	s_delay_alu instid0(VALU_DEP_4) | instskip(SKIP_2) | instid1(VALU_DEP_3)
	v_or3_b32 v8, 0, v8, v12
	v_and_b32_e32 v12, 0xff, v7
	v_or3_b32 v5, v5, 0, 0
	v_or3_b32 v6, v8, v6, v13
	s_delay_alu instid0(VALU_DEP_3)
	v_cmpx_eq_u16_e32 0, v12
	s_cbranch_execz .LBB238_63
.LBB238_61:                             ; =>This Inner Loop Header: Depth=1
	;;#ASMSTART
	global_load_dwordx4 v[5:8], v[3:4] off glc	
s_waitcnt vmcnt(0)
	;;#ASMEND
	v_and_b32_e32 v8, 0xff, v7
	s_delay_alu instid0(VALU_DEP_1) | instskip(SKIP_1) | instid1(SALU_CYCLE_1)
	v_cmp_ne_u16_e32 vcc_lo, 0, v8
	s_or_b32 s14, vcc_lo, s14
	s_and_not1_b32 exec_lo, exec_lo, s14
	s_cbranch_execnz .LBB238_61
; %bb.62:
	s_or_b32 exec_lo, exec_lo, s14
.LBB238_63:
	s_delay_alu instid0(SALU_CYCLE_1)
	s_or_b32 exec_lo, exec_lo, s11
	v_cmp_ne_u32_e32 vcc_lo, 31, v72
	v_and_b32_e32 v4, 0xff, v7
	v_lshlrev_b32_e64 v18, v72, -1
	s_mov_b32 s11, exec_lo
	v_add_co_ci_u32_e32 v3, vcc_lo, 0, v72, vcc_lo
	s_delay_alu instid0(VALU_DEP_3) | instskip(NEXT) | instid1(VALU_DEP_2)
	v_cmp_eq_u16_e32 vcc_lo, 2, v4
	v_dual_mov_b32 v4, v5 :: v_dual_lshlrev_b32 v17, 2, v3
	v_and_or_b32 v3, vcc_lo, v18, 0x80000000
	ds_bpermute_b32 v12, v17, v5
	ds_bpermute_b32 v8, v17, v6
	v_ctz_i32_b32_e32 v3, v3
	s_delay_alu instid0(VALU_DEP_1)
	v_cmpx_lt_u32_e64 v72, v3
	s_cbranch_execz .LBB238_65
; %bb.64:
	s_waitcnt lgkmcnt(1)
	v_add_co_u32 v4, vcc_lo, v5, v12
	v_add_co_ci_u32_e32 v6, vcc_lo, 0, v6, vcc_lo
	s_delay_alu instid0(VALU_DEP_2) | instskip(SKIP_1) | instid1(VALU_DEP_2)
	v_add_co_u32 v5, vcc_lo, 0, v4
	s_waitcnt lgkmcnt(0)
	v_add_co_ci_u32_e32 v6, vcc_lo, v8, v6, vcc_lo
.LBB238_65:
	s_or_b32 exec_lo, exec_lo, s11
	v_cmp_gt_u32_e32 vcc_lo, 30, v72
	v_add_nc_u32_e32 v20, 2, v72
	s_mov_b32 s11, exec_lo
	s_waitcnt lgkmcnt(0)
	v_cndmask_b32_e64 v8, 0, 1, vcc_lo
	s_delay_alu instid0(VALU_DEP_1) | instskip(NEXT) | instid1(VALU_DEP_1)
	v_lshlrev_b32_e32 v8, 1, v8
	v_add_lshl_u32 v19, v8, v72, 2
	ds_bpermute_b32 v12, v19, v4
	ds_bpermute_b32 v8, v19, v6
	v_cmpx_le_u32_e64 v20, v3
	s_cbranch_execz .LBB238_67
; %bb.66:
	s_waitcnt lgkmcnt(1)
	v_add_co_u32 v4, vcc_lo, v5, v12
	v_add_co_ci_u32_e32 v6, vcc_lo, 0, v6, vcc_lo
	s_delay_alu instid0(VALU_DEP_2) | instskip(SKIP_1) | instid1(VALU_DEP_2)
	v_add_co_u32 v5, vcc_lo, 0, v4
	s_waitcnt lgkmcnt(0)
	v_add_co_ci_u32_e32 v6, vcc_lo, v8, v6, vcc_lo
.LBB238_67:
	s_or_b32 exec_lo, exec_lo, s11
	v_cmp_gt_u32_e32 vcc_lo, 28, v72
	v_add_nc_u32_e32 v22, 4, v72
	s_mov_b32 s11, exec_lo
	s_waitcnt lgkmcnt(0)
	v_cndmask_b32_e64 v8, 0, 1, vcc_lo
	s_delay_alu instid0(VALU_DEP_1) | instskip(NEXT) | instid1(VALU_DEP_1)
	v_lshlrev_b32_e32 v8, 2, v8
	v_add_lshl_u32 v21, v8, v72, 2
	ds_bpermute_b32 v12, v21, v4
	ds_bpermute_b32 v8, v21, v6
	v_cmpx_le_u32_e64 v22, v3
	;; [unrolled: 22-line block ×4, first 2 shown]
	s_cbranch_execz .LBB238_73
; %bb.72:
	s_waitcnt lgkmcnt(1)
	v_add_co_u32 v3, vcc_lo, v5, v8
	v_add_co_ci_u32_e32 v6, vcc_lo, 0, v6, vcc_lo
	s_delay_alu instid0(VALU_DEP_2) | instskip(SKIP_1) | instid1(VALU_DEP_2)
	v_add_co_u32 v5, vcc_lo, v3, 0
	s_waitcnt lgkmcnt(0)
	v_add_co_ci_u32_e32 v6, vcc_lo, v6, v4, vcc_lo
.LBB238_73:
	s_or_b32 exec_lo, exec_lo, s11
	v_mov_b32_e32 v12, 0
	s_branch .LBB238_75
.LBB238_74:                             ;   in Loop: Header=BB238_75 Depth=1
	s_or_b32 exec_lo, exec_lo, s11
	v_add_co_u32 v5, vcc_lo, v5, v3
	v_subrev_nc_u32_e32 v11, 32, v11
	v_add_co_ci_u32_e32 v6, vcc_lo, v6, v4, vcc_lo
.LBB238_75:                             ; =>This Loop Header: Depth=1
                                        ;     Child Loop BB238_78 Depth 2
	v_and_b32_e32 v3, 0xff, v7
	s_delay_alu instid0(VALU_DEP_1) | instskip(SKIP_2) | instid1(VALU_DEP_1)
	v_cmp_ne_u16_e32 vcc_lo, 2, v3
	v_cndmask_b32_e64 v3, 0, 1, vcc_lo
	;;#ASMSTART
	;;#ASMEND
	v_cmp_ne_u32_e32 vcc_lo, 0, v3
	s_waitcnt lgkmcnt(0)
	v_dual_mov_b32 v3, v5 :: v_dual_mov_b32 v4, v6
	s_cmp_lg_u32 vcc_lo, exec_lo
	s_cbranch_scc1 .LBB238_90
; %bb.76:                               ;   in Loop: Header=BB238_75 Depth=1
	v_lshlrev_b64 v[5:6], 4, v[11:12]
	s_mov_b32 s11, exec_lo
	s_delay_alu instid0(VALU_DEP_1) | instskip(NEXT) | instid1(VALU_DEP_2)
	v_add_co_u32 v13, vcc_lo, s8, v5
	v_add_co_ci_u32_e32 v14, vcc_lo, s9, v6, vcc_lo
	;;#ASMSTART
	global_load_dwordx4 v[5:8], v[13:14] off glc	
s_waitcnt vmcnt(0)
	;;#ASMEND
	v_and_b32_e32 v8, 0xff, v6
	v_and_b32_e32 v27, 0xff00, v6
	v_or3_b32 v5, v5, 0, 0
	v_and_b32_e32 v28, 0xff000000, v6
	v_and_b32_e32 v6, 0xff0000, v6
	s_delay_alu instid0(VALU_DEP_4) | instskip(SKIP_2) | instid1(VALU_DEP_3)
	v_or3_b32 v8, 0, v8, v27
	v_and_b32_e32 v27, 0xff, v7
	v_or3_b32 v5, v5, 0, 0
	v_or3_b32 v6, v8, v6, v28
	s_delay_alu instid0(VALU_DEP_3)
	v_cmpx_eq_u16_e32 0, v27
	s_cbranch_execz .LBB238_80
; %bb.77:                               ;   in Loop: Header=BB238_75 Depth=1
	s_mov_b32 s14, 0
.LBB238_78:                             ;   Parent Loop BB238_75 Depth=1
                                        ; =>  This Inner Loop Header: Depth=2
	;;#ASMSTART
	global_load_dwordx4 v[5:8], v[13:14] off glc	
s_waitcnt vmcnt(0)
	;;#ASMEND
	v_and_b32_e32 v8, 0xff, v7
	s_delay_alu instid0(VALU_DEP_1) | instskip(SKIP_1) | instid1(SALU_CYCLE_1)
	v_cmp_ne_u16_e32 vcc_lo, 0, v8
	s_or_b32 s14, vcc_lo, s14
	s_and_not1_b32 exec_lo, exec_lo, s14
	s_cbranch_execnz .LBB238_78
; %bb.79:                               ;   in Loop: Header=BB238_75 Depth=1
	s_or_b32 exec_lo, exec_lo, s14
.LBB238_80:                             ;   in Loop: Header=BB238_75 Depth=1
	s_delay_alu instid0(SALU_CYCLE_1)
	s_or_b32 exec_lo, exec_lo, s11
	v_dual_mov_b32 v13, v5 :: v_dual_and_b32 v8, 0xff, v7
	ds_bpermute_b32 v27, v17, v5
	ds_bpermute_b32 v14, v17, v6
	s_mov_b32 s11, exec_lo
	v_cmp_eq_u16_e32 vcc_lo, 2, v8
	v_and_or_b32 v8, vcc_lo, v18, 0x80000000
	s_delay_alu instid0(VALU_DEP_1) | instskip(NEXT) | instid1(VALU_DEP_1)
	v_ctz_i32_b32_e32 v8, v8
	v_cmpx_lt_u32_e64 v72, v8
	s_cbranch_execz .LBB238_82
; %bb.81:                               ;   in Loop: Header=BB238_75 Depth=1
	s_waitcnt lgkmcnt(1)
	v_add_co_u32 v13, vcc_lo, v5, v27
	v_add_co_ci_u32_e32 v6, vcc_lo, 0, v6, vcc_lo
	s_delay_alu instid0(VALU_DEP_2) | instskip(SKIP_1) | instid1(VALU_DEP_2)
	v_add_co_u32 v5, vcc_lo, 0, v13
	s_waitcnt lgkmcnt(0)
	v_add_co_ci_u32_e32 v6, vcc_lo, v14, v6, vcc_lo
.LBB238_82:                             ;   in Loop: Header=BB238_75 Depth=1
	s_or_b32 exec_lo, exec_lo, s11
	s_waitcnt lgkmcnt(1)
	ds_bpermute_b32 v27, v19, v13
	s_waitcnt lgkmcnt(1)
	ds_bpermute_b32 v14, v19, v6
	s_mov_b32 s11, exec_lo
	v_cmpx_le_u32_e64 v20, v8
	s_cbranch_execz .LBB238_84
; %bb.83:                               ;   in Loop: Header=BB238_75 Depth=1
	s_waitcnt lgkmcnt(1)
	v_add_co_u32 v13, vcc_lo, v5, v27
	v_add_co_ci_u32_e32 v6, vcc_lo, 0, v6, vcc_lo
	s_delay_alu instid0(VALU_DEP_2) | instskip(SKIP_1) | instid1(VALU_DEP_2)
	v_add_co_u32 v5, vcc_lo, 0, v13
	s_waitcnt lgkmcnt(0)
	v_add_co_ci_u32_e32 v6, vcc_lo, v14, v6, vcc_lo
.LBB238_84:                             ;   in Loop: Header=BB238_75 Depth=1
	s_or_b32 exec_lo, exec_lo, s11
	s_waitcnt lgkmcnt(1)
	ds_bpermute_b32 v27, v21, v13
	s_waitcnt lgkmcnt(1)
	ds_bpermute_b32 v14, v21, v6
	s_mov_b32 s11, exec_lo
	v_cmpx_le_u32_e64 v22, v8
	;; [unrolled: 17-line block ×3, first 2 shown]
	s_cbranch_execz .LBB238_88
; %bb.87:                               ;   in Loop: Header=BB238_75 Depth=1
	s_waitcnt lgkmcnt(1)
	v_add_co_u32 v13, vcc_lo, v5, v27
	v_add_co_ci_u32_e32 v6, vcc_lo, 0, v6, vcc_lo
	s_delay_alu instid0(VALU_DEP_2) | instskip(SKIP_1) | instid1(VALU_DEP_2)
	v_add_co_u32 v5, vcc_lo, 0, v13
	s_waitcnt lgkmcnt(0)
	v_add_co_ci_u32_e32 v6, vcc_lo, v14, v6, vcc_lo
.LBB238_88:                             ;   in Loop: Header=BB238_75 Depth=1
	s_or_b32 exec_lo, exec_lo, s11
	s_waitcnt lgkmcnt(0)
	ds_bpermute_b32 v14, v25, v13
	ds_bpermute_b32 v13, v25, v6
	s_mov_b32 s11, exec_lo
	v_cmpx_le_u32_e64 v26, v8
	s_cbranch_execz .LBB238_74
; %bb.89:                               ;   in Loop: Header=BB238_75 Depth=1
	s_waitcnt lgkmcnt(1)
	v_add_co_u32 v5, vcc_lo, v5, v14
	v_add_co_ci_u32_e32 v6, vcc_lo, 0, v6, vcc_lo
	s_delay_alu instid0(VALU_DEP_2) | instskip(SKIP_1) | instid1(VALU_DEP_2)
	v_add_co_u32 v5, vcc_lo, v5, 0
	s_waitcnt lgkmcnt(0)
	v_add_co_ci_u32_e32 v6, vcc_lo, v6, v13, vcc_lo
	s_branch .LBB238_74
.LBB238_90:                             ;   in Loop: Header=BB238_75 Depth=1
                                        ; implicit-def: $vgpr5_vgpr6
	s_cbranch_execz .LBB238_75
; %bb.91:
	s_and_saveexec_b32 s11, s3
	s_cbranch_execz .LBB238_93
; %bb.92:
	s_add_i32 s14, s15, 32
	s_mov_b32 s15, 0
	v_add_co_u32 v5, vcc_lo, v3, v1
	s_lshl_b64 s[14:15], s[14:15], 4
	v_dual_mov_b32 v7, 2 :: v_dual_mov_b32 v8, 0
	s_add_u32 s14, s8, s14
	s_addc_u32 s15, s9, s15
	v_add_co_ci_u32_e32 v6, vcc_lo, v4, v2, vcc_lo
	v_dual_mov_b32 v11, s14 :: v_dual_mov_b32 v12, s15
	;;#ASMSTART
	global_store_dwordx4 v[11:12], v[5:8] off	
s_waitcnt vmcnt(0)
	;;#ASMEND
	ds_store_b128 v8, v[1:4] offset:7168
.LBB238_93:
	s_or_b32 exec_lo, exec_lo, s11
	v_cmp_eq_u32_e32 vcc_lo, 0, v0
	s_and_b32 exec_lo, exec_lo, vcc_lo
	s_cbranch_execz .LBB238_95
; %bb.94:
	v_mov_b32_e32 v1, 0
	ds_store_b64 v1, v[3:4] offset:24
.LBB238_95:
	s_or_b32 exec_lo, exec_lo, s10
	s_waitcnt lgkmcnt(0)
	v_cndmask_b32_e64 v4, v16, v10, s3
	v_cmp_ne_u32_e32 vcc_lo, 0, v0
	v_mov_b32_e32 v21, 0
	s_barrier
	buffer_gl0_inv
	v_cndmask_b32_e32 v4, 0, v4, vcc_lo
	ds_load_b64 v[1:2], v21 offset:24
	v_cndmask_b32_e64 v3, v15, v9, s3
	s_waitcnt lgkmcnt(0)
	s_barrier
	buffer_gl0_inv
	ds_load_b128 v[45:48], v21 offset:7168
	v_cndmask_b32_e32 v3, 0, v3, vcc_lo
	s_delay_alu instid0(VALU_DEP_1) | instskip(SKIP_1) | instid1(VALU_DEP_2)
	v_add_co_u32 v1, vcc_lo, v1, v3
	v_add_co_ci_u32_e32 v2, vcc_lo, v2, v4, vcc_lo
	v_add_co_u32 v3, vcc_lo, v1, v63
	s_delay_alu instid0(VALU_DEP_2) | instskip(NEXT) | instid1(VALU_DEP_2)
	v_add_co_ci_u32_e32 v4, vcc_lo, 0, v2, vcc_lo
	v_add_co_u32 v5, vcc_lo, v3, v64
	s_delay_alu instid0(VALU_DEP_2) | instskip(NEXT) | instid1(VALU_DEP_2)
	;; [unrolled: 3-line block ×12, first 2 shown]
	v_add_co_ci_u32_e32 v26, vcc_lo, 0, v24, vcc_lo
	v_add_co_u32 v27, vcc_lo, v25, v62
	s_delay_alu instid0(VALU_DEP_2)
	v_add_co_ci_u32_e32 v28, vcc_lo, 0, v26, vcc_lo
	s_load_b64 s[10:11], s[0:1], 0x28
	s_branch .LBB238_120
.LBB238_96:
                                        ; implicit-def: $vgpr47_vgpr48
                                        ; implicit-def: $vgpr1_vgpr2_vgpr3_vgpr4_vgpr5_vgpr6_vgpr7_vgpr8_vgpr9_vgpr10_vgpr11_vgpr12_vgpr13_vgpr14_vgpr15_vgpr16_vgpr17_vgpr18_vgpr19_vgpr20_vgpr21_vgpr22_vgpr23_vgpr24_vgpr25_vgpr26_vgpr27_vgpr28_vgpr29_vgpr30_vgpr31_vgpr32
	s_load_b64 s[10:11], s[0:1], 0x28
	s_and_b32 vcc_lo, exec_lo, s3
	s_cbranch_vccz .LBB238_120
; %bb.97:
	v_dual_mov_b32 v2, 0 :: v_dual_mov_b32 v3, v51
	v_mov_b32_dpp v4, v51 row_shr:1 row_mask:0xf bank_mask:0xf
	s_delay_alu instid0(VALU_DEP_2)
	v_mov_b32_dpp v1, v2 row_shr:1 row_mask:0xf bank_mask:0xf
	s_and_saveexec_b32 s0, s2
; %bb.98:
	s_delay_alu instid0(VALU_DEP_2) | instskip(SKIP_1) | instid1(VALU_DEP_2)
	v_add_co_u32 v3, vcc_lo, v51, v4
	v_add_co_ci_u32_e32 v2, vcc_lo, 0, v52, vcc_lo
	v_add_co_u32 v51, vcc_lo, 0, v3
	s_delay_alu instid0(VALU_DEP_2) | instskip(NEXT) | instid1(VALU_DEP_1)
	v_add_co_ci_u32_e32 v52, vcc_lo, v1, v2, vcc_lo
	v_mov_b32_e32 v2, v52
; %bb.99:
	s_or_b32 exec_lo, exec_lo, s0
	v_mov_b32_dpp v1, v3 row_shr:2 row_mask:0xf bank_mask:0xf
	s_delay_alu instid0(VALU_DEP_2)
	v_mov_b32_dpp v4, v2 row_shr:2 row_mask:0xf bank_mask:0xf
	s_mov_b32 s0, exec_lo
	v_cmpx_lt_u32_e32 1, v73
; %bb.100:
	s_delay_alu instid0(VALU_DEP_3) | instskip(SKIP_1) | instid1(VALU_DEP_2)
	v_add_co_u32 v3, vcc_lo, v51, v1
	v_add_co_ci_u32_e32 v2, vcc_lo, 0, v52, vcc_lo
	v_add_co_u32 v1, vcc_lo, 0, v3
	s_delay_alu instid0(VALU_DEP_2) | instskip(NEXT) | instid1(VALU_DEP_1)
	v_add_co_ci_u32_e32 v2, vcc_lo, v4, v2, vcc_lo
	v_dual_mov_b32 v52, v2 :: v_dual_mov_b32 v51, v1
; %bb.101:
	s_or_b32 exec_lo, exec_lo, s0
	v_mov_b32_dpp v1, v3 row_shr:4 row_mask:0xf bank_mask:0xf
	v_mov_b32_dpp v4, v2 row_shr:4 row_mask:0xf bank_mask:0xf
	s_mov_b32 s0, exec_lo
	v_cmpx_lt_u32_e32 3, v73
; %bb.102:
	s_delay_alu instid0(VALU_DEP_3) | instskip(SKIP_1) | instid1(VALU_DEP_2)
	v_add_co_u32 v3, vcc_lo, v51, v1
	v_add_co_ci_u32_e32 v2, vcc_lo, 0, v52, vcc_lo
	v_add_co_u32 v1, vcc_lo, 0, v3
	s_delay_alu instid0(VALU_DEP_2) | instskip(NEXT) | instid1(VALU_DEP_1)
	v_add_co_ci_u32_e32 v2, vcc_lo, v4, v2, vcc_lo
	v_dual_mov_b32 v52, v2 :: v_dual_mov_b32 v51, v1
; %bb.103:
	s_or_b32 exec_lo, exec_lo, s0
	v_mov_b32_dpp v4, v3 row_shr:8 row_mask:0xf bank_mask:0xf
	v_mov_b32_dpp v1, v2 row_shr:8 row_mask:0xf bank_mask:0xf
	s_mov_b32 s0, exec_lo
	v_cmpx_lt_u32_e32 7, v73
; %bb.104:
	s_delay_alu instid0(VALU_DEP_3) | instskip(SKIP_1) | instid1(VALU_DEP_2)
	v_add_co_u32 v3, vcc_lo, v51, v4
	v_add_co_ci_u32_e32 v2, vcc_lo, 0, v52, vcc_lo
	v_add_co_u32 v51, vcc_lo, 0, v3
	s_delay_alu instid0(VALU_DEP_2) | instskip(NEXT) | instid1(VALU_DEP_1)
	v_add_co_ci_u32_e32 v52, vcc_lo, v1, v2, vcc_lo
	v_mov_b32_e32 v2, v52
; %bb.105:
	s_or_b32 exec_lo, exec_lo, s0
	ds_swizzle_b32 v3, v3 offset:swizzle(BROADCAST,32,15)
	ds_swizzle_b32 v1, v2 offset:swizzle(BROADCAST,32,15)
	v_and_b32_e32 v2, 16, v72
	s_mov_b32 s0, exec_lo
	s_delay_alu instid0(VALU_DEP_1)
	v_cmpx_ne_u32_e32 0, v2
	s_cbranch_execz .LBB238_107
; %bb.106:
	s_waitcnt lgkmcnt(0)
	v_add_co_u32 v2, vcc_lo, v51, v3
	v_add_co_ci_u32_e32 v3, vcc_lo, 0, v52, vcc_lo
	s_delay_alu instid0(VALU_DEP_2) | instskip(NEXT) | instid1(VALU_DEP_2)
	v_add_co_u32 v51, vcc_lo, v2, 0
	v_add_co_ci_u32_e32 v52, vcc_lo, v3, v1, vcc_lo
.LBB238_107:
	s_or_b32 exec_lo, exec_lo, s0
	s_waitcnt lgkmcnt(0)
	v_or_b32_e32 v1, 31, v0
	v_lshrrev_b32_e32 v3, 5, v0
	s_mov_b32 s0, exec_lo
	s_delay_alu instid0(VALU_DEP_2)
	v_cmpx_eq_u32_e64 v1, v0
	s_cbranch_execz .LBB238_109
; %bb.108:
	s_delay_alu instid0(VALU_DEP_2)
	v_lshlrev_b32_e32 v1, 3, v3
	ds_store_b64 v1, v[51:52]
.LBB238_109:
	s_or_b32 exec_lo, exec_lo, s0
	s_delay_alu instid0(SALU_CYCLE_1)
	s_mov_b32 s0, exec_lo
	s_waitcnt lgkmcnt(0)
	s_barrier
	buffer_gl0_inv
	v_cmpx_gt_u32_e32 4, v0
	s_cbranch_execz .LBB238_115
; %bb.110:
	v_mad_i32_i24 v1, 0xffffffd0, v0, v61
	s_mov_b32 s1, exec_lo
	ds_load_b64 v[1:2], v1
	s_waitcnt lgkmcnt(0)
	v_dual_mov_b32 v5, v1 :: v_dual_and_b32 v4, 3, v72
	v_mov_b32_dpp v7, v1 row_shr:1 row_mask:0xf bank_mask:0xf
	v_mov_b32_dpp v6, v2 row_shr:1 row_mask:0xf bank_mask:0xf
	s_delay_alu instid0(VALU_DEP_3)
	v_cmpx_ne_u32_e32 0, v4
; %bb.111:
	s_delay_alu instid0(VALU_DEP_3) | instskip(SKIP_1) | instid1(VALU_DEP_2)
	v_add_co_u32 v5, vcc_lo, v1, v7
	v_add_co_ci_u32_e32 v2, vcc_lo, 0, v2, vcc_lo
	v_add_co_u32 v1, vcc_lo, 0, v5
	s_delay_alu instid0(VALU_DEP_2)
	v_add_co_ci_u32_e32 v2, vcc_lo, v6, v2, vcc_lo
; %bb.112:
	s_or_b32 exec_lo, exec_lo, s1
	v_mul_i32_i24_e32 v6, 0xffffffd0, v0
	v_mov_b32_dpp v7, v5 row_shr:2 row_mask:0xf bank_mask:0xf
	s_delay_alu instid0(VALU_DEP_3)
	v_mov_b32_dpp v5, v2 row_shr:2 row_mask:0xf bank_mask:0xf
	s_mov_b32 s1, exec_lo
	v_cmpx_lt_u32_e32 1, v4
; %bb.113:
	s_delay_alu instid0(VALU_DEP_3) | instskip(SKIP_1) | instid1(VALU_DEP_2)
	v_add_co_u32 v1, vcc_lo, v1, v7
	v_add_co_ci_u32_e32 v2, vcc_lo, 0, v2, vcc_lo
	v_add_co_u32 v1, vcc_lo, v1, 0
	s_delay_alu instid0(VALU_DEP_2)
	v_add_co_ci_u32_e32 v2, vcc_lo, v2, v5, vcc_lo
; %bb.114:
	s_or_b32 exec_lo, exec_lo, s1
	v_add_nc_u32_e32 v4, v61, v6
	ds_store_b64 v4, v[1:2]
.LBB238_115:
	s_or_b32 exec_lo, exec_lo, s0
	v_mov_b32_e32 v1, 0
	v_mov_b32_e32 v2, 0
	s_mov_b32 s0, exec_lo
	s_waitcnt lgkmcnt(0)
	s_barrier
	buffer_gl0_inv
	v_cmpx_lt_u32_e32 31, v0
	s_cbranch_execz .LBB238_117
; %bb.116:
	v_lshl_add_u32 v1, v3, 3, -8
	ds_load_b64 v[1:2], v1
.LBB238_117:
	s_or_b32 exec_lo, exec_lo, s0
	v_dual_mov_b32 v48, 0 :: v_dual_add_nc_u32 v3, -1, v72
	s_delay_alu instid0(VALU_DEP_1) | instskip(SKIP_2) | instid1(VALU_DEP_1)
	v_cmp_gt_i32_e32 vcc_lo, 0, v3
	ds_load_b64 v[45:46], v48 offset:24
	v_cndmask_b32_e32 v3, v3, v72, vcc_lo
	v_lshlrev_b32_e32 v4, 2, v3
	s_waitcnt lgkmcnt(1)
	v_add_co_u32 v3, vcc_lo, v1, v51
	v_add_co_ci_u32_e32 v5, vcc_lo, v2, v52, vcc_lo
	v_cmp_eq_u32_e32 vcc_lo, 0, v0
	ds_bpermute_b32 v3, v4, v3
	ds_bpermute_b32 v4, v4, v5
	s_and_saveexec_b32 s0, vcc_lo
	s_cbranch_execz .LBB238_119
; %bb.118:
	s_add_u32 s2, s8, 0x200
	s_addc_u32 s3, s9, 0
	s_delay_alu instid0(SALU_CYCLE_1)
	v_dual_mov_b32 v47, 2 :: v_dual_mov_b32 v6, s3
	v_mov_b32_e32 v5, s2
	s_waitcnt lgkmcnt(2)
	;;#ASMSTART
	global_store_dwordx4 v[5:6], v[45:48] off	
s_waitcnt vmcnt(0)
	;;#ASMEND
.LBB238_119:
	s_or_b32 exec_lo, exec_lo, s0
	v_cmp_eq_u32_e64 s0, 0, v72
	v_mov_b32_e32 v47, 0
	v_mov_b32_e32 v48, 0
	s_waitcnt lgkmcnt(0)
	s_barrier
	v_cndmask_b32_e64 v1, v3, v1, s0
	v_cndmask_b32_e64 v2, v4, v2, s0
	buffer_gl0_inv
	v_cndmask_b32_e64 v1, v1, 0, vcc_lo
	v_cndmask_b32_e64 v2, v2, 0, vcc_lo
	s_delay_alu instid0(VALU_DEP_2) | instskip(NEXT) | instid1(VALU_DEP_2)
	v_add_co_u32 v3, vcc_lo, v1, v63
	v_add_co_ci_u32_e32 v4, vcc_lo, 0, v2, vcc_lo
	s_delay_alu instid0(VALU_DEP_2) | instskip(NEXT) | instid1(VALU_DEP_2)
	v_add_co_u32 v5, vcc_lo, v3, v64
	v_add_co_ci_u32_e32 v6, vcc_lo, 0, v4, vcc_lo
	;; [unrolled: 3-line block ×13, first 2 shown]
.LBB238_120:
	s_waitcnt lgkmcnt(0)
	v_cmp_gt_u64_e32 vcc_lo, 0x81, v[45:46]
	v_lshrrev_b32_e32 v51, 16, v56
	v_lshrrev_b32_e32 v52, 8, v56
	;; [unrolled: 1-line block ×6, first 2 shown]
	s_mov_b32 s0, -1
	s_cbranch_vccnz .LBB238_124
; %bb.121:
	s_and_b32 vcc_lo, exec_lo, s0
	s_cbranch_vccnz .LBB238_167
.LBB238_122:
	v_cmp_eq_u32_e32 vcc_lo, 0, v0
	s_and_b32 s0, vcc_lo, s12
	s_delay_alu instid0(SALU_CYCLE_1)
	s_and_saveexec_b32 s1, s0
	s_cbranch_execnz .LBB238_199
.LBB238_123:
	s_nop 0
	s_sendmsg sendmsg(MSG_DEALLOC_VGPRS)
	s_endpgm
.LBB238_124:
	v_add_co_u32 v29, vcc_lo, v47, v45
	v_add_co_ci_u32_e32 v30, vcc_lo, v48, v46, vcc_lo
	s_lshl_b64 s[0:1], s[6:7], 2
	s_delay_alu instid0(SALU_CYCLE_1) | instskip(NEXT) | instid1(VALU_DEP_1)
	s_add_u32 s0, s10, s0
	v_cmp_lt_u64_e32 vcc_lo, v[1:2], v[29:30]
	s_addc_u32 s1, s11, s1
	s_or_b32 s3, s13, vcc_lo
	s_delay_alu instid0(SALU_CYCLE_1)
	s_and_saveexec_b32 s2, s3
	s_cbranch_execz .LBB238_127
; %bb.125:
	v_and_b32_e32 v63, 1, v59
	s_delay_alu instid0(VALU_DEP_1)
	v_cmp_eq_u32_e32 vcc_lo, 1, v63
	s_and_b32 exec_lo, exec_lo, vcc_lo
	s_cbranch_execz .LBB238_127
; %bb.126:
	v_lshlrev_b64 v[63:64], 2, v[1:2]
	s_delay_alu instid0(VALU_DEP_1) | instskip(NEXT) | instid1(VALU_DEP_2)
	v_add_co_u32 v63, vcc_lo, s0, v63
	v_add_co_ci_u32_e32 v64, vcc_lo, s1, v64, vcc_lo
	global_store_b32 v[63:64], v41, off
.LBB238_127:
	s_or_b32 exec_lo, exec_lo, s2
	v_cmp_lt_u64_e32 vcc_lo, v[3:4], v[29:30]
	s_or_b32 s3, s13, vcc_lo
	s_delay_alu instid0(SALU_CYCLE_1)
	s_and_saveexec_b32 s2, s3
	s_cbranch_execz .LBB238_130
; %bb.128:
	v_and_b32_e32 v2, 1, v62
	s_delay_alu instid0(VALU_DEP_1)
	v_cmp_eq_u32_e32 vcc_lo, 1, v2
	s_and_b32 exec_lo, exec_lo, vcc_lo
	s_cbranch_execz .LBB238_130
; %bb.129:
	v_lshlrev_b64 v[63:64], 2, v[3:4]
	s_delay_alu instid0(VALU_DEP_1) | instskip(NEXT) | instid1(VALU_DEP_2)
	v_add_co_u32 v63, vcc_lo, s0, v63
	v_add_co_ci_u32_e32 v64, vcc_lo, s1, v64, vcc_lo
	global_store_b32 v[63:64], v42, off
.LBB238_130:
	s_or_b32 exec_lo, exec_lo, s2
	v_cmp_lt_u64_e32 vcc_lo, v[5:6], v[29:30]
	;; [unrolled: 19-line block ×13, first 2 shown]
	s_or_b32 s3, s13, vcc_lo
	s_delay_alu instid0(SALU_CYCLE_1)
	s_and_saveexec_b32 s2, s3
	s_cbranch_execz .LBB238_166
; %bb.164:
	v_and_b32_e32 v2, 1, v53
	s_delay_alu instid0(VALU_DEP_1)
	v_cmp_eq_u32_e32 vcc_lo, 1, v2
	s_and_b32 exec_lo, exec_lo, vcc_lo
	s_cbranch_execz .LBB238_166
; %bb.165:
	v_lshlrev_b64 v[28:29], 2, v[27:28]
	s_delay_alu instid0(VALU_DEP_1) | instskip(NEXT) | instid1(VALU_DEP_2)
	v_add_co_u32 v28, vcc_lo, s0, v28
	v_add_co_ci_u32_e32 v29, vcc_lo, s1, v29, vcc_lo
	global_store_b32 v[28:29], v50, off
.LBB238_166:
	s_or_b32 exec_lo, exec_lo, s2
	s_branch .LBB238_122
.LBB238_167:
	v_and_b32_e32 v2, 1, v59
	s_mov_b32 s0, exec_lo
	s_delay_alu instid0(VALU_DEP_1)
	v_cmpx_eq_u32_e32 1, v2
	s_cbranch_execz .LBB238_169
; %bb.168:
	v_sub_nc_u32_e32 v1, v1, v47
	s_delay_alu instid0(VALU_DEP_1)
	v_lshlrev_b32_e32 v1, 2, v1
	ds_store_b32 v1, v41
.LBB238_169:
	s_or_b32 exec_lo, exec_lo, s0
	v_and_b32_e32 v1, 1, v62
	s_mov_b32 s0, exec_lo
	s_delay_alu instid0(VALU_DEP_1)
	v_cmpx_eq_u32_e32 1, v1
	s_cbranch_execz .LBB238_171
; %bb.170:
	v_sub_nc_u32_e32 v1, v3, v47
	s_delay_alu instid0(VALU_DEP_1)
	v_lshlrev_b32_e32 v1, 2, v1
	ds_store_b32 v1, v42
.LBB238_171:
	s_or_b32 exec_lo, exec_lo, s0
	;; [unrolled: 12-line block ×14, first 2 shown]
	v_mov_b32_e32 v3, 0
	s_mov_b32 s1, exec_lo
	s_waitcnt lgkmcnt(0)
	s_waitcnt_vscnt null, 0x0
	s_barrier
	buffer_gl0_inv
	v_mov_b32_e32 v1, v3
	s_delay_alu instid0(VALU_DEP_1)
	v_cmpx_gt_u64_e64 v[45:46], v[0:1]
	s_cbranch_execz .LBB238_198
; %bb.196:
	v_lshlrev_b64 v[4:5], 2, v[47:48]
	s_lshl_b64 s[2:3], s[6:7], 2
	v_or_b32_e32 v2, 0x80, v0
	s_delay_alu instid0(VALU_DEP_2) | instskip(NEXT) | instid1(VALU_DEP_3)
	v_add_co_u32 v4, vcc_lo, s10, v4
	v_add_co_ci_u32_e32 v5, vcc_lo, s11, v5, vcc_lo
	s_delay_alu instid0(VALU_DEP_2) | instskip(NEXT) | instid1(VALU_DEP_2)
	v_add_co_u32 v6, vcc_lo, v4, s2
	v_add_co_ci_u32_e32 v7, vcc_lo, s3, v5, vcc_lo
	v_dual_mov_b32 v5, v1 :: v_dual_mov_b32 v4, v0
	s_mov_b32 s2, 0
	.p2align	6
.LBB238_197:                            ; =>This Inner Loop Header: Depth=1
	s_delay_alu instid0(VALU_DEP_1) | instskip(NEXT) | instid1(VALU_DEP_2)
	v_lshlrev_b32_e32 v1, 2, v4
	v_lshlrev_b64 v[8:9], 2, v[4:5]
	v_dual_mov_b32 v5, v3 :: v_dual_mov_b32 v4, v2
	v_cmp_le_u64_e32 vcc_lo, v[45:46], v[2:3]
	v_add_nc_u32_e32 v2, 0x80, v2
	ds_load_b32 v1, v1
	v_add_co_u32 v8, s0, v6, v8
	s_delay_alu instid0(VALU_DEP_1)
	v_add_co_ci_u32_e64 v9, s0, v7, v9, s0
	s_or_b32 s2, vcc_lo, s2
	s_waitcnt lgkmcnt(0)
	global_store_b32 v[8:9], v1, off
	s_and_not1_b32 exec_lo, exec_lo, s2
	s_cbranch_execnz .LBB238_197
.LBB238_198:
	s_or_b32 exec_lo, exec_lo, s1
	v_cmp_eq_u32_e32 vcc_lo, 0, v0
	s_and_b32 s0, vcc_lo, s12
	s_delay_alu instid0(SALU_CYCLE_1)
	s_and_saveexec_b32 s1, s0
	s_cbranch_execz .LBB238_123
.LBB238_199:
	v_add_co_u32 v0, vcc_lo, v47, v45
	v_add_co_ci_u32_e32 v1, vcc_lo, v48, v46, vcc_lo
	v_mov_b32_e32 v2, 0
	s_delay_alu instid0(VALU_DEP_3) | instskip(NEXT) | instid1(VALU_DEP_3)
	v_add_co_u32 v0, vcc_lo, v0, s6
	v_add_co_ci_u32_e32 v1, vcc_lo, s7, v1, vcc_lo
	global_store_b64 v2, v[0:1], s[4:5]
	s_nop 0
	s_sendmsg sendmsg(MSG_DEALLOC_VGPRS)
	s_endpgm
	.section	.rodata,"a",@progbits
	.p2align	6, 0x0
	.amdhsa_kernel _ZN7rocprim17ROCPRIM_400000_NS6detail17trampoline_kernelINS0_14default_configENS1_25partition_config_selectorILNS1_17partition_subalgoE6EfNS0_10empty_typeEbEEZZNS1_14partition_implILS5_6ELb0ES3_mN6thrust23THRUST_200600_302600_NS6detail15normal_iteratorINSA_10device_ptrIfEEEEPS6_SG_NS0_5tupleIJSF_S6_EEENSH_IJSG_SG_EEES6_PlJ7is_evenIfEEEE10hipError_tPvRmT3_T4_T5_T6_T7_T9_mT8_P12ihipStream_tbDpT10_ENKUlT_T0_E_clISt17integral_constantIbLb0EES16_EEDaS11_S12_EUlS11_E_NS1_11comp_targetILNS1_3genE9ELNS1_11target_archE1100ELNS1_3gpuE3ELNS1_3repE0EEENS1_30default_config_static_selectorELNS0_4arch9wavefront6targetE0EEEvT1_
		.amdhsa_group_segment_fixed_size 7184
		.amdhsa_private_segment_fixed_size 0
		.amdhsa_kernarg_size 112
		.amdhsa_user_sgpr_count 15
		.amdhsa_user_sgpr_dispatch_ptr 0
		.amdhsa_user_sgpr_queue_ptr 0
		.amdhsa_user_sgpr_kernarg_segment_ptr 1
		.amdhsa_user_sgpr_dispatch_id 0
		.amdhsa_user_sgpr_private_segment_size 0
		.amdhsa_wavefront_size32 1
		.amdhsa_uses_dynamic_stack 0
		.amdhsa_enable_private_segment 0
		.amdhsa_system_sgpr_workgroup_id_x 1
		.amdhsa_system_sgpr_workgroup_id_y 0
		.amdhsa_system_sgpr_workgroup_id_z 0
		.amdhsa_system_sgpr_workgroup_info 0
		.amdhsa_system_vgpr_workitem_id 0
		.amdhsa_next_free_vgpr 74
		.amdhsa_next_free_sgpr 19
		.amdhsa_reserve_vcc 1
		.amdhsa_float_round_mode_32 0
		.amdhsa_float_round_mode_16_64 0
		.amdhsa_float_denorm_mode_32 3
		.amdhsa_float_denorm_mode_16_64 3
		.amdhsa_dx10_clamp 1
		.amdhsa_ieee_mode 1
		.amdhsa_fp16_overflow 0
		.amdhsa_workgroup_processor_mode 1
		.amdhsa_memory_ordered 1
		.amdhsa_forward_progress 0
		.amdhsa_shared_vgpr_count 0
		.amdhsa_exception_fp_ieee_invalid_op 0
		.amdhsa_exception_fp_denorm_src 0
		.amdhsa_exception_fp_ieee_div_zero 0
		.amdhsa_exception_fp_ieee_overflow 0
		.amdhsa_exception_fp_ieee_underflow 0
		.amdhsa_exception_fp_ieee_inexact 0
		.amdhsa_exception_int_div_zero 0
	.end_amdhsa_kernel
	.section	.text._ZN7rocprim17ROCPRIM_400000_NS6detail17trampoline_kernelINS0_14default_configENS1_25partition_config_selectorILNS1_17partition_subalgoE6EfNS0_10empty_typeEbEEZZNS1_14partition_implILS5_6ELb0ES3_mN6thrust23THRUST_200600_302600_NS6detail15normal_iteratorINSA_10device_ptrIfEEEEPS6_SG_NS0_5tupleIJSF_S6_EEENSH_IJSG_SG_EEES6_PlJ7is_evenIfEEEE10hipError_tPvRmT3_T4_T5_T6_T7_T9_mT8_P12ihipStream_tbDpT10_ENKUlT_T0_E_clISt17integral_constantIbLb0EES16_EEDaS11_S12_EUlS11_E_NS1_11comp_targetILNS1_3genE9ELNS1_11target_archE1100ELNS1_3gpuE3ELNS1_3repE0EEENS1_30default_config_static_selectorELNS0_4arch9wavefront6targetE0EEEvT1_,"axG",@progbits,_ZN7rocprim17ROCPRIM_400000_NS6detail17trampoline_kernelINS0_14default_configENS1_25partition_config_selectorILNS1_17partition_subalgoE6EfNS0_10empty_typeEbEEZZNS1_14partition_implILS5_6ELb0ES3_mN6thrust23THRUST_200600_302600_NS6detail15normal_iteratorINSA_10device_ptrIfEEEEPS6_SG_NS0_5tupleIJSF_S6_EEENSH_IJSG_SG_EEES6_PlJ7is_evenIfEEEE10hipError_tPvRmT3_T4_T5_T6_T7_T9_mT8_P12ihipStream_tbDpT10_ENKUlT_T0_E_clISt17integral_constantIbLb0EES16_EEDaS11_S12_EUlS11_E_NS1_11comp_targetILNS1_3genE9ELNS1_11target_archE1100ELNS1_3gpuE3ELNS1_3repE0EEENS1_30default_config_static_selectorELNS0_4arch9wavefront6targetE0EEEvT1_,comdat
.Lfunc_end238:
	.size	_ZN7rocprim17ROCPRIM_400000_NS6detail17trampoline_kernelINS0_14default_configENS1_25partition_config_selectorILNS1_17partition_subalgoE6EfNS0_10empty_typeEbEEZZNS1_14partition_implILS5_6ELb0ES3_mN6thrust23THRUST_200600_302600_NS6detail15normal_iteratorINSA_10device_ptrIfEEEEPS6_SG_NS0_5tupleIJSF_S6_EEENSH_IJSG_SG_EEES6_PlJ7is_evenIfEEEE10hipError_tPvRmT3_T4_T5_T6_T7_T9_mT8_P12ihipStream_tbDpT10_ENKUlT_T0_E_clISt17integral_constantIbLb0EES16_EEDaS11_S12_EUlS11_E_NS1_11comp_targetILNS1_3genE9ELNS1_11target_archE1100ELNS1_3gpuE3ELNS1_3repE0EEENS1_30default_config_static_selectorELNS0_4arch9wavefront6targetE0EEEvT1_, .Lfunc_end238-_ZN7rocprim17ROCPRIM_400000_NS6detail17trampoline_kernelINS0_14default_configENS1_25partition_config_selectorILNS1_17partition_subalgoE6EfNS0_10empty_typeEbEEZZNS1_14partition_implILS5_6ELb0ES3_mN6thrust23THRUST_200600_302600_NS6detail15normal_iteratorINSA_10device_ptrIfEEEEPS6_SG_NS0_5tupleIJSF_S6_EEENSH_IJSG_SG_EEES6_PlJ7is_evenIfEEEE10hipError_tPvRmT3_T4_T5_T6_T7_T9_mT8_P12ihipStream_tbDpT10_ENKUlT_T0_E_clISt17integral_constantIbLb0EES16_EEDaS11_S12_EUlS11_E_NS1_11comp_targetILNS1_3genE9ELNS1_11target_archE1100ELNS1_3gpuE3ELNS1_3repE0EEENS1_30default_config_static_selectorELNS0_4arch9wavefront6targetE0EEEvT1_
                                        ; -- End function
	.section	.AMDGPU.csdata,"",@progbits
; Kernel info:
; codeLenInByte = 8588
; NumSgprs: 21
; NumVgprs: 74
; ScratchSize: 0
; MemoryBound: 0
; FloatMode: 240
; IeeeMode: 1
; LDSByteSize: 7184 bytes/workgroup (compile time only)
; SGPRBlocks: 2
; VGPRBlocks: 9
; NumSGPRsForWavesPerEU: 21
; NumVGPRsForWavesPerEU: 74
; Occupancy: 16
; WaveLimiterHint : 1
; COMPUTE_PGM_RSRC2:SCRATCH_EN: 0
; COMPUTE_PGM_RSRC2:USER_SGPR: 15
; COMPUTE_PGM_RSRC2:TRAP_HANDLER: 0
; COMPUTE_PGM_RSRC2:TGID_X_EN: 1
; COMPUTE_PGM_RSRC2:TGID_Y_EN: 0
; COMPUTE_PGM_RSRC2:TGID_Z_EN: 0
; COMPUTE_PGM_RSRC2:TIDIG_COMP_CNT: 0
	.section	.text._ZN7rocprim17ROCPRIM_400000_NS6detail17trampoline_kernelINS0_14default_configENS1_25partition_config_selectorILNS1_17partition_subalgoE6EfNS0_10empty_typeEbEEZZNS1_14partition_implILS5_6ELb0ES3_mN6thrust23THRUST_200600_302600_NS6detail15normal_iteratorINSA_10device_ptrIfEEEEPS6_SG_NS0_5tupleIJSF_S6_EEENSH_IJSG_SG_EEES6_PlJ7is_evenIfEEEE10hipError_tPvRmT3_T4_T5_T6_T7_T9_mT8_P12ihipStream_tbDpT10_ENKUlT_T0_E_clISt17integral_constantIbLb0EES16_EEDaS11_S12_EUlS11_E_NS1_11comp_targetILNS1_3genE8ELNS1_11target_archE1030ELNS1_3gpuE2ELNS1_3repE0EEENS1_30default_config_static_selectorELNS0_4arch9wavefront6targetE0EEEvT1_,"axG",@progbits,_ZN7rocprim17ROCPRIM_400000_NS6detail17trampoline_kernelINS0_14default_configENS1_25partition_config_selectorILNS1_17partition_subalgoE6EfNS0_10empty_typeEbEEZZNS1_14partition_implILS5_6ELb0ES3_mN6thrust23THRUST_200600_302600_NS6detail15normal_iteratorINSA_10device_ptrIfEEEEPS6_SG_NS0_5tupleIJSF_S6_EEENSH_IJSG_SG_EEES6_PlJ7is_evenIfEEEE10hipError_tPvRmT3_T4_T5_T6_T7_T9_mT8_P12ihipStream_tbDpT10_ENKUlT_T0_E_clISt17integral_constantIbLb0EES16_EEDaS11_S12_EUlS11_E_NS1_11comp_targetILNS1_3genE8ELNS1_11target_archE1030ELNS1_3gpuE2ELNS1_3repE0EEENS1_30default_config_static_selectorELNS0_4arch9wavefront6targetE0EEEvT1_,comdat
	.protected	_ZN7rocprim17ROCPRIM_400000_NS6detail17trampoline_kernelINS0_14default_configENS1_25partition_config_selectorILNS1_17partition_subalgoE6EfNS0_10empty_typeEbEEZZNS1_14partition_implILS5_6ELb0ES3_mN6thrust23THRUST_200600_302600_NS6detail15normal_iteratorINSA_10device_ptrIfEEEEPS6_SG_NS0_5tupleIJSF_S6_EEENSH_IJSG_SG_EEES6_PlJ7is_evenIfEEEE10hipError_tPvRmT3_T4_T5_T6_T7_T9_mT8_P12ihipStream_tbDpT10_ENKUlT_T0_E_clISt17integral_constantIbLb0EES16_EEDaS11_S12_EUlS11_E_NS1_11comp_targetILNS1_3genE8ELNS1_11target_archE1030ELNS1_3gpuE2ELNS1_3repE0EEENS1_30default_config_static_selectorELNS0_4arch9wavefront6targetE0EEEvT1_ ; -- Begin function _ZN7rocprim17ROCPRIM_400000_NS6detail17trampoline_kernelINS0_14default_configENS1_25partition_config_selectorILNS1_17partition_subalgoE6EfNS0_10empty_typeEbEEZZNS1_14partition_implILS5_6ELb0ES3_mN6thrust23THRUST_200600_302600_NS6detail15normal_iteratorINSA_10device_ptrIfEEEEPS6_SG_NS0_5tupleIJSF_S6_EEENSH_IJSG_SG_EEES6_PlJ7is_evenIfEEEE10hipError_tPvRmT3_T4_T5_T6_T7_T9_mT8_P12ihipStream_tbDpT10_ENKUlT_T0_E_clISt17integral_constantIbLb0EES16_EEDaS11_S12_EUlS11_E_NS1_11comp_targetILNS1_3genE8ELNS1_11target_archE1030ELNS1_3gpuE2ELNS1_3repE0EEENS1_30default_config_static_selectorELNS0_4arch9wavefront6targetE0EEEvT1_
	.globl	_ZN7rocprim17ROCPRIM_400000_NS6detail17trampoline_kernelINS0_14default_configENS1_25partition_config_selectorILNS1_17partition_subalgoE6EfNS0_10empty_typeEbEEZZNS1_14partition_implILS5_6ELb0ES3_mN6thrust23THRUST_200600_302600_NS6detail15normal_iteratorINSA_10device_ptrIfEEEEPS6_SG_NS0_5tupleIJSF_S6_EEENSH_IJSG_SG_EEES6_PlJ7is_evenIfEEEE10hipError_tPvRmT3_T4_T5_T6_T7_T9_mT8_P12ihipStream_tbDpT10_ENKUlT_T0_E_clISt17integral_constantIbLb0EES16_EEDaS11_S12_EUlS11_E_NS1_11comp_targetILNS1_3genE8ELNS1_11target_archE1030ELNS1_3gpuE2ELNS1_3repE0EEENS1_30default_config_static_selectorELNS0_4arch9wavefront6targetE0EEEvT1_
	.p2align	8
	.type	_ZN7rocprim17ROCPRIM_400000_NS6detail17trampoline_kernelINS0_14default_configENS1_25partition_config_selectorILNS1_17partition_subalgoE6EfNS0_10empty_typeEbEEZZNS1_14partition_implILS5_6ELb0ES3_mN6thrust23THRUST_200600_302600_NS6detail15normal_iteratorINSA_10device_ptrIfEEEEPS6_SG_NS0_5tupleIJSF_S6_EEENSH_IJSG_SG_EEES6_PlJ7is_evenIfEEEE10hipError_tPvRmT3_T4_T5_T6_T7_T9_mT8_P12ihipStream_tbDpT10_ENKUlT_T0_E_clISt17integral_constantIbLb0EES16_EEDaS11_S12_EUlS11_E_NS1_11comp_targetILNS1_3genE8ELNS1_11target_archE1030ELNS1_3gpuE2ELNS1_3repE0EEENS1_30default_config_static_selectorELNS0_4arch9wavefront6targetE0EEEvT1_,@function
_ZN7rocprim17ROCPRIM_400000_NS6detail17trampoline_kernelINS0_14default_configENS1_25partition_config_selectorILNS1_17partition_subalgoE6EfNS0_10empty_typeEbEEZZNS1_14partition_implILS5_6ELb0ES3_mN6thrust23THRUST_200600_302600_NS6detail15normal_iteratorINSA_10device_ptrIfEEEEPS6_SG_NS0_5tupleIJSF_S6_EEENSH_IJSG_SG_EEES6_PlJ7is_evenIfEEEE10hipError_tPvRmT3_T4_T5_T6_T7_T9_mT8_P12ihipStream_tbDpT10_ENKUlT_T0_E_clISt17integral_constantIbLb0EES16_EEDaS11_S12_EUlS11_E_NS1_11comp_targetILNS1_3genE8ELNS1_11target_archE1030ELNS1_3gpuE2ELNS1_3repE0EEENS1_30default_config_static_selectorELNS0_4arch9wavefront6targetE0EEEvT1_: ; @_ZN7rocprim17ROCPRIM_400000_NS6detail17trampoline_kernelINS0_14default_configENS1_25partition_config_selectorILNS1_17partition_subalgoE6EfNS0_10empty_typeEbEEZZNS1_14partition_implILS5_6ELb0ES3_mN6thrust23THRUST_200600_302600_NS6detail15normal_iteratorINSA_10device_ptrIfEEEEPS6_SG_NS0_5tupleIJSF_S6_EEENSH_IJSG_SG_EEES6_PlJ7is_evenIfEEEE10hipError_tPvRmT3_T4_T5_T6_T7_T9_mT8_P12ihipStream_tbDpT10_ENKUlT_T0_E_clISt17integral_constantIbLb0EES16_EEDaS11_S12_EUlS11_E_NS1_11comp_targetILNS1_3genE8ELNS1_11target_archE1030ELNS1_3gpuE2ELNS1_3repE0EEENS1_30default_config_static_selectorELNS0_4arch9wavefront6targetE0EEEvT1_
; %bb.0:
	.section	.rodata,"a",@progbits
	.p2align	6, 0x0
	.amdhsa_kernel _ZN7rocprim17ROCPRIM_400000_NS6detail17trampoline_kernelINS0_14default_configENS1_25partition_config_selectorILNS1_17partition_subalgoE6EfNS0_10empty_typeEbEEZZNS1_14partition_implILS5_6ELb0ES3_mN6thrust23THRUST_200600_302600_NS6detail15normal_iteratorINSA_10device_ptrIfEEEEPS6_SG_NS0_5tupleIJSF_S6_EEENSH_IJSG_SG_EEES6_PlJ7is_evenIfEEEE10hipError_tPvRmT3_T4_T5_T6_T7_T9_mT8_P12ihipStream_tbDpT10_ENKUlT_T0_E_clISt17integral_constantIbLb0EES16_EEDaS11_S12_EUlS11_E_NS1_11comp_targetILNS1_3genE8ELNS1_11target_archE1030ELNS1_3gpuE2ELNS1_3repE0EEENS1_30default_config_static_selectorELNS0_4arch9wavefront6targetE0EEEvT1_
		.amdhsa_group_segment_fixed_size 0
		.amdhsa_private_segment_fixed_size 0
		.amdhsa_kernarg_size 112
		.amdhsa_user_sgpr_count 15
		.amdhsa_user_sgpr_dispatch_ptr 0
		.amdhsa_user_sgpr_queue_ptr 0
		.amdhsa_user_sgpr_kernarg_segment_ptr 1
		.amdhsa_user_sgpr_dispatch_id 0
		.amdhsa_user_sgpr_private_segment_size 0
		.amdhsa_wavefront_size32 1
		.amdhsa_uses_dynamic_stack 0
		.amdhsa_enable_private_segment 0
		.amdhsa_system_sgpr_workgroup_id_x 1
		.amdhsa_system_sgpr_workgroup_id_y 0
		.amdhsa_system_sgpr_workgroup_id_z 0
		.amdhsa_system_sgpr_workgroup_info 0
		.amdhsa_system_vgpr_workitem_id 0
		.amdhsa_next_free_vgpr 1
		.amdhsa_next_free_sgpr 1
		.amdhsa_reserve_vcc 0
		.amdhsa_float_round_mode_32 0
		.amdhsa_float_round_mode_16_64 0
		.amdhsa_float_denorm_mode_32 3
		.amdhsa_float_denorm_mode_16_64 3
		.amdhsa_dx10_clamp 1
		.amdhsa_ieee_mode 1
		.amdhsa_fp16_overflow 0
		.amdhsa_workgroup_processor_mode 1
		.amdhsa_memory_ordered 1
		.amdhsa_forward_progress 0
		.amdhsa_shared_vgpr_count 0
		.amdhsa_exception_fp_ieee_invalid_op 0
		.amdhsa_exception_fp_denorm_src 0
		.amdhsa_exception_fp_ieee_div_zero 0
		.amdhsa_exception_fp_ieee_overflow 0
		.amdhsa_exception_fp_ieee_underflow 0
		.amdhsa_exception_fp_ieee_inexact 0
		.amdhsa_exception_int_div_zero 0
	.end_amdhsa_kernel
	.section	.text._ZN7rocprim17ROCPRIM_400000_NS6detail17trampoline_kernelINS0_14default_configENS1_25partition_config_selectorILNS1_17partition_subalgoE6EfNS0_10empty_typeEbEEZZNS1_14partition_implILS5_6ELb0ES3_mN6thrust23THRUST_200600_302600_NS6detail15normal_iteratorINSA_10device_ptrIfEEEEPS6_SG_NS0_5tupleIJSF_S6_EEENSH_IJSG_SG_EEES6_PlJ7is_evenIfEEEE10hipError_tPvRmT3_T4_T5_T6_T7_T9_mT8_P12ihipStream_tbDpT10_ENKUlT_T0_E_clISt17integral_constantIbLb0EES16_EEDaS11_S12_EUlS11_E_NS1_11comp_targetILNS1_3genE8ELNS1_11target_archE1030ELNS1_3gpuE2ELNS1_3repE0EEENS1_30default_config_static_selectorELNS0_4arch9wavefront6targetE0EEEvT1_,"axG",@progbits,_ZN7rocprim17ROCPRIM_400000_NS6detail17trampoline_kernelINS0_14default_configENS1_25partition_config_selectorILNS1_17partition_subalgoE6EfNS0_10empty_typeEbEEZZNS1_14partition_implILS5_6ELb0ES3_mN6thrust23THRUST_200600_302600_NS6detail15normal_iteratorINSA_10device_ptrIfEEEEPS6_SG_NS0_5tupleIJSF_S6_EEENSH_IJSG_SG_EEES6_PlJ7is_evenIfEEEE10hipError_tPvRmT3_T4_T5_T6_T7_T9_mT8_P12ihipStream_tbDpT10_ENKUlT_T0_E_clISt17integral_constantIbLb0EES16_EEDaS11_S12_EUlS11_E_NS1_11comp_targetILNS1_3genE8ELNS1_11target_archE1030ELNS1_3gpuE2ELNS1_3repE0EEENS1_30default_config_static_selectorELNS0_4arch9wavefront6targetE0EEEvT1_,comdat
.Lfunc_end239:
	.size	_ZN7rocprim17ROCPRIM_400000_NS6detail17trampoline_kernelINS0_14default_configENS1_25partition_config_selectorILNS1_17partition_subalgoE6EfNS0_10empty_typeEbEEZZNS1_14partition_implILS5_6ELb0ES3_mN6thrust23THRUST_200600_302600_NS6detail15normal_iteratorINSA_10device_ptrIfEEEEPS6_SG_NS0_5tupleIJSF_S6_EEENSH_IJSG_SG_EEES6_PlJ7is_evenIfEEEE10hipError_tPvRmT3_T4_T5_T6_T7_T9_mT8_P12ihipStream_tbDpT10_ENKUlT_T0_E_clISt17integral_constantIbLb0EES16_EEDaS11_S12_EUlS11_E_NS1_11comp_targetILNS1_3genE8ELNS1_11target_archE1030ELNS1_3gpuE2ELNS1_3repE0EEENS1_30default_config_static_selectorELNS0_4arch9wavefront6targetE0EEEvT1_, .Lfunc_end239-_ZN7rocprim17ROCPRIM_400000_NS6detail17trampoline_kernelINS0_14default_configENS1_25partition_config_selectorILNS1_17partition_subalgoE6EfNS0_10empty_typeEbEEZZNS1_14partition_implILS5_6ELb0ES3_mN6thrust23THRUST_200600_302600_NS6detail15normal_iteratorINSA_10device_ptrIfEEEEPS6_SG_NS0_5tupleIJSF_S6_EEENSH_IJSG_SG_EEES6_PlJ7is_evenIfEEEE10hipError_tPvRmT3_T4_T5_T6_T7_T9_mT8_P12ihipStream_tbDpT10_ENKUlT_T0_E_clISt17integral_constantIbLb0EES16_EEDaS11_S12_EUlS11_E_NS1_11comp_targetILNS1_3genE8ELNS1_11target_archE1030ELNS1_3gpuE2ELNS1_3repE0EEENS1_30default_config_static_selectorELNS0_4arch9wavefront6targetE0EEEvT1_
                                        ; -- End function
	.section	.AMDGPU.csdata,"",@progbits
; Kernel info:
; codeLenInByte = 0
; NumSgprs: 0
; NumVgprs: 0
; ScratchSize: 0
; MemoryBound: 0
; FloatMode: 240
; IeeeMode: 1
; LDSByteSize: 0 bytes/workgroup (compile time only)
; SGPRBlocks: 0
; VGPRBlocks: 0
; NumSGPRsForWavesPerEU: 1
; NumVGPRsForWavesPerEU: 1
; Occupancy: 16
; WaveLimiterHint : 0
; COMPUTE_PGM_RSRC2:SCRATCH_EN: 0
; COMPUTE_PGM_RSRC2:USER_SGPR: 15
; COMPUTE_PGM_RSRC2:TRAP_HANDLER: 0
; COMPUTE_PGM_RSRC2:TGID_X_EN: 1
; COMPUTE_PGM_RSRC2:TGID_Y_EN: 0
; COMPUTE_PGM_RSRC2:TGID_Z_EN: 0
; COMPUTE_PGM_RSRC2:TIDIG_COMP_CNT: 0
	.section	.text._ZN7rocprim17ROCPRIM_400000_NS6detail17trampoline_kernelINS0_14default_configENS1_25partition_config_selectorILNS1_17partition_subalgoE6EfNS0_10empty_typeEbEEZZNS1_14partition_implILS5_6ELb0ES3_mN6thrust23THRUST_200600_302600_NS6detail15normal_iteratorINSA_10device_ptrIfEEEEPS6_SG_NS0_5tupleIJSF_S6_EEENSH_IJSG_SG_EEES6_PlJ7is_evenIfEEEE10hipError_tPvRmT3_T4_T5_T6_T7_T9_mT8_P12ihipStream_tbDpT10_ENKUlT_T0_E_clISt17integral_constantIbLb1EES16_EEDaS11_S12_EUlS11_E_NS1_11comp_targetILNS1_3genE0ELNS1_11target_archE4294967295ELNS1_3gpuE0ELNS1_3repE0EEENS1_30default_config_static_selectorELNS0_4arch9wavefront6targetE0EEEvT1_,"axG",@progbits,_ZN7rocprim17ROCPRIM_400000_NS6detail17trampoline_kernelINS0_14default_configENS1_25partition_config_selectorILNS1_17partition_subalgoE6EfNS0_10empty_typeEbEEZZNS1_14partition_implILS5_6ELb0ES3_mN6thrust23THRUST_200600_302600_NS6detail15normal_iteratorINSA_10device_ptrIfEEEEPS6_SG_NS0_5tupleIJSF_S6_EEENSH_IJSG_SG_EEES6_PlJ7is_evenIfEEEE10hipError_tPvRmT3_T4_T5_T6_T7_T9_mT8_P12ihipStream_tbDpT10_ENKUlT_T0_E_clISt17integral_constantIbLb1EES16_EEDaS11_S12_EUlS11_E_NS1_11comp_targetILNS1_3genE0ELNS1_11target_archE4294967295ELNS1_3gpuE0ELNS1_3repE0EEENS1_30default_config_static_selectorELNS0_4arch9wavefront6targetE0EEEvT1_,comdat
	.protected	_ZN7rocprim17ROCPRIM_400000_NS6detail17trampoline_kernelINS0_14default_configENS1_25partition_config_selectorILNS1_17partition_subalgoE6EfNS0_10empty_typeEbEEZZNS1_14partition_implILS5_6ELb0ES3_mN6thrust23THRUST_200600_302600_NS6detail15normal_iteratorINSA_10device_ptrIfEEEEPS6_SG_NS0_5tupleIJSF_S6_EEENSH_IJSG_SG_EEES6_PlJ7is_evenIfEEEE10hipError_tPvRmT3_T4_T5_T6_T7_T9_mT8_P12ihipStream_tbDpT10_ENKUlT_T0_E_clISt17integral_constantIbLb1EES16_EEDaS11_S12_EUlS11_E_NS1_11comp_targetILNS1_3genE0ELNS1_11target_archE4294967295ELNS1_3gpuE0ELNS1_3repE0EEENS1_30default_config_static_selectorELNS0_4arch9wavefront6targetE0EEEvT1_ ; -- Begin function _ZN7rocprim17ROCPRIM_400000_NS6detail17trampoline_kernelINS0_14default_configENS1_25partition_config_selectorILNS1_17partition_subalgoE6EfNS0_10empty_typeEbEEZZNS1_14partition_implILS5_6ELb0ES3_mN6thrust23THRUST_200600_302600_NS6detail15normal_iteratorINSA_10device_ptrIfEEEEPS6_SG_NS0_5tupleIJSF_S6_EEENSH_IJSG_SG_EEES6_PlJ7is_evenIfEEEE10hipError_tPvRmT3_T4_T5_T6_T7_T9_mT8_P12ihipStream_tbDpT10_ENKUlT_T0_E_clISt17integral_constantIbLb1EES16_EEDaS11_S12_EUlS11_E_NS1_11comp_targetILNS1_3genE0ELNS1_11target_archE4294967295ELNS1_3gpuE0ELNS1_3repE0EEENS1_30default_config_static_selectorELNS0_4arch9wavefront6targetE0EEEvT1_
	.globl	_ZN7rocprim17ROCPRIM_400000_NS6detail17trampoline_kernelINS0_14default_configENS1_25partition_config_selectorILNS1_17partition_subalgoE6EfNS0_10empty_typeEbEEZZNS1_14partition_implILS5_6ELb0ES3_mN6thrust23THRUST_200600_302600_NS6detail15normal_iteratorINSA_10device_ptrIfEEEEPS6_SG_NS0_5tupleIJSF_S6_EEENSH_IJSG_SG_EEES6_PlJ7is_evenIfEEEE10hipError_tPvRmT3_T4_T5_T6_T7_T9_mT8_P12ihipStream_tbDpT10_ENKUlT_T0_E_clISt17integral_constantIbLb1EES16_EEDaS11_S12_EUlS11_E_NS1_11comp_targetILNS1_3genE0ELNS1_11target_archE4294967295ELNS1_3gpuE0ELNS1_3repE0EEENS1_30default_config_static_selectorELNS0_4arch9wavefront6targetE0EEEvT1_
	.p2align	8
	.type	_ZN7rocprim17ROCPRIM_400000_NS6detail17trampoline_kernelINS0_14default_configENS1_25partition_config_selectorILNS1_17partition_subalgoE6EfNS0_10empty_typeEbEEZZNS1_14partition_implILS5_6ELb0ES3_mN6thrust23THRUST_200600_302600_NS6detail15normal_iteratorINSA_10device_ptrIfEEEEPS6_SG_NS0_5tupleIJSF_S6_EEENSH_IJSG_SG_EEES6_PlJ7is_evenIfEEEE10hipError_tPvRmT3_T4_T5_T6_T7_T9_mT8_P12ihipStream_tbDpT10_ENKUlT_T0_E_clISt17integral_constantIbLb1EES16_EEDaS11_S12_EUlS11_E_NS1_11comp_targetILNS1_3genE0ELNS1_11target_archE4294967295ELNS1_3gpuE0ELNS1_3repE0EEENS1_30default_config_static_selectorELNS0_4arch9wavefront6targetE0EEEvT1_,@function
_ZN7rocprim17ROCPRIM_400000_NS6detail17trampoline_kernelINS0_14default_configENS1_25partition_config_selectorILNS1_17partition_subalgoE6EfNS0_10empty_typeEbEEZZNS1_14partition_implILS5_6ELb0ES3_mN6thrust23THRUST_200600_302600_NS6detail15normal_iteratorINSA_10device_ptrIfEEEEPS6_SG_NS0_5tupleIJSF_S6_EEENSH_IJSG_SG_EEES6_PlJ7is_evenIfEEEE10hipError_tPvRmT3_T4_T5_T6_T7_T9_mT8_P12ihipStream_tbDpT10_ENKUlT_T0_E_clISt17integral_constantIbLb1EES16_EEDaS11_S12_EUlS11_E_NS1_11comp_targetILNS1_3genE0ELNS1_11target_archE4294967295ELNS1_3gpuE0ELNS1_3repE0EEENS1_30default_config_static_selectorELNS0_4arch9wavefront6targetE0EEEvT1_: ; @_ZN7rocprim17ROCPRIM_400000_NS6detail17trampoline_kernelINS0_14default_configENS1_25partition_config_selectorILNS1_17partition_subalgoE6EfNS0_10empty_typeEbEEZZNS1_14partition_implILS5_6ELb0ES3_mN6thrust23THRUST_200600_302600_NS6detail15normal_iteratorINSA_10device_ptrIfEEEEPS6_SG_NS0_5tupleIJSF_S6_EEENSH_IJSG_SG_EEES6_PlJ7is_evenIfEEEE10hipError_tPvRmT3_T4_T5_T6_T7_T9_mT8_P12ihipStream_tbDpT10_ENKUlT_T0_E_clISt17integral_constantIbLb1EES16_EEDaS11_S12_EUlS11_E_NS1_11comp_targetILNS1_3genE0ELNS1_11target_archE4294967295ELNS1_3gpuE0ELNS1_3repE0EEENS1_30default_config_static_selectorELNS0_4arch9wavefront6targetE0EEEvT1_
; %bb.0:
	.section	.rodata,"a",@progbits
	.p2align	6, 0x0
	.amdhsa_kernel _ZN7rocprim17ROCPRIM_400000_NS6detail17trampoline_kernelINS0_14default_configENS1_25partition_config_selectorILNS1_17partition_subalgoE6EfNS0_10empty_typeEbEEZZNS1_14partition_implILS5_6ELb0ES3_mN6thrust23THRUST_200600_302600_NS6detail15normal_iteratorINSA_10device_ptrIfEEEEPS6_SG_NS0_5tupleIJSF_S6_EEENSH_IJSG_SG_EEES6_PlJ7is_evenIfEEEE10hipError_tPvRmT3_T4_T5_T6_T7_T9_mT8_P12ihipStream_tbDpT10_ENKUlT_T0_E_clISt17integral_constantIbLb1EES16_EEDaS11_S12_EUlS11_E_NS1_11comp_targetILNS1_3genE0ELNS1_11target_archE4294967295ELNS1_3gpuE0ELNS1_3repE0EEENS1_30default_config_static_selectorELNS0_4arch9wavefront6targetE0EEEvT1_
		.amdhsa_group_segment_fixed_size 0
		.amdhsa_private_segment_fixed_size 0
		.amdhsa_kernarg_size 128
		.amdhsa_user_sgpr_count 15
		.amdhsa_user_sgpr_dispatch_ptr 0
		.amdhsa_user_sgpr_queue_ptr 0
		.amdhsa_user_sgpr_kernarg_segment_ptr 1
		.amdhsa_user_sgpr_dispatch_id 0
		.amdhsa_user_sgpr_private_segment_size 0
		.amdhsa_wavefront_size32 1
		.amdhsa_uses_dynamic_stack 0
		.amdhsa_enable_private_segment 0
		.amdhsa_system_sgpr_workgroup_id_x 1
		.amdhsa_system_sgpr_workgroup_id_y 0
		.amdhsa_system_sgpr_workgroup_id_z 0
		.amdhsa_system_sgpr_workgroup_info 0
		.amdhsa_system_vgpr_workitem_id 0
		.amdhsa_next_free_vgpr 1
		.amdhsa_next_free_sgpr 1
		.amdhsa_reserve_vcc 0
		.amdhsa_float_round_mode_32 0
		.amdhsa_float_round_mode_16_64 0
		.amdhsa_float_denorm_mode_32 3
		.amdhsa_float_denorm_mode_16_64 3
		.amdhsa_dx10_clamp 1
		.amdhsa_ieee_mode 1
		.amdhsa_fp16_overflow 0
		.amdhsa_workgroup_processor_mode 1
		.amdhsa_memory_ordered 1
		.amdhsa_forward_progress 0
		.amdhsa_shared_vgpr_count 0
		.amdhsa_exception_fp_ieee_invalid_op 0
		.amdhsa_exception_fp_denorm_src 0
		.amdhsa_exception_fp_ieee_div_zero 0
		.amdhsa_exception_fp_ieee_overflow 0
		.amdhsa_exception_fp_ieee_underflow 0
		.amdhsa_exception_fp_ieee_inexact 0
		.amdhsa_exception_int_div_zero 0
	.end_amdhsa_kernel
	.section	.text._ZN7rocprim17ROCPRIM_400000_NS6detail17trampoline_kernelINS0_14default_configENS1_25partition_config_selectorILNS1_17partition_subalgoE6EfNS0_10empty_typeEbEEZZNS1_14partition_implILS5_6ELb0ES3_mN6thrust23THRUST_200600_302600_NS6detail15normal_iteratorINSA_10device_ptrIfEEEEPS6_SG_NS0_5tupleIJSF_S6_EEENSH_IJSG_SG_EEES6_PlJ7is_evenIfEEEE10hipError_tPvRmT3_T4_T5_T6_T7_T9_mT8_P12ihipStream_tbDpT10_ENKUlT_T0_E_clISt17integral_constantIbLb1EES16_EEDaS11_S12_EUlS11_E_NS1_11comp_targetILNS1_3genE0ELNS1_11target_archE4294967295ELNS1_3gpuE0ELNS1_3repE0EEENS1_30default_config_static_selectorELNS0_4arch9wavefront6targetE0EEEvT1_,"axG",@progbits,_ZN7rocprim17ROCPRIM_400000_NS6detail17trampoline_kernelINS0_14default_configENS1_25partition_config_selectorILNS1_17partition_subalgoE6EfNS0_10empty_typeEbEEZZNS1_14partition_implILS5_6ELb0ES3_mN6thrust23THRUST_200600_302600_NS6detail15normal_iteratorINSA_10device_ptrIfEEEEPS6_SG_NS0_5tupleIJSF_S6_EEENSH_IJSG_SG_EEES6_PlJ7is_evenIfEEEE10hipError_tPvRmT3_T4_T5_T6_T7_T9_mT8_P12ihipStream_tbDpT10_ENKUlT_T0_E_clISt17integral_constantIbLb1EES16_EEDaS11_S12_EUlS11_E_NS1_11comp_targetILNS1_3genE0ELNS1_11target_archE4294967295ELNS1_3gpuE0ELNS1_3repE0EEENS1_30default_config_static_selectorELNS0_4arch9wavefront6targetE0EEEvT1_,comdat
.Lfunc_end240:
	.size	_ZN7rocprim17ROCPRIM_400000_NS6detail17trampoline_kernelINS0_14default_configENS1_25partition_config_selectorILNS1_17partition_subalgoE6EfNS0_10empty_typeEbEEZZNS1_14partition_implILS5_6ELb0ES3_mN6thrust23THRUST_200600_302600_NS6detail15normal_iteratorINSA_10device_ptrIfEEEEPS6_SG_NS0_5tupleIJSF_S6_EEENSH_IJSG_SG_EEES6_PlJ7is_evenIfEEEE10hipError_tPvRmT3_T4_T5_T6_T7_T9_mT8_P12ihipStream_tbDpT10_ENKUlT_T0_E_clISt17integral_constantIbLb1EES16_EEDaS11_S12_EUlS11_E_NS1_11comp_targetILNS1_3genE0ELNS1_11target_archE4294967295ELNS1_3gpuE0ELNS1_3repE0EEENS1_30default_config_static_selectorELNS0_4arch9wavefront6targetE0EEEvT1_, .Lfunc_end240-_ZN7rocprim17ROCPRIM_400000_NS6detail17trampoline_kernelINS0_14default_configENS1_25partition_config_selectorILNS1_17partition_subalgoE6EfNS0_10empty_typeEbEEZZNS1_14partition_implILS5_6ELb0ES3_mN6thrust23THRUST_200600_302600_NS6detail15normal_iteratorINSA_10device_ptrIfEEEEPS6_SG_NS0_5tupleIJSF_S6_EEENSH_IJSG_SG_EEES6_PlJ7is_evenIfEEEE10hipError_tPvRmT3_T4_T5_T6_T7_T9_mT8_P12ihipStream_tbDpT10_ENKUlT_T0_E_clISt17integral_constantIbLb1EES16_EEDaS11_S12_EUlS11_E_NS1_11comp_targetILNS1_3genE0ELNS1_11target_archE4294967295ELNS1_3gpuE0ELNS1_3repE0EEENS1_30default_config_static_selectorELNS0_4arch9wavefront6targetE0EEEvT1_
                                        ; -- End function
	.section	.AMDGPU.csdata,"",@progbits
; Kernel info:
; codeLenInByte = 0
; NumSgprs: 0
; NumVgprs: 0
; ScratchSize: 0
; MemoryBound: 0
; FloatMode: 240
; IeeeMode: 1
; LDSByteSize: 0 bytes/workgroup (compile time only)
; SGPRBlocks: 0
; VGPRBlocks: 0
; NumSGPRsForWavesPerEU: 1
; NumVGPRsForWavesPerEU: 1
; Occupancy: 16
; WaveLimiterHint : 0
; COMPUTE_PGM_RSRC2:SCRATCH_EN: 0
; COMPUTE_PGM_RSRC2:USER_SGPR: 15
; COMPUTE_PGM_RSRC2:TRAP_HANDLER: 0
; COMPUTE_PGM_RSRC2:TGID_X_EN: 1
; COMPUTE_PGM_RSRC2:TGID_Y_EN: 0
; COMPUTE_PGM_RSRC2:TGID_Z_EN: 0
; COMPUTE_PGM_RSRC2:TIDIG_COMP_CNT: 0
	.section	.text._ZN7rocprim17ROCPRIM_400000_NS6detail17trampoline_kernelINS0_14default_configENS1_25partition_config_selectorILNS1_17partition_subalgoE6EfNS0_10empty_typeEbEEZZNS1_14partition_implILS5_6ELb0ES3_mN6thrust23THRUST_200600_302600_NS6detail15normal_iteratorINSA_10device_ptrIfEEEEPS6_SG_NS0_5tupleIJSF_S6_EEENSH_IJSG_SG_EEES6_PlJ7is_evenIfEEEE10hipError_tPvRmT3_T4_T5_T6_T7_T9_mT8_P12ihipStream_tbDpT10_ENKUlT_T0_E_clISt17integral_constantIbLb1EES16_EEDaS11_S12_EUlS11_E_NS1_11comp_targetILNS1_3genE5ELNS1_11target_archE942ELNS1_3gpuE9ELNS1_3repE0EEENS1_30default_config_static_selectorELNS0_4arch9wavefront6targetE0EEEvT1_,"axG",@progbits,_ZN7rocprim17ROCPRIM_400000_NS6detail17trampoline_kernelINS0_14default_configENS1_25partition_config_selectorILNS1_17partition_subalgoE6EfNS0_10empty_typeEbEEZZNS1_14partition_implILS5_6ELb0ES3_mN6thrust23THRUST_200600_302600_NS6detail15normal_iteratorINSA_10device_ptrIfEEEEPS6_SG_NS0_5tupleIJSF_S6_EEENSH_IJSG_SG_EEES6_PlJ7is_evenIfEEEE10hipError_tPvRmT3_T4_T5_T6_T7_T9_mT8_P12ihipStream_tbDpT10_ENKUlT_T0_E_clISt17integral_constantIbLb1EES16_EEDaS11_S12_EUlS11_E_NS1_11comp_targetILNS1_3genE5ELNS1_11target_archE942ELNS1_3gpuE9ELNS1_3repE0EEENS1_30default_config_static_selectorELNS0_4arch9wavefront6targetE0EEEvT1_,comdat
	.protected	_ZN7rocprim17ROCPRIM_400000_NS6detail17trampoline_kernelINS0_14default_configENS1_25partition_config_selectorILNS1_17partition_subalgoE6EfNS0_10empty_typeEbEEZZNS1_14partition_implILS5_6ELb0ES3_mN6thrust23THRUST_200600_302600_NS6detail15normal_iteratorINSA_10device_ptrIfEEEEPS6_SG_NS0_5tupleIJSF_S6_EEENSH_IJSG_SG_EEES6_PlJ7is_evenIfEEEE10hipError_tPvRmT3_T4_T5_T6_T7_T9_mT8_P12ihipStream_tbDpT10_ENKUlT_T0_E_clISt17integral_constantIbLb1EES16_EEDaS11_S12_EUlS11_E_NS1_11comp_targetILNS1_3genE5ELNS1_11target_archE942ELNS1_3gpuE9ELNS1_3repE0EEENS1_30default_config_static_selectorELNS0_4arch9wavefront6targetE0EEEvT1_ ; -- Begin function _ZN7rocprim17ROCPRIM_400000_NS6detail17trampoline_kernelINS0_14default_configENS1_25partition_config_selectorILNS1_17partition_subalgoE6EfNS0_10empty_typeEbEEZZNS1_14partition_implILS5_6ELb0ES3_mN6thrust23THRUST_200600_302600_NS6detail15normal_iteratorINSA_10device_ptrIfEEEEPS6_SG_NS0_5tupleIJSF_S6_EEENSH_IJSG_SG_EEES6_PlJ7is_evenIfEEEE10hipError_tPvRmT3_T4_T5_T6_T7_T9_mT8_P12ihipStream_tbDpT10_ENKUlT_T0_E_clISt17integral_constantIbLb1EES16_EEDaS11_S12_EUlS11_E_NS1_11comp_targetILNS1_3genE5ELNS1_11target_archE942ELNS1_3gpuE9ELNS1_3repE0EEENS1_30default_config_static_selectorELNS0_4arch9wavefront6targetE0EEEvT1_
	.globl	_ZN7rocprim17ROCPRIM_400000_NS6detail17trampoline_kernelINS0_14default_configENS1_25partition_config_selectorILNS1_17partition_subalgoE6EfNS0_10empty_typeEbEEZZNS1_14partition_implILS5_6ELb0ES3_mN6thrust23THRUST_200600_302600_NS6detail15normal_iteratorINSA_10device_ptrIfEEEEPS6_SG_NS0_5tupleIJSF_S6_EEENSH_IJSG_SG_EEES6_PlJ7is_evenIfEEEE10hipError_tPvRmT3_T4_T5_T6_T7_T9_mT8_P12ihipStream_tbDpT10_ENKUlT_T0_E_clISt17integral_constantIbLb1EES16_EEDaS11_S12_EUlS11_E_NS1_11comp_targetILNS1_3genE5ELNS1_11target_archE942ELNS1_3gpuE9ELNS1_3repE0EEENS1_30default_config_static_selectorELNS0_4arch9wavefront6targetE0EEEvT1_
	.p2align	8
	.type	_ZN7rocprim17ROCPRIM_400000_NS6detail17trampoline_kernelINS0_14default_configENS1_25partition_config_selectorILNS1_17partition_subalgoE6EfNS0_10empty_typeEbEEZZNS1_14partition_implILS5_6ELb0ES3_mN6thrust23THRUST_200600_302600_NS6detail15normal_iteratorINSA_10device_ptrIfEEEEPS6_SG_NS0_5tupleIJSF_S6_EEENSH_IJSG_SG_EEES6_PlJ7is_evenIfEEEE10hipError_tPvRmT3_T4_T5_T6_T7_T9_mT8_P12ihipStream_tbDpT10_ENKUlT_T0_E_clISt17integral_constantIbLb1EES16_EEDaS11_S12_EUlS11_E_NS1_11comp_targetILNS1_3genE5ELNS1_11target_archE942ELNS1_3gpuE9ELNS1_3repE0EEENS1_30default_config_static_selectorELNS0_4arch9wavefront6targetE0EEEvT1_,@function
_ZN7rocprim17ROCPRIM_400000_NS6detail17trampoline_kernelINS0_14default_configENS1_25partition_config_selectorILNS1_17partition_subalgoE6EfNS0_10empty_typeEbEEZZNS1_14partition_implILS5_6ELb0ES3_mN6thrust23THRUST_200600_302600_NS6detail15normal_iteratorINSA_10device_ptrIfEEEEPS6_SG_NS0_5tupleIJSF_S6_EEENSH_IJSG_SG_EEES6_PlJ7is_evenIfEEEE10hipError_tPvRmT3_T4_T5_T6_T7_T9_mT8_P12ihipStream_tbDpT10_ENKUlT_T0_E_clISt17integral_constantIbLb1EES16_EEDaS11_S12_EUlS11_E_NS1_11comp_targetILNS1_3genE5ELNS1_11target_archE942ELNS1_3gpuE9ELNS1_3repE0EEENS1_30default_config_static_selectorELNS0_4arch9wavefront6targetE0EEEvT1_: ; @_ZN7rocprim17ROCPRIM_400000_NS6detail17trampoline_kernelINS0_14default_configENS1_25partition_config_selectorILNS1_17partition_subalgoE6EfNS0_10empty_typeEbEEZZNS1_14partition_implILS5_6ELb0ES3_mN6thrust23THRUST_200600_302600_NS6detail15normal_iteratorINSA_10device_ptrIfEEEEPS6_SG_NS0_5tupleIJSF_S6_EEENSH_IJSG_SG_EEES6_PlJ7is_evenIfEEEE10hipError_tPvRmT3_T4_T5_T6_T7_T9_mT8_P12ihipStream_tbDpT10_ENKUlT_T0_E_clISt17integral_constantIbLb1EES16_EEDaS11_S12_EUlS11_E_NS1_11comp_targetILNS1_3genE5ELNS1_11target_archE942ELNS1_3gpuE9ELNS1_3repE0EEENS1_30default_config_static_selectorELNS0_4arch9wavefront6targetE0EEEvT1_
; %bb.0:
	.section	.rodata,"a",@progbits
	.p2align	6, 0x0
	.amdhsa_kernel _ZN7rocprim17ROCPRIM_400000_NS6detail17trampoline_kernelINS0_14default_configENS1_25partition_config_selectorILNS1_17partition_subalgoE6EfNS0_10empty_typeEbEEZZNS1_14partition_implILS5_6ELb0ES3_mN6thrust23THRUST_200600_302600_NS6detail15normal_iteratorINSA_10device_ptrIfEEEEPS6_SG_NS0_5tupleIJSF_S6_EEENSH_IJSG_SG_EEES6_PlJ7is_evenIfEEEE10hipError_tPvRmT3_T4_T5_T6_T7_T9_mT8_P12ihipStream_tbDpT10_ENKUlT_T0_E_clISt17integral_constantIbLb1EES16_EEDaS11_S12_EUlS11_E_NS1_11comp_targetILNS1_3genE5ELNS1_11target_archE942ELNS1_3gpuE9ELNS1_3repE0EEENS1_30default_config_static_selectorELNS0_4arch9wavefront6targetE0EEEvT1_
		.amdhsa_group_segment_fixed_size 0
		.amdhsa_private_segment_fixed_size 0
		.amdhsa_kernarg_size 128
		.amdhsa_user_sgpr_count 15
		.amdhsa_user_sgpr_dispatch_ptr 0
		.amdhsa_user_sgpr_queue_ptr 0
		.amdhsa_user_sgpr_kernarg_segment_ptr 1
		.amdhsa_user_sgpr_dispatch_id 0
		.amdhsa_user_sgpr_private_segment_size 0
		.amdhsa_wavefront_size32 1
		.amdhsa_uses_dynamic_stack 0
		.amdhsa_enable_private_segment 0
		.amdhsa_system_sgpr_workgroup_id_x 1
		.amdhsa_system_sgpr_workgroup_id_y 0
		.amdhsa_system_sgpr_workgroup_id_z 0
		.amdhsa_system_sgpr_workgroup_info 0
		.amdhsa_system_vgpr_workitem_id 0
		.amdhsa_next_free_vgpr 1
		.amdhsa_next_free_sgpr 1
		.amdhsa_reserve_vcc 0
		.amdhsa_float_round_mode_32 0
		.amdhsa_float_round_mode_16_64 0
		.amdhsa_float_denorm_mode_32 3
		.amdhsa_float_denorm_mode_16_64 3
		.amdhsa_dx10_clamp 1
		.amdhsa_ieee_mode 1
		.amdhsa_fp16_overflow 0
		.amdhsa_workgroup_processor_mode 1
		.amdhsa_memory_ordered 1
		.amdhsa_forward_progress 0
		.amdhsa_shared_vgpr_count 0
		.amdhsa_exception_fp_ieee_invalid_op 0
		.amdhsa_exception_fp_denorm_src 0
		.amdhsa_exception_fp_ieee_div_zero 0
		.amdhsa_exception_fp_ieee_overflow 0
		.amdhsa_exception_fp_ieee_underflow 0
		.amdhsa_exception_fp_ieee_inexact 0
		.amdhsa_exception_int_div_zero 0
	.end_amdhsa_kernel
	.section	.text._ZN7rocprim17ROCPRIM_400000_NS6detail17trampoline_kernelINS0_14default_configENS1_25partition_config_selectorILNS1_17partition_subalgoE6EfNS0_10empty_typeEbEEZZNS1_14partition_implILS5_6ELb0ES3_mN6thrust23THRUST_200600_302600_NS6detail15normal_iteratorINSA_10device_ptrIfEEEEPS6_SG_NS0_5tupleIJSF_S6_EEENSH_IJSG_SG_EEES6_PlJ7is_evenIfEEEE10hipError_tPvRmT3_T4_T5_T6_T7_T9_mT8_P12ihipStream_tbDpT10_ENKUlT_T0_E_clISt17integral_constantIbLb1EES16_EEDaS11_S12_EUlS11_E_NS1_11comp_targetILNS1_3genE5ELNS1_11target_archE942ELNS1_3gpuE9ELNS1_3repE0EEENS1_30default_config_static_selectorELNS0_4arch9wavefront6targetE0EEEvT1_,"axG",@progbits,_ZN7rocprim17ROCPRIM_400000_NS6detail17trampoline_kernelINS0_14default_configENS1_25partition_config_selectorILNS1_17partition_subalgoE6EfNS0_10empty_typeEbEEZZNS1_14partition_implILS5_6ELb0ES3_mN6thrust23THRUST_200600_302600_NS6detail15normal_iteratorINSA_10device_ptrIfEEEEPS6_SG_NS0_5tupleIJSF_S6_EEENSH_IJSG_SG_EEES6_PlJ7is_evenIfEEEE10hipError_tPvRmT3_T4_T5_T6_T7_T9_mT8_P12ihipStream_tbDpT10_ENKUlT_T0_E_clISt17integral_constantIbLb1EES16_EEDaS11_S12_EUlS11_E_NS1_11comp_targetILNS1_3genE5ELNS1_11target_archE942ELNS1_3gpuE9ELNS1_3repE0EEENS1_30default_config_static_selectorELNS0_4arch9wavefront6targetE0EEEvT1_,comdat
.Lfunc_end241:
	.size	_ZN7rocprim17ROCPRIM_400000_NS6detail17trampoline_kernelINS0_14default_configENS1_25partition_config_selectorILNS1_17partition_subalgoE6EfNS0_10empty_typeEbEEZZNS1_14partition_implILS5_6ELb0ES3_mN6thrust23THRUST_200600_302600_NS6detail15normal_iteratorINSA_10device_ptrIfEEEEPS6_SG_NS0_5tupleIJSF_S6_EEENSH_IJSG_SG_EEES6_PlJ7is_evenIfEEEE10hipError_tPvRmT3_T4_T5_T6_T7_T9_mT8_P12ihipStream_tbDpT10_ENKUlT_T0_E_clISt17integral_constantIbLb1EES16_EEDaS11_S12_EUlS11_E_NS1_11comp_targetILNS1_3genE5ELNS1_11target_archE942ELNS1_3gpuE9ELNS1_3repE0EEENS1_30default_config_static_selectorELNS0_4arch9wavefront6targetE0EEEvT1_, .Lfunc_end241-_ZN7rocprim17ROCPRIM_400000_NS6detail17trampoline_kernelINS0_14default_configENS1_25partition_config_selectorILNS1_17partition_subalgoE6EfNS0_10empty_typeEbEEZZNS1_14partition_implILS5_6ELb0ES3_mN6thrust23THRUST_200600_302600_NS6detail15normal_iteratorINSA_10device_ptrIfEEEEPS6_SG_NS0_5tupleIJSF_S6_EEENSH_IJSG_SG_EEES6_PlJ7is_evenIfEEEE10hipError_tPvRmT3_T4_T5_T6_T7_T9_mT8_P12ihipStream_tbDpT10_ENKUlT_T0_E_clISt17integral_constantIbLb1EES16_EEDaS11_S12_EUlS11_E_NS1_11comp_targetILNS1_3genE5ELNS1_11target_archE942ELNS1_3gpuE9ELNS1_3repE0EEENS1_30default_config_static_selectorELNS0_4arch9wavefront6targetE0EEEvT1_
                                        ; -- End function
	.section	.AMDGPU.csdata,"",@progbits
; Kernel info:
; codeLenInByte = 0
; NumSgprs: 0
; NumVgprs: 0
; ScratchSize: 0
; MemoryBound: 0
; FloatMode: 240
; IeeeMode: 1
; LDSByteSize: 0 bytes/workgroup (compile time only)
; SGPRBlocks: 0
; VGPRBlocks: 0
; NumSGPRsForWavesPerEU: 1
; NumVGPRsForWavesPerEU: 1
; Occupancy: 16
; WaveLimiterHint : 0
; COMPUTE_PGM_RSRC2:SCRATCH_EN: 0
; COMPUTE_PGM_RSRC2:USER_SGPR: 15
; COMPUTE_PGM_RSRC2:TRAP_HANDLER: 0
; COMPUTE_PGM_RSRC2:TGID_X_EN: 1
; COMPUTE_PGM_RSRC2:TGID_Y_EN: 0
; COMPUTE_PGM_RSRC2:TGID_Z_EN: 0
; COMPUTE_PGM_RSRC2:TIDIG_COMP_CNT: 0
	.section	.text._ZN7rocprim17ROCPRIM_400000_NS6detail17trampoline_kernelINS0_14default_configENS1_25partition_config_selectorILNS1_17partition_subalgoE6EfNS0_10empty_typeEbEEZZNS1_14partition_implILS5_6ELb0ES3_mN6thrust23THRUST_200600_302600_NS6detail15normal_iteratorINSA_10device_ptrIfEEEEPS6_SG_NS0_5tupleIJSF_S6_EEENSH_IJSG_SG_EEES6_PlJ7is_evenIfEEEE10hipError_tPvRmT3_T4_T5_T6_T7_T9_mT8_P12ihipStream_tbDpT10_ENKUlT_T0_E_clISt17integral_constantIbLb1EES16_EEDaS11_S12_EUlS11_E_NS1_11comp_targetILNS1_3genE4ELNS1_11target_archE910ELNS1_3gpuE8ELNS1_3repE0EEENS1_30default_config_static_selectorELNS0_4arch9wavefront6targetE0EEEvT1_,"axG",@progbits,_ZN7rocprim17ROCPRIM_400000_NS6detail17trampoline_kernelINS0_14default_configENS1_25partition_config_selectorILNS1_17partition_subalgoE6EfNS0_10empty_typeEbEEZZNS1_14partition_implILS5_6ELb0ES3_mN6thrust23THRUST_200600_302600_NS6detail15normal_iteratorINSA_10device_ptrIfEEEEPS6_SG_NS0_5tupleIJSF_S6_EEENSH_IJSG_SG_EEES6_PlJ7is_evenIfEEEE10hipError_tPvRmT3_T4_T5_T6_T7_T9_mT8_P12ihipStream_tbDpT10_ENKUlT_T0_E_clISt17integral_constantIbLb1EES16_EEDaS11_S12_EUlS11_E_NS1_11comp_targetILNS1_3genE4ELNS1_11target_archE910ELNS1_3gpuE8ELNS1_3repE0EEENS1_30default_config_static_selectorELNS0_4arch9wavefront6targetE0EEEvT1_,comdat
	.protected	_ZN7rocprim17ROCPRIM_400000_NS6detail17trampoline_kernelINS0_14default_configENS1_25partition_config_selectorILNS1_17partition_subalgoE6EfNS0_10empty_typeEbEEZZNS1_14partition_implILS5_6ELb0ES3_mN6thrust23THRUST_200600_302600_NS6detail15normal_iteratorINSA_10device_ptrIfEEEEPS6_SG_NS0_5tupleIJSF_S6_EEENSH_IJSG_SG_EEES6_PlJ7is_evenIfEEEE10hipError_tPvRmT3_T4_T5_T6_T7_T9_mT8_P12ihipStream_tbDpT10_ENKUlT_T0_E_clISt17integral_constantIbLb1EES16_EEDaS11_S12_EUlS11_E_NS1_11comp_targetILNS1_3genE4ELNS1_11target_archE910ELNS1_3gpuE8ELNS1_3repE0EEENS1_30default_config_static_selectorELNS0_4arch9wavefront6targetE0EEEvT1_ ; -- Begin function _ZN7rocprim17ROCPRIM_400000_NS6detail17trampoline_kernelINS0_14default_configENS1_25partition_config_selectorILNS1_17partition_subalgoE6EfNS0_10empty_typeEbEEZZNS1_14partition_implILS5_6ELb0ES3_mN6thrust23THRUST_200600_302600_NS6detail15normal_iteratorINSA_10device_ptrIfEEEEPS6_SG_NS0_5tupleIJSF_S6_EEENSH_IJSG_SG_EEES6_PlJ7is_evenIfEEEE10hipError_tPvRmT3_T4_T5_T6_T7_T9_mT8_P12ihipStream_tbDpT10_ENKUlT_T0_E_clISt17integral_constantIbLb1EES16_EEDaS11_S12_EUlS11_E_NS1_11comp_targetILNS1_3genE4ELNS1_11target_archE910ELNS1_3gpuE8ELNS1_3repE0EEENS1_30default_config_static_selectorELNS0_4arch9wavefront6targetE0EEEvT1_
	.globl	_ZN7rocprim17ROCPRIM_400000_NS6detail17trampoline_kernelINS0_14default_configENS1_25partition_config_selectorILNS1_17partition_subalgoE6EfNS0_10empty_typeEbEEZZNS1_14partition_implILS5_6ELb0ES3_mN6thrust23THRUST_200600_302600_NS6detail15normal_iteratorINSA_10device_ptrIfEEEEPS6_SG_NS0_5tupleIJSF_S6_EEENSH_IJSG_SG_EEES6_PlJ7is_evenIfEEEE10hipError_tPvRmT3_T4_T5_T6_T7_T9_mT8_P12ihipStream_tbDpT10_ENKUlT_T0_E_clISt17integral_constantIbLb1EES16_EEDaS11_S12_EUlS11_E_NS1_11comp_targetILNS1_3genE4ELNS1_11target_archE910ELNS1_3gpuE8ELNS1_3repE0EEENS1_30default_config_static_selectorELNS0_4arch9wavefront6targetE0EEEvT1_
	.p2align	8
	.type	_ZN7rocprim17ROCPRIM_400000_NS6detail17trampoline_kernelINS0_14default_configENS1_25partition_config_selectorILNS1_17partition_subalgoE6EfNS0_10empty_typeEbEEZZNS1_14partition_implILS5_6ELb0ES3_mN6thrust23THRUST_200600_302600_NS6detail15normal_iteratorINSA_10device_ptrIfEEEEPS6_SG_NS0_5tupleIJSF_S6_EEENSH_IJSG_SG_EEES6_PlJ7is_evenIfEEEE10hipError_tPvRmT3_T4_T5_T6_T7_T9_mT8_P12ihipStream_tbDpT10_ENKUlT_T0_E_clISt17integral_constantIbLb1EES16_EEDaS11_S12_EUlS11_E_NS1_11comp_targetILNS1_3genE4ELNS1_11target_archE910ELNS1_3gpuE8ELNS1_3repE0EEENS1_30default_config_static_selectorELNS0_4arch9wavefront6targetE0EEEvT1_,@function
_ZN7rocprim17ROCPRIM_400000_NS6detail17trampoline_kernelINS0_14default_configENS1_25partition_config_selectorILNS1_17partition_subalgoE6EfNS0_10empty_typeEbEEZZNS1_14partition_implILS5_6ELb0ES3_mN6thrust23THRUST_200600_302600_NS6detail15normal_iteratorINSA_10device_ptrIfEEEEPS6_SG_NS0_5tupleIJSF_S6_EEENSH_IJSG_SG_EEES6_PlJ7is_evenIfEEEE10hipError_tPvRmT3_T4_T5_T6_T7_T9_mT8_P12ihipStream_tbDpT10_ENKUlT_T0_E_clISt17integral_constantIbLb1EES16_EEDaS11_S12_EUlS11_E_NS1_11comp_targetILNS1_3genE4ELNS1_11target_archE910ELNS1_3gpuE8ELNS1_3repE0EEENS1_30default_config_static_selectorELNS0_4arch9wavefront6targetE0EEEvT1_: ; @_ZN7rocprim17ROCPRIM_400000_NS6detail17trampoline_kernelINS0_14default_configENS1_25partition_config_selectorILNS1_17partition_subalgoE6EfNS0_10empty_typeEbEEZZNS1_14partition_implILS5_6ELb0ES3_mN6thrust23THRUST_200600_302600_NS6detail15normal_iteratorINSA_10device_ptrIfEEEEPS6_SG_NS0_5tupleIJSF_S6_EEENSH_IJSG_SG_EEES6_PlJ7is_evenIfEEEE10hipError_tPvRmT3_T4_T5_T6_T7_T9_mT8_P12ihipStream_tbDpT10_ENKUlT_T0_E_clISt17integral_constantIbLb1EES16_EEDaS11_S12_EUlS11_E_NS1_11comp_targetILNS1_3genE4ELNS1_11target_archE910ELNS1_3gpuE8ELNS1_3repE0EEENS1_30default_config_static_selectorELNS0_4arch9wavefront6targetE0EEEvT1_
; %bb.0:
	.section	.rodata,"a",@progbits
	.p2align	6, 0x0
	.amdhsa_kernel _ZN7rocprim17ROCPRIM_400000_NS6detail17trampoline_kernelINS0_14default_configENS1_25partition_config_selectorILNS1_17partition_subalgoE6EfNS0_10empty_typeEbEEZZNS1_14partition_implILS5_6ELb0ES3_mN6thrust23THRUST_200600_302600_NS6detail15normal_iteratorINSA_10device_ptrIfEEEEPS6_SG_NS0_5tupleIJSF_S6_EEENSH_IJSG_SG_EEES6_PlJ7is_evenIfEEEE10hipError_tPvRmT3_T4_T5_T6_T7_T9_mT8_P12ihipStream_tbDpT10_ENKUlT_T0_E_clISt17integral_constantIbLb1EES16_EEDaS11_S12_EUlS11_E_NS1_11comp_targetILNS1_3genE4ELNS1_11target_archE910ELNS1_3gpuE8ELNS1_3repE0EEENS1_30default_config_static_selectorELNS0_4arch9wavefront6targetE0EEEvT1_
		.amdhsa_group_segment_fixed_size 0
		.amdhsa_private_segment_fixed_size 0
		.amdhsa_kernarg_size 128
		.amdhsa_user_sgpr_count 15
		.amdhsa_user_sgpr_dispatch_ptr 0
		.amdhsa_user_sgpr_queue_ptr 0
		.amdhsa_user_sgpr_kernarg_segment_ptr 1
		.amdhsa_user_sgpr_dispatch_id 0
		.amdhsa_user_sgpr_private_segment_size 0
		.amdhsa_wavefront_size32 1
		.amdhsa_uses_dynamic_stack 0
		.amdhsa_enable_private_segment 0
		.amdhsa_system_sgpr_workgroup_id_x 1
		.amdhsa_system_sgpr_workgroup_id_y 0
		.amdhsa_system_sgpr_workgroup_id_z 0
		.amdhsa_system_sgpr_workgroup_info 0
		.amdhsa_system_vgpr_workitem_id 0
		.amdhsa_next_free_vgpr 1
		.amdhsa_next_free_sgpr 1
		.amdhsa_reserve_vcc 0
		.amdhsa_float_round_mode_32 0
		.amdhsa_float_round_mode_16_64 0
		.amdhsa_float_denorm_mode_32 3
		.amdhsa_float_denorm_mode_16_64 3
		.amdhsa_dx10_clamp 1
		.amdhsa_ieee_mode 1
		.amdhsa_fp16_overflow 0
		.amdhsa_workgroup_processor_mode 1
		.amdhsa_memory_ordered 1
		.amdhsa_forward_progress 0
		.amdhsa_shared_vgpr_count 0
		.amdhsa_exception_fp_ieee_invalid_op 0
		.amdhsa_exception_fp_denorm_src 0
		.amdhsa_exception_fp_ieee_div_zero 0
		.amdhsa_exception_fp_ieee_overflow 0
		.amdhsa_exception_fp_ieee_underflow 0
		.amdhsa_exception_fp_ieee_inexact 0
		.amdhsa_exception_int_div_zero 0
	.end_amdhsa_kernel
	.section	.text._ZN7rocprim17ROCPRIM_400000_NS6detail17trampoline_kernelINS0_14default_configENS1_25partition_config_selectorILNS1_17partition_subalgoE6EfNS0_10empty_typeEbEEZZNS1_14partition_implILS5_6ELb0ES3_mN6thrust23THRUST_200600_302600_NS6detail15normal_iteratorINSA_10device_ptrIfEEEEPS6_SG_NS0_5tupleIJSF_S6_EEENSH_IJSG_SG_EEES6_PlJ7is_evenIfEEEE10hipError_tPvRmT3_T4_T5_T6_T7_T9_mT8_P12ihipStream_tbDpT10_ENKUlT_T0_E_clISt17integral_constantIbLb1EES16_EEDaS11_S12_EUlS11_E_NS1_11comp_targetILNS1_3genE4ELNS1_11target_archE910ELNS1_3gpuE8ELNS1_3repE0EEENS1_30default_config_static_selectorELNS0_4arch9wavefront6targetE0EEEvT1_,"axG",@progbits,_ZN7rocprim17ROCPRIM_400000_NS6detail17trampoline_kernelINS0_14default_configENS1_25partition_config_selectorILNS1_17partition_subalgoE6EfNS0_10empty_typeEbEEZZNS1_14partition_implILS5_6ELb0ES3_mN6thrust23THRUST_200600_302600_NS6detail15normal_iteratorINSA_10device_ptrIfEEEEPS6_SG_NS0_5tupleIJSF_S6_EEENSH_IJSG_SG_EEES6_PlJ7is_evenIfEEEE10hipError_tPvRmT3_T4_T5_T6_T7_T9_mT8_P12ihipStream_tbDpT10_ENKUlT_T0_E_clISt17integral_constantIbLb1EES16_EEDaS11_S12_EUlS11_E_NS1_11comp_targetILNS1_3genE4ELNS1_11target_archE910ELNS1_3gpuE8ELNS1_3repE0EEENS1_30default_config_static_selectorELNS0_4arch9wavefront6targetE0EEEvT1_,comdat
.Lfunc_end242:
	.size	_ZN7rocprim17ROCPRIM_400000_NS6detail17trampoline_kernelINS0_14default_configENS1_25partition_config_selectorILNS1_17partition_subalgoE6EfNS0_10empty_typeEbEEZZNS1_14partition_implILS5_6ELb0ES3_mN6thrust23THRUST_200600_302600_NS6detail15normal_iteratorINSA_10device_ptrIfEEEEPS6_SG_NS0_5tupleIJSF_S6_EEENSH_IJSG_SG_EEES6_PlJ7is_evenIfEEEE10hipError_tPvRmT3_T4_T5_T6_T7_T9_mT8_P12ihipStream_tbDpT10_ENKUlT_T0_E_clISt17integral_constantIbLb1EES16_EEDaS11_S12_EUlS11_E_NS1_11comp_targetILNS1_3genE4ELNS1_11target_archE910ELNS1_3gpuE8ELNS1_3repE0EEENS1_30default_config_static_selectorELNS0_4arch9wavefront6targetE0EEEvT1_, .Lfunc_end242-_ZN7rocprim17ROCPRIM_400000_NS6detail17trampoline_kernelINS0_14default_configENS1_25partition_config_selectorILNS1_17partition_subalgoE6EfNS0_10empty_typeEbEEZZNS1_14partition_implILS5_6ELb0ES3_mN6thrust23THRUST_200600_302600_NS6detail15normal_iteratorINSA_10device_ptrIfEEEEPS6_SG_NS0_5tupleIJSF_S6_EEENSH_IJSG_SG_EEES6_PlJ7is_evenIfEEEE10hipError_tPvRmT3_T4_T5_T6_T7_T9_mT8_P12ihipStream_tbDpT10_ENKUlT_T0_E_clISt17integral_constantIbLb1EES16_EEDaS11_S12_EUlS11_E_NS1_11comp_targetILNS1_3genE4ELNS1_11target_archE910ELNS1_3gpuE8ELNS1_3repE0EEENS1_30default_config_static_selectorELNS0_4arch9wavefront6targetE0EEEvT1_
                                        ; -- End function
	.section	.AMDGPU.csdata,"",@progbits
; Kernel info:
; codeLenInByte = 0
; NumSgprs: 0
; NumVgprs: 0
; ScratchSize: 0
; MemoryBound: 0
; FloatMode: 240
; IeeeMode: 1
; LDSByteSize: 0 bytes/workgroup (compile time only)
; SGPRBlocks: 0
; VGPRBlocks: 0
; NumSGPRsForWavesPerEU: 1
; NumVGPRsForWavesPerEU: 1
; Occupancy: 16
; WaveLimiterHint : 0
; COMPUTE_PGM_RSRC2:SCRATCH_EN: 0
; COMPUTE_PGM_RSRC2:USER_SGPR: 15
; COMPUTE_PGM_RSRC2:TRAP_HANDLER: 0
; COMPUTE_PGM_RSRC2:TGID_X_EN: 1
; COMPUTE_PGM_RSRC2:TGID_Y_EN: 0
; COMPUTE_PGM_RSRC2:TGID_Z_EN: 0
; COMPUTE_PGM_RSRC2:TIDIG_COMP_CNT: 0
	.section	.text._ZN7rocprim17ROCPRIM_400000_NS6detail17trampoline_kernelINS0_14default_configENS1_25partition_config_selectorILNS1_17partition_subalgoE6EfNS0_10empty_typeEbEEZZNS1_14partition_implILS5_6ELb0ES3_mN6thrust23THRUST_200600_302600_NS6detail15normal_iteratorINSA_10device_ptrIfEEEEPS6_SG_NS0_5tupleIJSF_S6_EEENSH_IJSG_SG_EEES6_PlJ7is_evenIfEEEE10hipError_tPvRmT3_T4_T5_T6_T7_T9_mT8_P12ihipStream_tbDpT10_ENKUlT_T0_E_clISt17integral_constantIbLb1EES16_EEDaS11_S12_EUlS11_E_NS1_11comp_targetILNS1_3genE3ELNS1_11target_archE908ELNS1_3gpuE7ELNS1_3repE0EEENS1_30default_config_static_selectorELNS0_4arch9wavefront6targetE0EEEvT1_,"axG",@progbits,_ZN7rocprim17ROCPRIM_400000_NS6detail17trampoline_kernelINS0_14default_configENS1_25partition_config_selectorILNS1_17partition_subalgoE6EfNS0_10empty_typeEbEEZZNS1_14partition_implILS5_6ELb0ES3_mN6thrust23THRUST_200600_302600_NS6detail15normal_iteratorINSA_10device_ptrIfEEEEPS6_SG_NS0_5tupleIJSF_S6_EEENSH_IJSG_SG_EEES6_PlJ7is_evenIfEEEE10hipError_tPvRmT3_T4_T5_T6_T7_T9_mT8_P12ihipStream_tbDpT10_ENKUlT_T0_E_clISt17integral_constantIbLb1EES16_EEDaS11_S12_EUlS11_E_NS1_11comp_targetILNS1_3genE3ELNS1_11target_archE908ELNS1_3gpuE7ELNS1_3repE0EEENS1_30default_config_static_selectorELNS0_4arch9wavefront6targetE0EEEvT1_,comdat
	.protected	_ZN7rocprim17ROCPRIM_400000_NS6detail17trampoline_kernelINS0_14default_configENS1_25partition_config_selectorILNS1_17partition_subalgoE6EfNS0_10empty_typeEbEEZZNS1_14partition_implILS5_6ELb0ES3_mN6thrust23THRUST_200600_302600_NS6detail15normal_iteratorINSA_10device_ptrIfEEEEPS6_SG_NS0_5tupleIJSF_S6_EEENSH_IJSG_SG_EEES6_PlJ7is_evenIfEEEE10hipError_tPvRmT3_T4_T5_T6_T7_T9_mT8_P12ihipStream_tbDpT10_ENKUlT_T0_E_clISt17integral_constantIbLb1EES16_EEDaS11_S12_EUlS11_E_NS1_11comp_targetILNS1_3genE3ELNS1_11target_archE908ELNS1_3gpuE7ELNS1_3repE0EEENS1_30default_config_static_selectorELNS0_4arch9wavefront6targetE0EEEvT1_ ; -- Begin function _ZN7rocprim17ROCPRIM_400000_NS6detail17trampoline_kernelINS0_14default_configENS1_25partition_config_selectorILNS1_17partition_subalgoE6EfNS0_10empty_typeEbEEZZNS1_14partition_implILS5_6ELb0ES3_mN6thrust23THRUST_200600_302600_NS6detail15normal_iteratorINSA_10device_ptrIfEEEEPS6_SG_NS0_5tupleIJSF_S6_EEENSH_IJSG_SG_EEES6_PlJ7is_evenIfEEEE10hipError_tPvRmT3_T4_T5_T6_T7_T9_mT8_P12ihipStream_tbDpT10_ENKUlT_T0_E_clISt17integral_constantIbLb1EES16_EEDaS11_S12_EUlS11_E_NS1_11comp_targetILNS1_3genE3ELNS1_11target_archE908ELNS1_3gpuE7ELNS1_3repE0EEENS1_30default_config_static_selectorELNS0_4arch9wavefront6targetE0EEEvT1_
	.globl	_ZN7rocprim17ROCPRIM_400000_NS6detail17trampoline_kernelINS0_14default_configENS1_25partition_config_selectorILNS1_17partition_subalgoE6EfNS0_10empty_typeEbEEZZNS1_14partition_implILS5_6ELb0ES3_mN6thrust23THRUST_200600_302600_NS6detail15normal_iteratorINSA_10device_ptrIfEEEEPS6_SG_NS0_5tupleIJSF_S6_EEENSH_IJSG_SG_EEES6_PlJ7is_evenIfEEEE10hipError_tPvRmT3_T4_T5_T6_T7_T9_mT8_P12ihipStream_tbDpT10_ENKUlT_T0_E_clISt17integral_constantIbLb1EES16_EEDaS11_S12_EUlS11_E_NS1_11comp_targetILNS1_3genE3ELNS1_11target_archE908ELNS1_3gpuE7ELNS1_3repE0EEENS1_30default_config_static_selectorELNS0_4arch9wavefront6targetE0EEEvT1_
	.p2align	8
	.type	_ZN7rocprim17ROCPRIM_400000_NS6detail17trampoline_kernelINS0_14default_configENS1_25partition_config_selectorILNS1_17partition_subalgoE6EfNS0_10empty_typeEbEEZZNS1_14partition_implILS5_6ELb0ES3_mN6thrust23THRUST_200600_302600_NS6detail15normal_iteratorINSA_10device_ptrIfEEEEPS6_SG_NS0_5tupleIJSF_S6_EEENSH_IJSG_SG_EEES6_PlJ7is_evenIfEEEE10hipError_tPvRmT3_T4_T5_T6_T7_T9_mT8_P12ihipStream_tbDpT10_ENKUlT_T0_E_clISt17integral_constantIbLb1EES16_EEDaS11_S12_EUlS11_E_NS1_11comp_targetILNS1_3genE3ELNS1_11target_archE908ELNS1_3gpuE7ELNS1_3repE0EEENS1_30default_config_static_selectorELNS0_4arch9wavefront6targetE0EEEvT1_,@function
_ZN7rocprim17ROCPRIM_400000_NS6detail17trampoline_kernelINS0_14default_configENS1_25partition_config_selectorILNS1_17partition_subalgoE6EfNS0_10empty_typeEbEEZZNS1_14partition_implILS5_6ELb0ES3_mN6thrust23THRUST_200600_302600_NS6detail15normal_iteratorINSA_10device_ptrIfEEEEPS6_SG_NS0_5tupleIJSF_S6_EEENSH_IJSG_SG_EEES6_PlJ7is_evenIfEEEE10hipError_tPvRmT3_T4_T5_T6_T7_T9_mT8_P12ihipStream_tbDpT10_ENKUlT_T0_E_clISt17integral_constantIbLb1EES16_EEDaS11_S12_EUlS11_E_NS1_11comp_targetILNS1_3genE3ELNS1_11target_archE908ELNS1_3gpuE7ELNS1_3repE0EEENS1_30default_config_static_selectorELNS0_4arch9wavefront6targetE0EEEvT1_: ; @_ZN7rocprim17ROCPRIM_400000_NS6detail17trampoline_kernelINS0_14default_configENS1_25partition_config_selectorILNS1_17partition_subalgoE6EfNS0_10empty_typeEbEEZZNS1_14partition_implILS5_6ELb0ES3_mN6thrust23THRUST_200600_302600_NS6detail15normal_iteratorINSA_10device_ptrIfEEEEPS6_SG_NS0_5tupleIJSF_S6_EEENSH_IJSG_SG_EEES6_PlJ7is_evenIfEEEE10hipError_tPvRmT3_T4_T5_T6_T7_T9_mT8_P12ihipStream_tbDpT10_ENKUlT_T0_E_clISt17integral_constantIbLb1EES16_EEDaS11_S12_EUlS11_E_NS1_11comp_targetILNS1_3genE3ELNS1_11target_archE908ELNS1_3gpuE7ELNS1_3repE0EEENS1_30default_config_static_selectorELNS0_4arch9wavefront6targetE0EEEvT1_
; %bb.0:
	.section	.rodata,"a",@progbits
	.p2align	6, 0x0
	.amdhsa_kernel _ZN7rocprim17ROCPRIM_400000_NS6detail17trampoline_kernelINS0_14default_configENS1_25partition_config_selectorILNS1_17partition_subalgoE6EfNS0_10empty_typeEbEEZZNS1_14partition_implILS5_6ELb0ES3_mN6thrust23THRUST_200600_302600_NS6detail15normal_iteratorINSA_10device_ptrIfEEEEPS6_SG_NS0_5tupleIJSF_S6_EEENSH_IJSG_SG_EEES6_PlJ7is_evenIfEEEE10hipError_tPvRmT3_T4_T5_T6_T7_T9_mT8_P12ihipStream_tbDpT10_ENKUlT_T0_E_clISt17integral_constantIbLb1EES16_EEDaS11_S12_EUlS11_E_NS1_11comp_targetILNS1_3genE3ELNS1_11target_archE908ELNS1_3gpuE7ELNS1_3repE0EEENS1_30default_config_static_selectorELNS0_4arch9wavefront6targetE0EEEvT1_
		.amdhsa_group_segment_fixed_size 0
		.amdhsa_private_segment_fixed_size 0
		.amdhsa_kernarg_size 128
		.amdhsa_user_sgpr_count 15
		.amdhsa_user_sgpr_dispatch_ptr 0
		.amdhsa_user_sgpr_queue_ptr 0
		.amdhsa_user_sgpr_kernarg_segment_ptr 1
		.amdhsa_user_sgpr_dispatch_id 0
		.amdhsa_user_sgpr_private_segment_size 0
		.amdhsa_wavefront_size32 1
		.amdhsa_uses_dynamic_stack 0
		.amdhsa_enable_private_segment 0
		.amdhsa_system_sgpr_workgroup_id_x 1
		.amdhsa_system_sgpr_workgroup_id_y 0
		.amdhsa_system_sgpr_workgroup_id_z 0
		.amdhsa_system_sgpr_workgroup_info 0
		.amdhsa_system_vgpr_workitem_id 0
		.amdhsa_next_free_vgpr 1
		.amdhsa_next_free_sgpr 1
		.amdhsa_reserve_vcc 0
		.amdhsa_float_round_mode_32 0
		.amdhsa_float_round_mode_16_64 0
		.amdhsa_float_denorm_mode_32 3
		.amdhsa_float_denorm_mode_16_64 3
		.amdhsa_dx10_clamp 1
		.amdhsa_ieee_mode 1
		.amdhsa_fp16_overflow 0
		.amdhsa_workgroup_processor_mode 1
		.amdhsa_memory_ordered 1
		.amdhsa_forward_progress 0
		.amdhsa_shared_vgpr_count 0
		.amdhsa_exception_fp_ieee_invalid_op 0
		.amdhsa_exception_fp_denorm_src 0
		.amdhsa_exception_fp_ieee_div_zero 0
		.amdhsa_exception_fp_ieee_overflow 0
		.amdhsa_exception_fp_ieee_underflow 0
		.amdhsa_exception_fp_ieee_inexact 0
		.amdhsa_exception_int_div_zero 0
	.end_amdhsa_kernel
	.section	.text._ZN7rocprim17ROCPRIM_400000_NS6detail17trampoline_kernelINS0_14default_configENS1_25partition_config_selectorILNS1_17partition_subalgoE6EfNS0_10empty_typeEbEEZZNS1_14partition_implILS5_6ELb0ES3_mN6thrust23THRUST_200600_302600_NS6detail15normal_iteratorINSA_10device_ptrIfEEEEPS6_SG_NS0_5tupleIJSF_S6_EEENSH_IJSG_SG_EEES6_PlJ7is_evenIfEEEE10hipError_tPvRmT3_T4_T5_T6_T7_T9_mT8_P12ihipStream_tbDpT10_ENKUlT_T0_E_clISt17integral_constantIbLb1EES16_EEDaS11_S12_EUlS11_E_NS1_11comp_targetILNS1_3genE3ELNS1_11target_archE908ELNS1_3gpuE7ELNS1_3repE0EEENS1_30default_config_static_selectorELNS0_4arch9wavefront6targetE0EEEvT1_,"axG",@progbits,_ZN7rocprim17ROCPRIM_400000_NS6detail17trampoline_kernelINS0_14default_configENS1_25partition_config_selectorILNS1_17partition_subalgoE6EfNS0_10empty_typeEbEEZZNS1_14partition_implILS5_6ELb0ES3_mN6thrust23THRUST_200600_302600_NS6detail15normal_iteratorINSA_10device_ptrIfEEEEPS6_SG_NS0_5tupleIJSF_S6_EEENSH_IJSG_SG_EEES6_PlJ7is_evenIfEEEE10hipError_tPvRmT3_T4_T5_T6_T7_T9_mT8_P12ihipStream_tbDpT10_ENKUlT_T0_E_clISt17integral_constantIbLb1EES16_EEDaS11_S12_EUlS11_E_NS1_11comp_targetILNS1_3genE3ELNS1_11target_archE908ELNS1_3gpuE7ELNS1_3repE0EEENS1_30default_config_static_selectorELNS0_4arch9wavefront6targetE0EEEvT1_,comdat
.Lfunc_end243:
	.size	_ZN7rocprim17ROCPRIM_400000_NS6detail17trampoline_kernelINS0_14default_configENS1_25partition_config_selectorILNS1_17partition_subalgoE6EfNS0_10empty_typeEbEEZZNS1_14partition_implILS5_6ELb0ES3_mN6thrust23THRUST_200600_302600_NS6detail15normal_iteratorINSA_10device_ptrIfEEEEPS6_SG_NS0_5tupleIJSF_S6_EEENSH_IJSG_SG_EEES6_PlJ7is_evenIfEEEE10hipError_tPvRmT3_T4_T5_T6_T7_T9_mT8_P12ihipStream_tbDpT10_ENKUlT_T0_E_clISt17integral_constantIbLb1EES16_EEDaS11_S12_EUlS11_E_NS1_11comp_targetILNS1_3genE3ELNS1_11target_archE908ELNS1_3gpuE7ELNS1_3repE0EEENS1_30default_config_static_selectorELNS0_4arch9wavefront6targetE0EEEvT1_, .Lfunc_end243-_ZN7rocprim17ROCPRIM_400000_NS6detail17trampoline_kernelINS0_14default_configENS1_25partition_config_selectorILNS1_17partition_subalgoE6EfNS0_10empty_typeEbEEZZNS1_14partition_implILS5_6ELb0ES3_mN6thrust23THRUST_200600_302600_NS6detail15normal_iteratorINSA_10device_ptrIfEEEEPS6_SG_NS0_5tupleIJSF_S6_EEENSH_IJSG_SG_EEES6_PlJ7is_evenIfEEEE10hipError_tPvRmT3_T4_T5_T6_T7_T9_mT8_P12ihipStream_tbDpT10_ENKUlT_T0_E_clISt17integral_constantIbLb1EES16_EEDaS11_S12_EUlS11_E_NS1_11comp_targetILNS1_3genE3ELNS1_11target_archE908ELNS1_3gpuE7ELNS1_3repE0EEENS1_30default_config_static_selectorELNS0_4arch9wavefront6targetE0EEEvT1_
                                        ; -- End function
	.section	.AMDGPU.csdata,"",@progbits
; Kernel info:
; codeLenInByte = 0
; NumSgprs: 0
; NumVgprs: 0
; ScratchSize: 0
; MemoryBound: 0
; FloatMode: 240
; IeeeMode: 1
; LDSByteSize: 0 bytes/workgroup (compile time only)
; SGPRBlocks: 0
; VGPRBlocks: 0
; NumSGPRsForWavesPerEU: 1
; NumVGPRsForWavesPerEU: 1
; Occupancy: 16
; WaveLimiterHint : 0
; COMPUTE_PGM_RSRC2:SCRATCH_EN: 0
; COMPUTE_PGM_RSRC2:USER_SGPR: 15
; COMPUTE_PGM_RSRC2:TRAP_HANDLER: 0
; COMPUTE_PGM_RSRC2:TGID_X_EN: 1
; COMPUTE_PGM_RSRC2:TGID_Y_EN: 0
; COMPUTE_PGM_RSRC2:TGID_Z_EN: 0
; COMPUTE_PGM_RSRC2:TIDIG_COMP_CNT: 0
	.section	.text._ZN7rocprim17ROCPRIM_400000_NS6detail17trampoline_kernelINS0_14default_configENS1_25partition_config_selectorILNS1_17partition_subalgoE6EfNS0_10empty_typeEbEEZZNS1_14partition_implILS5_6ELb0ES3_mN6thrust23THRUST_200600_302600_NS6detail15normal_iteratorINSA_10device_ptrIfEEEEPS6_SG_NS0_5tupleIJSF_S6_EEENSH_IJSG_SG_EEES6_PlJ7is_evenIfEEEE10hipError_tPvRmT3_T4_T5_T6_T7_T9_mT8_P12ihipStream_tbDpT10_ENKUlT_T0_E_clISt17integral_constantIbLb1EES16_EEDaS11_S12_EUlS11_E_NS1_11comp_targetILNS1_3genE2ELNS1_11target_archE906ELNS1_3gpuE6ELNS1_3repE0EEENS1_30default_config_static_selectorELNS0_4arch9wavefront6targetE0EEEvT1_,"axG",@progbits,_ZN7rocprim17ROCPRIM_400000_NS6detail17trampoline_kernelINS0_14default_configENS1_25partition_config_selectorILNS1_17partition_subalgoE6EfNS0_10empty_typeEbEEZZNS1_14partition_implILS5_6ELb0ES3_mN6thrust23THRUST_200600_302600_NS6detail15normal_iteratorINSA_10device_ptrIfEEEEPS6_SG_NS0_5tupleIJSF_S6_EEENSH_IJSG_SG_EEES6_PlJ7is_evenIfEEEE10hipError_tPvRmT3_T4_T5_T6_T7_T9_mT8_P12ihipStream_tbDpT10_ENKUlT_T0_E_clISt17integral_constantIbLb1EES16_EEDaS11_S12_EUlS11_E_NS1_11comp_targetILNS1_3genE2ELNS1_11target_archE906ELNS1_3gpuE6ELNS1_3repE0EEENS1_30default_config_static_selectorELNS0_4arch9wavefront6targetE0EEEvT1_,comdat
	.protected	_ZN7rocprim17ROCPRIM_400000_NS6detail17trampoline_kernelINS0_14default_configENS1_25partition_config_selectorILNS1_17partition_subalgoE6EfNS0_10empty_typeEbEEZZNS1_14partition_implILS5_6ELb0ES3_mN6thrust23THRUST_200600_302600_NS6detail15normal_iteratorINSA_10device_ptrIfEEEEPS6_SG_NS0_5tupleIJSF_S6_EEENSH_IJSG_SG_EEES6_PlJ7is_evenIfEEEE10hipError_tPvRmT3_T4_T5_T6_T7_T9_mT8_P12ihipStream_tbDpT10_ENKUlT_T0_E_clISt17integral_constantIbLb1EES16_EEDaS11_S12_EUlS11_E_NS1_11comp_targetILNS1_3genE2ELNS1_11target_archE906ELNS1_3gpuE6ELNS1_3repE0EEENS1_30default_config_static_selectorELNS0_4arch9wavefront6targetE0EEEvT1_ ; -- Begin function _ZN7rocprim17ROCPRIM_400000_NS6detail17trampoline_kernelINS0_14default_configENS1_25partition_config_selectorILNS1_17partition_subalgoE6EfNS0_10empty_typeEbEEZZNS1_14partition_implILS5_6ELb0ES3_mN6thrust23THRUST_200600_302600_NS6detail15normal_iteratorINSA_10device_ptrIfEEEEPS6_SG_NS0_5tupleIJSF_S6_EEENSH_IJSG_SG_EEES6_PlJ7is_evenIfEEEE10hipError_tPvRmT3_T4_T5_T6_T7_T9_mT8_P12ihipStream_tbDpT10_ENKUlT_T0_E_clISt17integral_constantIbLb1EES16_EEDaS11_S12_EUlS11_E_NS1_11comp_targetILNS1_3genE2ELNS1_11target_archE906ELNS1_3gpuE6ELNS1_3repE0EEENS1_30default_config_static_selectorELNS0_4arch9wavefront6targetE0EEEvT1_
	.globl	_ZN7rocprim17ROCPRIM_400000_NS6detail17trampoline_kernelINS0_14default_configENS1_25partition_config_selectorILNS1_17partition_subalgoE6EfNS0_10empty_typeEbEEZZNS1_14partition_implILS5_6ELb0ES3_mN6thrust23THRUST_200600_302600_NS6detail15normal_iteratorINSA_10device_ptrIfEEEEPS6_SG_NS0_5tupleIJSF_S6_EEENSH_IJSG_SG_EEES6_PlJ7is_evenIfEEEE10hipError_tPvRmT3_T4_T5_T6_T7_T9_mT8_P12ihipStream_tbDpT10_ENKUlT_T0_E_clISt17integral_constantIbLb1EES16_EEDaS11_S12_EUlS11_E_NS1_11comp_targetILNS1_3genE2ELNS1_11target_archE906ELNS1_3gpuE6ELNS1_3repE0EEENS1_30default_config_static_selectorELNS0_4arch9wavefront6targetE0EEEvT1_
	.p2align	8
	.type	_ZN7rocprim17ROCPRIM_400000_NS6detail17trampoline_kernelINS0_14default_configENS1_25partition_config_selectorILNS1_17partition_subalgoE6EfNS0_10empty_typeEbEEZZNS1_14partition_implILS5_6ELb0ES3_mN6thrust23THRUST_200600_302600_NS6detail15normal_iteratorINSA_10device_ptrIfEEEEPS6_SG_NS0_5tupleIJSF_S6_EEENSH_IJSG_SG_EEES6_PlJ7is_evenIfEEEE10hipError_tPvRmT3_T4_T5_T6_T7_T9_mT8_P12ihipStream_tbDpT10_ENKUlT_T0_E_clISt17integral_constantIbLb1EES16_EEDaS11_S12_EUlS11_E_NS1_11comp_targetILNS1_3genE2ELNS1_11target_archE906ELNS1_3gpuE6ELNS1_3repE0EEENS1_30default_config_static_selectorELNS0_4arch9wavefront6targetE0EEEvT1_,@function
_ZN7rocprim17ROCPRIM_400000_NS6detail17trampoline_kernelINS0_14default_configENS1_25partition_config_selectorILNS1_17partition_subalgoE6EfNS0_10empty_typeEbEEZZNS1_14partition_implILS5_6ELb0ES3_mN6thrust23THRUST_200600_302600_NS6detail15normal_iteratorINSA_10device_ptrIfEEEEPS6_SG_NS0_5tupleIJSF_S6_EEENSH_IJSG_SG_EEES6_PlJ7is_evenIfEEEE10hipError_tPvRmT3_T4_T5_T6_T7_T9_mT8_P12ihipStream_tbDpT10_ENKUlT_T0_E_clISt17integral_constantIbLb1EES16_EEDaS11_S12_EUlS11_E_NS1_11comp_targetILNS1_3genE2ELNS1_11target_archE906ELNS1_3gpuE6ELNS1_3repE0EEENS1_30default_config_static_selectorELNS0_4arch9wavefront6targetE0EEEvT1_: ; @_ZN7rocprim17ROCPRIM_400000_NS6detail17trampoline_kernelINS0_14default_configENS1_25partition_config_selectorILNS1_17partition_subalgoE6EfNS0_10empty_typeEbEEZZNS1_14partition_implILS5_6ELb0ES3_mN6thrust23THRUST_200600_302600_NS6detail15normal_iteratorINSA_10device_ptrIfEEEEPS6_SG_NS0_5tupleIJSF_S6_EEENSH_IJSG_SG_EEES6_PlJ7is_evenIfEEEE10hipError_tPvRmT3_T4_T5_T6_T7_T9_mT8_P12ihipStream_tbDpT10_ENKUlT_T0_E_clISt17integral_constantIbLb1EES16_EEDaS11_S12_EUlS11_E_NS1_11comp_targetILNS1_3genE2ELNS1_11target_archE906ELNS1_3gpuE6ELNS1_3repE0EEENS1_30default_config_static_selectorELNS0_4arch9wavefront6targetE0EEEvT1_
; %bb.0:
	.section	.rodata,"a",@progbits
	.p2align	6, 0x0
	.amdhsa_kernel _ZN7rocprim17ROCPRIM_400000_NS6detail17trampoline_kernelINS0_14default_configENS1_25partition_config_selectorILNS1_17partition_subalgoE6EfNS0_10empty_typeEbEEZZNS1_14partition_implILS5_6ELb0ES3_mN6thrust23THRUST_200600_302600_NS6detail15normal_iteratorINSA_10device_ptrIfEEEEPS6_SG_NS0_5tupleIJSF_S6_EEENSH_IJSG_SG_EEES6_PlJ7is_evenIfEEEE10hipError_tPvRmT3_T4_T5_T6_T7_T9_mT8_P12ihipStream_tbDpT10_ENKUlT_T0_E_clISt17integral_constantIbLb1EES16_EEDaS11_S12_EUlS11_E_NS1_11comp_targetILNS1_3genE2ELNS1_11target_archE906ELNS1_3gpuE6ELNS1_3repE0EEENS1_30default_config_static_selectorELNS0_4arch9wavefront6targetE0EEEvT1_
		.amdhsa_group_segment_fixed_size 0
		.amdhsa_private_segment_fixed_size 0
		.amdhsa_kernarg_size 128
		.amdhsa_user_sgpr_count 15
		.amdhsa_user_sgpr_dispatch_ptr 0
		.amdhsa_user_sgpr_queue_ptr 0
		.amdhsa_user_sgpr_kernarg_segment_ptr 1
		.amdhsa_user_sgpr_dispatch_id 0
		.amdhsa_user_sgpr_private_segment_size 0
		.amdhsa_wavefront_size32 1
		.amdhsa_uses_dynamic_stack 0
		.amdhsa_enable_private_segment 0
		.amdhsa_system_sgpr_workgroup_id_x 1
		.amdhsa_system_sgpr_workgroup_id_y 0
		.amdhsa_system_sgpr_workgroup_id_z 0
		.amdhsa_system_sgpr_workgroup_info 0
		.amdhsa_system_vgpr_workitem_id 0
		.amdhsa_next_free_vgpr 1
		.amdhsa_next_free_sgpr 1
		.amdhsa_reserve_vcc 0
		.amdhsa_float_round_mode_32 0
		.amdhsa_float_round_mode_16_64 0
		.amdhsa_float_denorm_mode_32 3
		.amdhsa_float_denorm_mode_16_64 3
		.amdhsa_dx10_clamp 1
		.amdhsa_ieee_mode 1
		.amdhsa_fp16_overflow 0
		.amdhsa_workgroup_processor_mode 1
		.amdhsa_memory_ordered 1
		.amdhsa_forward_progress 0
		.amdhsa_shared_vgpr_count 0
		.amdhsa_exception_fp_ieee_invalid_op 0
		.amdhsa_exception_fp_denorm_src 0
		.amdhsa_exception_fp_ieee_div_zero 0
		.amdhsa_exception_fp_ieee_overflow 0
		.amdhsa_exception_fp_ieee_underflow 0
		.amdhsa_exception_fp_ieee_inexact 0
		.amdhsa_exception_int_div_zero 0
	.end_amdhsa_kernel
	.section	.text._ZN7rocprim17ROCPRIM_400000_NS6detail17trampoline_kernelINS0_14default_configENS1_25partition_config_selectorILNS1_17partition_subalgoE6EfNS0_10empty_typeEbEEZZNS1_14partition_implILS5_6ELb0ES3_mN6thrust23THRUST_200600_302600_NS6detail15normal_iteratorINSA_10device_ptrIfEEEEPS6_SG_NS0_5tupleIJSF_S6_EEENSH_IJSG_SG_EEES6_PlJ7is_evenIfEEEE10hipError_tPvRmT3_T4_T5_T6_T7_T9_mT8_P12ihipStream_tbDpT10_ENKUlT_T0_E_clISt17integral_constantIbLb1EES16_EEDaS11_S12_EUlS11_E_NS1_11comp_targetILNS1_3genE2ELNS1_11target_archE906ELNS1_3gpuE6ELNS1_3repE0EEENS1_30default_config_static_selectorELNS0_4arch9wavefront6targetE0EEEvT1_,"axG",@progbits,_ZN7rocprim17ROCPRIM_400000_NS6detail17trampoline_kernelINS0_14default_configENS1_25partition_config_selectorILNS1_17partition_subalgoE6EfNS0_10empty_typeEbEEZZNS1_14partition_implILS5_6ELb0ES3_mN6thrust23THRUST_200600_302600_NS6detail15normal_iteratorINSA_10device_ptrIfEEEEPS6_SG_NS0_5tupleIJSF_S6_EEENSH_IJSG_SG_EEES6_PlJ7is_evenIfEEEE10hipError_tPvRmT3_T4_T5_T6_T7_T9_mT8_P12ihipStream_tbDpT10_ENKUlT_T0_E_clISt17integral_constantIbLb1EES16_EEDaS11_S12_EUlS11_E_NS1_11comp_targetILNS1_3genE2ELNS1_11target_archE906ELNS1_3gpuE6ELNS1_3repE0EEENS1_30default_config_static_selectorELNS0_4arch9wavefront6targetE0EEEvT1_,comdat
.Lfunc_end244:
	.size	_ZN7rocprim17ROCPRIM_400000_NS6detail17trampoline_kernelINS0_14default_configENS1_25partition_config_selectorILNS1_17partition_subalgoE6EfNS0_10empty_typeEbEEZZNS1_14partition_implILS5_6ELb0ES3_mN6thrust23THRUST_200600_302600_NS6detail15normal_iteratorINSA_10device_ptrIfEEEEPS6_SG_NS0_5tupleIJSF_S6_EEENSH_IJSG_SG_EEES6_PlJ7is_evenIfEEEE10hipError_tPvRmT3_T4_T5_T6_T7_T9_mT8_P12ihipStream_tbDpT10_ENKUlT_T0_E_clISt17integral_constantIbLb1EES16_EEDaS11_S12_EUlS11_E_NS1_11comp_targetILNS1_3genE2ELNS1_11target_archE906ELNS1_3gpuE6ELNS1_3repE0EEENS1_30default_config_static_selectorELNS0_4arch9wavefront6targetE0EEEvT1_, .Lfunc_end244-_ZN7rocprim17ROCPRIM_400000_NS6detail17trampoline_kernelINS0_14default_configENS1_25partition_config_selectorILNS1_17partition_subalgoE6EfNS0_10empty_typeEbEEZZNS1_14partition_implILS5_6ELb0ES3_mN6thrust23THRUST_200600_302600_NS6detail15normal_iteratorINSA_10device_ptrIfEEEEPS6_SG_NS0_5tupleIJSF_S6_EEENSH_IJSG_SG_EEES6_PlJ7is_evenIfEEEE10hipError_tPvRmT3_T4_T5_T6_T7_T9_mT8_P12ihipStream_tbDpT10_ENKUlT_T0_E_clISt17integral_constantIbLb1EES16_EEDaS11_S12_EUlS11_E_NS1_11comp_targetILNS1_3genE2ELNS1_11target_archE906ELNS1_3gpuE6ELNS1_3repE0EEENS1_30default_config_static_selectorELNS0_4arch9wavefront6targetE0EEEvT1_
                                        ; -- End function
	.section	.AMDGPU.csdata,"",@progbits
; Kernel info:
; codeLenInByte = 0
; NumSgprs: 0
; NumVgprs: 0
; ScratchSize: 0
; MemoryBound: 0
; FloatMode: 240
; IeeeMode: 1
; LDSByteSize: 0 bytes/workgroup (compile time only)
; SGPRBlocks: 0
; VGPRBlocks: 0
; NumSGPRsForWavesPerEU: 1
; NumVGPRsForWavesPerEU: 1
; Occupancy: 16
; WaveLimiterHint : 0
; COMPUTE_PGM_RSRC2:SCRATCH_EN: 0
; COMPUTE_PGM_RSRC2:USER_SGPR: 15
; COMPUTE_PGM_RSRC2:TRAP_HANDLER: 0
; COMPUTE_PGM_RSRC2:TGID_X_EN: 1
; COMPUTE_PGM_RSRC2:TGID_Y_EN: 0
; COMPUTE_PGM_RSRC2:TGID_Z_EN: 0
; COMPUTE_PGM_RSRC2:TIDIG_COMP_CNT: 0
	.section	.text._ZN7rocprim17ROCPRIM_400000_NS6detail17trampoline_kernelINS0_14default_configENS1_25partition_config_selectorILNS1_17partition_subalgoE6EfNS0_10empty_typeEbEEZZNS1_14partition_implILS5_6ELb0ES3_mN6thrust23THRUST_200600_302600_NS6detail15normal_iteratorINSA_10device_ptrIfEEEEPS6_SG_NS0_5tupleIJSF_S6_EEENSH_IJSG_SG_EEES6_PlJ7is_evenIfEEEE10hipError_tPvRmT3_T4_T5_T6_T7_T9_mT8_P12ihipStream_tbDpT10_ENKUlT_T0_E_clISt17integral_constantIbLb1EES16_EEDaS11_S12_EUlS11_E_NS1_11comp_targetILNS1_3genE10ELNS1_11target_archE1200ELNS1_3gpuE4ELNS1_3repE0EEENS1_30default_config_static_selectorELNS0_4arch9wavefront6targetE0EEEvT1_,"axG",@progbits,_ZN7rocprim17ROCPRIM_400000_NS6detail17trampoline_kernelINS0_14default_configENS1_25partition_config_selectorILNS1_17partition_subalgoE6EfNS0_10empty_typeEbEEZZNS1_14partition_implILS5_6ELb0ES3_mN6thrust23THRUST_200600_302600_NS6detail15normal_iteratorINSA_10device_ptrIfEEEEPS6_SG_NS0_5tupleIJSF_S6_EEENSH_IJSG_SG_EEES6_PlJ7is_evenIfEEEE10hipError_tPvRmT3_T4_T5_T6_T7_T9_mT8_P12ihipStream_tbDpT10_ENKUlT_T0_E_clISt17integral_constantIbLb1EES16_EEDaS11_S12_EUlS11_E_NS1_11comp_targetILNS1_3genE10ELNS1_11target_archE1200ELNS1_3gpuE4ELNS1_3repE0EEENS1_30default_config_static_selectorELNS0_4arch9wavefront6targetE0EEEvT1_,comdat
	.protected	_ZN7rocprim17ROCPRIM_400000_NS6detail17trampoline_kernelINS0_14default_configENS1_25partition_config_selectorILNS1_17partition_subalgoE6EfNS0_10empty_typeEbEEZZNS1_14partition_implILS5_6ELb0ES3_mN6thrust23THRUST_200600_302600_NS6detail15normal_iteratorINSA_10device_ptrIfEEEEPS6_SG_NS0_5tupleIJSF_S6_EEENSH_IJSG_SG_EEES6_PlJ7is_evenIfEEEE10hipError_tPvRmT3_T4_T5_T6_T7_T9_mT8_P12ihipStream_tbDpT10_ENKUlT_T0_E_clISt17integral_constantIbLb1EES16_EEDaS11_S12_EUlS11_E_NS1_11comp_targetILNS1_3genE10ELNS1_11target_archE1200ELNS1_3gpuE4ELNS1_3repE0EEENS1_30default_config_static_selectorELNS0_4arch9wavefront6targetE0EEEvT1_ ; -- Begin function _ZN7rocprim17ROCPRIM_400000_NS6detail17trampoline_kernelINS0_14default_configENS1_25partition_config_selectorILNS1_17partition_subalgoE6EfNS0_10empty_typeEbEEZZNS1_14partition_implILS5_6ELb0ES3_mN6thrust23THRUST_200600_302600_NS6detail15normal_iteratorINSA_10device_ptrIfEEEEPS6_SG_NS0_5tupleIJSF_S6_EEENSH_IJSG_SG_EEES6_PlJ7is_evenIfEEEE10hipError_tPvRmT3_T4_T5_T6_T7_T9_mT8_P12ihipStream_tbDpT10_ENKUlT_T0_E_clISt17integral_constantIbLb1EES16_EEDaS11_S12_EUlS11_E_NS1_11comp_targetILNS1_3genE10ELNS1_11target_archE1200ELNS1_3gpuE4ELNS1_3repE0EEENS1_30default_config_static_selectorELNS0_4arch9wavefront6targetE0EEEvT1_
	.globl	_ZN7rocprim17ROCPRIM_400000_NS6detail17trampoline_kernelINS0_14default_configENS1_25partition_config_selectorILNS1_17partition_subalgoE6EfNS0_10empty_typeEbEEZZNS1_14partition_implILS5_6ELb0ES3_mN6thrust23THRUST_200600_302600_NS6detail15normal_iteratorINSA_10device_ptrIfEEEEPS6_SG_NS0_5tupleIJSF_S6_EEENSH_IJSG_SG_EEES6_PlJ7is_evenIfEEEE10hipError_tPvRmT3_T4_T5_T6_T7_T9_mT8_P12ihipStream_tbDpT10_ENKUlT_T0_E_clISt17integral_constantIbLb1EES16_EEDaS11_S12_EUlS11_E_NS1_11comp_targetILNS1_3genE10ELNS1_11target_archE1200ELNS1_3gpuE4ELNS1_3repE0EEENS1_30default_config_static_selectorELNS0_4arch9wavefront6targetE0EEEvT1_
	.p2align	8
	.type	_ZN7rocprim17ROCPRIM_400000_NS6detail17trampoline_kernelINS0_14default_configENS1_25partition_config_selectorILNS1_17partition_subalgoE6EfNS0_10empty_typeEbEEZZNS1_14partition_implILS5_6ELb0ES3_mN6thrust23THRUST_200600_302600_NS6detail15normal_iteratorINSA_10device_ptrIfEEEEPS6_SG_NS0_5tupleIJSF_S6_EEENSH_IJSG_SG_EEES6_PlJ7is_evenIfEEEE10hipError_tPvRmT3_T4_T5_T6_T7_T9_mT8_P12ihipStream_tbDpT10_ENKUlT_T0_E_clISt17integral_constantIbLb1EES16_EEDaS11_S12_EUlS11_E_NS1_11comp_targetILNS1_3genE10ELNS1_11target_archE1200ELNS1_3gpuE4ELNS1_3repE0EEENS1_30default_config_static_selectorELNS0_4arch9wavefront6targetE0EEEvT1_,@function
_ZN7rocprim17ROCPRIM_400000_NS6detail17trampoline_kernelINS0_14default_configENS1_25partition_config_selectorILNS1_17partition_subalgoE6EfNS0_10empty_typeEbEEZZNS1_14partition_implILS5_6ELb0ES3_mN6thrust23THRUST_200600_302600_NS6detail15normal_iteratorINSA_10device_ptrIfEEEEPS6_SG_NS0_5tupleIJSF_S6_EEENSH_IJSG_SG_EEES6_PlJ7is_evenIfEEEE10hipError_tPvRmT3_T4_T5_T6_T7_T9_mT8_P12ihipStream_tbDpT10_ENKUlT_T0_E_clISt17integral_constantIbLb1EES16_EEDaS11_S12_EUlS11_E_NS1_11comp_targetILNS1_3genE10ELNS1_11target_archE1200ELNS1_3gpuE4ELNS1_3repE0EEENS1_30default_config_static_selectorELNS0_4arch9wavefront6targetE0EEEvT1_: ; @_ZN7rocprim17ROCPRIM_400000_NS6detail17trampoline_kernelINS0_14default_configENS1_25partition_config_selectorILNS1_17partition_subalgoE6EfNS0_10empty_typeEbEEZZNS1_14partition_implILS5_6ELb0ES3_mN6thrust23THRUST_200600_302600_NS6detail15normal_iteratorINSA_10device_ptrIfEEEEPS6_SG_NS0_5tupleIJSF_S6_EEENSH_IJSG_SG_EEES6_PlJ7is_evenIfEEEE10hipError_tPvRmT3_T4_T5_T6_T7_T9_mT8_P12ihipStream_tbDpT10_ENKUlT_T0_E_clISt17integral_constantIbLb1EES16_EEDaS11_S12_EUlS11_E_NS1_11comp_targetILNS1_3genE10ELNS1_11target_archE1200ELNS1_3gpuE4ELNS1_3repE0EEENS1_30default_config_static_selectorELNS0_4arch9wavefront6targetE0EEEvT1_
; %bb.0:
	.section	.rodata,"a",@progbits
	.p2align	6, 0x0
	.amdhsa_kernel _ZN7rocprim17ROCPRIM_400000_NS6detail17trampoline_kernelINS0_14default_configENS1_25partition_config_selectorILNS1_17partition_subalgoE6EfNS0_10empty_typeEbEEZZNS1_14partition_implILS5_6ELb0ES3_mN6thrust23THRUST_200600_302600_NS6detail15normal_iteratorINSA_10device_ptrIfEEEEPS6_SG_NS0_5tupleIJSF_S6_EEENSH_IJSG_SG_EEES6_PlJ7is_evenIfEEEE10hipError_tPvRmT3_T4_T5_T6_T7_T9_mT8_P12ihipStream_tbDpT10_ENKUlT_T0_E_clISt17integral_constantIbLb1EES16_EEDaS11_S12_EUlS11_E_NS1_11comp_targetILNS1_3genE10ELNS1_11target_archE1200ELNS1_3gpuE4ELNS1_3repE0EEENS1_30default_config_static_selectorELNS0_4arch9wavefront6targetE0EEEvT1_
		.amdhsa_group_segment_fixed_size 0
		.amdhsa_private_segment_fixed_size 0
		.amdhsa_kernarg_size 128
		.amdhsa_user_sgpr_count 15
		.amdhsa_user_sgpr_dispatch_ptr 0
		.amdhsa_user_sgpr_queue_ptr 0
		.amdhsa_user_sgpr_kernarg_segment_ptr 1
		.amdhsa_user_sgpr_dispatch_id 0
		.amdhsa_user_sgpr_private_segment_size 0
		.amdhsa_wavefront_size32 1
		.amdhsa_uses_dynamic_stack 0
		.amdhsa_enable_private_segment 0
		.amdhsa_system_sgpr_workgroup_id_x 1
		.amdhsa_system_sgpr_workgroup_id_y 0
		.amdhsa_system_sgpr_workgroup_id_z 0
		.amdhsa_system_sgpr_workgroup_info 0
		.amdhsa_system_vgpr_workitem_id 0
		.amdhsa_next_free_vgpr 1
		.amdhsa_next_free_sgpr 1
		.amdhsa_reserve_vcc 0
		.amdhsa_float_round_mode_32 0
		.amdhsa_float_round_mode_16_64 0
		.amdhsa_float_denorm_mode_32 3
		.amdhsa_float_denorm_mode_16_64 3
		.amdhsa_dx10_clamp 1
		.amdhsa_ieee_mode 1
		.amdhsa_fp16_overflow 0
		.amdhsa_workgroup_processor_mode 1
		.amdhsa_memory_ordered 1
		.amdhsa_forward_progress 0
		.amdhsa_shared_vgpr_count 0
		.amdhsa_exception_fp_ieee_invalid_op 0
		.amdhsa_exception_fp_denorm_src 0
		.amdhsa_exception_fp_ieee_div_zero 0
		.amdhsa_exception_fp_ieee_overflow 0
		.amdhsa_exception_fp_ieee_underflow 0
		.amdhsa_exception_fp_ieee_inexact 0
		.amdhsa_exception_int_div_zero 0
	.end_amdhsa_kernel
	.section	.text._ZN7rocprim17ROCPRIM_400000_NS6detail17trampoline_kernelINS0_14default_configENS1_25partition_config_selectorILNS1_17partition_subalgoE6EfNS0_10empty_typeEbEEZZNS1_14partition_implILS5_6ELb0ES3_mN6thrust23THRUST_200600_302600_NS6detail15normal_iteratorINSA_10device_ptrIfEEEEPS6_SG_NS0_5tupleIJSF_S6_EEENSH_IJSG_SG_EEES6_PlJ7is_evenIfEEEE10hipError_tPvRmT3_T4_T5_T6_T7_T9_mT8_P12ihipStream_tbDpT10_ENKUlT_T0_E_clISt17integral_constantIbLb1EES16_EEDaS11_S12_EUlS11_E_NS1_11comp_targetILNS1_3genE10ELNS1_11target_archE1200ELNS1_3gpuE4ELNS1_3repE0EEENS1_30default_config_static_selectorELNS0_4arch9wavefront6targetE0EEEvT1_,"axG",@progbits,_ZN7rocprim17ROCPRIM_400000_NS6detail17trampoline_kernelINS0_14default_configENS1_25partition_config_selectorILNS1_17partition_subalgoE6EfNS0_10empty_typeEbEEZZNS1_14partition_implILS5_6ELb0ES3_mN6thrust23THRUST_200600_302600_NS6detail15normal_iteratorINSA_10device_ptrIfEEEEPS6_SG_NS0_5tupleIJSF_S6_EEENSH_IJSG_SG_EEES6_PlJ7is_evenIfEEEE10hipError_tPvRmT3_T4_T5_T6_T7_T9_mT8_P12ihipStream_tbDpT10_ENKUlT_T0_E_clISt17integral_constantIbLb1EES16_EEDaS11_S12_EUlS11_E_NS1_11comp_targetILNS1_3genE10ELNS1_11target_archE1200ELNS1_3gpuE4ELNS1_3repE0EEENS1_30default_config_static_selectorELNS0_4arch9wavefront6targetE0EEEvT1_,comdat
.Lfunc_end245:
	.size	_ZN7rocprim17ROCPRIM_400000_NS6detail17trampoline_kernelINS0_14default_configENS1_25partition_config_selectorILNS1_17partition_subalgoE6EfNS0_10empty_typeEbEEZZNS1_14partition_implILS5_6ELb0ES3_mN6thrust23THRUST_200600_302600_NS6detail15normal_iteratorINSA_10device_ptrIfEEEEPS6_SG_NS0_5tupleIJSF_S6_EEENSH_IJSG_SG_EEES6_PlJ7is_evenIfEEEE10hipError_tPvRmT3_T4_T5_T6_T7_T9_mT8_P12ihipStream_tbDpT10_ENKUlT_T0_E_clISt17integral_constantIbLb1EES16_EEDaS11_S12_EUlS11_E_NS1_11comp_targetILNS1_3genE10ELNS1_11target_archE1200ELNS1_3gpuE4ELNS1_3repE0EEENS1_30default_config_static_selectorELNS0_4arch9wavefront6targetE0EEEvT1_, .Lfunc_end245-_ZN7rocprim17ROCPRIM_400000_NS6detail17trampoline_kernelINS0_14default_configENS1_25partition_config_selectorILNS1_17partition_subalgoE6EfNS0_10empty_typeEbEEZZNS1_14partition_implILS5_6ELb0ES3_mN6thrust23THRUST_200600_302600_NS6detail15normal_iteratorINSA_10device_ptrIfEEEEPS6_SG_NS0_5tupleIJSF_S6_EEENSH_IJSG_SG_EEES6_PlJ7is_evenIfEEEE10hipError_tPvRmT3_T4_T5_T6_T7_T9_mT8_P12ihipStream_tbDpT10_ENKUlT_T0_E_clISt17integral_constantIbLb1EES16_EEDaS11_S12_EUlS11_E_NS1_11comp_targetILNS1_3genE10ELNS1_11target_archE1200ELNS1_3gpuE4ELNS1_3repE0EEENS1_30default_config_static_selectorELNS0_4arch9wavefront6targetE0EEEvT1_
                                        ; -- End function
	.section	.AMDGPU.csdata,"",@progbits
; Kernel info:
; codeLenInByte = 0
; NumSgprs: 0
; NumVgprs: 0
; ScratchSize: 0
; MemoryBound: 0
; FloatMode: 240
; IeeeMode: 1
; LDSByteSize: 0 bytes/workgroup (compile time only)
; SGPRBlocks: 0
; VGPRBlocks: 0
; NumSGPRsForWavesPerEU: 1
; NumVGPRsForWavesPerEU: 1
; Occupancy: 15
; WaveLimiterHint : 0
; COMPUTE_PGM_RSRC2:SCRATCH_EN: 0
; COMPUTE_PGM_RSRC2:USER_SGPR: 15
; COMPUTE_PGM_RSRC2:TRAP_HANDLER: 0
; COMPUTE_PGM_RSRC2:TGID_X_EN: 1
; COMPUTE_PGM_RSRC2:TGID_Y_EN: 0
; COMPUTE_PGM_RSRC2:TGID_Z_EN: 0
; COMPUTE_PGM_RSRC2:TIDIG_COMP_CNT: 0
	.section	.text._ZN7rocprim17ROCPRIM_400000_NS6detail17trampoline_kernelINS0_14default_configENS1_25partition_config_selectorILNS1_17partition_subalgoE6EfNS0_10empty_typeEbEEZZNS1_14partition_implILS5_6ELb0ES3_mN6thrust23THRUST_200600_302600_NS6detail15normal_iteratorINSA_10device_ptrIfEEEEPS6_SG_NS0_5tupleIJSF_S6_EEENSH_IJSG_SG_EEES6_PlJ7is_evenIfEEEE10hipError_tPvRmT3_T4_T5_T6_T7_T9_mT8_P12ihipStream_tbDpT10_ENKUlT_T0_E_clISt17integral_constantIbLb1EES16_EEDaS11_S12_EUlS11_E_NS1_11comp_targetILNS1_3genE9ELNS1_11target_archE1100ELNS1_3gpuE3ELNS1_3repE0EEENS1_30default_config_static_selectorELNS0_4arch9wavefront6targetE0EEEvT1_,"axG",@progbits,_ZN7rocprim17ROCPRIM_400000_NS6detail17trampoline_kernelINS0_14default_configENS1_25partition_config_selectorILNS1_17partition_subalgoE6EfNS0_10empty_typeEbEEZZNS1_14partition_implILS5_6ELb0ES3_mN6thrust23THRUST_200600_302600_NS6detail15normal_iteratorINSA_10device_ptrIfEEEEPS6_SG_NS0_5tupleIJSF_S6_EEENSH_IJSG_SG_EEES6_PlJ7is_evenIfEEEE10hipError_tPvRmT3_T4_T5_T6_T7_T9_mT8_P12ihipStream_tbDpT10_ENKUlT_T0_E_clISt17integral_constantIbLb1EES16_EEDaS11_S12_EUlS11_E_NS1_11comp_targetILNS1_3genE9ELNS1_11target_archE1100ELNS1_3gpuE3ELNS1_3repE0EEENS1_30default_config_static_selectorELNS0_4arch9wavefront6targetE0EEEvT1_,comdat
	.protected	_ZN7rocprim17ROCPRIM_400000_NS6detail17trampoline_kernelINS0_14default_configENS1_25partition_config_selectorILNS1_17partition_subalgoE6EfNS0_10empty_typeEbEEZZNS1_14partition_implILS5_6ELb0ES3_mN6thrust23THRUST_200600_302600_NS6detail15normal_iteratorINSA_10device_ptrIfEEEEPS6_SG_NS0_5tupleIJSF_S6_EEENSH_IJSG_SG_EEES6_PlJ7is_evenIfEEEE10hipError_tPvRmT3_T4_T5_T6_T7_T9_mT8_P12ihipStream_tbDpT10_ENKUlT_T0_E_clISt17integral_constantIbLb1EES16_EEDaS11_S12_EUlS11_E_NS1_11comp_targetILNS1_3genE9ELNS1_11target_archE1100ELNS1_3gpuE3ELNS1_3repE0EEENS1_30default_config_static_selectorELNS0_4arch9wavefront6targetE0EEEvT1_ ; -- Begin function _ZN7rocprim17ROCPRIM_400000_NS6detail17trampoline_kernelINS0_14default_configENS1_25partition_config_selectorILNS1_17partition_subalgoE6EfNS0_10empty_typeEbEEZZNS1_14partition_implILS5_6ELb0ES3_mN6thrust23THRUST_200600_302600_NS6detail15normal_iteratorINSA_10device_ptrIfEEEEPS6_SG_NS0_5tupleIJSF_S6_EEENSH_IJSG_SG_EEES6_PlJ7is_evenIfEEEE10hipError_tPvRmT3_T4_T5_T6_T7_T9_mT8_P12ihipStream_tbDpT10_ENKUlT_T0_E_clISt17integral_constantIbLb1EES16_EEDaS11_S12_EUlS11_E_NS1_11comp_targetILNS1_3genE9ELNS1_11target_archE1100ELNS1_3gpuE3ELNS1_3repE0EEENS1_30default_config_static_selectorELNS0_4arch9wavefront6targetE0EEEvT1_
	.globl	_ZN7rocprim17ROCPRIM_400000_NS6detail17trampoline_kernelINS0_14default_configENS1_25partition_config_selectorILNS1_17partition_subalgoE6EfNS0_10empty_typeEbEEZZNS1_14partition_implILS5_6ELb0ES3_mN6thrust23THRUST_200600_302600_NS6detail15normal_iteratorINSA_10device_ptrIfEEEEPS6_SG_NS0_5tupleIJSF_S6_EEENSH_IJSG_SG_EEES6_PlJ7is_evenIfEEEE10hipError_tPvRmT3_T4_T5_T6_T7_T9_mT8_P12ihipStream_tbDpT10_ENKUlT_T0_E_clISt17integral_constantIbLb1EES16_EEDaS11_S12_EUlS11_E_NS1_11comp_targetILNS1_3genE9ELNS1_11target_archE1100ELNS1_3gpuE3ELNS1_3repE0EEENS1_30default_config_static_selectorELNS0_4arch9wavefront6targetE0EEEvT1_
	.p2align	8
	.type	_ZN7rocprim17ROCPRIM_400000_NS6detail17trampoline_kernelINS0_14default_configENS1_25partition_config_selectorILNS1_17partition_subalgoE6EfNS0_10empty_typeEbEEZZNS1_14partition_implILS5_6ELb0ES3_mN6thrust23THRUST_200600_302600_NS6detail15normal_iteratorINSA_10device_ptrIfEEEEPS6_SG_NS0_5tupleIJSF_S6_EEENSH_IJSG_SG_EEES6_PlJ7is_evenIfEEEE10hipError_tPvRmT3_T4_T5_T6_T7_T9_mT8_P12ihipStream_tbDpT10_ENKUlT_T0_E_clISt17integral_constantIbLb1EES16_EEDaS11_S12_EUlS11_E_NS1_11comp_targetILNS1_3genE9ELNS1_11target_archE1100ELNS1_3gpuE3ELNS1_3repE0EEENS1_30default_config_static_selectorELNS0_4arch9wavefront6targetE0EEEvT1_,@function
_ZN7rocprim17ROCPRIM_400000_NS6detail17trampoline_kernelINS0_14default_configENS1_25partition_config_selectorILNS1_17partition_subalgoE6EfNS0_10empty_typeEbEEZZNS1_14partition_implILS5_6ELb0ES3_mN6thrust23THRUST_200600_302600_NS6detail15normal_iteratorINSA_10device_ptrIfEEEEPS6_SG_NS0_5tupleIJSF_S6_EEENSH_IJSG_SG_EEES6_PlJ7is_evenIfEEEE10hipError_tPvRmT3_T4_T5_T6_T7_T9_mT8_P12ihipStream_tbDpT10_ENKUlT_T0_E_clISt17integral_constantIbLb1EES16_EEDaS11_S12_EUlS11_E_NS1_11comp_targetILNS1_3genE9ELNS1_11target_archE1100ELNS1_3gpuE3ELNS1_3repE0EEENS1_30default_config_static_selectorELNS0_4arch9wavefront6targetE0EEEvT1_: ; @_ZN7rocprim17ROCPRIM_400000_NS6detail17trampoline_kernelINS0_14default_configENS1_25partition_config_selectorILNS1_17partition_subalgoE6EfNS0_10empty_typeEbEEZZNS1_14partition_implILS5_6ELb0ES3_mN6thrust23THRUST_200600_302600_NS6detail15normal_iteratorINSA_10device_ptrIfEEEEPS6_SG_NS0_5tupleIJSF_S6_EEENSH_IJSG_SG_EEES6_PlJ7is_evenIfEEEE10hipError_tPvRmT3_T4_T5_T6_T7_T9_mT8_P12ihipStream_tbDpT10_ENKUlT_T0_E_clISt17integral_constantIbLb1EES16_EEDaS11_S12_EUlS11_E_NS1_11comp_targetILNS1_3genE9ELNS1_11target_archE1100ELNS1_3gpuE3ELNS1_3repE0EEENS1_30default_config_static_selectorELNS0_4arch9wavefront6targetE0EEEvT1_
; %bb.0:
	s_clause 0x3
	s_load_b64 s[12:13], s[0:1], 0x28
	s_load_b128 s[4:7], s[0:1], 0x40
	s_load_b64 s[16:17], s[0:1], 0x50
	s_load_b64 s[14:15], s[0:1], 0x60
	v_cmp_eq_u32_e64 s2, 0, v0
	s_delay_alu instid0(VALU_DEP_1)
	s_and_saveexec_b32 s3, s2
	s_cbranch_execz .LBB246_4
; %bb.1:
	s_mov_b32 s9, exec_lo
	s_mov_b32 s8, exec_lo
	v_mbcnt_lo_u32_b32 v1, s9, 0
                                        ; implicit-def: $vgpr2
	s_delay_alu instid0(VALU_DEP_1)
	v_cmpx_eq_u32_e32 0, v1
	s_cbranch_execz .LBB246_3
; %bb.2:
	s_load_b64 s[10:11], s[0:1], 0x70
	s_bcnt1_i32_b32 s9, s9
	s_delay_alu instid0(SALU_CYCLE_1)
	v_dual_mov_b32 v2, 0 :: v_dual_mov_b32 v3, s9
	s_waitcnt lgkmcnt(0)
	global_atomic_add_u32 v2, v2, v3, s[10:11] glc
.LBB246_3:
	s_or_b32 exec_lo, exec_lo, s8
	s_waitcnt vmcnt(0)
	v_readfirstlane_b32 s8, v2
	s_delay_alu instid0(VALU_DEP_1)
	v_dual_mov_b32 v2, 0 :: v_dual_add_nc_u32 v1, s8, v1
	ds_store_b32 v2, v1
.LBB246_4:
	s_or_b32 exec_lo, exec_lo, s3
	v_dual_mov_b32 v2, 0 :: v_dual_lshlrev_b32 v17, 2, v0
	s_clause 0x1
	s_load_b128 s[8:11], s[0:1], 0x8
	s_load_b32 s0, s[0:1], 0x68
	s_waitcnt lgkmcnt(0)
	s_barrier
	buffer_gl0_inv
	ds_load_b32 v1, v2
	s_waitcnt lgkmcnt(0)
	s_barrier
	buffer_gl0_inv
	global_load_b64 v[49:50], v2, s[6:7]
	s_lshl_b64 s[6:7], s[10:11], 2
	s_mul_i32 s3, s0, 0x700
	s_add_u32 s1, s8, s6
	s_addc_u32 s18, s9, s7
	s_add_i32 s6, s3, s10
	v_readfirstlane_b32 s7, v1
	v_mul_lo_u32 v1, 0x700, v1
	s_add_i32 s19, s0, -1
	s_sub_i32 s0, s16, s6
	s_add_u32 s8, s10, s3
	s_addc_u32 s9, s11, 0
	s_cmp_eq_u32 s7, s19
	v_cmp_ge_u64_e64 s6, s[8:9], s[16:17]
	s_cselect_b32 s3, -1, 0
	v_lshlrev_b64 v[1:2], 2, v[1:2]
	s_delay_alu instid0(VALU_DEP_2) | instskip(NEXT) | instid1(VALU_DEP_1)
	s_and_b32 s6, s6, s3
	v_add_co_u32 v18, vcc_lo, s1, v1
	s_delay_alu instid0(VALU_DEP_2)
	v_add_co_ci_u32_e32 v19, vcc_lo, s18, v2, vcc_lo
	s_xor_b32 s6, s6, -1
	s_mov_b32 s1, -1
	s_and_b32 vcc_lo, exec_lo, s6
	s_cbranch_vccz .LBB246_6
; %bb.5:
	v_add_co_u32 v1, vcc_lo, v18, v17
	v_add_co_ci_u32_e32 v2, vcc_lo, 0, v19, vcc_lo
	s_mov_b32 s1, 0
	s_delay_alu instid0(VALU_DEP_2) | instskip(NEXT) | instid1(VALU_DEP_2)
	v_add_co_u32 v3, vcc_lo, 0x1000, v1
	v_add_co_ci_u32_e32 v4, vcc_lo, 0, v2, vcc_lo
	s_clause 0xd
	flat_load_b32 v5, v[1:2]
	flat_load_b32 v6, v[1:2] offset:512
	flat_load_b32 v7, v[1:2] offset:1024
	;; [unrolled: 1-line block ×7, first 2 shown]
	flat_load_b32 v2, v[3:4]
	flat_load_b32 v12, v[3:4] offset:512
	flat_load_b32 v13, v[3:4] offset:1024
	;; [unrolled: 1-line block ×5, first 2 shown]
	s_waitcnt vmcnt(12) lgkmcnt(12)
	ds_store_2addr_stride64_b32 v17, v5, v6 offset1:2
	s_waitcnt vmcnt(10) lgkmcnt(11)
	ds_store_2addr_stride64_b32 v17, v7, v8 offset0:4 offset1:6
	s_waitcnt vmcnt(8) lgkmcnt(10)
	ds_store_2addr_stride64_b32 v17, v9, v10 offset0:8 offset1:10
	;; [unrolled: 2-line block ×6, first 2 shown]
	s_waitcnt lgkmcnt(0)
	s_barrier
.LBB246_6:
	s_and_not1_b32 vcc_lo, exec_lo, s1
	s_addk_i32 s0, 0x700
	s_cbranch_vccnz .LBB246_36
; %bb.7:
	s_mov_b32 s1, exec_lo
                                        ; implicit-def: $vgpr1_vgpr2_vgpr3_vgpr4_vgpr5_vgpr6_vgpr7_vgpr8_vgpr9_vgpr10_vgpr11_vgpr12_vgpr13_vgpr14_vgpr15_vgpr16
	v_cmpx_gt_u32_e64 s0, v0
	s_cbranch_execz .LBB246_9
; %bb.8:
	v_add_co_u32 v1, vcc_lo, v18, v17
	v_add_co_ci_u32_e32 v2, vcc_lo, 0, v19, vcc_lo
	flat_load_b32 v1, v[1:2]
.LBB246_9:
	s_or_b32 exec_lo, exec_lo, s1
	v_or_b32_e32 v15, 0x80, v0
	s_mov_b32 s1, exec_lo
	s_delay_alu instid0(VALU_DEP_1)
	v_cmpx_gt_u32_e64 s0, v15
	s_cbranch_execz .LBB246_11
; %bb.10:
	v_add_co_u32 v15, vcc_lo, v18, v17
	v_add_co_ci_u32_e32 v16, vcc_lo, 0, v19, vcc_lo
	flat_load_b32 v2, v[15:16] offset:512
.LBB246_11:
	s_or_b32 exec_lo, exec_lo, s1
	v_or_b32_e32 v15, 0x100, v0
	s_mov_b32 s1, exec_lo
	s_delay_alu instid0(VALU_DEP_1)
	v_cmpx_gt_u32_e64 s0, v15
	s_cbranch_execz .LBB246_13
; %bb.12:
	v_add_co_u32 v15, vcc_lo, v18, v17
	v_add_co_ci_u32_e32 v16, vcc_lo, 0, v19, vcc_lo
	flat_load_b32 v3, v[15:16] offset:1024
.LBB246_13:
	;; [unrolled: 11-line block ×7, first 2 shown]
	s_or_b32 exec_lo, exec_lo, s1
	v_or_b32_e32 v15, 0x400, v0
	s_mov_b32 s1, exec_lo
	s_delay_alu instid0(VALU_DEP_1)
	v_cmpx_gt_u32_e64 s0, v15
	s_cbranch_execz .LBB246_25
; %bb.24:
	v_lshlrev_b32_e32 v9, 2, v15
	s_delay_alu instid0(VALU_DEP_1)
	v_add_co_u32 v15, vcc_lo, v18, v9
	v_add_co_ci_u32_e32 v16, vcc_lo, 0, v19, vcc_lo
	flat_load_b32 v9, v[15:16]
.LBB246_25:
	s_or_b32 exec_lo, exec_lo, s1
	v_or_b32_e32 v15, 0x480, v0
	s_mov_b32 s1, exec_lo
	s_delay_alu instid0(VALU_DEP_1)
	v_cmpx_gt_u32_e64 s0, v15
	s_cbranch_execz .LBB246_27
; %bb.26:
	v_lshlrev_b32_e32 v10, 2, v15
	s_delay_alu instid0(VALU_DEP_1)
	v_add_co_u32 v15, vcc_lo, v18, v10
	v_add_co_ci_u32_e32 v16, vcc_lo, 0, v19, vcc_lo
	flat_load_b32 v10, v[15:16]
.LBB246_27:
	;; [unrolled: 13-line block ×6, first 2 shown]
	s_or_b32 exec_lo, exec_lo, s1
	s_waitcnt vmcnt(0) lgkmcnt(0)
	ds_store_2addr_stride64_b32 v17, v1, v2 offset1:2
	ds_store_2addr_stride64_b32 v17, v3, v4 offset0:4 offset1:6
	ds_store_2addr_stride64_b32 v17, v5, v6 offset0:8 offset1:10
	;; [unrolled: 1-line block ×6, first 2 shown]
	s_waitcnt lgkmcnt(0)
	s_barrier
.LBB246_36:
	v_mul_u32_u24_e32 v7, 14, v0
	s_waitcnt vmcnt(0)
	buffer_gl0_inv
	s_and_not1_b32 vcc_lo, exec_lo, s6
	v_lshlrev_b32_e32 v63, 2, v7
	ds_load_2addr_b64 v[41:44], v63 offset1:1
	ds_load_2addr_b64 v[37:40], v63 offset0:2 offset1:3
	ds_load_2addr_b64 v[33:36], v63 offset0:4 offset1:5
	ds_load_b64 v[51:52], v63 offset:48
	s_waitcnt lgkmcnt(0)
	s_barrier
	buffer_gl0_inv
	v_cvt_u32_f32_e32 v1, v41
	v_cvt_u32_f32_e32 v2, v42
	;; [unrolled: 1-line block ×14, first 2 shown]
	v_xor_b32_e32 v13, -1, v1
	v_xor_b32_e32 v14, -1, v2
	;; [unrolled: 1-line block ×14, first 2 shown]
	s_cbranch_vccnz .LBB246_38
; %bb.37:
	v_and_b32_e32 v16, 1, v14
	v_and_b32_e32 v17, 1, v13
	;; [unrolled: 1-line block ×5, first 2 shown]
	v_lshlrev_b16 v16, 8, v16
	v_and_b32_e32 v26, 1, v6
	v_and_b32_e32 v18, 1, v15
	;; [unrolled: 1-line block ×4, first 2 shown]
	v_or_b32_e32 v16, v17, v16
	v_and_b32_e32 v17, 1, v4
	v_and_b32_e32 v24, 1, v3
	;; [unrolled: 1-line block ×3, first 2 shown]
	v_lshlrev_b16 v19, 8, v19
	v_lshlrev_b16 v21, 8, v21
	;; [unrolled: 1-line block ×5, first 2 shown]
	v_or_b32_e32 v18, v18, v19
	v_or_b32_e32 v19, v20, v21
	;; [unrolled: 1-line block ×5, first 2 shown]
	v_and_b32_e32 v16, 0xffff, v16
	v_lshlrev_b32_e32 v18, 16, v18
	v_and_b32_e32 v19, 0xffff, v19
	v_lshlrev_b32_e32 v20, 16, v20
	;; [unrolled: 2-line block ×3, first 2 shown]
	v_and_b32_e32 v56, 1, v1
	v_and_b32_e32 v55, 1, v2
	v_or_b32_e32 v61, v16, v18
	v_or_b32_e32 v58, v19, v20
	;; [unrolled: 1-line block ×3, first 2 shown]
	s_cbranch_execz .LBB246_39
	s_branch .LBB246_40
.LBB246_38:
                                        ; implicit-def: $vgpr55
                                        ; implicit-def: $vgpr56
                                        ; implicit-def: $vgpr57
                                        ; implicit-def: $vgpr58
                                        ; implicit-def: $vgpr61
.LBB246_39:
	v_or_b32_e32 v16, 1, v7
	v_cmp_gt_u32_e32 vcc_lo, s0, v7
	v_add_nc_u32_e32 v17, 2, v7
	v_add_nc_u32_e32 v18, 3, v7
	;; [unrolled: 1-line block ×4, first 2 shown]
	v_cndmask_b32_e64 v27, 0, 1, vcc_lo
	v_cmp_gt_u32_e32 vcc_lo, s0, v16
	v_add_nc_u32_e32 v21, 6, v7
	v_add_nc_u32_e32 v22, 7, v7
	;; [unrolled: 1-line block ×4, first 2 shown]
	v_cndmask_b32_e64 v16, 0, 1, vcc_lo
	v_cmp_gt_u32_e32 vcc_lo, s0, v17
	v_add_nc_u32_e32 v25, 10, v7
	v_add_nc_u32_e32 v26, 11, v7
	;; [unrolled: 1-line block ×3, first 2 shown]
	v_and_b32_e32 v14, v16, v14
	v_cndmask_b32_e64 v17, 0, 1, vcc_lo
	v_cmp_gt_u32_e32 vcc_lo, s0, v18
	v_add_nc_u32_e32 v7, 13, v7
	v_and_b32_e32 v13, v27, v13
	v_lshlrev_b16 v14, 8, v14
	v_and_b32_e32 v15, v17, v15
	v_cndmask_b32_e64 v16, 0, 1, vcc_lo
	v_cmp_gt_u32_e32 vcc_lo, s0, v19
	s_delay_alu instid0(VALU_DEP_4) | instskip(NEXT) | instid1(VALU_DEP_3)
	v_or_b32_e32 v13, v13, v14
	v_and_b32_e32 v8, v16, v8
	v_cndmask_b32_e64 v17, 0, 1, vcc_lo
	v_cmp_gt_u32_e32 vcc_lo, s0, v20
	s_delay_alu instid0(VALU_DEP_4) | instskip(NEXT) | instid1(VALU_DEP_4)
	v_and_b32_e32 v13, 0xffff, v13
	v_lshlrev_b16 v8, 8, v8
	s_delay_alu instid0(VALU_DEP_4) | instskip(SKIP_2) | instid1(VALU_DEP_4)
	v_and_b32_e32 v9, v17, v9
	v_cndmask_b32_e64 v18, 0, 1, vcc_lo
	v_cmp_gt_u32_e32 vcc_lo, s0, v21
	v_or_b32_e32 v8, v15, v8
	s_delay_alu instid0(VALU_DEP_3) | instskip(SKIP_2) | instid1(VALU_DEP_3)
	v_and_b32_e32 v10, v18, v10
	v_cndmask_b32_e64 v19, 0, 1, vcc_lo
	v_cmp_gt_u32_e32 vcc_lo, s0, v22
	v_lshlrev_b16 v10, 8, v10
	s_delay_alu instid0(VALU_DEP_3) | instskip(SKIP_2) | instid1(VALU_DEP_4)
	v_and_b32_e32 v11, v19, v11
	v_cndmask_b32_e64 v20, 0, 1, vcc_lo
	v_cmp_gt_u32_e32 vcc_lo, s0, v23
	v_or_b32_e32 v9, v9, v10
	s_delay_alu instid0(VALU_DEP_3) | instskip(SKIP_2) | instid1(VALU_DEP_3)
	v_and_b32_e32 v12, v20, v12
	v_cndmask_b32_e64 v16, 0, 1, vcc_lo
	v_cmp_gt_u32_e32 vcc_lo, s0, v24
	v_lshlrev_b16 v12, 8, v12
	s_delay_alu instid0(VALU_DEP_3) | instskip(SKIP_2) | instid1(VALU_DEP_4)
	;; [unrolled: 10-line block ×3, first 2 shown]
	v_and_b32_e32 v5, v18, v5
	v_cndmask_b32_e64 v19, 0, 1, vcc_lo
	v_cmp_gt_u32_e32 vcc_lo, s0, v28
	v_or_b32_e32 v3, v3, v4
	s_delay_alu instid0(VALU_DEP_3) | instskip(SKIP_2) | instid1(VALU_DEP_4)
	v_and_b32_e32 v6, v19, v6
	v_cndmask_b32_e64 v14, 0, 1, vcc_lo
	v_cmp_gt_u32_e32 vcc_lo, s0, v7
	v_and_b32_e32 v3, 0xffff, v3
	s_delay_alu instid0(VALU_DEP_4) | instskip(NEXT) | instid1(VALU_DEP_4)
	v_lshlrev_b16 v6, 8, v6
	v_and_b32_e32 v56, v14, v1
	v_cndmask_b32_e64 v7, 0, 1, vcc_lo
	s_delay_alu instid0(VALU_DEP_3)
	v_or_b32_e32 v4, v5, v6
	v_lshlrev_b32_e32 v5, 16, v8
	v_and_b32_e32 v6, 0xffff, v9
	v_lshlrev_b32_e32 v8, 16, v10
	v_and_b32_e32 v55, v7, v2
	v_lshlrev_b32_e32 v4, 16, v4
	v_or_b32_e32 v61, v13, v5
	s_delay_alu instid0(VALU_DEP_4) | instskip(NEXT) | instid1(VALU_DEP_3)
	v_or_b32_e32 v58, v6, v8
	v_or_b32_e32 v57, v3, v4
.LBB246_40:
	s_delay_alu instid0(VALU_DEP_3)
	v_dual_mov_b32 v2, 0 :: v_dual_and_b32 v65, 0xff, v61
	v_bfe_u32 v66, v61, 8, 8
	v_bfe_u32 v67, v61, 16, 8
	v_lshrrev_b32_e32 v62, 24, v61
	v_and_b32_e32 v68, 0xff, v58
	v_bfe_u32 v69, v58, 8, 8
	v_add_co_u32 v1, s0, v66, v65
	s_delay_alu instid0(VALU_DEP_1) | instskip(SKIP_1) | instid1(VALU_DEP_3)
	v_add_co_ci_u32_e64 v3, null, 0, 0, s0
	v_bfe_u32 v70, v58, 16, 8
	v_add_co_u32 v1, vcc_lo, v1, v67
	s_delay_alu instid0(VALU_DEP_3) | instskip(SKIP_1) | instid1(VALU_DEP_3)
	v_add_co_ci_u32_e32 v3, vcc_lo, 0, v3, vcc_lo
	v_lshrrev_b32_e32 v60, 24, v58
	v_add_co_u32 v1, vcc_lo, v1, v62
	s_delay_alu instid0(VALU_DEP_3) | instskip(SKIP_1) | instid1(VALU_DEP_3)
	v_add_co_ci_u32_e32 v3, vcc_lo, 0, v3, vcc_lo
	v_and_b32_e32 v71, 0xff, v57
	v_add_co_u32 v1, vcc_lo, v1, v68
	s_delay_alu instid0(VALU_DEP_3) | instskip(SKIP_1) | instid1(VALU_DEP_3)
	v_add_co_ci_u32_e32 v3, vcc_lo, 0, v3, vcc_lo
	v_bfe_u32 v72, v57, 8, 8
	v_add_co_u32 v1, vcc_lo, v1, v69
	s_delay_alu instid0(VALU_DEP_3) | instskip(SKIP_1) | instid1(VALU_DEP_3)
	v_add_co_ci_u32_e32 v3, vcc_lo, 0, v3, vcc_lo
	v_bfe_u32 v73, v57, 16, 8
	v_add_co_u32 v1, vcc_lo, v1, v70
	s_delay_alu instid0(VALU_DEP_3) | instskip(SKIP_1) | instid1(VALU_DEP_3)
	v_add_co_ci_u32_e32 v3, vcc_lo, 0, v3, vcc_lo
	v_lshrrev_b32_e32 v59, 24, v57
	v_add_co_u32 v1, vcc_lo, v1, v60
	s_delay_alu instid0(VALU_DEP_3) | instskip(SKIP_1) | instid1(VALU_DEP_3)
	v_add_co_ci_u32_e32 v3, vcc_lo, 0, v3, vcc_lo
	v_and_b32_e32 v64, 0xff, v56
	v_add_co_u32 v1, vcc_lo, v1, v71
	s_delay_alu instid0(VALU_DEP_3) | instskip(SKIP_1) | instid1(VALU_DEP_3)
	v_add_co_ci_u32_e32 v3, vcc_lo, 0, v3, vcc_lo
	v_mbcnt_lo_u32_b32 v74, -1, 0
	v_add_co_u32 v1, vcc_lo, v1, v72
	s_delay_alu instid0(VALU_DEP_3) | instskip(SKIP_1) | instid1(VALU_DEP_3)
	v_add_co_ci_u32_e32 v3, vcc_lo, 0, v3, vcc_lo
	v_and_b32_e32 v4, 0xff, v55
	v_add_co_u32 v1, vcc_lo, v1, v73
	s_delay_alu instid0(VALU_DEP_3) | instskip(SKIP_1) | instid1(VALU_DEP_3)
	v_add_co_ci_u32_e32 v3, vcc_lo, 0, v3, vcc_lo
	v_and_b32_e32 v75, 15, v74
	v_add_co_u32 v1, vcc_lo, v1, v59
	s_delay_alu instid0(VALU_DEP_3) | instskip(NEXT) | instid1(VALU_DEP_3)
	v_add_co_ci_u32_e32 v3, vcc_lo, 0, v3, vcc_lo
	v_cmp_ne_u32_e64 s0, 0, v75
	s_delay_alu instid0(VALU_DEP_3) | instskip(NEXT) | instid1(VALU_DEP_3)
	v_add_co_u32 v1, vcc_lo, v1, v64
	v_add_co_ci_u32_e32 v3, vcc_lo, 0, v3, vcc_lo
	s_cmp_lg_u32 s7, 0
	s_delay_alu instid0(VALU_DEP_2) | instskip(NEXT) | instid1(VALU_DEP_2)
	v_add_co_u32 v53, vcc_lo, v1, v4
	v_add_co_ci_u32_e32 v54, vcc_lo, 0, v3, vcc_lo
	s_mov_b32 s1, -1
	s_cbranch_scc0 .LBB246_105
; %bb.41:
	s_delay_alu instid0(VALU_DEP_2)
	v_mov_b32_e32 v3, v53
	v_mov_b32_dpp v1, v53 row_shr:1 row_mask:0xf bank_mask:0xf
	v_mov_b32_dpp v6, v2 row_shr:1 row_mask:0xf bank_mask:0xf
	v_dual_mov_b32 v5, v53 :: v_dual_mov_b32 v4, v54
	s_and_saveexec_b32 s1, s0
; %bb.42:
	s_delay_alu instid0(VALU_DEP_3) | instskip(SKIP_1) | instid1(VALU_DEP_2)
	v_add_co_u32 v5, vcc_lo, v53, v1
	v_add_co_ci_u32_e32 v2, vcc_lo, 0, v54, vcc_lo
	v_add_co_u32 v1, vcc_lo, 0, v5
	s_delay_alu instid0(VALU_DEP_2) | instskip(NEXT) | instid1(VALU_DEP_1)
	v_add_co_ci_u32_e32 v2, vcc_lo, v6, v2, vcc_lo
	v_dual_mov_b32 v4, v2 :: v_dual_mov_b32 v3, v1
; %bb.43:
	s_or_b32 exec_lo, exec_lo, s1
	v_mov_b32_dpp v1, v5 row_shr:2 row_mask:0xf bank_mask:0xf
	v_mov_b32_dpp v6, v2 row_shr:2 row_mask:0xf bank_mask:0xf
	s_mov_b32 s1, exec_lo
	v_cmpx_lt_u32_e32 1, v75
; %bb.44:
	s_delay_alu instid0(VALU_DEP_3) | instskip(SKIP_1) | instid1(VALU_DEP_2)
	v_add_co_u32 v5, vcc_lo, v3, v1
	v_add_co_ci_u32_e32 v2, vcc_lo, 0, v4, vcc_lo
	v_add_co_u32 v1, vcc_lo, 0, v5
	s_delay_alu instid0(VALU_DEP_2) | instskip(NEXT) | instid1(VALU_DEP_1)
	v_add_co_ci_u32_e32 v2, vcc_lo, v6, v2, vcc_lo
	v_dual_mov_b32 v4, v2 :: v_dual_mov_b32 v3, v1
; %bb.45:
	s_or_b32 exec_lo, exec_lo, s1
	v_mov_b32_dpp v1, v5 row_shr:4 row_mask:0xf bank_mask:0xf
	v_mov_b32_dpp v6, v2 row_shr:4 row_mask:0xf bank_mask:0xf
	s_mov_b32 s1, exec_lo
	v_cmpx_lt_u32_e32 3, v75
; %bb.46:
	s_delay_alu instid0(VALU_DEP_3) | instskip(SKIP_1) | instid1(VALU_DEP_2)
	v_add_co_u32 v5, vcc_lo, v3, v1
	v_add_co_ci_u32_e32 v2, vcc_lo, 0, v4, vcc_lo
	v_add_co_u32 v1, vcc_lo, 0, v5
	s_delay_alu instid0(VALU_DEP_2) | instskip(NEXT) | instid1(VALU_DEP_1)
	v_add_co_ci_u32_e32 v2, vcc_lo, v6, v2, vcc_lo
	v_dual_mov_b32 v4, v2 :: v_dual_mov_b32 v3, v1
; %bb.47:
	s_or_b32 exec_lo, exec_lo, s1
	v_mov_b32_dpp v6, v5 row_shr:8 row_mask:0xf bank_mask:0xf
	v_mov_b32_dpp v1, v2 row_shr:8 row_mask:0xf bank_mask:0xf
	s_mov_b32 s1, exec_lo
	v_cmpx_lt_u32_e32 7, v75
; %bb.48:
	s_delay_alu instid0(VALU_DEP_3) | instskip(SKIP_1) | instid1(VALU_DEP_2)
	v_add_co_u32 v5, vcc_lo, v3, v6
	v_add_co_ci_u32_e32 v2, vcc_lo, 0, v4, vcc_lo
	v_add_co_u32 v3, vcc_lo, 0, v5
	s_delay_alu instid0(VALU_DEP_2) | instskip(NEXT) | instid1(VALU_DEP_1)
	v_add_co_ci_u32_e32 v4, vcc_lo, v1, v2, vcc_lo
	v_mov_b32_e32 v2, v4
; %bb.49:
	s_or_b32 exec_lo, exec_lo, s1
	ds_swizzle_b32 v1, v5 offset:swizzle(BROADCAST,32,15)
	ds_swizzle_b32 v6, v2 offset:swizzle(BROADCAST,32,15)
	v_and_b32_e32 v7, 16, v74
	s_mov_b32 s1, exec_lo
	s_delay_alu instid0(VALU_DEP_1)
	v_cmpx_ne_u32_e32 0, v7
	s_cbranch_execz .LBB246_51
; %bb.50:
	s_waitcnt lgkmcnt(1)
	v_add_co_u32 v5, vcc_lo, v3, v1
	v_add_co_ci_u32_e32 v2, vcc_lo, 0, v4, vcc_lo
	s_delay_alu instid0(VALU_DEP_2) | instskip(SKIP_1) | instid1(VALU_DEP_2)
	v_add_co_u32 v1, vcc_lo, 0, v5
	s_waitcnt lgkmcnt(0)
	v_add_co_ci_u32_e32 v2, vcc_lo, v6, v2, vcc_lo
	s_delay_alu instid0(VALU_DEP_1)
	v_dual_mov_b32 v4, v2 :: v_dual_mov_b32 v3, v1
.LBB246_51:
	s_or_b32 exec_lo, exec_lo, s1
	s_waitcnt lgkmcnt(0)
	v_or_b32_e32 v6, 31, v0
	v_lshrrev_b32_e32 v1, 5, v0
	s_mov_b32 s1, exec_lo
	s_delay_alu instid0(VALU_DEP_2)
	v_cmpx_eq_u32_e64 v6, v0
	s_cbranch_execz .LBB246_53
; %bb.52:
	s_delay_alu instid0(VALU_DEP_2)
	v_lshlrev_b32_e32 v6, 3, v1
	ds_store_b64 v6, v[3:4]
.LBB246_53:
	s_or_b32 exec_lo, exec_lo, s1
	s_delay_alu instid0(SALU_CYCLE_1)
	s_mov_b32 s1, exec_lo
	s_waitcnt lgkmcnt(0)
	s_barrier
	buffer_gl0_inv
	v_cmpx_gt_u32_e32 4, v0
	s_cbranch_execz .LBB246_59
; %bb.54:
	v_lshlrev_b32_e32 v6, 3, v0
	s_mov_b32 s8, exec_lo
	ds_load_b64 v[3:4], v6
	s_waitcnt lgkmcnt(0)
	v_dual_mov_b32 v8, v3 :: v_dual_and_b32 v7, 3, v74
	v_mov_b32_dpp v10, v3 row_shr:1 row_mask:0xf bank_mask:0xf
	v_mov_b32_dpp v9, v4 row_shr:1 row_mask:0xf bank_mask:0xf
	s_delay_alu instid0(VALU_DEP_3)
	v_cmpx_ne_u32_e32 0, v7
; %bb.55:
	s_delay_alu instid0(VALU_DEP_3) | instskip(SKIP_1) | instid1(VALU_DEP_2)
	v_add_co_u32 v8, vcc_lo, v3, v10
	v_add_co_ci_u32_e32 v4, vcc_lo, 0, v4, vcc_lo
	v_add_co_u32 v3, vcc_lo, 0, v8
	s_delay_alu instid0(VALU_DEP_2)
	v_add_co_ci_u32_e32 v4, vcc_lo, v9, v4, vcc_lo
; %bb.56:
	s_or_b32 exec_lo, exec_lo, s8
	v_mov_b32_dpp v9, v8 row_shr:2 row_mask:0xf bank_mask:0xf
	s_delay_alu instid0(VALU_DEP_2)
	v_mov_b32_dpp v8, v4 row_shr:2 row_mask:0xf bank_mask:0xf
	s_mov_b32 s8, exec_lo
	v_cmpx_lt_u32_e32 1, v7
; %bb.57:
	s_delay_alu instid0(VALU_DEP_3) | instskip(SKIP_1) | instid1(VALU_DEP_2)
	v_add_co_u32 v3, vcc_lo, v3, v9
	v_add_co_ci_u32_e32 v4, vcc_lo, 0, v4, vcc_lo
	v_add_co_u32 v3, vcc_lo, v3, 0
	s_delay_alu instid0(VALU_DEP_2)
	v_add_co_ci_u32_e32 v4, vcc_lo, v4, v8, vcc_lo
; %bb.58:
	s_or_b32 exec_lo, exec_lo, s8
	ds_store_b64 v6, v[3:4]
.LBB246_59:
	s_or_b32 exec_lo, exec_lo, s1
	v_cmp_gt_u32_e32 vcc_lo, 32, v0
	s_mov_b32 s8, exec_lo
	s_waitcnt lgkmcnt(0)
	s_barrier
	buffer_gl0_inv
                                        ; implicit-def: $vgpr9_vgpr10
	v_cmpx_lt_u32_e32 31, v0
	s_cbranch_execz .LBB246_61
; %bb.60:
	v_lshl_add_u32 v1, v1, 3, -8
	ds_load_b64 v[9:10], v1
	s_waitcnt lgkmcnt(0)
	v_add_co_u32 v5, s1, v5, v9
	s_delay_alu instid0(VALU_DEP_1)
	v_add_co_ci_u32_e64 v2, s1, v2, v10, s1
.LBB246_61:
	s_or_b32 exec_lo, exec_lo, s8
	v_add_nc_u32_e32 v1, -1, v74
	s_delay_alu instid0(VALU_DEP_1) | instskip(NEXT) | instid1(VALU_DEP_1)
	v_cmp_gt_i32_e64 s1, 0, v1
	v_cndmask_b32_e64 v1, v1, v74, s1
	v_cmp_eq_u32_e64 s1, 0, v74
	s_delay_alu instid0(VALU_DEP_2)
	v_lshlrev_b32_e32 v1, 2, v1
	ds_bpermute_b32 v15, v1, v5
	ds_bpermute_b32 v16, v1, v2
	s_and_saveexec_b32 s8, vcc_lo
	s_cbranch_execz .LBB246_104
; %bb.62:
	v_mov_b32_e32 v4, 0
	ds_load_b64 v[1:2], v4 offset:24
	s_and_saveexec_b32 s9, s1
	s_cbranch_execz .LBB246_64
; %bb.63:
	s_add_i32 s10, s7, 32
	s_mov_b32 s11, 0
	s_delay_alu instid0(SALU_CYCLE_1) | instskip(NEXT) | instid1(SALU_CYCLE_1)
	s_lshl_b64 s[10:11], s[10:11], 4
	s_add_u32 s10, s14, s10
	s_addc_u32 s11, s15, s11
	v_mov_b32_e32 v5, s10
	v_dual_mov_b32 v3, 1 :: v_dual_mov_b32 v6, s11
	s_waitcnt lgkmcnt(0)
	;;#ASMSTART
	global_store_dwordx4 v[5:6], v[1:4] off	
s_waitcnt vmcnt(0)
	;;#ASMEND
.LBB246_64:
	s_or_b32 exec_lo, exec_lo, s9
	v_xad_u32 v11, v74, -1, s7
	s_mov_b32 s10, 0
	s_mov_b32 s9, exec_lo
	s_delay_alu instid0(VALU_DEP_1) | instskip(NEXT) | instid1(VALU_DEP_1)
	v_add_nc_u32_e32 v3, 32, v11
	v_lshlrev_b64 v[3:4], 4, v[3:4]
	s_delay_alu instid0(VALU_DEP_1) | instskip(NEXT) | instid1(VALU_DEP_2)
	v_add_co_u32 v3, vcc_lo, s14, v3
	v_add_co_ci_u32_e32 v4, vcc_lo, s15, v4, vcc_lo
	;;#ASMSTART
	global_load_dwordx4 v[5:8], v[3:4] off glc	
s_waitcnt vmcnt(0)
	;;#ASMEND
	v_and_b32_e32 v8, 0xff, v6
	v_and_b32_e32 v12, 0xff00, v6
	v_or3_b32 v5, v5, 0, 0
	v_and_b32_e32 v13, 0xff000000, v6
	v_and_b32_e32 v6, 0xff0000, v6
	s_delay_alu instid0(VALU_DEP_4) | instskip(SKIP_2) | instid1(VALU_DEP_3)
	v_or3_b32 v8, 0, v8, v12
	v_and_b32_e32 v12, 0xff, v7
	v_or3_b32 v5, v5, 0, 0
	v_or3_b32 v6, v8, v6, v13
	s_delay_alu instid0(VALU_DEP_3)
	v_cmpx_eq_u16_e32 0, v12
	s_cbranch_execz .LBB246_70
; %bb.65:
	s_mov_b32 s11, 1
	.p2align	6
.LBB246_66:                             ; =>This Loop Header: Depth=1
                                        ;     Child Loop BB246_67 Depth 2
	s_delay_alu instid0(SALU_CYCLE_1)
	s_max_u32 s16, s11, 1
.LBB246_67:                             ;   Parent Loop BB246_66 Depth=1
                                        ; =>  This Inner Loop Header: Depth=2
	s_delay_alu instid0(SALU_CYCLE_1)
	s_add_i32 s16, s16, -1
	s_sleep 1
	s_cmp_eq_u32 s16, 0
	s_cbranch_scc0 .LBB246_67
; %bb.68:                               ;   in Loop: Header=BB246_66 Depth=1
	;;#ASMSTART
	global_load_dwordx4 v[5:8], v[3:4] off glc	
s_waitcnt vmcnt(0)
	;;#ASMEND
	v_and_b32_e32 v8, 0xff, v7
	s_cmp_lt_u32 s11, 32
	s_cselect_b32 s16, -1, 0
	s_delay_alu instid0(SALU_CYCLE_1) | instskip(NEXT) | instid1(VALU_DEP_1)
	s_cmp_lg_u32 s16, 0
	v_cmp_ne_u16_e32 vcc_lo, 0, v8
	s_addc_u32 s11, s11, 0
	s_or_b32 s10, vcc_lo, s10
	s_delay_alu instid0(SALU_CYCLE_1)
	s_and_not1_b32 exec_lo, exec_lo, s10
	s_cbranch_execnz .LBB246_66
; %bb.69:
	s_or_b32 exec_lo, exec_lo, s10
.LBB246_70:
	s_delay_alu instid0(SALU_CYCLE_1)
	s_or_b32 exec_lo, exec_lo, s9
	v_cmp_ne_u32_e32 vcc_lo, 31, v74
	v_and_b32_e32 v4, 0xff, v7
	v_lshlrev_b32_e64 v18, v74, -1
	s_mov_b32 s9, exec_lo
	v_add_co_ci_u32_e32 v3, vcc_lo, 0, v74, vcc_lo
	s_delay_alu instid0(VALU_DEP_3) | instskip(NEXT) | instid1(VALU_DEP_2)
	v_cmp_eq_u16_e32 vcc_lo, 2, v4
	v_dual_mov_b32 v4, v5 :: v_dual_lshlrev_b32 v17, 2, v3
	v_and_or_b32 v3, vcc_lo, v18, 0x80000000
	ds_bpermute_b32 v12, v17, v5
	ds_bpermute_b32 v8, v17, v6
	v_ctz_i32_b32_e32 v3, v3
	s_delay_alu instid0(VALU_DEP_1)
	v_cmpx_lt_u32_e64 v74, v3
	s_cbranch_execz .LBB246_72
; %bb.71:
	s_waitcnt lgkmcnt(1)
	v_add_co_u32 v4, vcc_lo, v5, v12
	v_add_co_ci_u32_e32 v6, vcc_lo, 0, v6, vcc_lo
	s_delay_alu instid0(VALU_DEP_2) | instskip(SKIP_1) | instid1(VALU_DEP_2)
	v_add_co_u32 v5, vcc_lo, 0, v4
	s_waitcnt lgkmcnt(0)
	v_add_co_ci_u32_e32 v6, vcc_lo, v8, v6, vcc_lo
.LBB246_72:
	s_or_b32 exec_lo, exec_lo, s9
	v_cmp_gt_u32_e32 vcc_lo, 30, v74
	v_add_nc_u32_e32 v20, 2, v74
	s_mov_b32 s9, exec_lo
	s_waitcnt lgkmcnt(0)
	v_cndmask_b32_e64 v8, 0, 1, vcc_lo
	s_delay_alu instid0(VALU_DEP_1) | instskip(NEXT) | instid1(VALU_DEP_1)
	v_lshlrev_b32_e32 v8, 1, v8
	v_add_lshl_u32 v19, v8, v74, 2
	ds_bpermute_b32 v12, v19, v4
	ds_bpermute_b32 v8, v19, v6
	v_cmpx_le_u32_e64 v20, v3
	s_cbranch_execz .LBB246_74
; %bb.73:
	s_waitcnt lgkmcnt(1)
	v_add_co_u32 v4, vcc_lo, v5, v12
	v_add_co_ci_u32_e32 v6, vcc_lo, 0, v6, vcc_lo
	s_delay_alu instid0(VALU_DEP_2) | instskip(SKIP_1) | instid1(VALU_DEP_2)
	v_add_co_u32 v5, vcc_lo, 0, v4
	s_waitcnt lgkmcnt(0)
	v_add_co_ci_u32_e32 v6, vcc_lo, v8, v6, vcc_lo
.LBB246_74:
	s_or_b32 exec_lo, exec_lo, s9
	v_cmp_gt_u32_e32 vcc_lo, 28, v74
	v_add_nc_u32_e32 v22, 4, v74
	s_mov_b32 s9, exec_lo
	s_waitcnt lgkmcnt(0)
	v_cndmask_b32_e64 v8, 0, 1, vcc_lo
	s_delay_alu instid0(VALU_DEP_1) | instskip(NEXT) | instid1(VALU_DEP_1)
	v_lshlrev_b32_e32 v8, 2, v8
	v_add_lshl_u32 v21, v8, v74, 2
	ds_bpermute_b32 v12, v21, v4
	ds_bpermute_b32 v8, v21, v6
	v_cmpx_le_u32_e64 v22, v3
	;; [unrolled: 22-line block ×4, first 2 shown]
	s_cbranch_execz .LBB246_80
; %bb.79:
	s_waitcnt lgkmcnt(1)
	v_add_co_u32 v3, vcc_lo, v5, v8
	v_add_co_ci_u32_e32 v6, vcc_lo, 0, v6, vcc_lo
	s_delay_alu instid0(VALU_DEP_2) | instskip(SKIP_1) | instid1(VALU_DEP_2)
	v_add_co_u32 v5, vcc_lo, v3, 0
	s_waitcnt lgkmcnt(0)
	v_add_co_ci_u32_e32 v6, vcc_lo, v6, v4, vcc_lo
.LBB246_80:
	s_or_b32 exec_lo, exec_lo, s9
	v_mov_b32_e32 v12, 0
	s_branch .LBB246_82
.LBB246_81:                             ;   in Loop: Header=BB246_82 Depth=1
	s_or_b32 exec_lo, exec_lo, s9
	v_add_co_u32 v5, vcc_lo, v5, v3
	v_subrev_nc_u32_e32 v11, 32, v11
	v_add_co_ci_u32_e32 v6, vcc_lo, v6, v4, vcc_lo
.LBB246_82:                             ; =>This Loop Header: Depth=1
                                        ;     Child Loop BB246_85 Depth 2
                                        ;       Child Loop BB246_86 Depth 3
	v_and_b32_e32 v3, 0xff, v7
	s_delay_alu instid0(VALU_DEP_1) | instskip(SKIP_2) | instid1(VALU_DEP_1)
	v_cmp_ne_u16_e32 vcc_lo, 2, v3
	v_cndmask_b32_e64 v3, 0, 1, vcc_lo
	;;#ASMSTART
	;;#ASMEND
	v_cmp_ne_u32_e32 vcc_lo, 0, v3
	s_waitcnt lgkmcnt(0)
	v_dual_mov_b32 v3, v5 :: v_dual_mov_b32 v4, v6
	s_cmp_lg_u32 vcc_lo, exec_lo
	s_cbranch_scc1 .LBB246_99
; %bb.83:                               ;   in Loop: Header=BB246_82 Depth=1
	v_lshlrev_b64 v[5:6], 4, v[11:12]
	s_mov_b32 s9, exec_lo
	s_delay_alu instid0(VALU_DEP_1) | instskip(NEXT) | instid1(VALU_DEP_2)
	v_add_co_u32 v13, vcc_lo, s14, v5
	v_add_co_ci_u32_e32 v14, vcc_lo, s15, v6, vcc_lo
	;;#ASMSTART
	global_load_dwordx4 v[5:8], v[13:14] off glc	
s_waitcnt vmcnt(0)
	;;#ASMEND
	v_and_b32_e32 v8, 0xff, v6
	v_and_b32_e32 v27, 0xff00, v6
	v_or3_b32 v5, v5, 0, 0
	v_and_b32_e32 v28, 0xff000000, v6
	v_and_b32_e32 v6, 0xff0000, v6
	s_delay_alu instid0(VALU_DEP_4) | instskip(SKIP_2) | instid1(VALU_DEP_3)
	v_or3_b32 v8, 0, v8, v27
	v_and_b32_e32 v27, 0xff, v7
	v_or3_b32 v5, v5, 0, 0
	v_or3_b32 v6, v8, v6, v28
	s_delay_alu instid0(VALU_DEP_3)
	v_cmpx_eq_u16_e32 0, v27
	s_cbranch_execz .LBB246_89
; %bb.84:                               ;   in Loop: Header=BB246_82 Depth=1
	s_mov_b32 s11, 1
	s_mov_b32 s10, 0
	.p2align	6
.LBB246_85:                             ;   Parent Loop BB246_82 Depth=1
                                        ; =>  This Loop Header: Depth=2
                                        ;       Child Loop BB246_86 Depth 3
	s_max_u32 s16, s11, 1
.LBB246_86:                             ;   Parent Loop BB246_82 Depth=1
                                        ;     Parent Loop BB246_85 Depth=2
                                        ; =>    This Inner Loop Header: Depth=3
	s_delay_alu instid0(SALU_CYCLE_1)
	s_add_i32 s16, s16, -1
	s_sleep 1
	s_cmp_eq_u32 s16, 0
	s_cbranch_scc0 .LBB246_86
; %bb.87:                               ;   in Loop: Header=BB246_85 Depth=2
	;;#ASMSTART
	global_load_dwordx4 v[5:8], v[13:14] off glc	
s_waitcnt vmcnt(0)
	;;#ASMEND
	v_and_b32_e32 v8, 0xff, v7
	s_cmp_lt_u32 s11, 32
	s_cselect_b32 s16, -1, 0
	s_delay_alu instid0(SALU_CYCLE_1) | instskip(NEXT) | instid1(VALU_DEP_1)
	s_cmp_lg_u32 s16, 0
	v_cmp_ne_u16_e32 vcc_lo, 0, v8
	s_addc_u32 s11, s11, 0
	s_or_b32 s10, vcc_lo, s10
	s_delay_alu instid0(SALU_CYCLE_1)
	s_and_not1_b32 exec_lo, exec_lo, s10
	s_cbranch_execnz .LBB246_85
; %bb.88:                               ;   in Loop: Header=BB246_82 Depth=1
	s_or_b32 exec_lo, exec_lo, s10
.LBB246_89:                             ;   in Loop: Header=BB246_82 Depth=1
	s_delay_alu instid0(SALU_CYCLE_1)
	s_or_b32 exec_lo, exec_lo, s9
	v_dual_mov_b32 v13, v5 :: v_dual_and_b32 v8, 0xff, v7
	ds_bpermute_b32 v27, v17, v5
	ds_bpermute_b32 v14, v17, v6
	s_mov_b32 s9, exec_lo
	v_cmp_eq_u16_e32 vcc_lo, 2, v8
	v_and_or_b32 v8, vcc_lo, v18, 0x80000000
	s_delay_alu instid0(VALU_DEP_1) | instskip(NEXT) | instid1(VALU_DEP_1)
	v_ctz_i32_b32_e32 v8, v8
	v_cmpx_lt_u32_e64 v74, v8
	s_cbranch_execz .LBB246_91
; %bb.90:                               ;   in Loop: Header=BB246_82 Depth=1
	s_waitcnt lgkmcnt(1)
	v_add_co_u32 v13, vcc_lo, v5, v27
	v_add_co_ci_u32_e32 v6, vcc_lo, 0, v6, vcc_lo
	s_delay_alu instid0(VALU_DEP_2) | instskip(SKIP_1) | instid1(VALU_DEP_2)
	v_add_co_u32 v5, vcc_lo, 0, v13
	s_waitcnt lgkmcnt(0)
	v_add_co_ci_u32_e32 v6, vcc_lo, v14, v6, vcc_lo
.LBB246_91:                             ;   in Loop: Header=BB246_82 Depth=1
	s_or_b32 exec_lo, exec_lo, s9
	s_waitcnt lgkmcnt(1)
	ds_bpermute_b32 v27, v19, v13
	s_waitcnt lgkmcnt(1)
	ds_bpermute_b32 v14, v19, v6
	s_mov_b32 s9, exec_lo
	v_cmpx_le_u32_e64 v20, v8
	s_cbranch_execz .LBB246_93
; %bb.92:                               ;   in Loop: Header=BB246_82 Depth=1
	s_waitcnt lgkmcnt(1)
	v_add_co_u32 v13, vcc_lo, v5, v27
	v_add_co_ci_u32_e32 v6, vcc_lo, 0, v6, vcc_lo
	s_delay_alu instid0(VALU_DEP_2) | instskip(SKIP_1) | instid1(VALU_DEP_2)
	v_add_co_u32 v5, vcc_lo, 0, v13
	s_waitcnt lgkmcnt(0)
	v_add_co_ci_u32_e32 v6, vcc_lo, v14, v6, vcc_lo
.LBB246_93:                             ;   in Loop: Header=BB246_82 Depth=1
	s_or_b32 exec_lo, exec_lo, s9
	s_waitcnt lgkmcnt(1)
	ds_bpermute_b32 v27, v21, v13
	s_waitcnt lgkmcnt(1)
	ds_bpermute_b32 v14, v21, v6
	s_mov_b32 s9, exec_lo
	v_cmpx_le_u32_e64 v22, v8
	;; [unrolled: 17-line block ×3, first 2 shown]
	s_cbranch_execz .LBB246_97
; %bb.96:                               ;   in Loop: Header=BB246_82 Depth=1
	s_waitcnt lgkmcnt(1)
	v_add_co_u32 v13, vcc_lo, v5, v27
	v_add_co_ci_u32_e32 v6, vcc_lo, 0, v6, vcc_lo
	s_delay_alu instid0(VALU_DEP_2) | instskip(SKIP_1) | instid1(VALU_DEP_2)
	v_add_co_u32 v5, vcc_lo, 0, v13
	s_waitcnt lgkmcnt(0)
	v_add_co_ci_u32_e32 v6, vcc_lo, v14, v6, vcc_lo
.LBB246_97:                             ;   in Loop: Header=BB246_82 Depth=1
	s_or_b32 exec_lo, exec_lo, s9
	s_waitcnt lgkmcnt(0)
	ds_bpermute_b32 v14, v25, v13
	ds_bpermute_b32 v13, v25, v6
	s_mov_b32 s9, exec_lo
	v_cmpx_le_u32_e64 v26, v8
	s_cbranch_execz .LBB246_81
; %bb.98:                               ;   in Loop: Header=BB246_82 Depth=1
	s_waitcnt lgkmcnt(1)
	v_add_co_u32 v5, vcc_lo, v5, v14
	v_add_co_ci_u32_e32 v6, vcc_lo, 0, v6, vcc_lo
	s_delay_alu instid0(VALU_DEP_2) | instskip(SKIP_1) | instid1(VALU_DEP_2)
	v_add_co_u32 v5, vcc_lo, v5, 0
	s_waitcnt lgkmcnt(0)
	v_add_co_ci_u32_e32 v6, vcc_lo, v6, v13, vcc_lo
	s_branch .LBB246_81
.LBB246_99:                             ;   in Loop: Header=BB246_82 Depth=1
                                        ; implicit-def: $vgpr5_vgpr6
	s_cbranch_execz .LBB246_82
; %bb.100:
	s_and_saveexec_b32 s9, s1
	s_cbranch_execz .LBB246_102
; %bb.101:
	s_add_i32 s10, s7, 32
	s_mov_b32 s11, 0
	v_add_co_u32 v5, vcc_lo, v3, v1
	s_lshl_b64 s[10:11], s[10:11], 4
	v_dual_mov_b32 v7, 2 :: v_dual_mov_b32 v8, 0
	s_add_u32 s10, s14, s10
	s_addc_u32 s11, s15, s11
	v_add_co_ci_u32_e32 v6, vcc_lo, v4, v2, vcc_lo
	v_dual_mov_b32 v12, s11 :: v_dual_mov_b32 v11, s10
	;;#ASMSTART
	global_store_dwordx4 v[11:12], v[5:8] off	
s_waitcnt vmcnt(0)
	;;#ASMEND
	ds_store_b128 v8, v[1:4] offset:7168
.LBB246_102:
	s_or_b32 exec_lo, exec_lo, s9
	s_delay_alu instid0(SALU_CYCLE_1)
	s_and_b32 exec_lo, exec_lo, s2
	s_cbranch_execz .LBB246_104
; %bb.103:
	v_mov_b32_e32 v1, 0
	ds_store_b64 v1, v[3:4] offset:24
.LBB246_104:
	s_or_b32 exec_lo, exec_lo, s8
	v_mov_b32_e32 v21, 0
	s_waitcnt lgkmcnt(0)
	s_barrier
	buffer_gl0_inv
	v_cndmask_b32_e64 v3, v15, v9, s1
	ds_load_b64 v[1:2], v21 offset:24
	v_cndmask_b32_e64 v4, v16, v10, s1
	s_waitcnt lgkmcnt(0)
	s_barrier
	v_cndmask_b32_e64 v3, v3, 0, s2
	buffer_gl0_inv
	v_cndmask_b32_e64 v4, v4, 0, s2
	ds_load_b128 v[45:48], v21 offset:7168
	v_add_co_u32 v1, vcc_lo, v1, v3
	v_add_co_ci_u32_e32 v2, vcc_lo, v2, v4, vcc_lo
	s_delay_alu instid0(VALU_DEP_2) | instskip(NEXT) | instid1(VALU_DEP_2)
	v_add_co_u32 v3, vcc_lo, v1, v65
	v_add_co_ci_u32_e32 v4, vcc_lo, 0, v2, vcc_lo
	s_delay_alu instid0(VALU_DEP_2) | instskip(NEXT) | instid1(VALU_DEP_2)
	;; [unrolled: 3-line block ×13, first 2 shown]
	v_add_co_u32 v27, vcc_lo, v25, v64
	v_add_co_ci_u32_e32 v28, vcc_lo, 0, v26, vcc_lo
	s_branch .LBB246_129
.LBB246_105:
                                        ; implicit-def: $vgpr47_vgpr48
                                        ; implicit-def: $vgpr1_vgpr2_vgpr3_vgpr4_vgpr5_vgpr6_vgpr7_vgpr8_vgpr9_vgpr10_vgpr11_vgpr12_vgpr13_vgpr14_vgpr15_vgpr16_vgpr17_vgpr18_vgpr19_vgpr20_vgpr21_vgpr22_vgpr23_vgpr24_vgpr25_vgpr26_vgpr27_vgpr28_vgpr29_vgpr30_vgpr31_vgpr32
	s_and_b32 vcc_lo, exec_lo, s1
	s_cbranch_vccz .LBB246_129
; %bb.106:
	v_dual_mov_b32 v2, 0 :: v_dual_mov_b32 v3, v53
	v_mov_b32_dpp v4, v53 row_shr:1 row_mask:0xf bank_mask:0xf
	s_delay_alu instid0(VALU_DEP_2)
	v_mov_b32_dpp v1, v2 row_shr:1 row_mask:0xf bank_mask:0xf
	s_and_saveexec_b32 s1, s0
; %bb.107:
	s_delay_alu instid0(VALU_DEP_2) | instskip(SKIP_1) | instid1(VALU_DEP_2)
	v_add_co_u32 v3, vcc_lo, v53, v4
	v_add_co_ci_u32_e32 v2, vcc_lo, 0, v54, vcc_lo
	v_add_co_u32 v53, vcc_lo, 0, v3
	s_delay_alu instid0(VALU_DEP_2) | instskip(NEXT) | instid1(VALU_DEP_1)
	v_add_co_ci_u32_e32 v54, vcc_lo, v1, v2, vcc_lo
	v_mov_b32_e32 v2, v54
; %bb.108:
	s_or_b32 exec_lo, exec_lo, s1
	v_mov_b32_dpp v1, v3 row_shr:2 row_mask:0xf bank_mask:0xf
	s_delay_alu instid0(VALU_DEP_2)
	v_mov_b32_dpp v4, v2 row_shr:2 row_mask:0xf bank_mask:0xf
	s_mov_b32 s0, exec_lo
	v_cmpx_lt_u32_e32 1, v75
; %bb.109:
	s_delay_alu instid0(VALU_DEP_3) | instskip(SKIP_1) | instid1(VALU_DEP_2)
	v_add_co_u32 v3, vcc_lo, v53, v1
	v_add_co_ci_u32_e32 v2, vcc_lo, 0, v54, vcc_lo
	v_add_co_u32 v1, vcc_lo, 0, v3
	s_delay_alu instid0(VALU_DEP_2) | instskip(NEXT) | instid1(VALU_DEP_1)
	v_add_co_ci_u32_e32 v2, vcc_lo, v4, v2, vcc_lo
	v_dual_mov_b32 v54, v2 :: v_dual_mov_b32 v53, v1
; %bb.110:
	s_or_b32 exec_lo, exec_lo, s0
	v_mov_b32_dpp v1, v3 row_shr:4 row_mask:0xf bank_mask:0xf
	v_mov_b32_dpp v4, v2 row_shr:4 row_mask:0xf bank_mask:0xf
	s_mov_b32 s0, exec_lo
	v_cmpx_lt_u32_e32 3, v75
; %bb.111:
	s_delay_alu instid0(VALU_DEP_3) | instskip(SKIP_1) | instid1(VALU_DEP_2)
	v_add_co_u32 v3, vcc_lo, v53, v1
	v_add_co_ci_u32_e32 v2, vcc_lo, 0, v54, vcc_lo
	v_add_co_u32 v1, vcc_lo, 0, v3
	s_delay_alu instid0(VALU_DEP_2) | instskip(NEXT) | instid1(VALU_DEP_1)
	v_add_co_ci_u32_e32 v2, vcc_lo, v4, v2, vcc_lo
	v_dual_mov_b32 v54, v2 :: v_dual_mov_b32 v53, v1
; %bb.112:
	s_or_b32 exec_lo, exec_lo, s0
	v_mov_b32_dpp v4, v3 row_shr:8 row_mask:0xf bank_mask:0xf
	v_mov_b32_dpp v1, v2 row_shr:8 row_mask:0xf bank_mask:0xf
	s_mov_b32 s0, exec_lo
	v_cmpx_lt_u32_e32 7, v75
; %bb.113:
	s_delay_alu instid0(VALU_DEP_3) | instskip(SKIP_1) | instid1(VALU_DEP_2)
	v_add_co_u32 v3, vcc_lo, v53, v4
	v_add_co_ci_u32_e32 v2, vcc_lo, 0, v54, vcc_lo
	v_add_co_u32 v53, vcc_lo, 0, v3
	s_delay_alu instid0(VALU_DEP_2) | instskip(NEXT) | instid1(VALU_DEP_1)
	v_add_co_ci_u32_e32 v54, vcc_lo, v1, v2, vcc_lo
	v_mov_b32_e32 v2, v54
; %bb.114:
	s_or_b32 exec_lo, exec_lo, s0
	ds_swizzle_b32 v3, v3 offset:swizzle(BROADCAST,32,15)
	ds_swizzle_b32 v1, v2 offset:swizzle(BROADCAST,32,15)
	v_and_b32_e32 v2, 16, v74
	s_mov_b32 s0, exec_lo
	s_delay_alu instid0(VALU_DEP_1)
	v_cmpx_ne_u32_e32 0, v2
	s_cbranch_execz .LBB246_116
; %bb.115:
	s_waitcnt lgkmcnt(1)
	v_add_co_u32 v2, vcc_lo, v53, v3
	v_add_co_ci_u32_e32 v3, vcc_lo, 0, v54, vcc_lo
	s_delay_alu instid0(VALU_DEP_2) | instskip(SKIP_1) | instid1(VALU_DEP_2)
	v_add_co_u32 v53, vcc_lo, v2, 0
	s_waitcnt lgkmcnt(0)
	v_add_co_ci_u32_e32 v54, vcc_lo, v3, v1, vcc_lo
.LBB246_116:
	s_or_b32 exec_lo, exec_lo, s0
	s_waitcnt lgkmcnt(0)
	v_or_b32_e32 v1, 31, v0
	v_lshrrev_b32_e32 v3, 5, v0
	s_mov_b32 s0, exec_lo
	s_delay_alu instid0(VALU_DEP_2)
	v_cmpx_eq_u32_e64 v1, v0
	s_cbranch_execz .LBB246_118
; %bb.117:
	s_delay_alu instid0(VALU_DEP_2)
	v_lshlrev_b32_e32 v1, 3, v3
	ds_store_b64 v1, v[53:54]
.LBB246_118:
	s_or_b32 exec_lo, exec_lo, s0
	s_delay_alu instid0(SALU_CYCLE_1)
	s_mov_b32 s0, exec_lo
	s_waitcnt lgkmcnt(0)
	s_barrier
	buffer_gl0_inv
	v_cmpx_gt_u32_e32 4, v0
	s_cbranch_execz .LBB246_124
; %bb.119:
	v_mad_i32_i24 v1, 0xffffffd0, v0, v63
	s_mov_b32 s1, exec_lo
	ds_load_b64 v[1:2], v1
	s_waitcnt lgkmcnt(0)
	v_dual_mov_b32 v5, v1 :: v_dual_and_b32 v4, 3, v74
	v_mov_b32_dpp v7, v1 row_shr:1 row_mask:0xf bank_mask:0xf
	v_mov_b32_dpp v6, v2 row_shr:1 row_mask:0xf bank_mask:0xf
	s_delay_alu instid0(VALU_DEP_3)
	v_cmpx_ne_u32_e32 0, v4
; %bb.120:
	s_delay_alu instid0(VALU_DEP_3) | instskip(SKIP_1) | instid1(VALU_DEP_2)
	v_add_co_u32 v5, vcc_lo, v1, v7
	v_add_co_ci_u32_e32 v2, vcc_lo, 0, v2, vcc_lo
	v_add_co_u32 v1, vcc_lo, 0, v5
	s_delay_alu instid0(VALU_DEP_2)
	v_add_co_ci_u32_e32 v2, vcc_lo, v6, v2, vcc_lo
; %bb.121:
	s_or_b32 exec_lo, exec_lo, s1
	v_mul_i32_i24_e32 v6, 0xffffffd0, v0
	v_mov_b32_dpp v7, v5 row_shr:2 row_mask:0xf bank_mask:0xf
	s_delay_alu instid0(VALU_DEP_3)
	v_mov_b32_dpp v5, v2 row_shr:2 row_mask:0xf bank_mask:0xf
	s_mov_b32 s1, exec_lo
	v_cmpx_lt_u32_e32 1, v4
; %bb.122:
	s_delay_alu instid0(VALU_DEP_3) | instskip(SKIP_1) | instid1(VALU_DEP_2)
	v_add_co_u32 v1, vcc_lo, v1, v7
	v_add_co_ci_u32_e32 v2, vcc_lo, 0, v2, vcc_lo
	v_add_co_u32 v1, vcc_lo, v1, 0
	s_delay_alu instid0(VALU_DEP_2)
	v_add_co_ci_u32_e32 v2, vcc_lo, v2, v5, vcc_lo
; %bb.123:
	s_or_b32 exec_lo, exec_lo, s1
	v_add_nc_u32_e32 v4, v63, v6
	ds_store_b64 v4, v[1:2]
.LBB246_124:
	s_or_b32 exec_lo, exec_lo, s0
	v_mov_b32_e32 v1, 0
	v_mov_b32_e32 v2, 0
	s_mov_b32 s0, exec_lo
	s_waitcnt lgkmcnt(0)
	s_barrier
	buffer_gl0_inv
	v_cmpx_lt_u32_e32 31, v0
	s_cbranch_execz .LBB246_126
; %bb.125:
	v_lshl_add_u32 v1, v3, 3, -8
	ds_load_b64 v[1:2], v1
.LBB246_126:
	s_or_b32 exec_lo, exec_lo, s0
	v_dual_mov_b32 v48, 0 :: v_dual_add_nc_u32 v3, -1, v74
	s_delay_alu instid0(VALU_DEP_1) | instskip(SKIP_2) | instid1(VALU_DEP_1)
	v_cmp_gt_i32_e32 vcc_lo, 0, v3
	ds_load_b64 v[45:46], v48 offset:24
	v_cndmask_b32_e32 v3, v3, v74, vcc_lo
	v_lshlrev_b32_e32 v4, 2, v3
	s_waitcnt lgkmcnt(1)
	v_add_co_u32 v3, vcc_lo, v1, v53
	v_add_co_ci_u32_e32 v5, vcc_lo, v2, v54, vcc_lo
	ds_bpermute_b32 v3, v4, v3
	ds_bpermute_b32 v4, v4, v5
	s_and_saveexec_b32 s0, s2
	s_cbranch_execz .LBB246_128
; %bb.127:
	s_add_u32 s8, s14, 0x200
	s_addc_u32 s9, s15, 0
	v_mov_b32_e32 v5, s8
	v_dual_mov_b32 v47, 2 :: v_dual_mov_b32 v6, s9
	s_waitcnt lgkmcnt(2)
	;;#ASMSTART
	global_store_dwordx4 v[5:6], v[45:48] off	
s_waitcnt vmcnt(0)
	;;#ASMEND
.LBB246_128:
	s_or_b32 exec_lo, exec_lo, s0
	v_cmp_eq_u32_e32 vcc_lo, 0, v74
	v_mov_b32_e32 v47, 0
	v_mov_b32_e32 v48, 0
	s_waitcnt lgkmcnt(0)
	s_barrier
	v_dual_cndmask_b32 v1, v3, v1 :: v_dual_cndmask_b32 v2, v4, v2
	buffer_gl0_inv
	v_cndmask_b32_e64 v1, v1, 0, s2
	v_cndmask_b32_e64 v2, v2, 0, s2
	s_delay_alu instid0(VALU_DEP_2) | instskip(NEXT) | instid1(VALU_DEP_2)
	v_add_co_u32 v3, vcc_lo, v1, v65
	v_add_co_ci_u32_e32 v4, vcc_lo, 0, v2, vcc_lo
	s_delay_alu instid0(VALU_DEP_2) | instskip(NEXT) | instid1(VALU_DEP_2)
	v_add_co_u32 v5, vcc_lo, v3, v66
	v_add_co_ci_u32_e32 v6, vcc_lo, 0, v4, vcc_lo
	;; [unrolled: 3-line block ×13, first 2 shown]
.LBB246_129:
	s_waitcnt lgkmcnt(0)
	v_cmp_gt_u64_e32 vcc_lo, 0x81, v[45:46]
	v_lshrrev_b32_e32 v53, 16, v58
	v_lshrrev_b32_e32 v54, 8, v58
	v_lshrrev_b32_e32 v64, 8, v61
	v_lshrrev_b32_e32 v63, 16, v61
	v_lshrrev_b32_e32 v32, 8, v57
	v_lshrrev_b32_e32 v31, 16, v57
	s_mov_b32 s0, -1
	s_cbranch_vccnz .LBB246_133
; %bb.130:
	s_and_b32 vcc_lo, exec_lo, s0
	s_cbranch_vccnz .LBB246_176
.LBB246_131:
	s_and_b32 s0, s2, s3
	s_delay_alu instid0(SALU_CYCLE_1)
	s_and_saveexec_b32 s1, s0
	s_cbranch_execnz .LBB246_208
.LBB246_132:
	s_nop 0
	s_sendmsg sendmsg(MSG_DEALLOC_VGPRS)
	s_endpgm
.LBB246_133:
	v_add_co_u32 v29, vcc_lo, v47, v45
	v_add_co_ci_u32_e32 v30, vcc_lo, v48, v46, vcc_lo
	v_lshlrev_b64 v[65:66], 2, v[49:50]
	s_delay_alu instid0(VALU_DEP_2) | instskip(NEXT) | instid1(VALU_DEP_2)
	v_cmp_lt_u64_e32 vcc_lo, v[1:2], v[29:30]
	v_add_co_u32 v65, s0, s12, v65
	s_delay_alu instid0(VALU_DEP_1) | instskip(SKIP_1) | instid1(SALU_CYCLE_1)
	v_add_co_ci_u32_e64 v66, s0, s13, v66, s0
	s_or_b32 s1, s6, vcc_lo
	s_and_saveexec_b32 s0, s1
	s_cbranch_execz .LBB246_136
; %bb.134:
	v_and_b32_e32 v67, 1, v61
	s_delay_alu instid0(VALU_DEP_1)
	v_cmp_eq_u32_e32 vcc_lo, 1, v67
	s_and_b32 exec_lo, exec_lo, vcc_lo
	s_cbranch_execz .LBB246_136
; %bb.135:
	v_lshlrev_b64 v[67:68], 2, v[1:2]
	s_delay_alu instid0(VALU_DEP_1) | instskip(NEXT) | instid1(VALU_DEP_2)
	v_add_co_u32 v67, vcc_lo, v65, v67
	v_add_co_ci_u32_e32 v68, vcc_lo, v66, v68, vcc_lo
	global_store_b32 v[67:68], v41, off
.LBB246_136:
	s_or_b32 exec_lo, exec_lo, s0
	v_cmp_lt_u64_e32 vcc_lo, v[3:4], v[29:30]
	s_or_b32 s1, s6, vcc_lo
	s_delay_alu instid0(SALU_CYCLE_1)
	s_and_saveexec_b32 s0, s1
	s_cbranch_execz .LBB246_139
; %bb.137:
	v_and_b32_e32 v2, 1, v64
	s_delay_alu instid0(VALU_DEP_1)
	v_cmp_eq_u32_e32 vcc_lo, 1, v2
	s_and_b32 exec_lo, exec_lo, vcc_lo
	s_cbranch_execz .LBB246_139
; %bb.138:
	v_lshlrev_b64 v[67:68], 2, v[3:4]
	s_delay_alu instid0(VALU_DEP_1) | instskip(NEXT) | instid1(VALU_DEP_2)
	v_add_co_u32 v67, vcc_lo, v65, v67
	v_add_co_ci_u32_e32 v68, vcc_lo, v66, v68, vcc_lo
	global_store_b32 v[67:68], v42, off
.LBB246_139:
	s_or_b32 exec_lo, exec_lo, s0
	v_cmp_lt_u64_e32 vcc_lo, v[5:6], v[29:30]
	s_or_b32 s1, s6, vcc_lo
	s_delay_alu instid0(SALU_CYCLE_1)
	;; [unrolled: 19-line block ×13, first 2 shown]
	s_and_saveexec_b32 s0, s1
	s_cbranch_execz .LBB246_175
; %bb.173:
	v_and_b32_e32 v2, 1, v55
	s_delay_alu instid0(VALU_DEP_1)
	v_cmp_eq_u32_e32 vcc_lo, 1, v2
	s_and_b32 exec_lo, exec_lo, vcc_lo
	s_cbranch_execz .LBB246_175
; %bb.174:
	v_lshlrev_b64 v[28:29], 2, v[27:28]
	s_delay_alu instid0(VALU_DEP_1) | instskip(NEXT) | instid1(VALU_DEP_2)
	v_add_co_u32 v28, vcc_lo, v65, v28
	v_add_co_ci_u32_e32 v29, vcc_lo, v66, v29, vcc_lo
	global_store_b32 v[28:29], v52, off
.LBB246_175:
	s_or_b32 exec_lo, exec_lo, s0
	s_branch .LBB246_131
.LBB246_176:
	v_and_b32_e32 v2, 1, v61
	s_mov_b32 s0, exec_lo
	s_delay_alu instid0(VALU_DEP_1)
	v_cmpx_eq_u32_e32 1, v2
	s_cbranch_execz .LBB246_178
; %bb.177:
	v_sub_nc_u32_e32 v1, v1, v47
	s_delay_alu instid0(VALU_DEP_1)
	v_lshlrev_b32_e32 v1, 2, v1
	ds_store_b32 v1, v41
.LBB246_178:
	s_or_b32 exec_lo, exec_lo, s0
	v_and_b32_e32 v1, 1, v64
	s_mov_b32 s0, exec_lo
	s_delay_alu instid0(VALU_DEP_1)
	v_cmpx_eq_u32_e32 1, v1
	s_cbranch_execz .LBB246_180
; %bb.179:
	v_sub_nc_u32_e32 v1, v3, v47
	s_delay_alu instid0(VALU_DEP_1)
	v_lshlrev_b32_e32 v1, 2, v1
	ds_store_b32 v1, v42
.LBB246_180:
	s_or_b32 exec_lo, exec_lo, s0
	;; [unrolled: 12-line block ×14, first 2 shown]
	v_mov_b32_e32 v1, 0
	s_mov_b32 s1, exec_lo
	s_waitcnt lgkmcnt(0)
	s_waitcnt_vscnt null, 0x0
	s_barrier
	buffer_gl0_inv
	v_cmpx_gt_u64_e64 v[45:46], v[0:1]
	s_cbranch_execz .LBB246_207
; %bb.205:
	v_lshlrev_b64 v[2:3], 2, v[47:48]
	v_lshlrev_b64 v[4:5], 2, v[49:50]
	s_mov_b32 s6, 0
	s_delay_alu instid0(VALU_DEP_2) | instskip(NEXT) | instid1(VALU_DEP_3)
	v_add_co_u32 v6, vcc_lo, s12, v2
	v_add_co_ci_u32_e32 v7, vcc_lo, s13, v3, vcc_lo
	v_dual_mov_b32 v3, v1 :: v_dual_mov_b32 v2, v0
	s_delay_alu instid0(VALU_DEP_3) | instskip(NEXT) | instid1(VALU_DEP_3)
	v_add_co_u32 v4, vcc_lo, v6, v4
	v_add_co_ci_u32_e32 v5, vcc_lo, v7, v5, vcc_lo
	v_or_b32_e32 v0, 0x80, v0
	.p2align	6
.LBB246_206:                            ; =>This Inner Loop Header: Depth=1
	s_delay_alu instid0(VALU_DEP_4) | instskip(NEXT) | instid1(VALU_DEP_2)
	v_lshlrev_b32_e32 v6, 2, v2
	v_cmp_le_u64_e32 vcc_lo, v[45:46], v[0:1]
	ds_load_b32 v8, v6
	v_lshlrev_b64 v[6:7], 2, v[2:3]
	v_dual_mov_b32 v3, v1 :: v_dual_mov_b32 v2, v0
	v_add_nc_u32_e32 v0, 0x80, v0
	s_or_b32 s6, vcc_lo, s6
	s_delay_alu instid0(VALU_DEP_3) | instskip(NEXT) | instid1(VALU_DEP_1)
	v_add_co_u32 v6, s0, v4, v6
	v_add_co_ci_u32_e64 v7, s0, v5, v7, s0
	s_waitcnt lgkmcnt(0)
	global_store_b32 v[6:7], v8, off
	s_and_not1_b32 exec_lo, exec_lo, s6
	s_cbranch_execnz .LBB246_206
.LBB246_207:
	s_or_b32 exec_lo, exec_lo, s1
	s_and_b32 s0, s2, s3
	s_delay_alu instid0(SALU_CYCLE_1)
	s_and_saveexec_b32 s1, s0
	s_cbranch_execz .LBB246_132
.LBB246_208:
	v_add_co_u32 v0, vcc_lo, v47, v45
	v_add_co_ci_u32_e32 v1, vcc_lo, v48, v46, vcc_lo
	v_mov_b32_e32 v2, 0
	s_delay_alu instid0(VALU_DEP_3) | instskip(NEXT) | instid1(VALU_DEP_3)
	v_add_co_u32 v0, vcc_lo, v0, v49
	v_add_co_ci_u32_e32 v1, vcc_lo, v1, v50, vcc_lo
	global_store_b64 v2, v[0:1], s[4:5]
	s_nop 0
	s_sendmsg sendmsg(MSG_DEALLOC_VGPRS)
	s_endpgm
	.section	.rodata,"a",@progbits
	.p2align	6, 0x0
	.amdhsa_kernel _ZN7rocprim17ROCPRIM_400000_NS6detail17trampoline_kernelINS0_14default_configENS1_25partition_config_selectorILNS1_17partition_subalgoE6EfNS0_10empty_typeEbEEZZNS1_14partition_implILS5_6ELb0ES3_mN6thrust23THRUST_200600_302600_NS6detail15normal_iteratorINSA_10device_ptrIfEEEEPS6_SG_NS0_5tupleIJSF_S6_EEENSH_IJSG_SG_EEES6_PlJ7is_evenIfEEEE10hipError_tPvRmT3_T4_T5_T6_T7_T9_mT8_P12ihipStream_tbDpT10_ENKUlT_T0_E_clISt17integral_constantIbLb1EES16_EEDaS11_S12_EUlS11_E_NS1_11comp_targetILNS1_3genE9ELNS1_11target_archE1100ELNS1_3gpuE3ELNS1_3repE0EEENS1_30default_config_static_selectorELNS0_4arch9wavefront6targetE0EEEvT1_
		.amdhsa_group_segment_fixed_size 7184
		.amdhsa_private_segment_fixed_size 0
		.amdhsa_kernarg_size 128
		.amdhsa_user_sgpr_count 15
		.amdhsa_user_sgpr_dispatch_ptr 0
		.amdhsa_user_sgpr_queue_ptr 0
		.amdhsa_user_sgpr_kernarg_segment_ptr 1
		.amdhsa_user_sgpr_dispatch_id 0
		.amdhsa_user_sgpr_private_segment_size 0
		.amdhsa_wavefront_size32 1
		.amdhsa_uses_dynamic_stack 0
		.amdhsa_enable_private_segment 0
		.amdhsa_system_sgpr_workgroup_id_x 1
		.amdhsa_system_sgpr_workgroup_id_y 0
		.amdhsa_system_sgpr_workgroup_id_z 0
		.amdhsa_system_sgpr_workgroup_info 0
		.amdhsa_system_vgpr_workitem_id 0
		.amdhsa_next_free_vgpr 76
		.amdhsa_next_free_sgpr 20
		.amdhsa_reserve_vcc 1
		.amdhsa_float_round_mode_32 0
		.amdhsa_float_round_mode_16_64 0
		.amdhsa_float_denorm_mode_32 3
		.amdhsa_float_denorm_mode_16_64 3
		.amdhsa_dx10_clamp 1
		.amdhsa_ieee_mode 1
		.amdhsa_fp16_overflow 0
		.amdhsa_workgroup_processor_mode 1
		.amdhsa_memory_ordered 1
		.amdhsa_forward_progress 0
		.amdhsa_shared_vgpr_count 0
		.amdhsa_exception_fp_ieee_invalid_op 0
		.amdhsa_exception_fp_denorm_src 0
		.amdhsa_exception_fp_ieee_div_zero 0
		.amdhsa_exception_fp_ieee_overflow 0
		.amdhsa_exception_fp_ieee_underflow 0
		.amdhsa_exception_fp_ieee_inexact 0
		.amdhsa_exception_int_div_zero 0
	.end_amdhsa_kernel
	.section	.text._ZN7rocprim17ROCPRIM_400000_NS6detail17trampoline_kernelINS0_14default_configENS1_25partition_config_selectorILNS1_17partition_subalgoE6EfNS0_10empty_typeEbEEZZNS1_14partition_implILS5_6ELb0ES3_mN6thrust23THRUST_200600_302600_NS6detail15normal_iteratorINSA_10device_ptrIfEEEEPS6_SG_NS0_5tupleIJSF_S6_EEENSH_IJSG_SG_EEES6_PlJ7is_evenIfEEEE10hipError_tPvRmT3_T4_T5_T6_T7_T9_mT8_P12ihipStream_tbDpT10_ENKUlT_T0_E_clISt17integral_constantIbLb1EES16_EEDaS11_S12_EUlS11_E_NS1_11comp_targetILNS1_3genE9ELNS1_11target_archE1100ELNS1_3gpuE3ELNS1_3repE0EEENS1_30default_config_static_selectorELNS0_4arch9wavefront6targetE0EEEvT1_,"axG",@progbits,_ZN7rocprim17ROCPRIM_400000_NS6detail17trampoline_kernelINS0_14default_configENS1_25partition_config_selectorILNS1_17partition_subalgoE6EfNS0_10empty_typeEbEEZZNS1_14partition_implILS5_6ELb0ES3_mN6thrust23THRUST_200600_302600_NS6detail15normal_iteratorINSA_10device_ptrIfEEEEPS6_SG_NS0_5tupleIJSF_S6_EEENSH_IJSG_SG_EEES6_PlJ7is_evenIfEEEE10hipError_tPvRmT3_T4_T5_T6_T7_T9_mT8_P12ihipStream_tbDpT10_ENKUlT_T0_E_clISt17integral_constantIbLb1EES16_EEDaS11_S12_EUlS11_E_NS1_11comp_targetILNS1_3genE9ELNS1_11target_archE1100ELNS1_3gpuE3ELNS1_3repE0EEENS1_30default_config_static_selectorELNS0_4arch9wavefront6targetE0EEEvT1_,comdat
.Lfunc_end246:
	.size	_ZN7rocprim17ROCPRIM_400000_NS6detail17trampoline_kernelINS0_14default_configENS1_25partition_config_selectorILNS1_17partition_subalgoE6EfNS0_10empty_typeEbEEZZNS1_14partition_implILS5_6ELb0ES3_mN6thrust23THRUST_200600_302600_NS6detail15normal_iteratorINSA_10device_ptrIfEEEEPS6_SG_NS0_5tupleIJSF_S6_EEENSH_IJSG_SG_EEES6_PlJ7is_evenIfEEEE10hipError_tPvRmT3_T4_T5_T6_T7_T9_mT8_P12ihipStream_tbDpT10_ENKUlT_T0_E_clISt17integral_constantIbLb1EES16_EEDaS11_S12_EUlS11_E_NS1_11comp_targetILNS1_3genE9ELNS1_11target_archE1100ELNS1_3gpuE3ELNS1_3repE0EEENS1_30default_config_static_selectorELNS0_4arch9wavefront6targetE0EEEvT1_, .Lfunc_end246-_ZN7rocprim17ROCPRIM_400000_NS6detail17trampoline_kernelINS0_14default_configENS1_25partition_config_selectorILNS1_17partition_subalgoE6EfNS0_10empty_typeEbEEZZNS1_14partition_implILS5_6ELb0ES3_mN6thrust23THRUST_200600_302600_NS6detail15normal_iteratorINSA_10device_ptrIfEEEEPS6_SG_NS0_5tupleIJSF_S6_EEENSH_IJSG_SG_EEES6_PlJ7is_evenIfEEEE10hipError_tPvRmT3_T4_T5_T6_T7_T9_mT8_P12ihipStream_tbDpT10_ENKUlT_T0_E_clISt17integral_constantIbLb1EES16_EEDaS11_S12_EUlS11_E_NS1_11comp_targetILNS1_3genE9ELNS1_11target_archE1100ELNS1_3gpuE3ELNS1_3repE0EEENS1_30default_config_static_selectorELNS0_4arch9wavefront6targetE0EEEvT1_
                                        ; -- End function
	.section	.AMDGPU.csdata,"",@progbits
; Kernel info:
; codeLenInByte = 8740
; NumSgprs: 22
; NumVgprs: 76
; ScratchSize: 0
; MemoryBound: 0
; FloatMode: 240
; IeeeMode: 1
; LDSByteSize: 7184 bytes/workgroup (compile time only)
; SGPRBlocks: 2
; VGPRBlocks: 9
; NumSGPRsForWavesPerEU: 22
; NumVGPRsForWavesPerEU: 76
; Occupancy: 16
; WaveLimiterHint : 1
; COMPUTE_PGM_RSRC2:SCRATCH_EN: 0
; COMPUTE_PGM_RSRC2:USER_SGPR: 15
; COMPUTE_PGM_RSRC2:TRAP_HANDLER: 0
; COMPUTE_PGM_RSRC2:TGID_X_EN: 1
; COMPUTE_PGM_RSRC2:TGID_Y_EN: 0
; COMPUTE_PGM_RSRC2:TGID_Z_EN: 0
; COMPUTE_PGM_RSRC2:TIDIG_COMP_CNT: 0
	.section	.text._ZN7rocprim17ROCPRIM_400000_NS6detail17trampoline_kernelINS0_14default_configENS1_25partition_config_selectorILNS1_17partition_subalgoE6EfNS0_10empty_typeEbEEZZNS1_14partition_implILS5_6ELb0ES3_mN6thrust23THRUST_200600_302600_NS6detail15normal_iteratorINSA_10device_ptrIfEEEEPS6_SG_NS0_5tupleIJSF_S6_EEENSH_IJSG_SG_EEES6_PlJ7is_evenIfEEEE10hipError_tPvRmT3_T4_T5_T6_T7_T9_mT8_P12ihipStream_tbDpT10_ENKUlT_T0_E_clISt17integral_constantIbLb1EES16_EEDaS11_S12_EUlS11_E_NS1_11comp_targetILNS1_3genE8ELNS1_11target_archE1030ELNS1_3gpuE2ELNS1_3repE0EEENS1_30default_config_static_selectorELNS0_4arch9wavefront6targetE0EEEvT1_,"axG",@progbits,_ZN7rocprim17ROCPRIM_400000_NS6detail17trampoline_kernelINS0_14default_configENS1_25partition_config_selectorILNS1_17partition_subalgoE6EfNS0_10empty_typeEbEEZZNS1_14partition_implILS5_6ELb0ES3_mN6thrust23THRUST_200600_302600_NS6detail15normal_iteratorINSA_10device_ptrIfEEEEPS6_SG_NS0_5tupleIJSF_S6_EEENSH_IJSG_SG_EEES6_PlJ7is_evenIfEEEE10hipError_tPvRmT3_T4_T5_T6_T7_T9_mT8_P12ihipStream_tbDpT10_ENKUlT_T0_E_clISt17integral_constantIbLb1EES16_EEDaS11_S12_EUlS11_E_NS1_11comp_targetILNS1_3genE8ELNS1_11target_archE1030ELNS1_3gpuE2ELNS1_3repE0EEENS1_30default_config_static_selectorELNS0_4arch9wavefront6targetE0EEEvT1_,comdat
	.protected	_ZN7rocprim17ROCPRIM_400000_NS6detail17trampoline_kernelINS0_14default_configENS1_25partition_config_selectorILNS1_17partition_subalgoE6EfNS0_10empty_typeEbEEZZNS1_14partition_implILS5_6ELb0ES3_mN6thrust23THRUST_200600_302600_NS6detail15normal_iteratorINSA_10device_ptrIfEEEEPS6_SG_NS0_5tupleIJSF_S6_EEENSH_IJSG_SG_EEES6_PlJ7is_evenIfEEEE10hipError_tPvRmT3_T4_T5_T6_T7_T9_mT8_P12ihipStream_tbDpT10_ENKUlT_T0_E_clISt17integral_constantIbLb1EES16_EEDaS11_S12_EUlS11_E_NS1_11comp_targetILNS1_3genE8ELNS1_11target_archE1030ELNS1_3gpuE2ELNS1_3repE0EEENS1_30default_config_static_selectorELNS0_4arch9wavefront6targetE0EEEvT1_ ; -- Begin function _ZN7rocprim17ROCPRIM_400000_NS6detail17trampoline_kernelINS0_14default_configENS1_25partition_config_selectorILNS1_17partition_subalgoE6EfNS0_10empty_typeEbEEZZNS1_14partition_implILS5_6ELb0ES3_mN6thrust23THRUST_200600_302600_NS6detail15normal_iteratorINSA_10device_ptrIfEEEEPS6_SG_NS0_5tupleIJSF_S6_EEENSH_IJSG_SG_EEES6_PlJ7is_evenIfEEEE10hipError_tPvRmT3_T4_T5_T6_T7_T9_mT8_P12ihipStream_tbDpT10_ENKUlT_T0_E_clISt17integral_constantIbLb1EES16_EEDaS11_S12_EUlS11_E_NS1_11comp_targetILNS1_3genE8ELNS1_11target_archE1030ELNS1_3gpuE2ELNS1_3repE0EEENS1_30default_config_static_selectorELNS0_4arch9wavefront6targetE0EEEvT1_
	.globl	_ZN7rocprim17ROCPRIM_400000_NS6detail17trampoline_kernelINS0_14default_configENS1_25partition_config_selectorILNS1_17partition_subalgoE6EfNS0_10empty_typeEbEEZZNS1_14partition_implILS5_6ELb0ES3_mN6thrust23THRUST_200600_302600_NS6detail15normal_iteratorINSA_10device_ptrIfEEEEPS6_SG_NS0_5tupleIJSF_S6_EEENSH_IJSG_SG_EEES6_PlJ7is_evenIfEEEE10hipError_tPvRmT3_T4_T5_T6_T7_T9_mT8_P12ihipStream_tbDpT10_ENKUlT_T0_E_clISt17integral_constantIbLb1EES16_EEDaS11_S12_EUlS11_E_NS1_11comp_targetILNS1_3genE8ELNS1_11target_archE1030ELNS1_3gpuE2ELNS1_3repE0EEENS1_30default_config_static_selectorELNS0_4arch9wavefront6targetE0EEEvT1_
	.p2align	8
	.type	_ZN7rocprim17ROCPRIM_400000_NS6detail17trampoline_kernelINS0_14default_configENS1_25partition_config_selectorILNS1_17partition_subalgoE6EfNS0_10empty_typeEbEEZZNS1_14partition_implILS5_6ELb0ES3_mN6thrust23THRUST_200600_302600_NS6detail15normal_iteratorINSA_10device_ptrIfEEEEPS6_SG_NS0_5tupleIJSF_S6_EEENSH_IJSG_SG_EEES6_PlJ7is_evenIfEEEE10hipError_tPvRmT3_T4_T5_T6_T7_T9_mT8_P12ihipStream_tbDpT10_ENKUlT_T0_E_clISt17integral_constantIbLb1EES16_EEDaS11_S12_EUlS11_E_NS1_11comp_targetILNS1_3genE8ELNS1_11target_archE1030ELNS1_3gpuE2ELNS1_3repE0EEENS1_30default_config_static_selectorELNS0_4arch9wavefront6targetE0EEEvT1_,@function
_ZN7rocprim17ROCPRIM_400000_NS6detail17trampoline_kernelINS0_14default_configENS1_25partition_config_selectorILNS1_17partition_subalgoE6EfNS0_10empty_typeEbEEZZNS1_14partition_implILS5_6ELb0ES3_mN6thrust23THRUST_200600_302600_NS6detail15normal_iteratorINSA_10device_ptrIfEEEEPS6_SG_NS0_5tupleIJSF_S6_EEENSH_IJSG_SG_EEES6_PlJ7is_evenIfEEEE10hipError_tPvRmT3_T4_T5_T6_T7_T9_mT8_P12ihipStream_tbDpT10_ENKUlT_T0_E_clISt17integral_constantIbLb1EES16_EEDaS11_S12_EUlS11_E_NS1_11comp_targetILNS1_3genE8ELNS1_11target_archE1030ELNS1_3gpuE2ELNS1_3repE0EEENS1_30default_config_static_selectorELNS0_4arch9wavefront6targetE0EEEvT1_: ; @_ZN7rocprim17ROCPRIM_400000_NS6detail17trampoline_kernelINS0_14default_configENS1_25partition_config_selectorILNS1_17partition_subalgoE6EfNS0_10empty_typeEbEEZZNS1_14partition_implILS5_6ELb0ES3_mN6thrust23THRUST_200600_302600_NS6detail15normal_iteratorINSA_10device_ptrIfEEEEPS6_SG_NS0_5tupleIJSF_S6_EEENSH_IJSG_SG_EEES6_PlJ7is_evenIfEEEE10hipError_tPvRmT3_T4_T5_T6_T7_T9_mT8_P12ihipStream_tbDpT10_ENKUlT_T0_E_clISt17integral_constantIbLb1EES16_EEDaS11_S12_EUlS11_E_NS1_11comp_targetILNS1_3genE8ELNS1_11target_archE1030ELNS1_3gpuE2ELNS1_3repE0EEENS1_30default_config_static_selectorELNS0_4arch9wavefront6targetE0EEEvT1_
; %bb.0:
	.section	.rodata,"a",@progbits
	.p2align	6, 0x0
	.amdhsa_kernel _ZN7rocprim17ROCPRIM_400000_NS6detail17trampoline_kernelINS0_14default_configENS1_25partition_config_selectorILNS1_17partition_subalgoE6EfNS0_10empty_typeEbEEZZNS1_14partition_implILS5_6ELb0ES3_mN6thrust23THRUST_200600_302600_NS6detail15normal_iteratorINSA_10device_ptrIfEEEEPS6_SG_NS0_5tupleIJSF_S6_EEENSH_IJSG_SG_EEES6_PlJ7is_evenIfEEEE10hipError_tPvRmT3_T4_T5_T6_T7_T9_mT8_P12ihipStream_tbDpT10_ENKUlT_T0_E_clISt17integral_constantIbLb1EES16_EEDaS11_S12_EUlS11_E_NS1_11comp_targetILNS1_3genE8ELNS1_11target_archE1030ELNS1_3gpuE2ELNS1_3repE0EEENS1_30default_config_static_selectorELNS0_4arch9wavefront6targetE0EEEvT1_
		.amdhsa_group_segment_fixed_size 0
		.amdhsa_private_segment_fixed_size 0
		.amdhsa_kernarg_size 128
		.amdhsa_user_sgpr_count 15
		.amdhsa_user_sgpr_dispatch_ptr 0
		.amdhsa_user_sgpr_queue_ptr 0
		.amdhsa_user_sgpr_kernarg_segment_ptr 1
		.amdhsa_user_sgpr_dispatch_id 0
		.amdhsa_user_sgpr_private_segment_size 0
		.amdhsa_wavefront_size32 1
		.amdhsa_uses_dynamic_stack 0
		.amdhsa_enable_private_segment 0
		.amdhsa_system_sgpr_workgroup_id_x 1
		.amdhsa_system_sgpr_workgroup_id_y 0
		.amdhsa_system_sgpr_workgroup_id_z 0
		.amdhsa_system_sgpr_workgroup_info 0
		.amdhsa_system_vgpr_workitem_id 0
		.amdhsa_next_free_vgpr 1
		.amdhsa_next_free_sgpr 1
		.amdhsa_reserve_vcc 0
		.amdhsa_float_round_mode_32 0
		.amdhsa_float_round_mode_16_64 0
		.amdhsa_float_denorm_mode_32 3
		.amdhsa_float_denorm_mode_16_64 3
		.amdhsa_dx10_clamp 1
		.amdhsa_ieee_mode 1
		.amdhsa_fp16_overflow 0
		.amdhsa_workgroup_processor_mode 1
		.amdhsa_memory_ordered 1
		.amdhsa_forward_progress 0
		.amdhsa_shared_vgpr_count 0
		.amdhsa_exception_fp_ieee_invalid_op 0
		.amdhsa_exception_fp_denorm_src 0
		.amdhsa_exception_fp_ieee_div_zero 0
		.amdhsa_exception_fp_ieee_overflow 0
		.amdhsa_exception_fp_ieee_underflow 0
		.amdhsa_exception_fp_ieee_inexact 0
		.amdhsa_exception_int_div_zero 0
	.end_amdhsa_kernel
	.section	.text._ZN7rocprim17ROCPRIM_400000_NS6detail17trampoline_kernelINS0_14default_configENS1_25partition_config_selectorILNS1_17partition_subalgoE6EfNS0_10empty_typeEbEEZZNS1_14partition_implILS5_6ELb0ES3_mN6thrust23THRUST_200600_302600_NS6detail15normal_iteratorINSA_10device_ptrIfEEEEPS6_SG_NS0_5tupleIJSF_S6_EEENSH_IJSG_SG_EEES6_PlJ7is_evenIfEEEE10hipError_tPvRmT3_T4_T5_T6_T7_T9_mT8_P12ihipStream_tbDpT10_ENKUlT_T0_E_clISt17integral_constantIbLb1EES16_EEDaS11_S12_EUlS11_E_NS1_11comp_targetILNS1_3genE8ELNS1_11target_archE1030ELNS1_3gpuE2ELNS1_3repE0EEENS1_30default_config_static_selectorELNS0_4arch9wavefront6targetE0EEEvT1_,"axG",@progbits,_ZN7rocprim17ROCPRIM_400000_NS6detail17trampoline_kernelINS0_14default_configENS1_25partition_config_selectorILNS1_17partition_subalgoE6EfNS0_10empty_typeEbEEZZNS1_14partition_implILS5_6ELb0ES3_mN6thrust23THRUST_200600_302600_NS6detail15normal_iteratorINSA_10device_ptrIfEEEEPS6_SG_NS0_5tupleIJSF_S6_EEENSH_IJSG_SG_EEES6_PlJ7is_evenIfEEEE10hipError_tPvRmT3_T4_T5_T6_T7_T9_mT8_P12ihipStream_tbDpT10_ENKUlT_T0_E_clISt17integral_constantIbLb1EES16_EEDaS11_S12_EUlS11_E_NS1_11comp_targetILNS1_3genE8ELNS1_11target_archE1030ELNS1_3gpuE2ELNS1_3repE0EEENS1_30default_config_static_selectorELNS0_4arch9wavefront6targetE0EEEvT1_,comdat
.Lfunc_end247:
	.size	_ZN7rocprim17ROCPRIM_400000_NS6detail17trampoline_kernelINS0_14default_configENS1_25partition_config_selectorILNS1_17partition_subalgoE6EfNS0_10empty_typeEbEEZZNS1_14partition_implILS5_6ELb0ES3_mN6thrust23THRUST_200600_302600_NS6detail15normal_iteratorINSA_10device_ptrIfEEEEPS6_SG_NS0_5tupleIJSF_S6_EEENSH_IJSG_SG_EEES6_PlJ7is_evenIfEEEE10hipError_tPvRmT3_T4_T5_T6_T7_T9_mT8_P12ihipStream_tbDpT10_ENKUlT_T0_E_clISt17integral_constantIbLb1EES16_EEDaS11_S12_EUlS11_E_NS1_11comp_targetILNS1_3genE8ELNS1_11target_archE1030ELNS1_3gpuE2ELNS1_3repE0EEENS1_30default_config_static_selectorELNS0_4arch9wavefront6targetE0EEEvT1_, .Lfunc_end247-_ZN7rocprim17ROCPRIM_400000_NS6detail17trampoline_kernelINS0_14default_configENS1_25partition_config_selectorILNS1_17partition_subalgoE6EfNS0_10empty_typeEbEEZZNS1_14partition_implILS5_6ELb0ES3_mN6thrust23THRUST_200600_302600_NS6detail15normal_iteratorINSA_10device_ptrIfEEEEPS6_SG_NS0_5tupleIJSF_S6_EEENSH_IJSG_SG_EEES6_PlJ7is_evenIfEEEE10hipError_tPvRmT3_T4_T5_T6_T7_T9_mT8_P12ihipStream_tbDpT10_ENKUlT_T0_E_clISt17integral_constantIbLb1EES16_EEDaS11_S12_EUlS11_E_NS1_11comp_targetILNS1_3genE8ELNS1_11target_archE1030ELNS1_3gpuE2ELNS1_3repE0EEENS1_30default_config_static_selectorELNS0_4arch9wavefront6targetE0EEEvT1_
                                        ; -- End function
	.section	.AMDGPU.csdata,"",@progbits
; Kernel info:
; codeLenInByte = 0
; NumSgprs: 0
; NumVgprs: 0
; ScratchSize: 0
; MemoryBound: 0
; FloatMode: 240
; IeeeMode: 1
; LDSByteSize: 0 bytes/workgroup (compile time only)
; SGPRBlocks: 0
; VGPRBlocks: 0
; NumSGPRsForWavesPerEU: 1
; NumVGPRsForWavesPerEU: 1
; Occupancy: 16
; WaveLimiterHint : 0
; COMPUTE_PGM_RSRC2:SCRATCH_EN: 0
; COMPUTE_PGM_RSRC2:USER_SGPR: 15
; COMPUTE_PGM_RSRC2:TRAP_HANDLER: 0
; COMPUTE_PGM_RSRC2:TGID_X_EN: 1
; COMPUTE_PGM_RSRC2:TGID_Y_EN: 0
; COMPUTE_PGM_RSRC2:TGID_Z_EN: 0
; COMPUTE_PGM_RSRC2:TIDIG_COMP_CNT: 0
	.section	.text._ZN7rocprim17ROCPRIM_400000_NS6detail17trampoline_kernelINS0_14default_configENS1_25partition_config_selectorILNS1_17partition_subalgoE6EfNS0_10empty_typeEbEEZZNS1_14partition_implILS5_6ELb0ES3_mN6thrust23THRUST_200600_302600_NS6detail15normal_iteratorINSA_10device_ptrIfEEEEPS6_SG_NS0_5tupleIJSF_S6_EEENSH_IJSG_SG_EEES6_PlJ7is_evenIfEEEE10hipError_tPvRmT3_T4_T5_T6_T7_T9_mT8_P12ihipStream_tbDpT10_ENKUlT_T0_E_clISt17integral_constantIbLb1EES15_IbLb0EEEEDaS11_S12_EUlS11_E_NS1_11comp_targetILNS1_3genE0ELNS1_11target_archE4294967295ELNS1_3gpuE0ELNS1_3repE0EEENS1_30default_config_static_selectorELNS0_4arch9wavefront6targetE0EEEvT1_,"axG",@progbits,_ZN7rocprim17ROCPRIM_400000_NS6detail17trampoline_kernelINS0_14default_configENS1_25partition_config_selectorILNS1_17partition_subalgoE6EfNS0_10empty_typeEbEEZZNS1_14partition_implILS5_6ELb0ES3_mN6thrust23THRUST_200600_302600_NS6detail15normal_iteratorINSA_10device_ptrIfEEEEPS6_SG_NS0_5tupleIJSF_S6_EEENSH_IJSG_SG_EEES6_PlJ7is_evenIfEEEE10hipError_tPvRmT3_T4_T5_T6_T7_T9_mT8_P12ihipStream_tbDpT10_ENKUlT_T0_E_clISt17integral_constantIbLb1EES15_IbLb0EEEEDaS11_S12_EUlS11_E_NS1_11comp_targetILNS1_3genE0ELNS1_11target_archE4294967295ELNS1_3gpuE0ELNS1_3repE0EEENS1_30default_config_static_selectorELNS0_4arch9wavefront6targetE0EEEvT1_,comdat
	.protected	_ZN7rocprim17ROCPRIM_400000_NS6detail17trampoline_kernelINS0_14default_configENS1_25partition_config_selectorILNS1_17partition_subalgoE6EfNS0_10empty_typeEbEEZZNS1_14partition_implILS5_6ELb0ES3_mN6thrust23THRUST_200600_302600_NS6detail15normal_iteratorINSA_10device_ptrIfEEEEPS6_SG_NS0_5tupleIJSF_S6_EEENSH_IJSG_SG_EEES6_PlJ7is_evenIfEEEE10hipError_tPvRmT3_T4_T5_T6_T7_T9_mT8_P12ihipStream_tbDpT10_ENKUlT_T0_E_clISt17integral_constantIbLb1EES15_IbLb0EEEEDaS11_S12_EUlS11_E_NS1_11comp_targetILNS1_3genE0ELNS1_11target_archE4294967295ELNS1_3gpuE0ELNS1_3repE0EEENS1_30default_config_static_selectorELNS0_4arch9wavefront6targetE0EEEvT1_ ; -- Begin function _ZN7rocprim17ROCPRIM_400000_NS6detail17trampoline_kernelINS0_14default_configENS1_25partition_config_selectorILNS1_17partition_subalgoE6EfNS0_10empty_typeEbEEZZNS1_14partition_implILS5_6ELb0ES3_mN6thrust23THRUST_200600_302600_NS6detail15normal_iteratorINSA_10device_ptrIfEEEEPS6_SG_NS0_5tupleIJSF_S6_EEENSH_IJSG_SG_EEES6_PlJ7is_evenIfEEEE10hipError_tPvRmT3_T4_T5_T6_T7_T9_mT8_P12ihipStream_tbDpT10_ENKUlT_T0_E_clISt17integral_constantIbLb1EES15_IbLb0EEEEDaS11_S12_EUlS11_E_NS1_11comp_targetILNS1_3genE0ELNS1_11target_archE4294967295ELNS1_3gpuE0ELNS1_3repE0EEENS1_30default_config_static_selectorELNS0_4arch9wavefront6targetE0EEEvT1_
	.globl	_ZN7rocprim17ROCPRIM_400000_NS6detail17trampoline_kernelINS0_14default_configENS1_25partition_config_selectorILNS1_17partition_subalgoE6EfNS0_10empty_typeEbEEZZNS1_14partition_implILS5_6ELb0ES3_mN6thrust23THRUST_200600_302600_NS6detail15normal_iteratorINSA_10device_ptrIfEEEEPS6_SG_NS0_5tupleIJSF_S6_EEENSH_IJSG_SG_EEES6_PlJ7is_evenIfEEEE10hipError_tPvRmT3_T4_T5_T6_T7_T9_mT8_P12ihipStream_tbDpT10_ENKUlT_T0_E_clISt17integral_constantIbLb1EES15_IbLb0EEEEDaS11_S12_EUlS11_E_NS1_11comp_targetILNS1_3genE0ELNS1_11target_archE4294967295ELNS1_3gpuE0ELNS1_3repE0EEENS1_30default_config_static_selectorELNS0_4arch9wavefront6targetE0EEEvT1_
	.p2align	8
	.type	_ZN7rocprim17ROCPRIM_400000_NS6detail17trampoline_kernelINS0_14default_configENS1_25partition_config_selectorILNS1_17partition_subalgoE6EfNS0_10empty_typeEbEEZZNS1_14partition_implILS5_6ELb0ES3_mN6thrust23THRUST_200600_302600_NS6detail15normal_iteratorINSA_10device_ptrIfEEEEPS6_SG_NS0_5tupleIJSF_S6_EEENSH_IJSG_SG_EEES6_PlJ7is_evenIfEEEE10hipError_tPvRmT3_T4_T5_T6_T7_T9_mT8_P12ihipStream_tbDpT10_ENKUlT_T0_E_clISt17integral_constantIbLb1EES15_IbLb0EEEEDaS11_S12_EUlS11_E_NS1_11comp_targetILNS1_3genE0ELNS1_11target_archE4294967295ELNS1_3gpuE0ELNS1_3repE0EEENS1_30default_config_static_selectorELNS0_4arch9wavefront6targetE0EEEvT1_,@function
_ZN7rocprim17ROCPRIM_400000_NS6detail17trampoline_kernelINS0_14default_configENS1_25partition_config_selectorILNS1_17partition_subalgoE6EfNS0_10empty_typeEbEEZZNS1_14partition_implILS5_6ELb0ES3_mN6thrust23THRUST_200600_302600_NS6detail15normal_iteratorINSA_10device_ptrIfEEEEPS6_SG_NS0_5tupleIJSF_S6_EEENSH_IJSG_SG_EEES6_PlJ7is_evenIfEEEE10hipError_tPvRmT3_T4_T5_T6_T7_T9_mT8_P12ihipStream_tbDpT10_ENKUlT_T0_E_clISt17integral_constantIbLb1EES15_IbLb0EEEEDaS11_S12_EUlS11_E_NS1_11comp_targetILNS1_3genE0ELNS1_11target_archE4294967295ELNS1_3gpuE0ELNS1_3repE0EEENS1_30default_config_static_selectorELNS0_4arch9wavefront6targetE0EEEvT1_: ; @_ZN7rocprim17ROCPRIM_400000_NS6detail17trampoline_kernelINS0_14default_configENS1_25partition_config_selectorILNS1_17partition_subalgoE6EfNS0_10empty_typeEbEEZZNS1_14partition_implILS5_6ELb0ES3_mN6thrust23THRUST_200600_302600_NS6detail15normal_iteratorINSA_10device_ptrIfEEEEPS6_SG_NS0_5tupleIJSF_S6_EEENSH_IJSG_SG_EEES6_PlJ7is_evenIfEEEE10hipError_tPvRmT3_T4_T5_T6_T7_T9_mT8_P12ihipStream_tbDpT10_ENKUlT_T0_E_clISt17integral_constantIbLb1EES15_IbLb0EEEEDaS11_S12_EUlS11_E_NS1_11comp_targetILNS1_3genE0ELNS1_11target_archE4294967295ELNS1_3gpuE0ELNS1_3repE0EEENS1_30default_config_static_selectorELNS0_4arch9wavefront6targetE0EEEvT1_
; %bb.0:
	.section	.rodata,"a",@progbits
	.p2align	6, 0x0
	.amdhsa_kernel _ZN7rocprim17ROCPRIM_400000_NS6detail17trampoline_kernelINS0_14default_configENS1_25partition_config_selectorILNS1_17partition_subalgoE6EfNS0_10empty_typeEbEEZZNS1_14partition_implILS5_6ELb0ES3_mN6thrust23THRUST_200600_302600_NS6detail15normal_iteratorINSA_10device_ptrIfEEEEPS6_SG_NS0_5tupleIJSF_S6_EEENSH_IJSG_SG_EEES6_PlJ7is_evenIfEEEE10hipError_tPvRmT3_T4_T5_T6_T7_T9_mT8_P12ihipStream_tbDpT10_ENKUlT_T0_E_clISt17integral_constantIbLb1EES15_IbLb0EEEEDaS11_S12_EUlS11_E_NS1_11comp_targetILNS1_3genE0ELNS1_11target_archE4294967295ELNS1_3gpuE0ELNS1_3repE0EEENS1_30default_config_static_selectorELNS0_4arch9wavefront6targetE0EEEvT1_
		.amdhsa_group_segment_fixed_size 0
		.amdhsa_private_segment_fixed_size 0
		.amdhsa_kernarg_size 112
		.amdhsa_user_sgpr_count 15
		.amdhsa_user_sgpr_dispatch_ptr 0
		.amdhsa_user_sgpr_queue_ptr 0
		.amdhsa_user_sgpr_kernarg_segment_ptr 1
		.amdhsa_user_sgpr_dispatch_id 0
		.amdhsa_user_sgpr_private_segment_size 0
		.amdhsa_wavefront_size32 1
		.amdhsa_uses_dynamic_stack 0
		.amdhsa_enable_private_segment 0
		.amdhsa_system_sgpr_workgroup_id_x 1
		.amdhsa_system_sgpr_workgroup_id_y 0
		.amdhsa_system_sgpr_workgroup_id_z 0
		.amdhsa_system_sgpr_workgroup_info 0
		.amdhsa_system_vgpr_workitem_id 0
		.amdhsa_next_free_vgpr 1
		.amdhsa_next_free_sgpr 1
		.amdhsa_reserve_vcc 0
		.amdhsa_float_round_mode_32 0
		.amdhsa_float_round_mode_16_64 0
		.amdhsa_float_denorm_mode_32 3
		.amdhsa_float_denorm_mode_16_64 3
		.amdhsa_dx10_clamp 1
		.amdhsa_ieee_mode 1
		.amdhsa_fp16_overflow 0
		.amdhsa_workgroup_processor_mode 1
		.amdhsa_memory_ordered 1
		.amdhsa_forward_progress 0
		.amdhsa_shared_vgpr_count 0
		.amdhsa_exception_fp_ieee_invalid_op 0
		.amdhsa_exception_fp_denorm_src 0
		.amdhsa_exception_fp_ieee_div_zero 0
		.amdhsa_exception_fp_ieee_overflow 0
		.amdhsa_exception_fp_ieee_underflow 0
		.amdhsa_exception_fp_ieee_inexact 0
		.amdhsa_exception_int_div_zero 0
	.end_amdhsa_kernel
	.section	.text._ZN7rocprim17ROCPRIM_400000_NS6detail17trampoline_kernelINS0_14default_configENS1_25partition_config_selectorILNS1_17partition_subalgoE6EfNS0_10empty_typeEbEEZZNS1_14partition_implILS5_6ELb0ES3_mN6thrust23THRUST_200600_302600_NS6detail15normal_iteratorINSA_10device_ptrIfEEEEPS6_SG_NS0_5tupleIJSF_S6_EEENSH_IJSG_SG_EEES6_PlJ7is_evenIfEEEE10hipError_tPvRmT3_T4_T5_T6_T7_T9_mT8_P12ihipStream_tbDpT10_ENKUlT_T0_E_clISt17integral_constantIbLb1EES15_IbLb0EEEEDaS11_S12_EUlS11_E_NS1_11comp_targetILNS1_3genE0ELNS1_11target_archE4294967295ELNS1_3gpuE0ELNS1_3repE0EEENS1_30default_config_static_selectorELNS0_4arch9wavefront6targetE0EEEvT1_,"axG",@progbits,_ZN7rocprim17ROCPRIM_400000_NS6detail17trampoline_kernelINS0_14default_configENS1_25partition_config_selectorILNS1_17partition_subalgoE6EfNS0_10empty_typeEbEEZZNS1_14partition_implILS5_6ELb0ES3_mN6thrust23THRUST_200600_302600_NS6detail15normal_iteratorINSA_10device_ptrIfEEEEPS6_SG_NS0_5tupleIJSF_S6_EEENSH_IJSG_SG_EEES6_PlJ7is_evenIfEEEE10hipError_tPvRmT3_T4_T5_T6_T7_T9_mT8_P12ihipStream_tbDpT10_ENKUlT_T0_E_clISt17integral_constantIbLb1EES15_IbLb0EEEEDaS11_S12_EUlS11_E_NS1_11comp_targetILNS1_3genE0ELNS1_11target_archE4294967295ELNS1_3gpuE0ELNS1_3repE0EEENS1_30default_config_static_selectorELNS0_4arch9wavefront6targetE0EEEvT1_,comdat
.Lfunc_end248:
	.size	_ZN7rocprim17ROCPRIM_400000_NS6detail17trampoline_kernelINS0_14default_configENS1_25partition_config_selectorILNS1_17partition_subalgoE6EfNS0_10empty_typeEbEEZZNS1_14partition_implILS5_6ELb0ES3_mN6thrust23THRUST_200600_302600_NS6detail15normal_iteratorINSA_10device_ptrIfEEEEPS6_SG_NS0_5tupleIJSF_S6_EEENSH_IJSG_SG_EEES6_PlJ7is_evenIfEEEE10hipError_tPvRmT3_T4_T5_T6_T7_T9_mT8_P12ihipStream_tbDpT10_ENKUlT_T0_E_clISt17integral_constantIbLb1EES15_IbLb0EEEEDaS11_S12_EUlS11_E_NS1_11comp_targetILNS1_3genE0ELNS1_11target_archE4294967295ELNS1_3gpuE0ELNS1_3repE0EEENS1_30default_config_static_selectorELNS0_4arch9wavefront6targetE0EEEvT1_, .Lfunc_end248-_ZN7rocprim17ROCPRIM_400000_NS6detail17trampoline_kernelINS0_14default_configENS1_25partition_config_selectorILNS1_17partition_subalgoE6EfNS0_10empty_typeEbEEZZNS1_14partition_implILS5_6ELb0ES3_mN6thrust23THRUST_200600_302600_NS6detail15normal_iteratorINSA_10device_ptrIfEEEEPS6_SG_NS0_5tupleIJSF_S6_EEENSH_IJSG_SG_EEES6_PlJ7is_evenIfEEEE10hipError_tPvRmT3_T4_T5_T6_T7_T9_mT8_P12ihipStream_tbDpT10_ENKUlT_T0_E_clISt17integral_constantIbLb1EES15_IbLb0EEEEDaS11_S12_EUlS11_E_NS1_11comp_targetILNS1_3genE0ELNS1_11target_archE4294967295ELNS1_3gpuE0ELNS1_3repE0EEENS1_30default_config_static_selectorELNS0_4arch9wavefront6targetE0EEEvT1_
                                        ; -- End function
	.section	.AMDGPU.csdata,"",@progbits
; Kernel info:
; codeLenInByte = 0
; NumSgprs: 0
; NumVgprs: 0
; ScratchSize: 0
; MemoryBound: 0
; FloatMode: 240
; IeeeMode: 1
; LDSByteSize: 0 bytes/workgroup (compile time only)
; SGPRBlocks: 0
; VGPRBlocks: 0
; NumSGPRsForWavesPerEU: 1
; NumVGPRsForWavesPerEU: 1
; Occupancy: 16
; WaveLimiterHint : 0
; COMPUTE_PGM_RSRC2:SCRATCH_EN: 0
; COMPUTE_PGM_RSRC2:USER_SGPR: 15
; COMPUTE_PGM_RSRC2:TRAP_HANDLER: 0
; COMPUTE_PGM_RSRC2:TGID_X_EN: 1
; COMPUTE_PGM_RSRC2:TGID_Y_EN: 0
; COMPUTE_PGM_RSRC2:TGID_Z_EN: 0
; COMPUTE_PGM_RSRC2:TIDIG_COMP_CNT: 0
	.section	.text._ZN7rocprim17ROCPRIM_400000_NS6detail17trampoline_kernelINS0_14default_configENS1_25partition_config_selectorILNS1_17partition_subalgoE6EfNS0_10empty_typeEbEEZZNS1_14partition_implILS5_6ELb0ES3_mN6thrust23THRUST_200600_302600_NS6detail15normal_iteratorINSA_10device_ptrIfEEEEPS6_SG_NS0_5tupleIJSF_S6_EEENSH_IJSG_SG_EEES6_PlJ7is_evenIfEEEE10hipError_tPvRmT3_T4_T5_T6_T7_T9_mT8_P12ihipStream_tbDpT10_ENKUlT_T0_E_clISt17integral_constantIbLb1EES15_IbLb0EEEEDaS11_S12_EUlS11_E_NS1_11comp_targetILNS1_3genE5ELNS1_11target_archE942ELNS1_3gpuE9ELNS1_3repE0EEENS1_30default_config_static_selectorELNS0_4arch9wavefront6targetE0EEEvT1_,"axG",@progbits,_ZN7rocprim17ROCPRIM_400000_NS6detail17trampoline_kernelINS0_14default_configENS1_25partition_config_selectorILNS1_17partition_subalgoE6EfNS0_10empty_typeEbEEZZNS1_14partition_implILS5_6ELb0ES3_mN6thrust23THRUST_200600_302600_NS6detail15normal_iteratorINSA_10device_ptrIfEEEEPS6_SG_NS0_5tupleIJSF_S6_EEENSH_IJSG_SG_EEES6_PlJ7is_evenIfEEEE10hipError_tPvRmT3_T4_T5_T6_T7_T9_mT8_P12ihipStream_tbDpT10_ENKUlT_T0_E_clISt17integral_constantIbLb1EES15_IbLb0EEEEDaS11_S12_EUlS11_E_NS1_11comp_targetILNS1_3genE5ELNS1_11target_archE942ELNS1_3gpuE9ELNS1_3repE0EEENS1_30default_config_static_selectorELNS0_4arch9wavefront6targetE0EEEvT1_,comdat
	.protected	_ZN7rocprim17ROCPRIM_400000_NS6detail17trampoline_kernelINS0_14default_configENS1_25partition_config_selectorILNS1_17partition_subalgoE6EfNS0_10empty_typeEbEEZZNS1_14partition_implILS5_6ELb0ES3_mN6thrust23THRUST_200600_302600_NS6detail15normal_iteratorINSA_10device_ptrIfEEEEPS6_SG_NS0_5tupleIJSF_S6_EEENSH_IJSG_SG_EEES6_PlJ7is_evenIfEEEE10hipError_tPvRmT3_T4_T5_T6_T7_T9_mT8_P12ihipStream_tbDpT10_ENKUlT_T0_E_clISt17integral_constantIbLb1EES15_IbLb0EEEEDaS11_S12_EUlS11_E_NS1_11comp_targetILNS1_3genE5ELNS1_11target_archE942ELNS1_3gpuE9ELNS1_3repE0EEENS1_30default_config_static_selectorELNS0_4arch9wavefront6targetE0EEEvT1_ ; -- Begin function _ZN7rocprim17ROCPRIM_400000_NS6detail17trampoline_kernelINS0_14default_configENS1_25partition_config_selectorILNS1_17partition_subalgoE6EfNS0_10empty_typeEbEEZZNS1_14partition_implILS5_6ELb0ES3_mN6thrust23THRUST_200600_302600_NS6detail15normal_iteratorINSA_10device_ptrIfEEEEPS6_SG_NS0_5tupleIJSF_S6_EEENSH_IJSG_SG_EEES6_PlJ7is_evenIfEEEE10hipError_tPvRmT3_T4_T5_T6_T7_T9_mT8_P12ihipStream_tbDpT10_ENKUlT_T0_E_clISt17integral_constantIbLb1EES15_IbLb0EEEEDaS11_S12_EUlS11_E_NS1_11comp_targetILNS1_3genE5ELNS1_11target_archE942ELNS1_3gpuE9ELNS1_3repE0EEENS1_30default_config_static_selectorELNS0_4arch9wavefront6targetE0EEEvT1_
	.globl	_ZN7rocprim17ROCPRIM_400000_NS6detail17trampoline_kernelINS0_14default_configENS1_25partition_config_selectorILNS1_17partition_subalgoE6EfNS0_10empty_typeEbEEZZNS1_14partition_implILS5_6ELb0ES3_mN6thrust23THRUST_200600_302600_NS6detail15normal_iteratorINSA_10device_ptrIfEEEEPS6_SG_NS0_5tupleIJSF_S6_EEENSH_IJSG_SG_EEES6_PlJ7is_evenIfEEEE10hipError_tPvRmT3_T4_T5_T6_T7_T9_mT8_P12ihipStream_tbDpT10_ENKUlT_T0_E_clISt17integral_constantIbLb1EES15_IbLb0EEEEDaS11_S12_EUlS11_E_NS1_11comp_targetILNS1_3genE5ELNS1_11target_archE942ELNS1_3gpuE9ELNS1_3repE0EEENS1_30default_config_static_selectorELNS0_4arch9wavefront6targetE0EEEvT1_
	.p2align	8
	.type	_ZN7rocprim17ROCPRIM_400000_NS6detail17trampoline_kernelINS0_14default_configENS1_25partition_config_selectorILNS1_17partition_subalgoE6EfNS0_10empty_typeEbEEZZNS1_14partition_implILS5_6ELb0ES3_mN6thrust23THRUST_200600_302600_NS6detail15normal_iteratorINSA_10device_ptrIfEEEEPS6_SG_NS0_5tupleIJSF_S6_EEENSH_IJSG_SG_EEES6_PlJ7is_evenIfEEEE10hipError_tPvRmT3_T4_T5_T6_T7_T9_mT8_P12ihipStream_tbDpT10_ENKUlT_T0_E_clISt17integral_constantIbLb1EES15_IbLb0EEEEDaS11_S12_EUlS11_E_NS1_11comp_targetILNS1_3genE5ELNS1_11target_archE942ELNS1_3gpuE9ELNS1_3repE0EEENS1_30default_config_static_selectorELNS0_4arch9wavefront6targetE0EEEvT1_,@function
_ZN7rocprim17ROCPRIM_400000_NS6detail17trampoline_kernelINS0_14default_configENS1_25partition_config_selectorILNS1_17partition_subalgoE6EfNS0_10empty_typeEbEEZZNS1_14partition_implILS5_6ELb0ES3_mN6thrust23THRUST_200600_302600_NS6detail15normal_iteratorINSA_10device_ptrIfEEEEPS6_SG_NS0_5tupleIJSF_S6_EEENSH_IJSG_SG_EEES6_PlJ7is_evenIfEEEE10hipError_tPvRmT3_T4_T5_T6_T7_T9_mT8_P12ihipStream_tbDpT10_ENKUlT_T0_E_clISt17integral_constantIbLb1EES15_IbLb0EEEEDaS11_S12_EUlS11_E_NS1_11comp_targetILNS1_3genE5ELNS1_11target_archE942ELNS1_3gpuE9ELNS1_3repE0EEENS1_30default_config_static_selectorELNS0_4arch9wavefront6targetE0EEEvT1_: ; @_ZN7rocprim17ROCPRIM_400000_NS6detail17trampoline_kernelINS0_14default_configENS1_25partition_config_selectorILNS1_17partition_subalgoE6EfNS0_10empty_typeEbEEZZNS1_14partition_implILS5_6ELb0ES3_mN6thrust23THRUST_200600_302600_NS6detail15normal_iteratorINSA_10device_ptrIfEEEEPS6_SG_NS0_5tupleIJSF_S6_EEENSH_IJSG_SG_EEES6_PlJ7is_evenIfEEEE10hipError_tPvRmT3_T4_T5_T6_T7_T9_mT8_P12ihipStream_tbDpT10_ENKUlT_T0_E_clISt17integral_constantIbLb1EES15_IbLb0EEEEDaS11_S12_EUlS11_E_NS1_11comp_targetILNS1_3genE5ELNS1_11target_archE942ELNS1_3gpuE9ELNS1_3repE0EEENS1_30default_config_static_selectorELNS0_4arch9wavefront6targetE0EEEvT1_
; %bb.0:
	.section	.rodata,"a",@progbits
	.p2align	6, 0x0
	.amdhsa_kernel _ZN7rocprim17ROCPRIM_400000_NS6detail17trampoline_kernelINS0_14default_configENS1_25partition_config_selectorILNS1_17partition_subalgoE6EfNS0_10empty_typeEbEEZZNS1_14partition_implILS5_6ELb0ES3_mN6thrust23THRUST_200600_302600_NS6detail15normal_iteratorINSA_10device_ptrIfEEEEPS6_SG_NS0_5tupleIJSF_S6_EEENSH_IJSG_SG_EEES6_PlJ7is_evenIfEEEE10hipError_tPvRmT3_T4_T5_T6_T7_T9_mT8_P12ihipStream_tbDpT10_ENKUlT_T0_E_clISt17integral_constantIbLb1EES15_IbLb0EEEEDaS11_S12_EUlS11_E_NS1_11comp_targetILNS1_3genE5ELNS1_11target_archE942ELNS1_3gpuE9ELNS1_3repE0EEENS1_30default_config_static_selectorELNS0_4arch9wavefront6targetE0EEEvT1_
		.amdhsa_group_segment_fixed_size 0
		.amdhsa_private_segment_fixed_size 0
		.amdhsa_kernarg_size 112
		.amdhsa_user_sgpr_count 15
		.amdhsa_user_sgpr_dispatch_ptr 0
		.amdhsa_user_sgpr_queue_ptr 0
		.amdhsa_user_sgpr_kernarg_segment_ptr 1
		.amdhsa_user_sgpr_dispatch_id 0
		.amdhsa_user_sgpr_private_segment_size 0
		.amdhsa_wavefront_size32 1
		.amdhsa_uses_dynamic_stack 0
		.amdhsa_enable_private_segment 0
		.amdhsa_system_sgpr_workgroup_id_x 1
		.amdhsa_system_sgpr_workgroup_id_y 0
		.amdhsa_system_sgpr_workgroup_id_z 0
		.amdhsa_system_sgpr_workgroup_info 0
		.amdhsa_system_vgpr_workitem_id 0
		.amdhsa_next_free_vgpr 1
		.amdhsa_next_free_sgpr 1
		.amdhsa_reserve_vcc 0
		.amdhsa_float_round_mode_32 0
		.amdhsa_float_round_mode_16_64 0
		.amdhsa_float_denorm_mode_32 3
		.amdhsa_float_denorm_mode_16_64 3
		.amdhsa_dx10_clamp 1
		.amdhsa_ieee_mode 1
		.amdhsa_fp16_overflow 0
		.amdhsa_workgroup_processor_mode 1
		.amdhsa_memory_ordered 1
		.amdhsa_forward_progress 0
		.amdhsa_shared_vgpr_count 0
		.amdhsa_exception_fp_ieee_invalid_op 0
		.amdhsa_exception_fp_denorm_src 0
		.amdhsa_exception_fp_ieee_div_zero 0
		.amdhsa_exception_fp_ieee_overflow 0
		.amdhsa_exception_fp_ieee_underflow 0
		.amdhsa_exception_fp_ieee_inexact 0
		.amdhsa_exception_int_div_zero 0
	.end_amdhsa_kernel
	.section	.text._ZN7rocprim17ROCPRIM_400000_NS6detail17trampoline_kernelINS0_14default_configENS1_25partition_config_selectorILNS1_17partition_subalgoE6EfNS0_10empty_typeEbEEZZNS1_14partition_implILS5_6ELb0ES3_mN6thrust23THRUST_200600_302600_NS6detail15normal_iteratorINSA_10device_ptrIfEEEEPS6_SG_NS0_5tupleIJSF_S6_EEENSH_IJSG_SG_EEES6_PlJ7is_evenIfEEEE10hipError_tPvRmT3_T4_T5_T6_T7_T9_mT8_P12ihipStream_tbDpT10_ENKUlT_T0_E_clISt17integral_constantIbLb1EES15_IbLb0EEEEDaS11_S12_EUlS11_E_NS1_11comp_targetILNS1_3genE5ELNS1_11target_archE942ELNS1_3gpuE9ELNS1_3repE0EEENS1_30default_config_static_selectorELNS0_4arch9wavefront6targetE0EEEvT1_,"axG",@progbits,_ZN7rocprim17ROCPRIM_400000_NS6detail17trampoline_kernelINS0_14default_configENS1_25partition_config_selectorILNS1_17partition_subalgoE6EfNS0_10empty_typeEbEEZZNS1_14partition_implILS5_6ELb0ES3_mN6thrust23THRUST_200600_302600_NS6detail15normal_iteratorINSA_10device_ptrIfEEEEPS6_SG_NS0_5tupleIJSF_S6_EEENSH_IJSG_SG_EEES6_PlJ7is_evenIfEEEE10hipError_tPvRmT3_T4_T5_T6_T7_T9_mT8_P12ihipStream_tbDpT10_ENKUlT_T0_E_clISt17integral_constantIbLb1EES15_IbLb0EEEEDaS11_S12_EUlS11_E_NS1_11comp_targetILNS1_3genE5ELNS1_11target_archE942ELNS1_3gpuE9ELNS1_3repE0EEENS1_30default_config_static_selectorELNS0_4arch9wavefront6targetE0EEEvT1_,comdat
.Lfunc_end249:
	.size	_ZN7rocprim17ROCPRIM_400000_NS6detail17trampoline_kernelINS0_14default_configENS1_25partition_config_selectorILNS1_17partition_subalgoE6EfNS0_10empty_typeEbEEZZNS1_14partition_implILS5_6ELb0ES3_mN6thrust23THRUST_200600_302600_NS6detail15normal_iteratorINSA_10device_ptrIfEEEEPS6_SG_NS0_5tupleIJSF_S6_EEENSH_IJSG_SG_EEES6_PlJ7is_evenIfEEEE10hipError_tPvRmT3_T4_T5_T6_T7_T9_mT8_P12ihipStream_tbDpT10_ENKUlT_T0_E_clISt17integral_constantIbLb1EES15_IbLb0EEEEDaS11_S12_EUlS11_E_NS1_11comp_targetILNS1_3genE5ELNS1_11target_archE942ELNS1_3gpuE9ELNS1_3repE0EEENS1_30default_config_static_selectorELNS0_4arch9wavefront6targetE0EEEvT1_, .Lfunc_end249-_ZN7rocprim17ROCPRIM_400000_NS6detail17trampoline_kernelINS0_14default_configENS1_25partition_config_selectorILNS1_17partition_subalgoE6EfNS0_10empty_typeEbEEZZNS1_14partition_implILS5_6ELb0ES3_mN6thrust23THRUST_200600_302600_NS6detail15normal_iteratorINSA_10device_ptrIfEEEEPS6_SG_NS0_5tupleIJSF_S6_EEENSH_IJSG_SG_EEES6_PlJ7is_evenIfEEEE10hipError_tPvRmT3_T4_T5_T6_T7_T9_mT8_P12ihipStream_tbDpT10_ENKUlT_T0_E_clISt17integral_constantIbLb1EES15_IbLb0EEEEDaS11_S12_EUlS11_E_NS1_11comp_targetILNS1_3genE5ELNS1_11target_archE942ELNS1_3gpuE9ELNS1_3repE0EEENS1_30default_config_static_selectorELNS0_4arch9wavefront6targetE0EEEvT1_
                                        ; -- End function
	.section	.AMDGPU.csdata,"",@progbits
; Kernel info:
; codeLenInByte = 0
; NumSgprs: 0
; NumVgprs: 0
; ScratchSize: 0
; MemoryBound: 0
; FloatMode: 240
; IeeeMode: 1
; LDSByteSize: 0 bytes/workgroup (compile time only)
; SGPRBlocks: 0
; VGPRBlocks: 0
; NumSGPRsForWavesPerEU: 1
; NumVGPRsForWavesPerEU: 1
; Occupancy: 16
; WaveLimiterHint : 0
; COMPUTE_PGM_RSRC2:SCRATCH_EN: 0
; COMPUTE_PGM_RSRC2:USER_SGPR: 15
; COMPUTE_PGM_RSRC2:TRAP_HANDLER: 0
; COMPUTE_PGM_RSRC2:TGID_X_EN: 1
; COMPUTE_PGM_RSRC2:TGID_Y_EN: 0
; COMPUTE_PGM_RSRC2:TGID_Z_EN: 0
; COMPUTE_PGM_RSRC2:TIDIG_COMP_CNT: 0
	.section	.text._ZN7rocprim17ROCPRIM_400000_NS6detail17trampoline_kernelINS0_14default_configENS1_25partition_config_selectorILNS1_17partition_subalgoE6EfNS0_10empty_typeEbEEZZNS1_14partition_implILS5_6ELb0ES3_mN6thrust23THRUST_200600_302600_NS6detail15normal_iteratorINSA_10device_ptrIfEEEEPS6_SG_NS0_5tupleIJSF_S6_EEENSH_IJSG_SG_EEES6_PlJ7is_evenIfEEEE10hipError_tPvRmT3_T4_T5_T6_T7_T9_mT8_P12ihipStream_tbDpT10_ENKUlT_T0_E_clISt17integral_constantIbLb1EES15_IbLb0EEEEDaS11_S12_EUlS11_E_NS1_11comp_targetILNS1_3genE4ELNS1_11target_archE910ELNS1_3gpuE8ELNS1_3repE0EEENS1_30default_config_static_selectorELNS0_4arch9wavefront6targetE0EEEvT1_,"axG",@progbits,_ZN7rocprim17ROCPRIM_400000_NS6detail17trampoline_kernelINS0_14default_configENS1_25partition_config_selectorILNS1_17partition_subalgoE6EfNS0_10empty_typeEbEEZZNS1_14partition_implILS5_6ELb0ES3_mN6thrust23THRUST_200600_302600_NS6detail15normal_iteratorINSA_10device_ptrIfEEEEPS6_SG_NS0_5tupleIJSF_S6_EEENSH_IJSG_SG_EEES6_PlJ7is_evenIfEEEE10hipError_tPvRmT3_T4_T5_T6_T7_T9_mT8_P12ihipStream_tbDpT10_ENKUlT_T0_E_clISt17integral_constantIbLb1EES15_IbLb0EEEEDaS11_S12_EUlS11_E_NS1_11comp_targetILNS1_3genE4ELNS1_11target_archE910ELNS1_3gpuE8ELNS1_3repE0EEENS1_30default_config_static_selectorELNS0_4arch9wavefront6targetE0EEEvT1_,comdat
	.protected	_ZN7rocprim17ROCPRIM_400000_NS6detail17trampoline_kernelINS0_14default_configENS1_25partition_config_selectorILNS1_17partition_subalgoE6EfNS0_10empty_typeEbEEZZNS1_14partition_implILS5_6ELb0ES3_mN6thrust23THRUST_200600_302600_NS6detail15normal_iteratorINSA_10device_ptrIfEEEEPS6_SG_NS0_5tupleIJSF_S6_EEENSH_IJSG_SG_EEES6_PlJ7is_evenIfEEEE10hipError_tPvRmT3_T4_T5_T6_T7_T9_mT8_P12ihipStream_tbDpT10_ENKUlT_T0_E_clISt17integral_constantIbLb1EES15_IbLb0EEEEDaS11_S12_EUlS11_E_NS1_11comp_targetILNS1_3genE4ELNS1_11target_archE910ELNS1_3gpuE8ELNS1_3repE0EEENS1_30default_config_static_selectorELNS0_4arch9wavefront6targetE0EEEvT1_ ; -- Begin function _ZN7rocprim17ROCPRIM_400000_NS6detail17trampoline_kernelINS0_14default_configENS1_25partition_config_selectorILNS1_17partition_subalgoE6EfNS0_10empty_typeEbEEZZNS1_14partition_implILS5_6ELb0ES3_mN6thrust23THRUST_200600_302600_NS6detail15normal_iteratorINSA_10device_ptrIfEEEEPS6_SG_NS0_5tupleIJSF_S6_EEENSH_IJSG_SG_EEES6_PlJ7is_evenIfEEEE10hipError_tPvRmT3_T4_T5_T6_T7_T9_mT8_P12ihipStream_tbDpT10_ENKUlT_T0_E_clISt17integral_constantIbLb1EES15_IbLb0EEEEDaS11_S12_EUlS11_E_NS1_11comp_targetILNS1_3genE4ELNS1_11target_archE910ELNS1_3gpuE8ELNS1_3repE0EEENS1_30default_config_static_selectorELNS0_4arch9wavefront6targetE0EEEvT1_
	.globl	_ZN7rocprim17ROCPRIM_400000_NS6detail17trampoline_kernelINS0_14default_configENS1_25partition_config_selectorILNS1_17partition_subalgoE6EfNS0_10empty_typeEbEEZZNS1_14partition_implILS5_6ELb0ES3_mN6thrust23THRUST_200600_302600_NS6detail15normal_iteratorINSA_10device_ptrIfEEEEPS6_SG_NS0_5tupleIJSF_S6_EEENSH_IJSG_SG_EEES6_PlJ7is_evenIfEEEE10hipError_tPvRmT3_T4_T5_T6_T7_T9_mT8_P12ihipStream_tbDpT10_ENKUlT_T0_E_clISt17integral_constantIbLb1EES15_IbLb0EEEEDaS11_S12_EUlS11_E_NS1_11comp_targetILNS1_3genE4ELNS1_11target_archE910ELNS1_3gpuE8ELNS1_3repE0EEENS1_30default_config_static_selectorELNS0_4arch9wavefront6targetE0EEEvT1_
	.p2align	8
	.type	_ZN7rocprim17ROCPRIM_400000_NS6detail17trampoline_kernelINS0_14default_configENS1_25partition_config_selectorILNS1_17partition_subalgoE6EfNS0_10empty_typeEbEEZZNS1_14partition_implILS5_6ELb0ES3_mN6thrust23THRUST_200600_302600_NS6detail15normal_iteratorINSA_10device_ptrIfEEEEPS6_SG_NS0_5tupleIJSF_S6_EEENSH_IJSG_SG_EEES6_PlJ7is_evenIfEEEE10hipError_tPvRmT3_T4_T5_T6_T7_T9_mT8_P12ihipStream_tbDpT10_ENKUlT_T0_E_clISt17integral_constantIbLb1EES15_IbLb0EEEEDaS11_S12_EUlS11_E_NS1_11comp_targetILNS1_3genE4ELNS1_11target_archE910ELNS1_3gpuE8ELNS1_3repE0EEENS1_30default_config_static_selectorELNS0_4arch9wavefront6targetE0EEEvT1_,@function
_ZN7rocprim17ROCPRIM_400000_NS6detail17trampoline_kernelINS0_14default_configENS1_25partition_config_selectorILNS1_17partition_subalgoE6EfNS0_10empty_typeEbEEZZNS1_14partition_implILS5_6ELb0ES3_mN6thrust23THRUST_200600_302600_NS6detail15normal_iteratorINSA_10device_ptrIfEEEEPS6_SG_NS0_5tupleIJSF_S6_EEENSH_IJSG_SG_EEES6_PlJ7is_evenIfEEEE10hipError_tPvRmT3_T4_T5_T6_T7_T9_mT8_P12ihipStream_tbDpT10_ENKUlT_T0_E_clISt17integral_constantIbLb1EES15_IbLb0EEEEDaS11_S12_EUlS11_E_NS1_11comp_targetILNS1_3genE4ELNS1_11target_archE910ELNS1_3gpuE8ELNS1_3repE0EEENS1_30default_config_static_selectorELNS0_4arch9wavefront6targetE0EEEvT1_: ; @_ZN7rocprim17ROCPRIM_400000_NS6detail17trampoline_kernelINS0_14default_configENS1_25partition_config_selectorILNS1_17partition_subalgoE6EfNS0_10empty_typeEbEEZZNS1_14partition_implILS5_6ELb0ES3_mN6thrust23THRUST_200600_302600_NS6detail15normal_iteratorINSA_10device_ptrIfEEEEPS6_SG_NS0_5tupleIJSF_S6_EEENSH_IJSG_SG_EEES6_PlJ7is_evenIfEEEE10hipError_tPvRmT3_T4_T5_T6_T7_T9_mT8_P12ihipStream_tbDpT10_ENKUlT_T0_E_clISt17integral_constantIbLb1EES15_IbLb0EEEEDaS11_S12_EUlS11_E_NS1_11comp_targetILNS1_3genE4ELNS1_11target_archE910ELNS1_3gpuE8ELNS1_3repE0EEENS1_30default_config_static_selectorELNS0_4arch9wavefront6targetE0EEEvT1_
; %bb.0:
	.section	.rodata,"a",@progbits
	.p2align	6, 0x0
	.amdhsa_kernel _ZN7rocprim17ROCPRIM_400000_NS6detail17trampoline_kernelINS0_14default_configENS1_25partition_config_selectorILNS1_17partition_subalgoE6EfNS0_10empty_typeEbEEZZNS1_14partition_implILS5_6ELb0ES3_mN6thrust23THRUST_200600_302600_NS6detail15normal_iteratorINSA_10device_ptrIfEEEEPS6_SG_NS0_5tupleIJSF_S6_EEENSH_IJSG_SG_EEES6_PlJ7is_evenIfEEEE10hipError_tPvRmT3_T4_T5_T6_T7_T9_mT8_P12ihipStream_tbDpT10_ENKUlT_T0_E_clISt17integral_constantIbLb1EES15_IbLb0EEEEDaS11_S12_EUlS11_E_NS1_11comp_targetILNS1_3genE4ELNS1_11target_archE910ELNS1_3gpuE8ELNS1_3repE0EEENS1_30default_config_static_selectorELNS0_4arch9wavefront6targetE0EEEvT1_
		.amdhsa_group_segment_fixed_size 0
		.amdhsa_private_segment_fixed_size 0
		.amdhsa_kernarg_size 112
		.amdhsa_user_sgpr_count 15
		.amdhsa_user_sgpr_dispatch_ptr 0
		.amdhsa_user_sgpr_queue_ptr 0
		.amdhsa_user_sgpr_kernarg_segment_ptr 1
		.amdhsa_user_sgpr_dispatch_id 0
		.amdhsa_user_sgpr_private_segment_size 0
		.amdhsa_wavefront_size32 1
		.amdhsa_uses_dynamic_stack 0
		.amdhsa_enable_private_segment 0
		.amdhsa_system_sgpr_workgroup_id_x 1
		.amdhsa_system_sgpr_workgroup_id_y 0
		.amdhsa_system_sgpr_workgroup_id_z 0
		.amdhsa_system_sgpr_workgroup_info 0
		.amdhsa_system_vgpr_workitem_id 0
		.amdhsa_next_free_vgpr 1
		.amdhsa_next_free_sgpr 1
		.amdhsa_reserve_vcc 0
		.amdhsa_float_round_mode_32 0
		.amdhsa_float_round_mode_16_64 0
		.amdhsa_float_denorm_mode_32 3
		.amdhsa_float_denorm_mode_16_64 3
		.amdhsa_dx10_clamp 1
		.amdhsa_ieee_mode 1
		.amdhsa_fp16_overflow 0
		.amdhsa_workgroup_processor_mode 1
		.amdhsa_memory_ordered 1
		.amdhsa_forward_progress 0
		.amdhsa_shared_vgpr_count 0
		.amdhsa_exception_fp_ieee_invalid_op 0
		.amdhsa_exception_fp_denorm_src 0
		.amdhsa_exception_fp_ieee_div_zero 0
		.amdhsa_exception_fp_ieee_overflow 0
		.amdhsa_exception_fp_ieee_underflow 0
		.amdhsa_exception_fp_ieee_inexact 0
		.amdhsa_exception_int_div_zero 0
	.end_amdhsa_kernel
	.section	.text._ZN7rocprim17ROCPRIM_400000_NS6detail17trampoline_kernelINS0_14default_configENS1_25partition_config_selectorILNS1_17partition_subalgoE6EfNS0_10empty_typeEbEEZZNS1_14partition_implILS5_6ELb0ES3_mN6thrust23THRUST_200600_302600_NS6detail15normal_iteratorINSA_10device_ptrIfEEEEPS6_SG_NS0_5tupleIJSF_S6_EEENSH_IJSG_SG_EEES6_PlJ7is_evenIfEEEE10hipError_tPvRmT3_T4_T5_T6_T7_T9_mT8_P12ihipStream_tbDpT10_ENKUlT_T0_E_clISt17integral_constantIbLb1EES15_IbLb0EEEEDaS11_S12_EUlS11_E_NS1_11comp_targetILNS1_3genE4ELNS1_11target_archE910ELNS1_3gpuE8ELNS1_3repE0EEENS1_30default_config_static_selectorELNS0_4arch9wavefront6targetE0EEEvT1_,"axG",@progbits,_ZN7rocprim17ROCPRIM_400000_NS6detail17trampoline_kernelINS0_14default_configENS1_25partition_config_selectorILNS1_17partition_subalgoE6EfNS0_10empty_typeEbEEZZNS1_14partition_implILS5_6ELb0ES3_mN6thrust23THRUST_200600_302600_NS6detail15normal_iteratorINSA_10device_ptrIfEEEEPS6_SG_NS0_5tupleIJSF_S6_EEENSH_IJSG_SG_EEES6_PlJ7is_evenIfEEEE10hipError_tPvRmT3_T4_T5_T6_T7_T9_mT8_P12ihipStream_tbDpT10_ENKUlT_T0_E_clISt17integral_constantIbLb1EES15_IbLb0EEEEDaS11_S12_EUlS11_E_NS1_11comp_targetILNS1_3genE4ELNS1_11target_archE910ELNS1_3gpuE8ELNS1_3repE0EEENS1_30default_config_static_selectorELNS0_4arch9wavefront6targetE0EEEvT1_,comdat
.Lfunc_end250:
	.size	_ZN7rocprim17ROCPRIM_400000_NS6detail17trampoline_kernelINS0_14default_configENS1_25partition_config_selectorILNS1_17partition_subalgoE6EfNS0_10empty_typeEbEEZZNS1_14partition_implILS5_6ELb0ES3_mN6thrust23THRUST_200600_302600_NS6detail15normal_iteratorINSA_10device_ptrIfEEEEPS6_SG_NS0_5tupleIJSF_S6_EEENSH_IJSG_SG_EEES6_PlJ7is_evenIfEEEE10hipError_tPvRmT3_T4_T5_T6_T7_T9_mT8_P12ihipStream_tbDpT10_ENKUlT_T0_E_clISt17integral_constantIbLb1EES15_IbLb0EEEEDaS11_S12_EUlS11_E_NS1_11comp_targetILNS1_3genE4ELNS1_11target_archE910ELNS1_3gpuE8ELNS1_3repE0EEENS1_30default_config_static_selectorELNS0_4arch9wavefront6targetE0EEEvT1_, .Lfunc_end250-_ZN7rocprim17ROCPRIM_400000_NS6detail17trampoline_kernelINS0_14default_configENS1_25partition_config_selectorILNS1_17partition_subalgoE6EfNS0_10empty_typeEbEEZZNS1_14partition_implILS5_6ELb0ES3_mN6thrust23THRUST_200600_302600_NS6detail15normal_iteratorINSA_10device_ptrIfEEEEPS6_SG_NS0_5tupleIJSF_S6_EEENSH_IJSG_SG_EEES6_PlJ7is_evenIfEEEE10hipError_tPvRmT3_T4_T5_T6_T7_T9_mT8_P12ihipStream_tbDpT10_ENKUlT_T0_E_clISt17integral_constantIbLb1EES15_IbLb0EEEEDaS11_S12_EUlS11_E_NS1_11comp_targetILNS1_3genE4ELNS1_11target_archE910ELNS1_3gpuE8ELNS1_3repE0EEENS1_30default_config_static_selectorELNS0_4arch9wavefront6targetE0EEEvT1_
                                        ; -- End function
	.section	.AMDGPU.csdata,"",@progbits
; Kernel info:
; codeLenInByte = 0
; NumSgprs: 0
; NumVgprs: 0
; ScratchSize: 0
; MemoryBound: 0
; FloatMode: 240
; IeeeMode: 1
; LDSByteSize: 0 bytes/workgroup (compile time only)
; SGPRBlocks: 0
; VGPRBlocks: 0
; NumSGPRsForWavesPerEU: 1
; NumVGPRsForWavesPerEU: 1
; Occupancy: 16
; WaveLimiterHint : 0
; COMPUTE_PGM_RSRC2:SCRATCH_EN: 0
; COMPUTE_PGM_RSRC2:USER_SGPR: 15
; COMPUTE_PGM_RSRC2:TRAP_HANDLER: 0
; COMPUTE_PGM_RSRC2:TGID_X_EN: 1
; COMPUTE_PGM_RSRC2:TGID_Y_EN: 0
; COMPUTE_PGM_RSRC2:TGID_Z_EN: 0
; COMPUTE_PGM_RSRC2:TIDIG_COMP_CNT: 0
	.section	.text._ZN7rocprim17ROCPRIM_400000_NS6detail17trampoline_kernelINS0_14default_configENS1_25partition_config_selectorILNS1_17partition_subalgoE6EfNS0_10empty_typeEbEEZZNS1_14partition_implILS5_6ELb0ES3_mN6thrust23THRUST_200600_302600_NS6detail15normal_iteratorINSA_10device_ptrIfEEEEPS6_SG_NS0_5tupleIJSF_S6_EEENSH_IJSG_SG_EEES6_PlJ7is_evenIfEEEE10hipError_tPvRmT3_T4_T5_T6_T7_T9_mT8_P12ihipStream_tbDpT10_ENKUlT_T0_E_clISt17integral_constantIbLb1EES15_IbLb0EEEEDaS11_S12_EUlS11_E_NS1_11comp_targetILNS1_3genE3ELNS1_11target_archE908ELNS1_3gpuE7ELNS1_3repE0EEENS1_30default_config_static_selectorELNS0_4arch9wavefront6targetE0EEEvT1_,"axG",@progbits,_ZN7rocprim17ROCPRIM_400000_NS6detail17trampoline_kernelINS0_14default_configENS1_25partition_config_selectorILNS1_17partition_subalgoE6EfNS0_10empty_typeEbEEZZNS1_14partition_implILS5_6ELb0ES3_mN6thrust23THRUST_200600_302600_NS6detail15normal_iteratorINSA_10device_ptrIfEEEEPS6_SG_NS0_5tupleIJSF_S6_EEENSH_IJSG_SG_EEES6_PlJ7is_evenIfEEEE10hipError_tPvRmT3_T4_T5_T6_T7_T9_mT8_P12ihipStream_tbDpT10_ENKUlT_T0_E_clISt17integral_constantIbLb1EES15_IbLb0EEEEDaS11_S12_EUlS11_E_NS1_11comp_targetILNS1_3genE3ELNS1_11target_archE908ELNS1_3gpuE7ELNS1_3repE0EEENS1_30default_config_static_selectorELNS0_4arch9wavefront6targetE0EEEvT1_,comdat
	.protected	_ZN7rocprim17ROCPRIM_400000_NS6detail17trampoline_kernelINS0_14default_configENS1_25partition_config_selectorILNS1_17partition_subalgoE6EfNS0_10empty_typeEbEEZZNS1_14partition_implILS5_6ELb0ES3_mN6thrust23THRUST_200600_302600_NS6detail15normal_iteratorINSA_10device_ptrIfEEEEPS6_SG_NS0_5tupleIJSF_S6_EEENSH_IJSG_SG_EEES6_PlJ7is_evenIfEEEE10hipError_tPvRmT3_T4_T5_T6_T7_T9_mT8_P12ihipStream_tbDpT10_ENKUlT_T0_E_clISt17integral_constantIbLb1EES15_IbLb0EEEEDaS11_S12_EUlS11_E_NS1_11comp_targetILNS1_3genE3ELNS1_11target_archE908ELNS1_3gpuE7ELNS1_3repE0EEENS1_30default_config_static_selectorELNS0_4arch9wavefront6targetE0EEEvT1_ ; -- Begin function _ZN7rocprim17ROCPRIM_400000_NS6detail17trampoline_kernelINS0_14default_configENS1_25partition_config_selectorILNS1_17partition_subalgoE6EfNS0_10empty_typeEbEEZZNS1_14partition_implILS5_6ELb0ES3_mN6thrust23THRUST_200600_302600_NS6detail15normal_iteratorINSA_10device_ptrIfEEEEPS6_SG_NS0_5tupleIJSF_S6_EEENSH_IJSG_SG_EEES6_PlJ7is_evenIfEEEE10hipError_tPvRmT3_T4_T5_T6_T7_T9_mT8_P12ihipStream_tbDpT10_ENKUlT_T0_E_clISt17integral_constantIbLb1EES15_IbLb0EEEEDaS11_S12_EUlS11_E_NS1_11comp_targetILNS1_3genE3ELNS1_11target_archE908ELNS1_3gpuE7ELNS1_3repE0EEENS1_30default_config_static_selectorELNS0_4arch9wavefront6targetE0EEEvT1_
	.globl	_ZN7rocprim17ROCPRIM_400000_NS6detail17trampoline_kernelINS0_14default_configENS1_25partition_config_selectorILNS1_17partition_subalgoE6EfNS0_10empty_typeEbEEZZNS1_14partition_implILS5_6ELb0ES3_mN6thrust23THRUST_200600_302600_NS6detail15normal_iteratorINSA_10device_ptrIfEEEEPS6_SG_NS0_5tupleIJSF_S6_EEENSH_IJSG_SG_EEES6_PlJ7is_evenIfEEEE10hipError_tPvRmT3_T4_T5_T6_T7_T9_mT8_P12ihipStream_tbDpT10_ENKUlT_T0_E_clISt17integral_constantIbLb1EES15_IbLb0EEEEDaS11_S12_EUlS11_E_NS1_11comp_targetILNS1_3genE3ELNS1_11target_archE908ELNS1_3gpuE7ELNS1_3repE0EEENS1_30default_config_static_selectorELNS0_4arch9wavefront6targetE0EEEvT1_
	.p2align	8
	.type	_ZN7rocprim17ROCPRIM_400000_NS6detail17trampoline_kernelINS0_14default_configENS1_25partition_config_selectorILNS1_17partition_subalgoE6EfNS0_10empty_typeEbEEZZNS1_14partition_implILS5_6ELb0ES3_mN6thrust23THRUST_200600_302600_NS6detail15normal_iteratorINSA_10device_ptrIfEEEEPS6_SG_NS0_5tupleIJSF_S6_EEENSH_IJSG_SG_EEES6_PlJ7is_evenIfEEEE10hipError_tPvRmT3_T4_T5_T6_T7_T9_mT8_P12ihipStream_tbDpT10_ENKUlT_T0_E_clISt17integral_constantIbLb1EES15_IbLb0EEEEDaS11_S12_EUlS11_E_NS1_11comp_targetILNS1_3genE3ELNS1_11target_archE908ELNS1_3gpuE7ELNS1_3repE0EEENS1_30default_config_static_selectorELNS0_4arch9wavefront6targetE0EEEvT1_,@function
_ZN7rocprim17ROCPRIM_400000_NS6detail17trampoline_kernelINS0_14default_configENS1_25partition_config_selectorILNS1_17partition_subalgoE6EfNS0_10empty_typeEbEEZZNS1_14partition_implILS5_6ELb0ES3_mN6thrust23THRUST_200600_302600_NS6detail15normal_iteratorINSA_10device_ptrIfEEEEPS6_SG_NS0_5tupleIJSF_S6_EEENSH_IJSG_SG_EEES6_PlJ7is_evenIfEEEE10hipError_tPvRmT3_T4_T5_T6_T7_T9_mT8_P12ihipStream_tbDpT10_ENKUlT_T0_E_clISt17integral_constantIbLb1EES15_IbLb0EEEEDaS11_S12_EUlS11_E_NS1_11comp_targetILNS1_3genE3ELNS1_11target_archE908ELNS1_3gpuE7ELNS1_3repE0EEENS1_30default_config_static_selectorELNS0_4arch9wavefront6targetE0EEEvT1_: ; @_ZN7rocprim17ROCPRIM_400000_NS6detail17trampoline_kernelINS0_14default_configENS1_25partition_config_selectorILNS1_17partition_subalgoE6EfNS0_10empty_typeEbEEZZNS1_14partition_implILS5_6ELb0ES3_mN6thrust23THRUST_200600_302600_NS6detail15normal_iteratorINSA_10device_ptrIfEEEEPS6_SG_NS0_5tupleIJSF_S6_EEENSH_IJSG_SG_EEES6_PlJ7is_evenIfEEEE10hipError_tPvRmT3_T4_T5_T6_T7_T9_mT8_P12ihipStream_tbDpT10_ENKUlT_T0_E_clISt17integral_constantIbLb1EES15_IbLb0EEEEDaS11_S12_EUlS11_E_NS1_11comp_targetILNS1_3genE3ELNS1_11target_archE908ELNS1_3gpuE7ELNS1_3repE0EEENS1_30default_config_static_selectorELNS0_4arch9wavefront6targetE0EEEvT1_
; %bb.0:
	.section	.rodata,"a",@progbits
	.p2align	6, 0x0
	.amdhsa_kernel _ZN7rocprim17ROCPRIM_400000_NS6detail17trampoline_kernelINS0_14default_configENS1_25partition_config_selectorILNS1_17partition_subalgoE6EfNS0_10empty_typeEbEEZZNS1_14partition_implILS5_6ELb0ES3_mN6thrust23THRUST_200600_302600_NS6detail15normal_iteratorINSA_10device_ptrIfEEEEPS6_SG_NS0_5tupleIJSF_S6_EEENSH_IJSG_SG_EEES6_PlJ7is_evenIfEEEE10hipError_tPvRmT3_T4_T5_T6_T7_T9_mT8_P12ihipStream_tbDpT10_ENKUlT_T0_E_clISt17integral_constantIbLb1EES15_IbLb0EEEEDaS11_S12_EUlS11_E_NS1_11comp_targetILNS1_3genE3ELNS1_11target_archE908ELNS1_3gpuE7ELNS1_3repE0EEENS1_30default_config_static_selectorELNS0_4arch9wavefront6targetE0EEEvT1_
		.amdhsa_group_segment_fixed_size 0
		.amdhsa_private_segment_fixed_size 0
		.amdhsa_kernarg_size 112
		.amdhsa_user_sgpr_count 15
		.amdhsa_user_sgpr_dispatch_ptr 0
		.amdhsa_user_sgpr_queue_ptr 0
		.amdhsa_user_sgpr_kernarg_segment_ptr 1
		.amdhsa_user_sgpr_dispatch_id 0
		.amdhsa_user_sgpr_private_segment_size 0
		.amdhsa_wavefront_size32 1
		.amdhsa_uses_dynamic_stack 0
		.amdhsa_enable_private_segment 0
		.amdhsa_system_sgpr_workgroup_id_x 1
		.amdhsa_system_sgpr_workgroup_id_y 0
		.amdhsa_system_sgpr_workgroup_id_z 0
		.amdhsa_system_sgpr_workgroup_info 0
		.amdhsa_system_vgpr_workitem_id 0
		.amdhsa_next_free_vgpr 1
		.amdhsa_next_free_sgpr 1
		.amdhsa_reserve_vcc 0
		.amdhsa_float_round_mode_32 0
		.amdhsa_float_round_mode_16_64 0
		.amdhsa_float_denorm_mode_32 3
		.amdhsa_float_denorm_mode_16_64 3
		.amdhsa_dx10_clamp 1
		.amdhsa_ieee_mode 1
		.amdhsa_fp16_overflow 0
		.amdhsa_workgroup_processor_mode 1
		.amdhsa_memory_ordered 1
		.amdhsa_forward_progress 0
		.amdhsa_shared_vgpr_count 0
		.amdhsa_exception_fp_ieee_invalid_op 0
		.amdhsa_exception_fp_denorm_src 0
		.amdhsa_exception_fp_ieee_div_zero 0
		.amdhsa_exception_fp_ieee_overflow 0
		.amdhsa_exception_fp_ieee_underflow 0
		.amdhsa_exception_fp_ieee_inexact 0
		.amdhsa_exception_int_div_zero 0
	.end_amdhsa_kernel
	.section	.text._ZN7rocprim17ROCPRIM_400000_NS6detail17trampoline_kernelINS0_14default_configENS1_25partition_config_selectorILNS1_17partition_subalgoE6EfNS0_10empty_typeEbEEZZNS1_14partition_implILS5_6ELb0ES3_mN6thrust23THRUST_200600_302600_NS6detail15normal_iteratorINSA_10device_ptrIfEEEEPS6_SG_NS0_5tupleIJSF_S6_EEENSH_IJSG_SG_EEES6_PlJ7is_evenIfEEEE10hipError_tPvRmT3_T4_T5_T6_T7_T9_mT8_P12ihipStream_tbDpT10_ENKUlT_T0_E_clISt17integral_constantIbLb1EES15_IbLb0EEEEDaS11_S12_EUlS11_E_NS1_11comp_targetILNS1_3genE3ELNS1_11target_archE908ELNS1_3gpuE7ELNS1_3repE0EEENS1_30default_config_static_selectorELNS0_4arch9wavefront6targetE0EEEvT1_,"axG",@progbits,_ZN7rocprim17ROCPRIM_400000_NS6detail17trampoline_kernelINS0_14default_configENS1_25partition_config_selectorILNS1_17partition_subalgoE6EfNS0_10empty_typeEbEEZZNS1_14partition_implILS5_6ELb0ES3_mN6thrust23THRUST_200600_302600_NS6detail15normal_iteratorINSA_10device_ptrIfEEEEPS6_SG_NS0_5tupleIJSF_S6_EEENSH_IJSG_SG_EEES6_PlJ7is_evenIfEEEE10hipError_tPvRmT3_T4_T5_T6_T7_T9_mT8_P12ihipStream_tbDpT10_ENKUlT_T0_E_clISt17integral_constantIbLb1EES15_IbLb0EEEEDaS11_S12_EUlS11_E_NS1_11comp_targetILNS1_3genE3ELNS1_11target_archE908ELNS1_3gpuE7ELNS1_3repE0EEENS1_30default_config_static_selectorELNS0_4arch9wavefront6targetE0EEEvT1_,comdat
.Lfunc_end251:
	.size	_ZN7rocprim17ROCPRIM_400000_NS6detail17trampoline_kernelINS0_14default_configENS1_25partition_config_selectorILNS1_17partition_subalgoE6EfNS0_10empty_typeEbEEZZNS1_14partition_implILS5_6ELb0ES3_mN6thrust23THRUST_200600_302600_NS6detail15normal_iteratorINSA_10device_ptrIfEEEEPS6_SG_NS0_5tupleIJSF_S6_EEENSH_IJSG_SG_EEES6_PlJ7is_evenIfEEEE10hipError_tPvRmT3_T4_T5_T6_T7_T9_mT8_P12ihipStream_tbDpT10_ENKUlT_T0_E_clISt17integral_constantIbLb1EES15_IbLb0EEEEDaS11_S12_EUlS11_E_NS1_11comp_targetILNS1_3genE3ELNS1_11target_archE908ELNS1_3gpuE7ELNS1_3repE0EEENS1_30default_config_static_selectorELNS0_4arch9wavefront6targetE0EEEvT1_, .Lfunc_end251-_ZN7rocprim17ROCPRIM_400000_NS6detail17trampoline_kernelINS0_14default_configENS1_25partition_config_selectorILNS1_17partition_subalgoE6EfNS0_10empty_typeEbEEZZNS1_14partition_implILS5_6ELb0ES3_mN6thrust23THRUST_200600_302600_NS6detail15normal_iteratorINSA_10device_ptrIfEEEEPS6_SG_NS0_5tupleIJSF_S6_EEENSH_IJSG_SG_EEES6_PlJ7is_evenIfEEEE10hipError_tPvRmT3_T4_T5_T6_T7_T9_mT8_P12ihipStream_tbDpT10_ENKUlT_T0_E_clISt17integral_constantIbLb1EES15_IbLb0EEEEDaS11_S12_EUlS11_E_NS1_11comp_targetILNS1_3genE3ELNS1_11target_archE908ELNS1_3gpuE7ELNS1_3repE0EEENS1_30default_config_static_selectorELNS0_4arch9wavefront6targetE0EEEvT1_
                                        ; -- End function
	.section	.AMDGPU.csdata,"",@progbits
; Kernel info:
; codeLenInByte = 0
; NumSgprs: 0
; NumVgprs: 0
; ScratchSize: 0
; MemoryBound: 0
; FloatMode: 240
; IeeeMode: 1
; LDSByteSize: 0 bytes/workgroup (compile time only)
; SGPRBlocks: 0
; VGPRBlocks: 0
; NumSGPRsForWavesPerEU: 1
; NumVGPRsForWavesPerEU: 1
; Occupancy: 16
; WaveLimiterHint : 0
; COMPUTE_PGM_RSRC2:SCRATCH_EN: 0
; COMPUTE_PGM_RSRC2:USER_SGPR: 15
; COMPUTE_PGM_RSRC2:TRAP_HANDLER: 0
; COMPUTE_PGM_RSRC2:TGID_X_EN: 1
; COMPUTE_PGM_RSRC2:TGID_Y_EN: 0
; COMPUTE_PGM_RSRC2:TGID_Z_EN: 0
; COMPUTE_PGM_RSRC2:TIDIG_COMP_CNT: 0
	.section	.text._ZN7rocprim17ROCPRIM_400000_NS6detail17trampoline_kernelINS0_14default_configENS1_25partition_config_selectorILNS1_17partition_subalgoE6EfNS0_10empty_typeEbEEZZNS1_14partition_implILS5_6ELb0ES3_mN6thrust23THRUST_200600_302600_NS6detail15normal_iteratorINSA_10device_ptrIfEEEEPS6_SG_NS0_5tupleIJSF_S6_EEENSH_IJSG_SG_EEES6_PlJ7is_evenIfEEEE10hipError_tPvRmT3_T4_T5_T6_T7_T9_mT8_P12ihipStream_tbDpT10_ENKUlT_T0_E_clISt17integral_constantIbLb1EES15_IbLb0EEEEDaS11_S12_EUlS11_E_NS1_11comp_targetILNS1_3genE2ELNS1_11target_archE906ELNS1_3gpuE6ELNS1_3repE0EEENS1_30default_config_static_selectorELNS0_4arch9wavefront6targetE0EEEvT1_,"axG",@progbits,_ZN7rocprim17ROCPRIM_400000_NS6detail17trampoline_kernelINS0_14default_configENS1_25partition_config_selectorILNS1_17partition_subalgoE6EfNS0_10empty_typeEbEEZZNS1_14partition_implILS5_6ELb0ES3_mN6thrust23THRUST_200600_302600_NS6detail15normal_iteratorINSA_10device_ptrIfEEEEPS6_SG_NS0_5tupleIJSF_S6_EEENSH_IJSG_SG_EEES6_PlJ7is_evenIfEEEE10hipError_tPvRmT3_T4_T5_T6_T7_T9_mT8_P12ihipStream_tbDpT10_ENKUlT_T0_E_clISt17integral_constantIbLb1EES15_IbLb0EEEEDaS11_S12_EUlS11_E_NS1_11comp_targetILNS1_3genE2ELNS1_11target_archE906ELNS1_3gpuE6ELNS1_3repE0EEENS1_30default_config_static_selectorELNS0_4arch9wavefront6targetE0EEEvT1_,comdat
	.protected	_ZN7rocprim17ROCPRIM_400000_NS6detail17trampoline_kernelINS0_14default_configENS1_25partition_config_selectorILNS1_17partition_subalgoE6EfNS0_10empty_typeEbEEZZNS1_14partition_implILS5_6ELb0ES3_mN6thrust23THRUST_200600_302600_NS6detail15normal_iteratorINSA_10device_ptrIfEEEEPS6_SG_NS0_5tupleIJSF_S6_EEENSH_IJSG_SG_EEES6_PlJ7is_evenIfEEEE10hipError_tPvRmT3_T4_T5_T6_T7_T9_mT8_P12ihipStream_tbDpT10_ENKUlT_T0_E_clISt17integral_constantIbLb1EES15_IbLb0EEEEDaS11_S12_EUlS11_E_NS1_11comp_targetILNS1_3genE2ELNS1_11target_archE906ELNS1_3gpuE6ELNS1_3repE0EEENS1_30default_config_static_selectorELNS0_4arch9wavefront6targetE0EEEvT1_ ; -- Begin function _ZN7rocprim17ROCPRIM_400000_NS6detail17trampoline_kernelINS0_14default_configENS1_25partition_config_selectorILNS1_17partition_subalgoE6EfNS0_10empty_typeEbEEZZNS1_14partition_implILS5_6ELb0ES3_mN6thrust23THRUST_200600_302600_NS6detail15normal_iteratorINSA_10device_ptrIfEEEEPS6_SG_NS0_5tupleIJSF_S6_EEENSH_IJSG_SG_EEES6_PlJ7is_evenIfEEEE10hipError_tPvRmT3_T4_T5_T6_T7_T9_mT8_P12ihipStream_tbDpT10_ENKUlT_T0_E_clISt17integral_constantIbLb1EES15_IbLb0EEEEDaS11_S12_EUlS11_E_NS1_11comp_targetILNS1_3genE2ELNS1_11target_archE906ELNS1_3gpuE6ELNS1_3repE0EEENS1_30default_config_static_selectorELNS0_4arch9wavefront6targetE0EEEvT1_
	.globl	_ZN7rocprim17ROCPRIM_400000_NS6detail17trampoline_kernelINS0_14default_configENS1_25partition_config_selectorILNS1_17partition_subalgoE6EfNS0_10empty_typeEbEEZZNS1_14partition_implILS5_6ELb0ES3_mN6thrust23THRUST_200600_302600_NS6detail15normal_iteratorINSA_10device_ptrIfEEEEPS6_SG_NS0_5tupleIJSF_S6_EEENSH_IJSG_SG_EEES6_PlJ7is_evenIfEEEE10hipError_tPvRmT3_T4_T5_T6_T7_T9_mT8_P12ihipStream_tbDpT10_ENKUlT_T0_E_clISt17integral_constantIbLb1EES15_IbLb0EEEEDaS11_S12_EUlS11_E_NS1_11comp_targetILNS1_3genE2ELNS1_11target_archE906ELNS1_3gpuE6ELNS1_3repE0EEENS1_30default_config_static_selectorELNS0_4arch9wavefront6targetE0EEEvT1_
	.p2align	8
	.type	_ZN7rocprim17ROCPRIM_400000_NS6detail17trampoline_kernelINS0_14default_configENS1_25partition_config_selectorILNS1_17partition_subalgoE6EfNS0_10empty_typeEbEEZZNS1_14partition_implILS5_6ELb0ES3_mN6thrust23THRUST_200600_302600_NS6detail15normal_iteratorINSA_10device_ptrIfEEEEPS6_SG_NS0_5tupleIJSF_S6_EEENSH_IJSG_SG_EEES6_PlJ7is_evenIfEEEE10hipError_tPvRmT3_T4_T5_T6_T7_T9_mT8_P12ihipStream_tbDpT10_ENKUlT_T0_E_clISt17integral_constantIbLb1EES15_IbLb0EEEEDaS11_S12_EUlS11_E_NS1_11comp_targetILNS1_3genE2ELNS1_11target_archE906ELNS1_3gpuE6ELNS1_3repE0EEENS1_30default_config_static_selectorELNS0_4arch9wavefront6targetE0EEEvT1_,@function
_ZN7rocprim17ROCPRIM_400000_NS6detail17trampoline_kernelINS0_14default_configENS1_25partition_config_selectorILNS1_17partition_subalgoE6EfNS0_10empty_typeEbEEZZNS1_14partition_implILS5_6ELb0ES3_mN6thrust23THRUST_200600_302600_NS6detail15normal_iteratorINSA_10device_ptrIfEEEEPS6_SG_NS0_5tupleIJSF_S6_EEENSH_IJSG_SG_EEES6_PlJ7is_evenIfEEEE10hipError_tPvRmT3_T4_T5_T6_T7_T9_mT8_P12ihipStream_tbDpT10_ENKUlT_T0_E_clISt17integral_constantIbLb1EES15_IbLb0EEEEDaS11_S12_EUlS11_E_NS1_11comp_targetILNS1_3genE2ELNS1_11target_archE906ELNS1_3gpuE6ELNS1_3repE0EEENS1_30default_config_static_selectorELNS0_4arch9wavefront6targetE0EEEvT1_: ; @_ZN7rocprim17ROCPRIM_400000_NS6detail17trampoline_kernelINS0_14default_configENS1_25partition_config_selectorILNS1_17partition_subalgoE6EfNS0_10empty_typeEbEEZZNS1_14partition_implILS5_6ELb0ES3_mN6thrust23THRUST_200600_302600_NS6detail15normal_iteratorINSA_10device_ptrIfEEEEPS6_SG_NS0_5tupleIJSF_S6_EEENSH_IJSG_SG_EEES6_PlJ7is_evenIfEEEE10hipError_tPvRmT3_T4_T5_T6_T7_T9_mT8_P12ihipStream_tbDpT10_ENKUlT_T0_E_clISt17integral_constantIbLb1EES15_IbLb0EEEEDaS11_S12_EUlS11_E_NS1_11comp_targetILNS1_3genE2ELNS1_11target_archE906ELNS1_3gpuE6ELNS1_3repE0EEENS1_30default_config_static_selectorELNS0_4arch9wavefront6targetE0EEEvT1_
; %bb.0:
	.section	.rodata,"a",@progbits
	.p2align	6, 0x0
	.amdhsa_kernel _ZN7rocprim17ROCPRIM_400000_NS6detail17trampoline_kernelINS0_14default_configENS1_25partition_config_selectorILNS1_17partition_subalgoE6EfNS0_10empty_typeEbEEZZNS1_14partition_implILS5_6ELb0ES3_mN6thrust23THRUST_200600_302600_NS6detail15normal_iteratorINSA_10device_ptrIfEEEEPS6_SG_NS0_5tupleIJSF_S6_EEENSH_IJSG_SG_EEES6_PlJ7is_evenIfEEEE10hipError_tPvRmT3_T4_T5_T6_T7_T9_mT8_P12ihipStream_tbDpT10_ENKUlT_T0_E_clISt17integral_constantIbLb1EES15_IbLb0EEEEDaS11_S12_EUlS11_E_NS1_11comp_targetILNS1_3genE2ELNS1_11target_archE906ELNS1_3gpuE6ELNS1_3repE0EEENS1_30default_config_static_selectorELNS0_4arch9wavefront6targetE0EEEvT1_
		.amdhsa_group_segment_fixed_size 0
		.amdhsa_private_segment_fixed_size 0
		.amdhsa_kernarg_size 112
		.amdhsa_user_sgpr_count 15
		.amdhsa_user_sgpr_dispatch_ptr 0
		.amdhsa_user_sgpr_queue_ptr 0
		.amdhsa_user_sgpr_kernarg_segment_ptr 1
		.amdhsa_user_sgpr_dispatch_id 0
		.amdhsa_user_sgpr_private_segment_size 0
		.amdhsa_wavefront_size32 1
		.amdhsa_uses_dynamic_stack 0
		.amdhsa_enable_private_segment 0
		.amdhsa_system_sgpr_workgroup_id_x 1
		.amdhsa_system_sgpr_workgroup_id_y 0
		.amdhsa_system_sgpr_workgroup_id_z 0
		.amdhsa_system_sgpr_workgroup_info 0
		.amdhsa_system_vgpr_workitem_id 0
		.amdhsa_next_free_vgpr 1
		.amdhsa_next_free_sgpr 1
		.amdhsa_reserve_vcc 0
		.amdhsa_float_round_mode_32 0
		.amdhsa_float_round_mode_16_64 0
		.amdhsa_float_denorm_mode_32 3
		.amdhsa_float_denorm_mode_16_64 3
		.amdhsa_dx10_clamp 1
		.amdhsa_ieee_mode 1
		.amdhsa_fp16_overflow 0
		.amdhsa_workgroup_processor_mode 1
		.amdhsa_memory_ordered 1
		.amdhsa_forward_progress 0
		.amdhsa_shared_vgpr_count 0
		.amdhsa_exception_fp_ieee_invalid_op 0
		.amdhsa_exception_fp_denorm_src 0
		.amdhsa_exception_fp_ieee_div_zero 0
		.amdhsa_exception_fp_ieee_overflow 0
		.amdhsa_exception_fp_ieee_underflow 0
		.amdhsa_exception_fp_ieee_inexact 0
		.amdhsa_exception_int_div_zero 0
	.end_amdhsa_kernel
	.section	.text._ZN7rocprim17ROCPRIM_400000_NS6detail17trampoline_kernelINS0_14default_configENS1_25partition_config_selectorILNS1_17partition_subalgoE6EfNS0_10empty_typeEbEEZZNS1_14partition_implILS5_6ELb0ES3_mN6thrust23THRUST_200600_302600_NS6detail15normal_iteratorINSA_10device_ptrIfEEEEPS6_SG_NS0_5tupleIJSF_S6_EEENSH_IJSG_SG_EEES6_PlJ7is_evenIfEEEE10hipError_tPvRmT3_T4_T5_T6_T7_T9_mT8_P12ihipStream_tbDpT10_ENKUlT_T0_E_clISt17integral_constantIbLb1EES15_IbLb0EEEEDaS11_S12_EUlS11_E_NS1_11comp_targetILNS1_3genE2ELNS1_11target_archE906ELNS1_3gpuE6ELNS1_3repE0EEENS1_30default_config_static_selectorELNS0_4arch9wavefront6targetE0EEEvT1_,"axG",@progbits,_ZN7rocprim17ROCPRIM_400000_NS6detail17trampoline_kernelINS0_14default_configENS1_25partition_config_selectorILNS1_17partition_subalgoE6EfNS0_10empty_typeEbEEZZNS1_14partition_implILS5_6ELb0ES3_mN6thrust23THRUST_200600_302600_NS6detail15normal_iteratorINSA_10device_ptrIfEEEEPS6_SG_NS0_5tupleIJSF_S6_EEENSH_IJSG_SG_EEES6_PlJ7is_evenIfEEEE10hipError_tPvRmT3_T4_T5_T6_T7_T9_mT8_P12ihipStream_tbDpT10_ENKUlT_T0_E_clISt17integral_constantIbLb1EES15_IbLb0EEEEDaS11_S12_EUlS11_E_NS1_11comp_targetILNS1_3genE2ELNS1_11target_archE906ELNS1_3gpuE6ELNS1_3repE0EEENS1_30default_config_static_selectorELNS0_4arch9wavefront6targetE0EEEvT1_,comdat
.Lfunc_end252:
	.size	_ZN7rocprim17ROCPRIM_400000_NS6detail17trampoline_kernelINS0_14default_configENS1_25partition_config_selectorILNS1_17partition_subalgoE6EfNS0_10empty_typeEbEEZZNS1_14partition_implILS5_6ELb0ES3_mN6thrust23THRUST_200600_302600_NS6detail15normal_iteratorINSA_10device_ptrIfEEEEPS6_SG_NS0_5tupleIJSF_S6_EEENSH_IJSG_SG_EEES6_PlJ7is_evenIfEEEE10hipError_tPvRmT3_T4_T5_T6_T7_T9_mT8_P12ihipStream_tbDpT10_ENKUlT_T0_E_clISt17integral_constantIbLb1EES15_IbLb0EEEEDaS11_S12_EUlS11_E_NS1_11comp_targetILNS1_3genE2ELNS1_11target_archE906ELNS1_3gpuE6ELNS1_3repE0EEENS1_30default_config_static_selectorELNS0_4arch9wavefront6targetE0EEEvT1_, .Lfunc_end252-_ZN7rocprim17ROCPRIM_400000_NS6detail17trampoline_kernelINS0_14default_configENS1_25partition_config_selectorILNS1_17partition_subalgoE6EfNS0_10empty_typeEbEEZZNS1_14partition_implILS5_6ELb0ES3_mN6thrust23THRUST_200600_302600_NS6detail15normal_iteratorINSA_10device_ptrIfEEEEPS6_SG_NS0_5tupleIJSF_S6_EEENSH_IJSG_SG_EEES6_PlJ7is_evenIfEEEE10hipError_tPvRmT3_T4_T5_T6_T7_T9_mT8_P12ihipStream_tbDpT10_ENKUlT_T0_E_clISt17integral_constantIbLb1EES15_IbLb0EEEEDaS11_S12_EUlS11_E_NS1_11comp_targetILNS1_3genE2ELNS1_11target_archE906ELNS1_3gpuE6ELNS1_3repE0EEENS1_30default_config_static_selectorELNS0_4arch9wavefront6targetE0EEEvT1_
                                        ; -- End function
	.section	.AMDGPU.csdata,"",@progbits
; Kernel info:
; codeLenInByte = 0
; NumSgprs: 0
; NumVgprs: 0
; ScratchSize: 0
; MemoryBound: 0
; FloatMode: 240
; IeeeMode: 1
; LDSByteSize: 0 bytes/workgroup (compile time only)
; SGPRBlocks: 0
; VGPRBlocks: 0
; NumSGPRsForWavesPerEU: 1
; NumVGPRsForWavesPerEU: 1
; Occupancy: 16
; WaveLimiterHint : 0
; COMPUTE_PGM_RSRC2:SCRATCH_EN: 0
; COMPUTE_PGM_RSRC2:USER_SGPR: 15
; COMPUTE_PGM_RSRC2:TRAP_HANDLER: 0
; COMPUTE_PGM_RSRC2:TGID_X_EN: 1
; COMPUTE_PGM_RSRC2:TGID_Y_EN: 0
; COMPUTE_PGM_RSRC2:TGID_Z_EN: 0
; COMPUTE_PGM_RSRC2:TIDIG_COMP_CNT: 0
	.section	.text._ZN7rocprim17ROCPRIM_400000_NS6detail17trampoline_kernelINS0_14default_configENS1_25partition_config_selectorILNS1_17partition_subalgoE6EfNS0_10empty_typeEbEEZZNS1_14partition_implILS5_6ELb0ES3_mN6thrust23THRUST_200600_302600_NS6detail15normal_iteratorINSA_10device_ptrIfEEEEPS6_SG_NS0_5tupleIJSF_S6_EEENSH_IJSG_SG_EEES6_PlJ7is_evenIfEEEE10hipError_tPvRmT3_T4_T5_T6_T7_T9_mT8_P12ihipStream_tbDpT10_ENKUlT_T0_E_clISt17integral_constantIbLb1EES15_IbLb0EEEEDaS11_S12_EUlS11_E_NS1_11comp_targetILNS1_3genE10ELNS1_11target_archE1200ELNS1_3gpuE4ELNS1_3repE0EEENS1_30default_config_static_selectorELNS0_4arch9wavefront6targetE0EEEvT1_,"axG",@progbits,_ZN7rocprim17ROCPRIM_400000_NS6detail17trampoline_kernelINS0_14default_configENS1_25partition_config_selectorILNS1_17partition_subalgoE6EfNS0_10empty_typeEbEEZZNS1_14partition_implILS5_6ELb0ES3_mN6thrust23THRUST_200600_302600_NS6detail15normal_iteratorINSA_10device_ptrIfEEEEPS6_SG_NS0_5tupleIJSF_S6_EEENSH_IJSG_SG_EEES6_PlJ7is_evenIfEEEE10hipError_tPvRmT3_T4_T5_T6_T7_T9_mT8_P12ihipStream_tbDpT10_ENKUlT_T0_E_clISt17integral_constantIbLb1EES15_IbLb0EEEEDaS11_S12_EUlS11_E_NS1_11comp_targetILNS1_3genE10ELNS1_11target_archE1200ELNS1_3gpuE4ELNS1_3repE0EEENS1_30default_config_static_selectorELNS0_4arch9wavefront6targetE0EEEvT1_,comdat
	.protected	_ZN7rocprim17ROCPRIM_400000_NS6detail17trampoline_kernelINS0_14default_configENS1_25partition_config_selectorILNS1_17partition_subalgoE6EfNS0_10empty_typeEbEEZZNS1_14partition_implILS5_6ELb0ES3_mN6thrust23THRUST_200600_302600_NS6detail15normal_iteratorINSA_10device_ptrIfEEEEPS6_SG_NS0_5tupleIJSF_S6_EEENSH_IJSG_SG_EEES6_PlJ7is_evenIfEEEE10hipError_tPvRmT3_T4_T5_T6_T7_T9_mT8_P12ihipStream_tbDpT10_ENKUlT_T0_E_clISt17integral_constantIbLb1EES15_IbLb0EEEEDaS11_S12_EUlS11_E_NS1_11comp_targetILNS1_3genE10ELNS1_11target_archE1200ELNS1_3gpuE4ELNS1_3repE0EEENS1_30default_config_static_selectorELNS0_4arch9wavefront6targetE0EEEvT1_ ; -- Begin function _ZN7rocprim17ROCPRIM_400000_NS6detail17trampoline_kernelINS0_14default_configENS1_25partition_config_selectorILNS1_17partition_subalgoE6EfNS0_10empty_typeEbEEZZNS1_14partition_implILS5_6ELb0ES3_mN6thrust23THRUST_200600_302600_NS6detail15normal_iteratorINSA_10device_ptrIfEEEEPS6_SG_NS0_5tupleIJSF_S6_EEENSH_IJSG_SG_EEES6_PlJ7is_evenIfEEEE10hipError_tPvRmT3_T4_T5_T6_T7_T9_mT8_P12ihipStream_tbDpT10_ENKUlT_T0_E_clISt17integral_constantIbLb1EES15_IbLb0EEEEDaS11_S12_EUlS11_E_NS1_11comp_targetILNS1_3genE10ELNS1_11target_archE1200ELNS1_3gpuE4ELNS1_3repE0EEENS1_30default_config_static_selectorELNS0_4arch9wavefront6targetE0EEEvT1_
	.globl	_ZN7rocprim17ROCPRIM_400000_NS6detail17trampoline_kernelINS0_14default_configENS1_25partition_config_selectorILNS1_17partition_subalgoE6EfNS0_10empty_typeEbEEZZNS1_14partition_implILS5_6ELb0ES3_mN6thrust23THRUST_200600_302600_NS6detail15normal_iteratorINSA_10device_ptrIfEEEEPS6_SG_NS0_5tupleIJSF_S6_EEENSH_IJSG_SG_EEES6_PlJ7is_evenIfEEEE10hipError_tPvRmT3_T4_T5_T6_T7_T9_mT8_P12ihipStream_tbDpT10_ENKUlT_T0_E_clISt17integral_constantIbLb1EES15_IbLb0EEEEDaS11_S12_EUlS11_E_NS1_11comp_targetILNS1_3genE10ELNS1_11target_archE1200ELNS1_3gpuE4ELNS1_3repE0EEENS1_30default_config_static_selectorELNS0_4arch9wavefront6targetE0EEEvT1_
	.p2align	8
	.type	_ZN7rocprim17ROCPRIM_400000_NS6detail17trampoline_kernelINS0_14default_configENS1_25partition_config_selectorILNS1_17partition_subalgoE6EfNS0_10empty_typeEbEEZZNS1_14partition_implILS5_6ELb0ES3_mN6thrust23THRUST_200600_302600_NS6detail15normal_iteratorINSA_10device_ptrIfEEEEPS6_SG_NS0_5tupleIJSF_S6_EEENSH_IJSG_SG_EEES6_PlJ7is_evenIfEEEE10hipError_tPvRmT3_T4_T5_T6_T7_T9_mT8_P12ihipStream_tbDpT10_ENKUlT_T0_E_clISt17integral_constantIbLb1EES15_IbLb0EEEEDaS11_S12_EUlS11_E_NS1_11comp_targetILNS1_3genE10ELNS1_11target_archE1200ELNS1_3gpuE4ELNS1_3repE0EEENS1_30default_config_static_selectorELNS0_4arch9wavefront6targetE0EEEvT1_,@function
_ZN7rocprim17ROCPRIM_400000_NS6detail17trampoline_kernelINS0_14default_configENS1_25partition_config_selectorILNS1_17partition_subalgoE6EfNS0_10empty_typeEbEEZZNS1_14partition_implILS5_6ELb0ES3_mN6thrust23THRUST_200600_302600_NS6detail15normal_iteratorINSA_10device_ptrIfEEEEPS6_SG_NS0_5tupleIJSF_S6_EEENSH_IJSG_SG_EEES6_PlJ7is_evenIfEEEE10hipError_tPvRmT3_T4_T5_T6_T7_T9_mT8_P12ihipStream_tbDpT10_ENKUlT_T0_E_clISt17integral_constantIbLb1EES15_IbLb0EEEEDaS11_S12_EUlS11_E_NS1_11comp_targetILNS1_3genE10ELNS1_11target_archE1200ELNS1_3gpuE4ELNS1_3repE0EEENS1_30default_config_static_selectorELNS0_4arch9wavefront6targetE0EEEvT1_: ; @_ZN7rocprim17ROCPRIM_400000_NS6detail17trampoline_kernelINS0_14default_configENS1_25partition_config_selectorILNS1_17partition_subalgoE6EfNS0_10empty_typeEbEEZZNS1_14partition_implILS5_6ELb0ES3_mN6thrust23THRUST_200600_302600_NS6detail15normal_iteratorINSA_10device_ptrIfEEEEPS6_SG_NS0_5tupleIJSF_S6_EEENSH_IJSG_SG_EEES6_PlJ7is_evenIfEEEE10hipError_tPvRmT3_T4_T5_T6_T7_T9_mT8_P12ihipStream_tbDpT10_ENKUlT_T0_E_clISt17integral_constantIbLb1EES15_IbLb0EEEEDaS11_S12_EUlS11_E_NS1_11comp_targetILNS1_3genE10ELNS1_11target_archE1200ELNS1_3gpuE4ELNS1_3repE0EEENS1_30default_config_static_selectorELNS0_4arch9wavefront6targetE0EEEvT1_
; %bb.0:
	.section	.rodata,"a",@progbits
	.p2align	6, 0x0
	.amdhsa_kernel _ZN7rocprim17ROCPRIM_400000_NS6detail17trampoline_kernelINS0_14default_configENS1_25partition_config_selectorILNS1_17partition_subalgoE6EfNS0_10empty_typeEbEEZZNS1_14partition_implILS5_6ELb0ES3_mN6thrust23THRUST_200600_302600_NS6detail15normal_iteratorINSA_10device_ptrIfEEEEPS6_SG_NS0_5tupleIJSF_S6_EEENSH_IJSG_SG_EEES6_PlJ7is_evenIfEEEE10hipError_tPvRmT3_T4_T5_T6_T7_T9_mT8_P12ihipStream_tbDpT10_ENKUlT_T0_E_clISt17integral_constantIbLb1EES15_IbLb0EEEEDaS11_S12_EUlS11_E_NS1_11comp_targetILNS1_3genE10ELNS1_11target_archE1200ELNS1_3gpuE4ELNS1_3repE0EEENS1_30default_config_static_selectorELNS0_4arch9wavefront6targetE0EEEvT1_
		.amdhsa_group_segment_fixed_size 0
		.amdhsa_private_segment_fixed_size 0
		.amdhsa_kernarg_size 112
		.amdhsa_user_sgpr_count 15
		.amdhsa_user_sgpr_dispatch_ptr 0
		.amdhsa_user_sgpr_queue_ptr 0
		.amdhsa_user_sgpr_kernarg_segment_ptr 1
		.amdhsa_user_sgpr_dispatch_id 0
		.amdhsa_user_sgpr_private_segment_size 0
		.amdhsa_wavefront_size32 1
		.amdhsa_uses_dynamic_stack 0
		.amdhsa_enable_private_segment 0
		.amdhsa_system_sgpr_workgroup_id_x 1
		.amdhsa_system_sgpr_workgroup_id_y 0
		.amdhsa_system_sgpr_workgroup_id_z 0
		.amdhsa_system_sgpr_workgroup_info 0
		.amdhsa_system_vgpr_workitem_id 0
		.amdhsa_next_free_vgpr 1
		.amdhsa_next_free_sgpr 1
		.amdhsa_reserve_vcc 0
		.amdhsa_float_round_mode_32 0
		.amdhsa_float_round_mode_16_64 0
		.amdhsa_float_denorm_mode_32 3
		.amdhsa_float_denorm_mode_16_64 3
		.amdhsa_dx10_clamp 1
		.amdhsa_ieee_mode 1
		.amdhsa_fp16_overflow 0
		.amdhsa_workgroup_processor_mode 1
		.amdhsa_memory_ordered 1
		.amdhsa_forward_progress 0
		.amdhsa_shared_vgpr_count 0
		.amdhsa_exception_fp_ieee_invalid_op 0
		.amdhsa_exception_fp_denorm_src 0
		.amdhsa_exception_fp_ieee_div_zero 0
		.amdhsa_exception_fp_ieee_overflow 0
		.amdhsa_exception_fp_ieee_underflow 0
		.amdhsa_exception_fp_ieee_inexact 0
		.amdhsa_exception_int_div_zero 0
	.end_amdhsa_kernel
	.section	.text._ZN7rocprim17ROCPRIM_400000_NS6detail17trampoline_kernelINS0_14default_configENS1_25partition_config_selectorILNS1_17partition_subalgoE6EfNS0_10empty_typeEbEEZZNS1_14partition_implILS5_6ELb0ES3_mN6thrust23THRUST_200600_302600_NS6detail15normal_iteratorINSA_10device_ptrIfEEEEPS6_SG_NS0_5tupleIJSF_S6_EEENSH_IJSG_SG_EEES6_PlJ7is_evenIfEEEE10hipError_tPvRmT3_T4_T5_T6_T7_T9_mT8_P12ihipStream_tbDpT10_ENKUlT_T0_E_clISt17integral_constantIbLb1EES15_IbLb0EEEEDaS11_S12_EUlS11_E_NS1_11comp_targetILNS1_3genE10ELNS1_11target_archE1200ELNS1_3gpuE4ELNS1_3repE0EEENS1_30default_config_static_selectorELNS0_4arch9wavefront6targetE0EEEvT1_,"axG",@progbits,_ZN7rocprim17ROCPRIM_400000_NS6detail17trampoline_kernelINS0_14default_configENS1_25partition_config_selectorILNS1_17partition_subalgoE6EfNS0_10empty_typeEbEEZZNS1_14partition_implILS5_6ELb0ES3_mN6thrust23THRUST_200600_302600_NS6detail15normal_iteratorINSA_10device_ptrIfEEEEPS6_SG_NS0_5tupleIJSF_S6_EEENSH_IJSG_SG_EEES6_PlJ7is_evenIfEEEE10hipError_tPvRmT3_T4_T5_T6_T7_T9_mT8_P12ihipStream_tbDpT10_ENKUlT_T0_E_clISt17integral_constantIbLb1EES15_IbLb0EEEEDaS11_S12_EUlS11_E_NS1_11comp_targetILNS1_3genE10ELNS1_11target_archE1200ELNS1_3gpuE4ELNS1_3repE0EEENS1_30default_config_static_selectorELNS0_4arch9wavefront6targetE0EEEvT1_,comdat
.Lfunc_end253:
	.size	_ZN7rocprim17ROCPRIM_400000_NS6detail17trampoline_kernelINS0_14default_configENS1_25partition_config_selectorILNS1_17partition_subalgoE6EfNS0_10empty_typeEbEEZZNS1_14partition_implILS5_6ELb0ES3_mN6thrust23THRUST_200600_302600_NS6detail15normal_iteratorINSA_10device_ptrIfEEEEPS6_SG_NS0_5tupleIJSF_S6_EEENSH_IJSG_SG_EEES6_PlJ7is_evenIfEEEE10hipError_tPvRmT3_T4_T5_T6_T7_T9_mT8_P12ihipStream_tbDpT10_ENKUlT_T0_E_clISt17integral_constantIbLb1EES15_IbLb0EEEEDaS11_S12_EUlS11_E_NS1_11comp_targetILNS1_3genE10ELNS1_11target_archE1200ELNS1_3gpuE4ELNS1_3repE0EEENS1_30default_config_static_selectorELNS0_4arch9wavefront6targetE0EEEvT1_, .Lfunc_end253-_ZN7rocprim17ROCPRIM_400000_NS6detail17trampoline_kernelINS0_14default_configENS1_25partition_config_selectorILNS1_17partition_subalgoE6EfNS0_10empty_typeEbEEZZNS1_14partition_implILS5_6ELb0ES3_mN6thrust23THRUST_200600_302600_NS6detail15normal_iteratorINSA_10device_ptrIfEEEEPS6_SG_NS0_5tupleIJSF_S6_EEENSH_IJSG_SG_EEES6_PlJ7is_evenIfEEEE10hipError_tPvRmT3_T4_T5_T6_T7_T9_mT8_P12ihipStream_tbDpT10_ENKUlT_T0_E_clISt17integral_constantIbLb1EES15_IbLb0EEEEDaS11_S12_EUlS11_E_NS1_11comp_targetILNS1_3genE10ELNS1_11target_archE1200ELNS1_3gpuE4ELNS1_3repE0EEENS1_30default_config_static_selectorELNS0_4arch9wavefront6targetE0EEEvT1_
                                        ; -- End function
	.section	.AMDGPU.csdata,"",@progbits
; Kernel info:
; codeLenInByte = 0
; NumSgprs: 0
; NumVgprs: 0
; ScratchSize: 0
; MemoryBound: 0
; FloatMode: 240
; IeeeMode: 1
; LDSByteSize: 0 bytes/workgroup (compile time only)
; SGPRBlocks: 0
; VGPRBlocks: 0
; NumSGPRsForWavesPerEU: 1
; NumVGPRsForWavesPerEU: 1
; Occupancy: 15
; WaveLimiterHint : 0
; COMPUTE_PGM_RSRC2:SCRATCH_EN: 0
; COMPUTE_PGM_RSRC2:USER_SGPR: 15
; COMPUTE_PGM_RSRC2:TRAP_HANDLER: 0
; COMPUTE_PGM_RSRC2:TGID_X_EN: 1
; COMPUTE_PGM_RSRC2:TGID_Y_EN: 0
; COMPUTE_PGM_RSRC2:TGID_Z_EN: 0
; COMPUTE_PGM_RSRC2:TIDIG_COMP_CNT: 0
	.section	.text._ZN7rocprim17ROCPRIM_400000_NS6detail17trampoline_kernelINS0_14default_configENS1_25partition_config_selectorILNS1_17partition_subalgoE6EfNS0_10empty_typeEbEEZZNS1_14partition_implILS5_6ELb0ES3_mN6thrust23THRUST_200600_302600_NS6detail15normal_iteratorINSA_10device_ptrIfEEEEPS6_SG_NS0_5tupleIJSF_S6_EEENSH_IJSG_SG_EEES6_PlJ7is_evenIfEEEE10hipError_tPvRmT3_T4_T5_T6_T7_T9_mT8_P12ihipStream_tbDpT10_ENKUlT_T0_E_clISt17integral_constantIbLb1EES15_IbLb0EEEEDaS11_S12_EUlS11_E_NS1_11comp_targetILNS1_3genE9ELNS1_11target_archE1100ELNS1_3gpuE3ELNS1_3repE0EEENS1_30default_config_static_selectorELNS0_4arch9wavefront6targetE0EEEvT1_,"axG",@progbits,_ZN7rocprim17ROCPRIM_400000_NS6detail17trampoline_kernelINS0_14default_configENS1_25partition_config_selectorILNS1_17partition_subalgoE6EfNS0_10empty_typeEbEEZZNS1_14partition_implILS5_6ELb0ES3_mN6thrust23THRUST_200600_302600_NS6detail15normal_iteratorINSA_10device_ptrIfEEEEPS6_SG_NS0_5tupleIJSF_S6_EEENSH_IJSG_SG_EEES6_PlJ7is_evenIfEEEE10hipError_tPvRmT3_T4_T5_T6_T7_T9_mT8_P12ihipStream_tbDpT10_ENKUlT_T0_E_clISt17integral_constantIbLb1EES15_IbLb0EEEEDaS11_S12_EUlS11_E_NS1_11comp_targetILNS1_3genE9ELNS1_11target_archE1100ELNS1_3gpuE3ELNS1_3repE0EEENS1_30default_config_static_selectorELNS0_4arch9wavefront6targetE0EEEvT1_,comdat
	.protected	_ZN7rocprim17ROCPRIM_400000_NS6detail17trampoline_kernelINS0_14default_configENS1_25partition_config_selectorILNS1_17partition_subalgoE6EfNS0_10empty_typeEbEEZZNS1_14partition_implILS5_6ELb0ES3_mN6thrust23THRUST_200600_302600_NS6detail15normal_iteratorINSA_10device_ptrIfEEEEPS6_SG_NS0_5tupleIJSF_S6_EEENSH_IJSG_SG_EEES6_PlJ7is_evenIfEEEE10hipError_tPvRmT3_T4_T5_T6_T7_T9_mT8_P12ihipStream_tbDpT10_ENKUlT_T0_E_clISt17integral_constantIbLb1EES15_IbLb0EEEEDaS11_S12_EUlS11_E_NS1_11comp_targetILNS1_3genE9ELNS1_11target_archE1100ELNS1_3gpuE3ELNS1_3repE0EEENS1_30default_config_static_selectorELNS0_4arch9wavefront6targetE0EEEvT1_ ; -- Begin function _ZN7rocprim17ROCPRIM_400000_NS6detail17trampoline_kernelINS0_14default_configENS1_25partition_config_selectorILNS1_17partition_subalgoE6EfNS0_10empty_typeEbEEZZNS1_14partition_implILS5_6ELb0ES3_mN6thrust23THRUST_200600_302600_NS6detail15normal_iteratorINSA_10device_ptrIfEEEEPS6_SG_NS0_5tupleIJSF_S6_EEENSH_IJSG_SG_EEES6_PlJ7is_evenIfEEEE10hipError_tPvRmT3_T4_T5_T6_T7_T9_mT8_P12ihipStream_tbDpT10_ENKUlT_T0_E_clISt17integral_constantIbLb1EES15_IbLb0EEEEDaS11_S12_EUlS11_E_NS1_11comp_targetILNS1_3genE9ELNS1_11target_archE1100ELNS1_3gpuE3ELNS1_3repE0EEENS1_30default_config_static_selectorELNS0_4arch9wavefront6targetE0EEEvT1_
	.globl	_ZN7rocprim17ROCPRIM_400000_NS6detail17trampoline_kernelINS0_14default_configENS1_25partition_config_selectorILNS1_17partition_subalgoE6EfNS0_10empty_typeEbEEZZNS1_14partition_implILS5_6ELb0ES3_mN6thrust23THRUST_200600_302600_NS6detail15normal_iteratorINSA_10device_ptrIfEEEEPS6_SG_NS0_5tupleIJSF_S6_EEENSH_IJSG_SG_EEES6_PlJ7is_evenIfEEEE10hipError_tPvRmT3_T4_T5_T6_T7_T9_mT8_P12ihipStream_tbDpT10_ENKUlT_T0_E_clISt17integral_constantIbLb1EES15_IbLb0EEEEDaS11_S12_EUlS11_E_NS1_11comp_targetILNS1_3genE9ELNS1_11target_archE1100ELNS1_3gpuE3ELNS1_3repE0EEENS1_30default_config_static_selectorELNS0_4arch9wavefront6targetE0EEEvT1_
	.p2align	8
	.type	_ZN7rocprim17ROCPRIM_400000_NS6detail17trampoline_kernelINS0_14default_configENS1_25partition_config_selectorILNS1_17partition_subalgoE6EfNS0_10empty_typeEbEEZZNS1_14partition_implILS5_6ELb0ES3_mN6thrust23THRUST_200600_302600_NS6detail15normal_iteratorINSA_10device_ptrIfEEEEPS6_SG_NS0_5tupleIJSF_S6_EEENSH_IJSG_SG_EEES6_PlJ7is_evenIfEEEE10hipError_tPvRmT3_T4_T5_T6_T7_T9_mT8_P12ihipStream_tbDpT10_ENKUlT_T0_E_clISt17integral_constantIbLb1EES15_IbLb0EEEEDaS11_S12_EUlS11_E_NS1_11comp_targetILNS1_3genE9ELNS1_11target_archE1100ELNS1_3gpuE3ELNS1_3repE0EEENS1_30default_config_static_selectorELNS0_4arch9wavefront6targetE0EEEvT1_,@function
_ZN7rocprim17ROCPRIM_400000_NS6detail17trampoline_kernelINS0_14default_configENS1_25partition_config_selectorILNS1_17partition_subalgoE6EfNS0_10empty_typeEbEEZZNS1_14partition_implILS5_6ELb0ES3_mN6thrust23THRUST_200600_302600_NS6detail15normal_iteratorINSA_10device_ptrIfEEEEPS6_SG_NS0_5tupleIJSF_S6_EEENSH_IJSG_SG_EEES6_PlJ7is_evenIfEEEE10hipError_tPvRmT3_T4_T5_T6_T7_T9_mT8_P12ihipStream_tbDpT10_ENKUlT_T0_E_clISt17integral_constantIbLb1EES15_IbLb0EEEEDaS11_S12_EUlS11_E_NS1_11comp_targetILNS1_3genE9ELNS1_11target_archE1100ELNS1_3gpuE3ELNS1_3repE0EEENS1_30default_config_static_selectorELNS0_4arch9wavefront6targetE0EEEvT1_: ; @_ZN7rocprim17ROCPRIM_400000_NS6detail17trampoline_kernelINS0_14default_configENS1_25partition_config_selectorILNS1_17partition_subalgoE6EfNS0_10empty_typeEbEEZZNS1_14partition_implILS5_6ELb0ES3_mN6thrust23THRUST_200600_302600_NS6detail15normal_iteratorINSA_10device_ptrIfEEEEPS6_SG_NS0_5tupleIJSF_S6_EEENSH_IJSG_SG_EEES6_PlJ7is_evenIfEEEE10hipError_tPvRmT3_T4_T5_T6_T7_T9_mT8_P12ihipStream_tbDpT10_ENKUlT_T0_E_clISt17integral_constantIbLb1EES15_IbLb0EEEEDaS11_S12_EUlS11_E_NS1_11comp_targetILNS1_3genE9ELNS1_11target_archE1100ELNS1_3gpuE3ELNS1_3repE0EEENS1_30default_config_static_selectorELNS0_4arch9wavefront6targetE0EEEvT1_
; %bb.0:
	s_clause 0x3
	s_load_b128 s[8:11], s[0:1], 0x8
	s_load_b128 s[4:7], s[0:1], 0x40
	s_load_b32 s14, s[0:1], 0x68
	s_load_b64 s[12:13], s[0:1], 0x50
	v_lshlrev_b32_e32 v17, 2, v0
	s_waitcnt lgkmcnt(0)
	s_lshl_b64 s[2:3], s[10:11], 2
	s_load_b64 s[6:7], s[6:7], 0x0
	s_mul_i32 s16, s14, 0x700
	s_add_u32 s17, s8, s2
	s_addc_u32 s18, s9, s3
	s_add_i32 s2, s16, s10
	s_add_i32 s14, s14, -1
	s_sub_i32 s2, s12, s2
	s_add_u32 s8, s10, s16
	s_addc_u32 s9, s11, 0
	s_cmp_eq_u32 s15, s14
	v_cmp_ge_u64_e64 s3, s[8:9], s[12:13]
	s_cselect_b32 s12, -1, 0
	s_mov_b32 s9, 0
	s_mul_i32 s8, s15, 0x700
	s_delay_alu instid0(SALU_CYCLE_1) | instskip(NEXT) | instid1(VALU_DEP_1)
	s_lshl_b64 s[8:9], s[8:9], 2
	s_and_b32 s3, s12, s3
	s_delay_alu instid0(SALU_CYCLE_1)
	s_xor_b32 s13, s3, -1
	s_add_u32 s3, s17, s8
	s_addc_u32 s8, s18, s9
	s_and_b32 vcc_lo, exec_lo, s13
	s_mov_b32 s9, -1
	s_cbranch_vccz .LBB254_2
; %bb.1:
	v_add_co_u32 v1, s9, s3, v17
	s_delay_alu instid0(VALU_DEP_1) | instskip(SKIP_1) | instid1(VALU_DEP_2)
	v_add_co_ci_u32_e64 v2, null, s8, 0, s9
	s_mov_b32 s9, 0
	v_add_co_u32 v3, vcc_lo, 0x1000, v1
	s_delay_alu instid0(VALU_DEP_2)
	v_add_co_ci_u32_e32 v4, vcc_lo, 0, v2, vcc_lo
	s_clause 0xd
	flat_load_b32 v5, v[1:2]
	flat_load_b32 v6, v[1:2] offset:512
	flat_load_b32 v7, v[1:2] offset:1024
	;; [unrolled: 1-line block ×7, first 2 shown]
	flat_load_b32 v2, v[3:4]
	flat_load_b32 v12, v[3:4] offset:512
	flat_load_b32 v13, v[3:4] offset:1024
	;; [unrolled: 1-line block ×5, first 2 shown]
	s_waitcnt vmcnt(12) lgkmcnt(0)
	ds_store_2addr_stride64_b32 v17, v5, v6 offset1:2
	s_waitcnt vmcnt(10)
	ds_store_2addr_stride64_b32 v17, v7, v8 offset0:4 offset1:6
	s_waitcnt vmcnt(8)
	ds_store_2addr_stride64_b32 v17, v9, v10 offset0:8 offset1:10
	;; [unrolled: 2-line block ×6, first 2 shown]
	s_waitcnt lgkmcnt(0)
	s_barrier
.LBB254_2:
	s_and_not1_b32 vcc_lo, exec_lo, s9
	s_addk_i32 s2, 0x700
	s_cbranch_vccnz .LBB254_32
; %bb.3:
	s_mov_b32 s9, exec_lo
                                        ; implicit-def: $vgpr1_vgpr2_vgpr3_vgpr4_vgpr5_vgpr6_vgpr7_vgpr8_vgpr9_vgpr10_vgpr11_vgpr12_vgpr13_vgpr14_vgpr15_vgpr16
	v_cmpx_gt_u32_e64 s2, v0
	s_cbranch_execz .LBB254_5
; %bb.4:
	v_add_co_u32 v1, s10, s3, v17
	s_delay_alu instid0(VALU_DEP_1)
	v_add_co_ci_u32_e64 v2, null, s8, 0, s10
	flat_load_b32 v1, v[1:2]
.LBB254_5:
	s_or_b32 exec_lo, exec_lo, s9
	v_or_b32_e32 v15, 0x80, v0
	s_mov_b32 s9, exec_lo
	s_delay_alu instid0(VALU_DEP_1)
	v_cmpx_gt_u32_e64 s2, v15
	s_cbranch_execz .LBB254_7
; %bb.6:
	v_add_co_u32 v15, s10, s3, v17
	s_delay_alu instid0(VALU_DEP_1)
	v_add_co_ci_u32_e64 v16, null, s8, 0, s10
	flat_load_b32 v2, v[15:16] offset:512
.LBB254_7:
	s_or_b32 exec_lo, exec_lo, s9
	v_or_b32_e32 v15, 0x100, v0
	s_mov_b32 s9, exec_lo
	s_delay_alu instid0(VALU_DEP_1)
	v_cmpx_gt_u32_e64 s2, v15
	s_cbranch_execz .LBB254_9
; %bb.8:
	v_add_co_u32 v15, s10, s3, v17
	s_delay_alu instid0(VALU_DEP_1)
	v_add_co_ci_u32_e64 v16, null, s8, 0, s10
	flat_load_b32 v3, v[15:16] offset:1024
.LBB254_9:
	;; [unrolled: 12-line block ×7, first 2 shown]
	s_or_b32 exec_lo, exec_lo, s9
	v_or_b32_e32 v15, 0x400, v0
	s_mov_b32 s9, exec_lo
	s_delay_alu instid0(VALU_DEP_1)
	v_cmpx_gt_u32_e64 s2, v15
	s_cbranch_execz .LBB254_21
; %bb.20:
	v_lshlrev_b32_e32 v9, 2, v15
	s_delay_alu instid0(VALU_DEP_1) | instskip(NEXT) | instid1(VALU_DEP_1)
	v_add_co_u32 v15, s10, s3, v9
	v_add_co_ci_u32_e64 v16, null, s8, 0, s10
	flat_load_b32 v9, v[15:16]
.LBB254_21:
	s_or_b32 exec_lo, exec_lo, s9
	v_or_b32_e32 v15, 0x480, v0
	s_mov_b32 s9, exec_lo
	s_delay_alu instid0(VALU_DEP_1)
	v_cmpx_gt_u32_e64 s2, v15
	s_cbranch_execz .LBB254_23
; %bb.22:
	v_lshlrev_b32_e32 v10, 2, v15
	s_delay_alu instid0(VALU_DEP_1) | instskip(NEXT) | instid1(VALU_DEP_1)
	v_add_co_u32 v15, s10, s3, v10
	v_add_co_ci_u32_e64 v16, null, s8, 0, s10
	flat_load_b32 v10, v[15:16]
.LBB254_23:
	;; [unrolled: 13-line block ×6, first 2 shown]
	s_or_b32 exec_lo, exec_lo, s9
	s_waitcnt vmcnt(0) lgkmcnt(0)
	ds_store_2addr_stride64_b32 v17, v1, v2 offset1:2
	ds_store_2addr_stride64_b32 v17, v3, v4 offset0:4 offset1:6
	ds_store_2addr_stride64_b32 v17, v5, v6 offset0:8 offset1:10
	;; [unrolled: 1-line block ×6, first 2 shown]
	s_waitcnt lgkmcnt(0)
	s_barrier
.LBB254_32:
	v_mul_u32_u24_e32 v7, 14, v0
	s_waitcnt lgkmcnt(0)
	buffer_gl0_inv
	s_and_not1_b32 vcc_lo, exec_lo, s13
	v_lshlrev_b32_e32 v61, 2, v7
	ds_load_2addr_b64 v[41:44], v61 offset1:1
	ds_load_2addr_b64 v[37:40], v61 offset0:2 offset1:3
	ds_load_2addr_b64 v[33:36], v61 offset0:4 offset1:5
	ds_load_b64 v[49:50], v61 offset:48
	s_waitcnt lgkmcnt(0)
	s_barrier
	buffer_gl0_inv
	v_cvt_u32_f32_e32 v1, v41
	v_cvt_u32_f32_e32 v2, v42
	;; [unrolled: 1-line block ×14, first 2 shown]
	v_xor_b32_e32 v13, -1, v1
	v_xor_b32_e32 v14, -1, v2
	;; [unrolled: 1-line block ×14, first 2 shown]
	s_cbranch_vccnz .LBB254_34
; %bb.33:
	v_and_b32_e32 v16, 1, v14
	v_and_b32_e32 v17, 1, v13
	;; [unrolled: 1-line block ×5, first 2 shown]
	v_lshlrev_b16 v16, 8, v16
	v_and_b32_e32 v26, 1, v6
	v_and_b32_e32 v18, 1, v15
	;; [unrolled: 1-line block ×4, first 2 shown]
	v_or_b32_e32 v16, v17, v16
	v_and_b32_e32 v17, 1, v4
	v_and_b32_e32 v24, 1, v3
	;; [unrolled: 1-line block ×3, first 2 shown]
	v_lshlrev_b16 v19, 8, v19
	v_lshlrev_b16 v21, 8, v21
	;; [unrolled: 1-line block ×5, first 2 shown]
	v_or_b32_e32 v18, v18, v19
	v_or_b32_e32 v19, v20, v21
	;; [unrolled: 1-line block ×5, first 2 shown]
	v_and_b32_e32 v16, 0xffff, v16
	v_lshlrev_b32_e32 v18, 16, v18
	v_and_b32_e32 v19, 0xffff, v19
	v_lshlrev_b32_e32 v20, 16, v20
	;; [unrolled: 2-line block ×3, first 2 shown]
	v_and_b32_e32 v54, 1, v1
	v_and_b32_e32 v53, 1, v2
	v_or_b32_e32 v59, v16, v18
	v_or_b32_e32 v56, v19, v20
	;; [unrolled: 1-line block ×3, first 2 shown]
	s_load_b64 s[8:9], s[0:1], 0x60
	s_cbranch_execz .LBB254_35
	s_branch .LBB254_36
.LBB254_34:
                                        ; implicit-def: $vgpr53
                                        ; implicit-def: $vgpr54
                                        ; implicit-def: $vgpr55
                                        ; implicit-def: $vgpr56
                                        ; implicit-def: $vgpr59
	s_load_b64 s[8:9], s[0:1], 0x60
.LBB254_35:
	v_or_b32_e32 v16, 1, v7
	v_cmp_gt_u32_e32 vcc_lo, s2, v7
	v_add_nc_u32_e32 v17, 2, v7
	v_add_nc_u32_e32 v18, 3, v7
	;; [unrolled: 1-line block ×4, first 2 shown]
	v_cndmask_b32_e64 v27, 0, 1, vcc_lo
	v_cmp_gt_u32_e32 vcc_lo, s2, v16
	v_add_nc_u32_e32 v21, 6, v7
	v_add_nc_u32_e32 v22, 7, v7
	;; [unrolled: 1-line block ×4, first 2 shown]
	v_cndmask_b32_e64 v16, 0, 1, vcc_lo
	v_cmp_gt_u32_e32 vcc_lo, s2, v17
	v_add_nc_u32_e32 v25, 10, v7
	v_add_nc_u32_e32 v26, 11, v7
	;; [unrolled: 1-line block ×3, first 2 shown]
	v_and_b32_e32 v14, v16, v14
	v_cndmask_b32_e64 v17, 0, 1, vcc_lo
	v_cmp_gt_u32_e32 vcc_lo, s2, v18
	v_add_nc_u32_e32 v7, 13, v7
	v_and_b32_e32 v13, v27, v13
	v_lshlrev_b16 v14, 8, v14
	v_and_b32_e32 v15, v17, v15
	v_cndmask_b32_e64 v16, 0, 1, vcc_lo
	v_cmp_gt_u32_e32 vcc_lo, s2, v19
	s_delay_alu instid0(VALU_DEP_4) | instskip(NEXT) | instid1(VALU_DEP_3)
	v_or_b32_e32 v13, v13, v14
	v_and_b32_e32 v8, v16, v8
	v_cndmask_b32_e64 v17, 0, 1, vcc_lo
	v_cmp_gt_u32_e32 vcc_lo, s2, v20
	s_delay_alu instid0(VALU_DEP_4) | instskip(NEXT) | instid1(VALU_DEP_4)
	v_and_b32_e32 v13, 0xffff, v13
	v_lshlrev_b16 v8, 8, v8
	s_delay_alu instid0(VALU_DEP_4) | instskip(SKIP_2) | instid1(VALU_DEP_4)
	v_and_b32_e32 v9, v17, v9
	v_cndmask_b32_e64 v18, 0, 1, vcc_lo
	v_cmp_gt_u32_e32 vcc_lo, s2, v21
	v_or_b32_e32 v8, v15, v8
	s_delay_alu instid0(VALU_DEP_3) | instskip(SKIP_2) | instid1(VALU_DEP_3)
	v_and_b32_e32 v10, v18, v10
	v_cndmask_b32_e64 v19, 0, 1, vcc_lo
	v_cmp_gt_u32_e32 vcc_lo, s2, v22
	v_lshlrev_b16 v10, 8, v10
	s_delay_alu instid0(VALU_DEP_3) | instskip(SKIP_2) | instid1(VALU_DEP_4)
	v_and_b32_e32 v11, v19, v11
	v_cndmask_b32_e64 v20, 0, 1, vcc_lo
	v_cmp_gt_u32_e32 vcc_lo, s2, v23
	v_or_b32_e32 v9, v9, v10
	s_delay_alu instid0(VALU_DEP_3) | instskip(SKIP_2) | instid1(VALU_DEP_3)
	v_and_b32_e32 v12, v20, v12
	v_cndmask_b32_e64 v16, 0, 1, vcc_lo
	v_cmp_gt_u32_e32 vcc_lo, s2, v24
	v_lshlrev_b16 v12, 8, v12
	s_delay_alu instid0(VALU_DEP_3) | instskip(SKIP_2) | instid1(VALU_DEP_4)
	;; [unrolled: 10-line block ×3, first 2 shown]
	v_and_b32_e32 v5, v18, v5
	v_cndmask_b32_e64 v19, 0, 1, vcc_lo
	v_cmp_gt_u32_e32 vcc_lo, s2, v28
	v_or_b32_e32 v3, v3, v4
	s_delay_alu instid0(VALU_DEP_3) | instskip(SKIP_2) | instid1(VALU_DEP_4)
	v_and_b32_e32 v6, v19, v6
	v_cndmask_b32_e64 v14, 0, 1, vcc_lo
	v_cmp_gt_u32_e32 vcc_lo, s2, v7
	v_and_b32_e32 v3, 0xffff, v3
	s_delay_alu instid0(VALU_DEP_4) | instskip(NEXT) | instid1(VALU_DEP_4)
	v_lshlrev_b16 v6, 8, v6
	v_and_b32_e32 v54, v14, v1
	v_cndmask_b32_e64 v7, 0, 1, vcc_lo
	s_delay_alu instid0(VALU_DEP_3)
	v_or_b32_e32 v4, v5, v6
	v_lshlrev_b32_e32 v5, 16, v8
	v_and_b32_e32 v6, 0xffff, v9
	v_lshlrev_b32_e32 v8, 16, v10
	v_and_b32_e32 v53, v7, v2
	v_lshlrev_b32_e32 v4, 16, v4
	v_or_b32_e32 v59, v13, v5
	s_delay_alu instid0(VALU_DEP_4) | instskip(NEXT) | instid1(VALU_DEP_3)
	v_or_b32_e32 v56, v6, v8
	v_or_b32_e32 v55, v3, v4
.LBB254_36:
	s_delay_alu instid0(VALU_DEP_3)
	v_dual_mov_b32 v2, 0 :: v_dual_and_b32 v63, 0xff, v59
	v_bfe_u32 v64, v59, 8, 8
	v_bfe_u32 v65, v59, 16, 8
	v_lshrrev_b32_e32 v60, 24, v59
	v_and_b32_e32 v66, 0xff, v56
	v_bfe_u32 v67, v56, 8, 8
	v_add_co_u32 v1, s2, v64, v63
	s_delay_alu instid0(VALU_DEP_1) | instskip(SKIP_1) | instid1(VALU_DEP_3)
	v_add_co_ci_u32_e64 v3, null, 0, 0, s2
	v_bfe_u32 v68, v56, 16, 8
	v_add_co_u32 v1, vcc_lo, v1, v65
	s_delay_alu instid0(VALU_DEP_3) | instskip(SKIP_1) | instid1(VALU_DEP_3)
	v_add_co_ci_u32_e32 v3, vcc_lo, 0, v3, vcc_lo
	v_lshrrev_b32_e32 v58, 24, v56
	v_add_co_u32 v1, vcc_lo, v1, v60
	s_delay_alu instid0(VALU_DEP_3) | instskip(SKIP_1) | instid1(VALU_DEP_3)
	v_add_co_ci_u32_e32 v3, vcc_lo, 0, v3, vcc_lo
	v_and_b32_e32 v69, 0xff, v55
	v_add_co_u32 v1, vcc_lo, v1, v66
	s_delay_alu instid0(VALU_DEP_3) | instskip(SKIP_1) | instid1(VALU_DEP_3)
	v_add_co_ci_u32_e32 v3, vcc_lo, 0, v3, vcc_lo
	v_bfe_u32 v70, v55, 8, 8
	v_add_co_u32 v1, vcc_lo, v1, v67
	s_delay_alu instid0(VALU_DEP_3) | instskip(SKIP_1) | instid1(VALU_DEP_3)
	v_add_co_ci_u32_e32 v3, vcc_lo, 0, v3, vcc_lo
	v_bfe_u32 v71, v55, 16, 8
	v_add_co_u32 v1, vcc_lo, v1, v68
	s_delay_alu instid0(VALU_DEP_3) | instskip(SKIP_1) | instid1(VALU_DEP_3)
	v_add_co_ci_u32_e32 v3, vcc_lo, 0, v3, vcc_lo
	v_lshrrev_b32_e32 v57, 24, v55
	v_add_co_u32 v1, vcc_lo, v1, v58
	s_delay_alu instid0(VALU_DEP_3) | instskip(SKIP_1) | instid1(VALU_DEP_3)
	v_add_co_ci_u32_e32 v3, vcc_lo, 0, v3, vcc_lo
	v_and_b32_e32 v62, 0xff, v54
	v_add_co_u32 v1, vcc_lo, v1, v69
	s_delay_alu instid0(VALU_DEP_3) | instskip(SKIP_1) | instid1(VALU_DEP_3)
	v_add_co_ci_u32_e32 v3, vcc_lo, 0, v3, vcc_lo
	v_mbcnt_lo_u32_b32 v72, -1, 0
	v_add_co_u32 v1, vcc_lo, v1, v70
	s_delay_alu instid0(VALU_DEP_3) | instskip(SKIP_1) | instid1(VALU_DEP_3)
	v_add_co_ci_u32_e32 v3, vcc_lo, 0, v3, vcc_lo
	v_and_b32_e32 v4, 0xff, v53
	v_add_co_u32 v1, vcc_lo, v1, v71
	s_delay_alu instid0(VALU_DEP_3) | instskip(SKIP_1) | instid1(VALU_DEP_3)
	v_add_co_ci_u32_e32 v3, vcc_lo, 0, v3, vcc_lo
	v_and_b32_e32 v73, 15, v72
	v_add_co_u32 v1, vcc_lo, v1, v57
	s_delay_alu instid0(VALU_DEP_3) | instskip(NEXT) | instid1(VALU_DEP_3)
	v_add_co_ci_u32_e32 v3, vcc_lo, 0, v3, vcc_lo
	v_cmp_ne_u32_e64 s2, 0, v73
	s_delay_alu instid0(VALU_DEP_3) | instskip(NEXT) | instid1(VALU_DEP_3)
	v_add_co_u32 v1, vcc_lo, v1, v62
	v_add_co_ci_u32_e32 v3, vcc_lo, 0, v3, vcc_lo
	s_cmp_lg_u32 s15, 0
	s_delay_alu instid0(VALU_DEP_2) | instskip(NEXT) | instid1(VALU_DEP_2)
	v_add_co_u32 v51, vcc_lo, v1, v4
	v_add_co_ci_u32_e32 v52, vcc_lo, 0, v3, vcc_lo
	s_mov_b32 s3, -1
	s_cbranch_scc0 .LBB254_101
; %bb.37:
	s_delay_alu instid0(VALU_DEP_2)
	v_mov_b32_e32 v3, v51
	v_mov_b32_dpp v1, v51 row_shr:1 row_mask:0xf bank_mask:0xf
	v_mov_b32_dpp v6, v2 row_shr:1 row_mask:0xf bank_mask:0xf
	v_dual_mov_b32 v5, v51 :: v_dual_mov_b32 v4, v52
	s_and_saveexec_b32 s3, s2
; %bb.38:
	s_delay_alu instid0(VALU_DEP_3) | instskip(SKIP_1) | instid1(VALU_DEP_2)
	v_add_co_u32 v5, vcc_lo, v51, v1
	v_add_co_ci_u32_e32 v2, vcc_lo, 0, v52, vcc_lo
	v_add_co_u32 v1, vcc_lo, 0, v5
	s_delay_alu instid0(VALU_DEP_2) | instskip(NEXT) | instid1(VALU_DEP_1)
	v_add_co_ci_u32_e32 v2, vcc_lo, v6, v2, vcc_lo
	v_dual_mov_b32 v4, v2 :: v_dual_mov_b32 v3, v1
; %bb.39:
	s_or_b32 exec_lo, exec_lo, s3
	v_mov_b32_dpp v1, v5 row_shr:2 row_mask:0xf bank_mask:0xf
	v_mov_b32_dpp v6, v2 row_shr:2 row_mask:0xf bank_mask:0xf
	s_mov_b32 s3, exec_lo
	v_cmpx_lt_u32_e32 1, v73
; %bb.40:
	s_delay_alu instid0(VALU_DEP_3) | instskip(SKIP_1) | instid1(VALU_DEP_2)
	v_add_co_u32 v5, vcc_lo, v3, v1
	v_add_co_ci_u32_e32 v2, vcc_lo, 0, v4, vcc_lo
	v_add_co_u32 v1, vcc_lo, 0, v5
	s_delay_alu instid0(VALU_DEP_2) | instskip(NEXT) | instid1(VALU_DEP_1)
	v_add_co_ci_u32_e32 v2, vcc_lo, v6, v2, vcc_lo
	v_dual_mov_b32 v4, v2 :: v_dual_mov_b32 v3, v1
; %bb.41:
	s_or_b32 exec_lo, exec_lo, s3
	v_mov_b32_dpp v1, v5 row_shr:4 row_mask:0xf bank_mask:0xf
	v_mov_b32_dpp v6, v2 row_shr:4 row_mask:0xf bank_mask:0xf
	s_mov_b32 s3, exec_lo
	v_cmpx_lt_u32_e32 3, v73
	;; [unrolled: 14-line block ×3, first 2 shown]
; %bb.44:
	s_delay_alu instid0(VALU_DEP_3) | instskip(SKIP_1) | instid1(VALU_DEP_2)
	v_add_co_u32 v5, vcc_lo, v3, v6
	v_add_co_ci_u32_e32 v2, vcc_lo, 0, v4, vcc_lo
	v_add_co_u32 v3, vcc_lo, 0, v5
	s_delay_alu instid0(VALU_DEP_2) | instskip(NEXT) | instid1(VALU_DEP_1)
	v_add_co_ci_u32_e32 v4, vcc_lo, v1, v2, vcc_lo
	v_mov_b32_e32 v2, v4
; %bb.45:
	s_or_b32 exec_lo, exec_lo, s3
	ds_swizzle_b32 v1, v5 offset:swizzle(BROADCAST,32,15)
	ds_swizzle_b32 v6, v2 offset:swizzle(BROADCAST,32,15)
	v_and_b32_e32 v7, 16, v72
	s_mov_b32 s3, exec_lo
	s_delay_alu instid0(VALU_DEP_1)
	v_cmpx_ne_u32_e32 0, v7
	s_cbranch_execz .LBB254_47
; %bb.46:
	s_waitcnt lgkmcnt(0)
	v_add_co_u32 v5, vcc_lo, v3, v1
	v_add_co_ci_u32_e32 v2, vcc_lo, 0, v4, vcc_lo
	s_delay_alu instid0(VALU_DEP_2) | instskip(NEXT) | instid1(VALU_DEP_2)
	v_add_co_u32 v1, vcc_lo, 0, v5
	v_add_co_ci_u32_e32 v2, vcc_lo, v6, v2, vcc_lo
	s_delay_alu instid0(VALU_DEP_1)
	v_dual_mov_b32 v4, v2 :: v_dual_mov_b32 v3, v1
.LBB254_47:
	s_or_b32 exec_lo, exec_lo, s3
	s_waitcnt lgkmcnt(0)
	v_or_b32_e32 v6, 31, v0
	v_lshrrev_b32_e32 v1, 5, v0
	s_mov_b32 s3, exec_lo
	s_delay_alu instid0(VALU_DEP_2)
	v_cmpx_eq_u32_e64 v6, v0
	s_cbranch_execz .LBB254_49
; %bb.48:
	s_delay_alu instid0(VALU_DEP_2)
	v_lshlrev_b32_e32 v6, 3, v1
	ds_store_b64 v6, v[3:4]
.LBB254_49:
	s_or_b32 exec_lo, exec_lo, s3
	s_delay_alu instid0(SALU_CYCLE_1)
	s_mov_b32 s3, exec_lo
	s_waitcnt lgkmcnt(0)
	s_barrier
	buffer_gl0_inv
	v_cmpx_gt_u32_e32 4, v0
	s_cbranch_execz .LBB254_55
; %bb.50:
	v_lshlrev_b32_e32 v6, 3, v0
	s_mov_b32 s10, exec_lo
	ds_load_b64 v[3:4], v6
	s_waitcnt lgkmcnt(0)
	v_dual_mov_b32 v8, v3 :: v_dual_and_b32 v7, 3, v72
	v_mov_b32_dpp v10, v3 row_shr:1 row_mask:0xf bank_mask:0xf
	v_mov_b32_dpp v9, v4 row_shr:1 row_mask:0xf bank_mask:0xf
	s_delay_alu instid0(VALU_DEP_3)
	v_cmpx_ne_u32_e32 0, v7
; %bb.51:
	s_delay_alu instid0(VALU_DEP_3) | instskip(SKIP_1) | instid1(VALU_DEP_2)
	v_add_co_u32 v8, vcc_lo, v3, v10
	v_add_co_ci_u32_e32 v4, vcc_lo, 0, v4, vcc_lo
	v_add_co_u32 v3, vcc_lo, 0, v8
	s_delay_alu instid0(VALU_DEP_2)
	v_add_co_ci_u32_e32 v4, vcc_lo, v9, v4, vcc_lo
; %bb.52:
	s_or_b32 exec_lo, exec_lo, s10
	v_mov_b32_dpp v9, v8 row_shr:2 row_mask:0xf bank_mask:0xf
	s_delay_alu instid0(VALU_DEP_2)
	v_mov_b32_dpp v8, v4 row_shr:2 row_mask:0xf bank_mask:0xf
	s_mov_b32 s10, exec_lo
	v_cmpx_lt_u32_e32 1, v7
; %bb.53:
	s_delay_alu instid0(VALU_DEP_3) | instskip(SKIP_1) | instid1(VALU_DEP_2)
	v_add_co_u32 v3, vcc_lo, v3, v9
	v_add_co_ci_u32_e32 v4, vcc_lo, 0, v4, vcc_lo
	v_add_co_u32 v3, vcc_lo, v3, 0
	s_delay_alu instid0(VALU_DEP_2)
	v_add_co_ci_u32_e32 v4, vcc_lo, v4, v8, vcc_lo
; %bb.54:
	s_or_b32 exec_lo, exec_lo, s10
	ds_store_b64 v6, v[3:4]
.LBB254_55:
	s_or_b32 exec_lo, exec_lo, s3
	v_cmp_gt_u32_e32 vcc_lo, 32, v0
	s_mov_b32 s10, exec_lo
	s_waitcnt lgkmcnt(0)
	s_barrier
	buffer_gl0_inv
                                        ; implicit-def: $vgpr9_vgpr10
	v_cmpx_lt_u32_e32 31, v0
	s_cbranch_execz .LBB254_57
; %bb.56:
	v_lshl_add_u32 v1, v1, 3, -8
	ds_load_b64 v[9:10], v1
	s_waitcnt lgkmcnt(0)
	v_add_co_u32 v5, s3, v5, v9
	s_delay_alu instid0(VALU_DEP_1)
	v_add_co_ci_u32_e64 v2, s3, v2, v10, s3
.LBB254_57:
	s_or_b32 exec_lo, exec_lo, s10
	v_add_nc_u32_e32 v1, -1, v72
	s_delay_alu instid0(VALU_DEP_1) | instskip(NEXT) | instid1(VALU_DEP_1)
	v_cmp_gt_i32_e64 s3, 0, v1
	v_cndmask_b32_e64 v1, v1, v72, s3
	v_cmp_eq_u32_e64 s3, 0, v72
	s_delay_alu instid0(VALU_DEP_2)
	v_lshlrev_b32_e32 v1, 2, v1
	ds_bpermute_b32 v15, v1, v5
	ds_bpermute_b32 v16, v1, v2
	s_and_saveexec_b32 s10, vcc_lo
	s_cbranch_execz .LBB254_100
; %bb.58:
	v_mov_b32_e32 v4, 0
	ds_load_b64 v[1:2], v4 offset:24
	s_and_saveexec_b32 s11, s3
	s_cbranch_execz .LBB254_60
; %bb.59:
	s_add_i32 s16, s15, 32
	s_mov_b32 s17, 0
	s_delay_alu instid0(SALU_CYCLE_1) | instskip(NEXT) | instid1(SALU_CYCLE_1)
	s_lshl_b64 s[16:17], s[16:17], 4
	s_add_u32 s16, s8, s16
	s_addc_u32 s17, s9, s17
	v_mov_b32_e32 v5, s16
	v_dual_mov_b32 v3, 1 :: v_dual_mov_b32 v6, s17
	s_waitcnt lgkmcnt(0)
	;;#ASMSTART
	global_store_dwordx4 v[5:6], v[1:4] off	
s_waitcnt vmcnt(0)
	;;#ASMEND
.LBB254_60:
	s_or_b32 exec_lo, exec_lo, s11
	v_xad_u32 v11, v72, -1, s15
	s_mov_b32 s14, 0
	s_mov_b32 s11, exec_lo
	s_delay_alu instid0(VALU_DEP_1) | instskip(NEXT) | instid1(VALU_DEP_1)
	v_add_nc_u32_e32 v3, 32, v11
	v_lshlrev_b64 v[3:4], 4, v[3:4]
	s_delay_alu instid0(VALU_DEP_1) | instskip(NEXT) | instid1(VALU_DEP_2)
	v_add_co_u32 v3, vcc_lo, s8, v3
	v_add_co_ci_u32_e32 v4, vcc_lo, s9, v4, vcc_lo
	;;#ASMSTART
	global_load_dwordx4 v[5:8], v[3:4] off glc	
s_waitcnt vmcnt(0)
	;;#ASMEND
	v_and_b32_e32 v8, 0xff, v6
	v_and_b32_e32 v12, 0xff00, v6
	v_or3_b32 v5, v5, 0, 0
	v_and_b32_e32 v13, 0xff000000, v6
	v_and_b32_e32 v6, 0xff0000, v6
	s_delay_alu instid0(VALU_DEP_4) | instskip(SKIP_2) | instid1(VALU_DEP_3)
	v_or3_b32 v8, 0, v8, v12
	v_and_b32_e32 v12, 0xff, v7
	v_or3_b32 v5, v5, 0, 0
	v_or3_b32 v6, v8, v6, v13
	s_delay_alu instid0(VALU_DEP_3)
	v_cmpx_eq_u16_e32 0, v12
	s_cbranch_execz .LBB254_66
; %bb.61:
	s_mov_b32 s16, 1
	.p2align	6
.LBB254_62:                             ; =>This Loop Header: Depth=1
                                        ;     Child Loop BB254_63 Depth 2
	s_delay_alu instid0(SALU_CYCLE_1)
	s_max_u32 s17, s16, 1
.LBB254_63:                             ;   Parent Loop BB254_62 Depth=1
                                        ; =>  This Inner Loop Header: Depth=2
	s_delay_alu instid0(SALU_CYCLE_1)
	s_add_i32 s17, s17, -1
	s_sleep 1
	s_cmp_eq_u32 s17, 0
	s_cbranch_scc0 .LBB254_63
; %bb.64:                               ;   in Loop: Header=BB254_62 Depth=1
	;;#ASMSTART
	global_load_dwordx4 v[5:8], v[3:4] off glc	
s_waitcnt vmcnt(0)
	;;#ASMEND
	v_and_b32_e32 v8, 0xff, v7
	s_cmp_lt_u32 s16, 32
	s_cselect_b32 s17, -1, 0
	s_delay_alu instid0(SALU_CYCLE_1) | instskip(NEXT) | instid1(VALU_DEP_1)
	s_cmp_lg_u32 s17, 0
	v_cmp_ne_u16_e32 vcc_lo, 0, v8
	s_addc_u32 s16, s16, 0
	s_or_b32 s14, vcc_lo, s14
	s_delay_alu instid0(SALU_CYCLE_1)
	s_and_not1_b32 exec_lo, exec_lo, s14
	s_cbranch_execnz .LBB254_62
; %bb.65:
	s_or_b32 exec_lo, exec_lo, s14
.LBB254_66:
	s_delay_alu instid0(SALU_CYCLE_1)
	s_or_b32 exec_lo, exec_lo, s11
	v_cmp_ne_u32_e32 vcc_lo, 31, v72
	v_and_b32_e32 v4, 0xff, v7
	v_lshlrev_b32_e64 v18, v72, -1
	s_mov_b32 s11, exec_lo
	v_add_co_ci_u32_e32 v3, vcc_lo, 0, v72, vcc_lo
	s_delay_alu instid0(VALU_DEP_3) | instskip(NEXT) | instid1(VALU_DEP_2)
	v_cmp_eq_u16_e32 vcc_lo, 2, v4
	v_dual_mov_b32 v4, v5 :: v_dual_lshlrev_b32 v17, 2, v3
	v_and_or_b32 v3, vcc_lo, v18, 0x80000000
	ds_bpermute_b32 v12, v17, v5
	ds_bpermute_b32 v8, v17, v6
	v_ctz_i32_b32_e32 v3, v3
	s_delay_alu instid0(VALU_DEP_1)
	v_cmpx_lt_u32_e64 v72, v3
	s_cbranch_execz .LBB254_68
; %bb.67:
	s_waitcnt lgkmcnt(1)
	v_add_co_u32 v4, vcc_lo, v5, v12
	v_add_co_ci_u32_e32 v6, vcc_lo, 0, v6, vcc_lo
	s_delay_alu instid0(VALU_DEP_2) | instskip(SKIP_1) | instid1(VALU_DEP_2)
	v_add_co_u32 v5, vcc_lo, 0, v4
	s_waitcnt lgkmcnt(0)
	v_add_co_ci_u32_e32 v6, vcc_lo, v8, v6, vcc_lo
.LBB254_68:
	s_or_b32 exec_lo, exec_lo, s11
	v_cmp_gt_u32_e32 vcc_lo, 30, v72
	v_add_nc_u32_e32 v20, 2, v72
	s_mov_b32 s11, exec_lo
	s_waitcnt lgkmcnt(0)
	v_cndmask_b32_e64 v8, 0, 1, vcc_lo
	s_delay_alu instid0(VALU_DEP_1) | instskip(NEXT) | instid1(VALU_DEP_1)
	v_lshlrev_b32_e32 v8, 1, v8
	v_add_lshl_u32 v19, v8, v72, 2
	ds_bpermute_b32 v12, v19, v4
	ds_bpermute_b32 v8, v19, v6
	v_cmpx_le_u32_e64 v20, v3
	s_cbranch_execz .LBB254_70
; %bb.69:
	s_waitcnt lgkmcnt(1)
	v_add_co_u32 v4, vcc_lo, v5, v12
	v_add_co_ci_u32_e32 v6, vcc_lo, 0, v6, vcc_lo
	s_delay_alu instid0(VALU_DEP_2) | instskip(SKIP_1) | instid1(VALU_DEP_2)
	v_add_co_u32 v5, vcc_lo, 0, v4
	s_waitcnt lgkmcnt(0)
	v_add_co_ci_u32_e32 v6, vcc_lo, v8, v6, vcc_lo
.LBB254_70:
	s_or_b32 exec_lo, exec_lo, s11
	v_cmp_gt_u32_e32 vcc_lo, 28, v72
	v_add_nc_u32_e32 v22, 4, v72
	s_mov_b32 s11, exec_lo
	s_waitcnt lgkmcnt(0)
	v_cndmask_b32_e64 v8, 0, 1, vcc_lo
	s_delay_alu instid0(VALU_DEP_1) | instskip(NEXT) | instid1(VALU_DEP_1)
	v_lshlrev_b32_e32 v8, 2, v8
	v_add_lshl_u32 v21, v8, v72, 2
	ds_bpermute_b32 v12, v21, v4
	ds_bpermute_b32 v8, v21, v6
	v_cmpx_le_u32_e64 v22, v3
	s_cbranch_execz .LBB254_72
; %bb.71:
	s_waitcnt lgkmcnt(1)
	v_add_co_u32 v4, vcc_lo, v5, v12
	v_add_co_ci_u32_e32 v6, vcc_lo, 0, v6, vcc_lo
	s_delay_alu instid0(VALU_DEP_2) | instskip(SKIP_1) | instid1(VALU_DEP_2)
	v_add_co_u32 v5, vcc_lo, 0, v4
	s_waitcnt lgkmcnt(0)
	v_add_co_ci_u32_e32 v6, vcc_lo, v8, v6, vcc_lo
.LBB254_72:
	s_or_b32 exec_lo, exec_lo, s11
	v_cmp_gt_u32_e32 vcc_lo, 24, v72
	v_add_nc_u32_e32 v24, 8, v72
	s_mov_b32 s11, exec_lo
	s_waitcnt lgkmcnt(0)
	v_cndmask_b32_e64 v8, 0, 1, vcc_lo
	s_delay_alu instid0(VALU_DEP_1) | instskip(NEXT) | instid1(VALU_DEP_1)
	v_lshlrev_b32_e32 v8, 3, v8
	v_add_lshl_u32 v23, v8, v72, 2
	ds_bpermute_b32 v12, v23, v4
	ds_bpermute_b32 v8, v23, v6
	v_cmpx_le_u32_e64 v24, v3
	s_cbranch_execz .LBB254_74
; %bb.73:
	s_waitcnt lgkmcnt(1)
	v_add_co_u32 v4, vcc_lo, v5, v12
	v_add_co_ci_u32_e32 v6, vcc_lo, 0, v6, vcc_lo
	s_delay_alu instid0(VALU_DEP_2) | instskip(SKIP_1) | instid1(VALU_DEP_2)
	v_add_co_u32 v5, vcc_lo, 0, v4
	s_waitcnt lgkmcnt(0)
	v_add_co_ci_u32_e32 v6, vcc_lo, v8, v6, vcc_lo
.LBB254_74:
	s_or_b32 exec_lo, exec_lo, s11
	v_cmp_gt_u32_e32 vcc_lo, 16, v72
	v_add_nc_u32_e32 v26, 16, v72
	s_mov_b32 s11, exec_lo
	s_waitcnt lgkmcnt(0)
	v_cndmask_b32_e64 v8, 0, 1, vcc_lo
	s_delay_alu instid0(VALU_DEP_1) | instskip(NEXT) | instid1(VALU_DEP_1)
	v_lshlrev_b32_e32 v8, 4, v8
	v_add_lshl_u32 v25, v8, v72, 2
	ds_bpermute_b32 v8, v25, v4
	ds_bpermute_b32 v4, v25, v6
	v_cmpx_le_u32_e64 v26, v3
	s_cbranch_execz .LBB254_76
; %bb.75:
	s_waitcnt lgkmcnt(1)
	v_add_co_u32 v3, vcc_lo, v5, v8
	v_add_co_ci_u32_e32 v6, vcc_lo, 0, v6, vcc_lo
	s_delay_alu instid0(VALU_DEP_2) | instskip(SKIP_1) | instid1(VALU_DEP_2)
	v_add_co_u32 v5, vcc_lo, v3, 0
	s_waitcnt lgkmcnt(0)
	v_add_co_ci_u32_e32 v6, vcc_lo, v6, v4, vcc_lo
.LBB254_76:
	s_or_b32 exec_lo, exec_lo, s11
	v_mov_b32_e32 v12, 0
	s_branch .LBB254_78
.LBB254_77:                             ;   in Loop: Header=BB254_78 Depth=1
	s_or_b32 exec_lo, exec_lo, s11
	v_add_co_u32 v5, vcc_lo, v5, v3
	v_subrev_nc_u32_e32 v11, 32, v11
	v_add_co_ci_u32_e32 v6, vcc_lo, v6, v4, vcc_lo
.LBB254_78:                             ; =>This Loop Header: Depth=1
                                        ;     Child Loop BB254_81 Depth 2
                                        ;       Child Loop BB254_82 Depth 3
	v_and_b32_e32 v3, 0xff, v7
	s_delay_alu instid0(VALU_DEP_1) | instskip(SKIP_2) | instid1(VALU_DEP_1)
	v_cmp_ne_u16_e32 vcc_lo, 2, v3
	v_cndmask_b32_e64 v3, 0, 1, vcc_lo
	;;#ASMSTART
	;;#ASMEND
	v_cmp_ne_u32_e32 vcc_lo, 0, v3
	s_waitcnt lgkmcnt(0)
	v_dual_mov_b32 v3, v5 :: v_dual_mov_b32 v4, v6
	s_cmp_lg_u32 vcc_lo, exec_lo
	s_cbranch_scc1 .LBB254_95
; %bb.79:                               ;   in Loop: Header=BB254_78 Depth=1
	v_lshlrev_b64 v[5:6], 4, v[11:12]
	s_mov_b32 s11, exec_lo
	s_delay_alu instid0(VALU_DEP_1) | instskip(NEXT) | instid1(VALU_DEP_2)
	v_add_co_u32 v13, vcc_lo, s8, v5
	v_add_co_ci_u32_e32 v14, vcc_lo, s9, v6, vcc_lo
	;;#ASMSTART
	global_load_dwordx4 v[5:8], v[13:14] off glc	
s_waitcnt vmcnt(0)
	;;#ASMEND
	v_and_b32_e32 v8, 0xff, v6
	v_and_b32_e32 v27, 0xff00, v6
	v_or3_b32 v5, v5, 0, 0
	v_and_b32_e32 v28, 0xff000000, v6
	v_and_b32_e32 v6, 0xff0000, v6
	s_delay_alu instid0(VALU_DEP_4) | instskip(SKIP_2) | instid1(VALU_DEP_3)
	v_or3_b32 v8, 0, v8, v27
	v_and_b32_e32 v27, 0xff, v7
	v_or3_b32 v5, v5, 0, 0
	v_or3_b32 v6, v8, v6, v28
	s_delay_alu instid0(VALU_DEP_3)
	v_cmpx_eq_u16_e32 0, v27
	s_cbranch_execz .LBB254_85
; %bb.80:                               ;   in Loop: Header=BB254_78 Depth=1
	s_mov_b32 s16, 1
	s_mov_b32 s14, 0
	.p2align	6
.LBB254_81:                             ;   Parent Loop BB254_78 Depth=1
                                        ; =>  This Loop Header: Depth=2
                                        ;       Child Loop BB254_82 Depth 3
	s_max_u32 s17, s16, 1
.LBB254_82:                             ;   Parent Loop BB254_78 Depth=1
                                        ;     Parent Loop BB254_81 Depth=2
                                        ; =>    This Inner Loop Header: Depth=3
	s_delay_alu instid0(SALU_CYCLE_1)
	s_add_i32 s17, s17, -1
	s_sleep 1
	s_cmp_eq_u32 s17, 0
	s_cbranch_scc0 .LBB254_82
; %bb.83:                               ;   in Loop: Header=BB254_81 Depth=2
	;;#ASMSTART
	global_load_dwordx4 v[5:8], v[13:14] off glc	
s_waitcnt vmcnt(0)
	;;#ASMEND
	v_and_b32_e32 v8, 0xff, v7
	s_cmp_lt_u32 s16, 32
	s_cselect_b32 s17, -1, 0
	s_delay_alu instid0(SALU_CYCLE_1) | instskip(NEXT) | instid1(VALU_DEP_1)
	s_cmp_lg_u32 s17, 0
	v_cmp_ne_u16_e32 vcc_lo, 0, v8
	s_addc_u32 s16, s16, 0
	s_or_b32 s14, vcc_lo, s14
	s_delay_alu instid0(SALU_CYCLE_1)
	s_and_not1_b32 exec_lo, exec_lo, s14
	s_cbranch_execnz .LBB254_81
; %bb.84:                               ;   in Loop: Header=BB254_78 Depth=1
	s_or_b32 exec_lo, exec_lo, s14
.LBB254_85:                             ;   in Loop: Header=BB254_78 Depth=1
	s_delay_alu instid0(SALU_CYCLE_1)
	s_or_b32 exec_lo, exec_lo, s11
	v_dual_mov_b32 v13, v5 :: v_dual_and_b32 v8, 0xff, v7
	ds_bpermute_b32 v27, v17, v5
	ds_bpermute_b32 v14, v17, v6
	s_mov_b32 s11, exec_lo
	v_cmp_eq_u16_e32 vcc_lo, 2, v8
	v_and_or_b32 v8, vcc_lo, v18, 0x80000000
	s_delay_alu instid0(VALU_DEP_1) | instskip(NEXT) | instid1(VALU_DEP_1)
	v_ctz_i32_b32_e32 v8, v8
	v_cmpx_lt_u32_e64 v72, v8
	s_cbranch_execz .LBB254_87
; %bb.86:                               ;   in Loop: Header=BB254_78 Depth=1
	s_waitcnt lgkmcnt(1)
	v_add_co_u32 v13, vcc_lo, v5, v27
	v_add_co_ci_u32_e32 v6, vcc_lo, 0, v6, vcc_lo
	s_delay_alu instid0(VALU_DEP_2) | instskip(SKIP_1) | instid1(VALU_DEP_2)
	v_add_co_u32 v5, vcc_lo, 0, v13
	s_waitcnt lgkmcnt(0)
	v_add_co_ci_u32_e32 v6, vcc_lo, v14, v6, vcc_lo
.LBB254_87:                             ;   in Loop: Header=BB254_78 Depth=1
	s_or_b32 exec_lo, exec_lo, s11
	s_waitcnt lgkmcnt(1)
	ds_bpermute_b32 v27, v19, v13
	s_waitcnt lgkmcnt(1)
	ds_bpermute_b32 v14, v19, v6
	s_mov_b32 s11, exec_lo
	v_cmpx_le_u32_e64 v20, v8
	s_cbranch_execz .LBB254_89
; %bb.88:                               ;   in Loop: Header=BB254_78 Depth=1
	s_waitcnt lgkmcnt(1)
	v_add_co_u32 v13, vcc_lo, v5, v27
	v_add_co_ci_u32_e32 v6, vcc_lo, 0, v6, vcc_lo
	s_delay_alu instid0(VALU_DEP_2) | instskip(SKIP_1) | instid1(VALU_DEP_2)
	v_add_co_u32 v5, vcc_lo, 0, v13
	s_waitcnt lgkmcnt(0)
	v_add_co_ci_u32_e32 v6, vcc_lo, v14, v6, vcc_lo
.LBB254_89:                             ;   in Loop: Header=BB254_78 Depth=1
	s_or_b32 exec_lo, exec_lo, s11
	s_waitcnt lgkmcnt(1)
	ds_bpermute_b32 v27, v21, v13
	s_waitcnt lgkmcnt(1)
	ds_bpermute_b32 v14, v21, v6
	s_mov_b32 s11, exec_lo
	v_cmpx_le_u32_e64 v22, v8
	;; [unrolled: 17-line block ×3, first 2 shown]
	s_cbranch_execz .LBB254_93
; %bb.92:                               ;   in Loop: Header=BB254_78 Depth=1
	s_waitcnt lgkmcnt(1)
	v_add_co_u32 v13, vcc_lo, v5, v27
	v_add_co_ci_u32_e32 v6, vcc_lo, 0, v6, vcc_lo
	s_delay_alu instid0(VALU_DEP_2) | instskip(SKIP_1) | instid1(VALU_DEP_2)
	v_add_co_u32 v5, vcc_lo, 0, v13
	s_waitcnt lgkmcnt(0)
	v_add_co_ci_u32_e32 v6, vcc_lo, v14, v6, vcc_lo
.LBB254_93:                             ;   in Loop: Header=BB254_78 Depth=1
	s_or_b32 exec_lo, exec_lo, s11
	s_waitcnt lgkmcnt(0)
	ds_bpermute_b32 v14, v25, v13
	ds_bpermute_b32 v13, v25, v6
	s_mov_b32 s11, exec_lo
	v_cmpx_le_u32_e64 v26, v8
	s_cbranch_execz .LBB254_77
; %bb.94:                               ;   in Loop: Header=BB254_78 Depth=1
	s_waitcnt lgkmcnt(1)
	v_add_co_u32 v5, vcc_lo, v5, v14
	v_add_co_ci_u32_e32 v6, vcc_lo, 0, v6, vcc_lo
	s_delay_alu instid0(VALU_DEP_2) | instskip(SKIP_1) | instid1(VALU_DEP_2)
	v_add_co_u32 v5, vcc_lo, v5, 0
	s_waitcnt lgkmcnt(0)
	v_add_co_ci_u32_e32 v6, vcc_lo, v6, v13, vcc_lo
	s_branch .LBB254_77
.LBB254_95:                             ;   in Loop: Header=BB254_78 Depth=1
                                        ; implicit-def: $vgpr5_vgpr6
	s_cbranch_execz .LBB254_78
; %bb.96:
	s_and_saveexec_b32 s11, s3
	s_cbranch_execz .LBB254_98
; %bb.97:
	s_add_i32 s14, s15, 32
	s_mov_b32 s15, 0
	v_add_co_u32 v5, vcc_lo, v3, v1
	s_lshl_b64 s[14:15], s[14:15], 4
	v_dual_mov_b32 v7, 2 :: v_dual_mov_b32 v8, 0
	s_add_u32 s14, s8, s14
	s_addc_u32 s15, s9, s15
	v_add_co_ci_u32_e32 v6, vcc_lo, v4, v2, vcc_lo
	v_dual_mov_b32 v11, s14 :: v_dual_mov_b32 v12, s15
	;;#ASMSTART
	global_store_dwordx4 v[11:12], v[5:8] off	
s_waitcnt vmcnt(0)
	;;#ASMEND
	ds_store_b128 v8, v[1:4] offset:7168
.LBB254_98:
	s_or_b32 exec_lo, exec_lo, s11
	v_cmp_eq_u32_e32 vcc_lo, 0, v0
	s_and_b32 exec_lo, exec_lo, vcc_lo
	s_cbranch_execz .LBB254_100
; %bb.99:
	v_mov_b32_e32 v1, 0
	ds_store_b64 v1, v[3:4] offset:24
.LBB254_100:
	s_or_b32 exec_lo, exec_lo, s10
	s_waitcnt lgkmcnt(0)
	v_cndmask_b32_e64 v4, v16, v10, s3
	v_cmp_ne_u32_e32 vcc_lo, 0, v0
	v_mov_b32_e32 v21, 0
	s_barrier
	buffer_gl0_inv
	v_cndmask_b32_e32 v4, 0, v4, vcc_lo
	ds_load_b64 v[1:2], v21 offset:24
	v_cndmask_b32_e64 v3, v15, v9, s3
	s_waitcnt lgkmcnt(0)
	s_barrier
	buffer_gl0_inv
	ds_load_b128 v[45:48], v21 offset:7168
	v_cndmask_b32_e32 v3, 0, v3, vcc_lo
	s_delay_alu instid0(VALU_DEP_1) | instskip(SKIP_1) | instid1(VALU_DEP_2)
	v_add_co_u32 v1, vcc_lo, v1, v3
	v_add_co_ci_u32_e32 v2, vcc_lo, v2, v4, vcc_lo
	v_add_co_u32 v3, vcc_lo, v1, v63
	s_delay_alu instid0(VALU_DEP_2) | instskip(NEXT) | instid1(VALU_DEP_2)
	v_add_co_ci_u32_e32 v4, vcc_lo, 0, v2, vcc_lo
	v_add_co_u32 v5, vcc_lo, v3, v64
	s_delay_alu instid0(VALU_DEP_2) | instskip(NEXT) | instid1(VALU_DEP_2)
	;; [unrolled: 3-line block ×12, first 2 shown]
	v_add_co_ci_u32_e32 v26, vcc_lo, 0, v24, vcc_lo
	v_add_co_u32 v27, vcc_lo, v25, v62
	s_delay_alu instid0(VALU_DEP_2)
	v_add_co_ci_u32_e32 v28, vcc_lo, 0, v26, vcc_lo
	s_load_b64 s[10:11], s[0:1], 0x28
	s_branch .LBB254_125
.LBB254_101:
                                        ; implicit-def: $vgpr47_vgpr48
                                        ; implicit-def: $vgpr1_vgpr2_vgpr3_vgpr4_vgpr5_vgpr6_vgpr7_vgpr8_vgpr9_vgpr10_vgpr11_vgpr12_vgpr13_vgpr14_vgpr15_vgpr16_vgpr17_vgpr18_vgpr19_vgpr20_vgpr21_vgpr22_vgpr23_vgpr24_vgpr25_vgpr26_vgpr27_vgpr28_vgpr29_vgpr30_vgpr31_vgpr32
	s_load_b64 s[10:11], s[0:1], 0x28
	s_and_b32 vcc_lo, exec_lo, s3
	s_cbranch_vccz .LBB254_125
; %bb.102:
	v_dual_mov_b32 v2, 0 :: v_dual_mov_b32 v3, v51
	v_mov_b32_dpp v4, v51 row_shr:1 row_mask:0xf bank_mask:0xf
	s_delay_alu instid0(VALU_DEP_2)
	v_mov_b32_dpp v1, v2 row_shr:1 row_mask:0xf bank_mask:0xf
	s_and_saveexec_b32 s0, s2
; %bb.103:
	s_delay_alu instid0(VALU_DEP_2) | instskip(SKIP_1) | instid1(VALU_DEP_2)
	v_add_co_u32 v3, vcc_lo, v51, v4
	v_add_co_ci_u32_e32 v2, vcc_lo, 0, v52, vcc_lo
	v_add_co_u32 v51, vcc_lo, 0, v3
	s_delay_alu instid0(VALU_DEP_2) | instskip(NEXT) | instid1(VALU_DEP_1)
	v_add_co_ci_u32_e32 v52, vcc_lo, v1, v2, vcc_lo
	v_mov_b32_e32 v2, v52
; %bb.104:
	s_or_b32 exec_lo, exec_lo, s0
	v_mov_b32_dpp v1, v3 row_shr:2 row_mask:0xf bank_mask:0xf
	s_delay_alu instid0(VALU_DEP_2)
	v_mov_b32_dpp v4, v2 row_shr:2 row_mask:0xf bank_mask:0xf
	s_mov_b32 s0, exec_lo
	v_cmpx_lt_u32_e32 1, v73
; %bb.105:
	s_delay_alu instid0(VALU_DEP_3) | instskip(SKIP_1) | instid1(VALU_DEP_2)
	v_add_co_u32 v3, vcc_lo, v51, v1
	v_add_co_ci_u32_e32 v2, vcc_lo, 0, v52, vcc_lo
	v_add_co_u32 v1, vcc_lo, 0, v3
	s_delay_alu instid0(VALU_DEP_2) | instskip(NEXT) | instid1(VALU_DEP_1)
	v_add_co_ci_u32_e32 v2, vcc_lo, v4, v2, vcc_lo
	v_dual_mov_b32 v52, v2 :: v_dual_mov_b32 v51, v1
; %bb.106:
	s_or_b32 exec_lo, exec_lo, s0
	v_mov_b32_dpp v1, v3 row_shr:4 row_mask:0xf bank_mask:0xf
	v_mov_b32_dpp v4, v2 row_shr:4 row_mask:0xf bank_mask:0xf
	s_mov_b32 s0, exec_lo
	v_cmpx_lt_u32_e32 3, v73
; %bb.107:
	s_delay_alu instid0(VALU_DEP_3) | instskip(SKIP_1) | instid1(VALU_DEP_2)
	v_add_co_u32 v3, vcc_lo, v51, v1
	v_add_co_ci_u32_e32 v2, vcc_lo, 0, v52, vcc_lo
	v_add_co_u32 v1, vcc_lo, 0, v3
	s_delay_alu instid0(VALU_DEP_2) | instskip(NEXT) | instid1(VALU_DEP_1)
	v_add_co_ci_u32_e32 v2, vcc_lo, v4, v2, vcc_lo
	v_dual_mov_b32 v52, v2 :: v_dual_mov_b32 v51, v1
; %bb.108:
	s_or_b32 exec_lo, exec_lo, s0
	v_mov_b32_dpp v4, v3 row_shr:8 row_mask:0xf bank_mask:0xf
	v_mov_b32_dpp v1, v2 row_shr:8 row_mask:0xf bank_mask:0xf
	s_mov_b32 s0, exec_lo
	v_cmpx_lt_u32_e32 7, v73
; %bb.109:
	s_delay_alu instid0(VALU_DEP_3) | instskip(SKIP_1) | instid1(VALU_DEP_2)
	v_add_co_u32 v3, vcc_lo, v51, v4
	v_add_co_ci_u32_e32 v2, vcc_lo, 0, v52, vcc_lo
	v_add_co_u32 v51, vcc_lo, 0, v3
	s_delay_alu instid0(VALU_DEP_2) | instskip(NEXT) | instid1(VALU_DEP_1)
	v_add_co_ci_u32_e32 v52, vcc_lo, v1, v2, vcc_lo
	v_mov_b32_e32 v2, v52
; %bb.110:
	s_or_b32 exec_lo, exec_lo, s0
	ds_swizzle_b32 v3, v3 offset:swizzle(BROADCAST,32,15)
	ds_swizzle_b32 v1, v2 offset:swizzle(BROADCAST,32,15)
	v_and_b32_e32 v2, 16, v72
	s_mov_b32 s0, exec_lo
	s_delay_alu instid0(VALU_DEP_1)
	v_cmpx_ne_u32_e32 0, v2
	s_cbranch_execz .LBB254_112
; %bb.111:
	s_waitcnt lgkmcnt(0)
	v_add_co_u32 v2, vcc_lo, v51, v3
	v_add_co_ci_u32_e32 v3, vcc_lo, 0, v52, vcc_lo
	s_delay_alu instid0(VALU_DEP_2) | instskip(NEXT) | instid1(VALU_DEP_2)
	v_add_co_u32 v51, vcc_lo, v2, 0
	v_add_co_ci_u32_e32 v52, vcc_lo, v3, v1, vcc_lo
.LBB254_112:
	s_or_b32 exec_lo, exec_lo, s0
	s_waitcnt lgkmcnt(0)
	v_or_b32_e32 v1, 31, v0
	v_lshrrev_b32_e32 v3, 5, v0
	s_mov_b32 s0, exec_lo
	s_delay_alu instid0(VALU_DEP_2)
	v_cmpx_eq_u32_e64 v1, v0
	s_cbranch_execz .LBB254_114
; %bb.113:
	s_delay_alu instid0(VALU_DEP_2)
	v_lshlrev_b32_e32 v1, 3, v3
	ds_store_b64 v1, v[51:52]
.LBB254_114:
	s_or_b32 exec_lo, exec_lo, s0
	s_delay_alu instid0(SALU_CYCLE_1)
	s_mov_b32 s0, exec_lo
	s_waitcnt lgkmcnt(0)
	s_barrier
	buffer_gl0_inv
	v_cmpx_gt_u32_e32 4, v0
	s_cbranch_execz .LBB254_120
; %bb.115:
	v_mad_i32_i24 v1, 0xffffffd0, v0, v61
	s_mov_b32 s1, exec_lo
	ds_load_b64 v[1:2], v1
	s_waitcnt lgkmcnt(0)
	v_dual_mov_b32 v5, v1 :: v_dual_and_b32 v4, 3, v72
	v_mov_b32_dpp v7, v1 row_shr:1 row_mask:0xf bank_mask:0xf
	v_mov_b32_dpp v6, v2 row_shr:1 row_mask:0xf bank_mask:0xf
	s_delay_alu instid0(VALU_DEP_3)
	v_cmpx_ne_u32_e32 0, v4
; %bb.116:
	s_delay_alu instid0(VALU_DEP_3) | instskip(SKIP_1) | instid1(VALU_DEP_2)
	v_add_co_u32 v5, vcc_lo, v1, v7
	v_add_co_ci_u32_e32 v2, vcc_lo, 0, v2, vcc_lo
	v_add_co_u32 v1, vcc_lo, 0, v5
	s_delay_alu instid0(VALU_DEP_2)
	v_add_co_ci_u32_e32 v2, vcc_lo, v6, v2, vcc_lo
; %bb.117:
	s_or_b32 exec_lo, exec_lo, s1
	v_mul_i32_i24_e32 v6, 0xffffffd0, v0
	v_mov_b32_dpp v7, v5 row_shr:2 row_mask:0xf bank_mask:0xf
	s_delay_alu instid0(VALU_DEP_3)
	v_mov_b32_dpp v5, v2 row_shr:2 row_mask:0xf bank_mask:0xf
	s_mov_b32 s1, exec_lo
	v_cmpx_lt_u32_e32 1, v4
; %bb.118:
	s_delay_alu instid0(VALU_DEP_3) | instskip(SKIP_1) | instid1(VALU_DEP_2)
	v_add_co_u32 v1, vcc_lo, v1, v7
	v_add_co_ci_u32_e32 v2, vcc_lo, 0, v2, vcc_lo
	v_add_co_u32 v1, vcc_lo, v1, 0
	s_delay_alu instid0(VALU_DEP_2)
	v_add_co_ci_u32_e32 v2, vcc_lo, v2, v5, vcc_lo
; %bb.119:
	s_or_b32 exec_lo, exec_lo, s1
	v_add_nc_u32_e32 v4, v61, v6
	ds_store_b64 v4, v[1:2]
.LBB254_120:
	s_or_b32 exec_lo, exec_lo, s0
	v_mov_b32_e32 v1, 0
	v_mov_b32_e32 v2, 0
	s_mov_b32 s0, exec_lo
	s_waitcnt lgkmcnt(0)
	s_barrier
	buffer_gl0_inv
	v_cmpx_lt_u32_e32 31, v0
	s_cbranch_execz .LBB254_122
; %bb.121:
	v_lshl_add_u32 v1, v3, 3, -8
	ds_load_b64 v[1:2], v1
.LBB254_122:
	s_or_b32 exec_lo, exec_lo, s0
	v_dual_mov_b32 v48, 0 :: v_dual_add_nc_u32 v3, -1, v72
	s_delay_alu instid0(VALU_DEP_1) | instskip(SKIP_2) | instid1(VALU_DEP_1)
	v_cmp_gt_i32_e32 vcc_lo, 0, v3
	ds_load_b64 v[45:46], v48 offset:24
	v_cndmask_b32_e32 v3, v3, v72, vcc_lo
	v_lshlrev_b32_e32 v4, 2, v3
	s_waitcnt lgkmcnt(1)
	v_add_co_u32 v3, vcc_lo, v1, v51
	v_add_co_ci_u32_e32 v5, vcc_lo, v2, v52, vcc_lo
	v_cmp_eq_u32_e32 vcc_lo, 0, v0
	ds_bpermute_b32 v3, v4, v3
	ds_bpermute_b32 v4, v4, v5
	s_and_saveexec_b32 s0, vcc_lo
	s_cbranch_execz .LBB254_124
; %bb.123:
	s_add_u32 s2, s8, 0x200
	s_addc_u32 s3, s9, 0
	s_delay_alu instid0(SALU_CYCLE_1)
	v_dual_mov_b32 v47, 2 :: v_dual_mov_b32 v6, s3
	v_mov_b32_e32 v5, s2
	s_waitcnt lgkmcnt(2)
	;;#ASMSTART
	global_store_dwordx4 v[5:6], v[45:48] off	
s_waitcnt vmcnt(0)
	;;#ASMEND
.LBB254_124:
	s_or_b32 exec_lo, exec_lo, s0
	v_cmp_eq_u32_e64 s0, 0, v72
	v_mov_b32_e32 v47, 0
	v_mov_b32_e32 v48, 0
	s_waitcnt lgkmcnt(0)
	s_barrier
	v_cndmask_b32_e64 v1, v3, v1, s0
	v_cndmask_b32_e64 v2, v4, v2, s0
	buffer_gl0_inv
	v_cndmask_b32_e64 v1, v1, 0, vcc_lo
	v_cndmask_b32_e64 v2, v2, 0, vcc_lo
	s_delay_alu instid0(VALU_DEP_2) | instskip(NEXT) | instid1(VALU_DEP_2)
	v_add_co_u32 v3, vcc_lo, v1, v63
	v_add_co_ci_u32_e32 v4, vcc_lo, 0, v2, vcc_lo
	s_delay_alu instid0(VALU_DEP_2) | instskip(NEXT) | instid1(VALU_DEP_2)
	v_add_co_u32 v5, vcc_lo, v3, v64
	v_add_co_ci_u32_e32 v6, vcc_lo, 0, v4, vcc_lo
	;; [unrolled: 3-line block ×13, first 2 shown]
.LBB254_125:
	s_waitcnt lgkmcnt(0)
	v_cmp_gt_u64_e32 vcc_lo, 0x81, v[45:46]
	v_lshrrev_b32_e32 v51, 16, v56
	v_lshrrev_b32_e32 v52, 8, v56
	;; [unrolled: 1-line block ×6, first 2 shown]
	s_mov_b32 s0, -1
	s_cbranch_vccnz .LBB254_129
; %bb.126:
	s_and_b32 vcc_lo, exec_lo, s0
	s_cbranch_vccnz .LBB254_172
.LBB254_127:
	v_cmp_eq_u32_e32 vcc_lo, 0, v0
	s_and_b32 s0, vcc_lo, s12
	s_delay_alu instid0(SALU_CYCLE_1)
	s_and_saveexec_b32 s1, s0
	s_cbranch_execnz .LBB254_204
.LBB254_128:
	s_nop 0
	s_sendmsg sendmsg(MSG_DEALLOC_VGPRS)
	s_endpgm
.LBB254_129:
	v_add_co_u32 v29, vcc_lo, v47, v45
	v_add_co_ci_u32_e32 v30, vcc_lo, v48, v46, vcc_lo
	s_lshl_b64 s[0:1], s[6:7], 2
	s_delay_alu instid0(SALU_CYCLE_1) | instskip(NEXT) | instid1(VALU_DEP_1)
	s_add_u32 s0, s10, s0
	v_cmp_lt_u64_e32 vcc_lo, v[1:2], v[29:30]
	s_addc_u32 s1, s11, s1
	s_or_b32 s3, s13, vcc_lo
	s_delay_alu instid0(SALU_CYCLE_1)
	s_and_saveexec_b32 s2, s3
	s_cbranch_execz .LBB254_132
; %bb.130:
	v_and_b32_e32 v63, 1, v59
	s_delay_alu instid0(VALU_DEP_1)
	v_cmp_eq_u32_e32 vcc_lo, 1, v63
	s_and_b32 exec_lo, exec_lo, vcc_lo
	s_cbranch_execz .LBB254_132
; %bb.131:
	v_lshlrev_b64 v[63:64], 2, v[1:2]
	s_delay_alu instid0(VALU_DEP_1) | instskip(NEXT) | instid1(VALU_DEP_2)
	v_add_co_u32 v63, vcc_lo, s0, v63
	v_add_co_ci_u32_e32 v64, vcc_lo, s1, v64, vcc_lo
	global_store_b32 v[63:64], v41, off
.LBB254_132:
	s_or_b32 exec_lo, exec_lo, s2
	v_cmp_lt_u64_e32 vcc_lo, v[3:4], v[29:30]
	s_or_b32 s3, s13, vcc_lo
	s_delay_alu instid0(SALU_CYCLE_1)
	s_and_saveexec_b32 s2, s3
	s_cbranch_execz .LBB254_135
; %bb.133:
	v_and_b32_e32 v2, 1, v62
	s_delay_alu instid0(VALU_DEP_1)
	v_cmp_eq_u32_e32 vcc_lo, 1, v2
	s_and_b32 exec_lo, exec_lo, vcc_lo
	s_cbranch_execz .LBB254_135
; %bb.134:
	v_lshlrev_b64 v[63:64], 2, v[3:4]
	s_delay_alu instid0(VALU_DEP_1) | instskip(NEXT) | instid1(VALU_DEP_2)
	v_add_co_u32 v63, vcc_lo, s0, v63
	v_add_co_ci_u32_e32 v64, vcc_lo, s1, v64, vcc_lo
	global_store_b32 v[63:64], v42, off
.LBB254_135:
	s_or_b32 exec_lo, exec_lo, s2
	v_cmp_lt_u64_e32 vcc_lo, v[5:6], v[29:30]
	;; [unrolled: 19-line block ×13, first 2 shown]
	s_or_b32 s3, s13, vcc_lo
	s_delay_alu instid0(SALU_CYCLE_1)
	s_and_saveexec_b32 s2, s3
	s_cbranch_execz .LBB254_171
; %bb.169:
	v_and_b32_e32 v2, 1, v53
	s_delay_alu instid0(VALU_DEP_1)
	v_cmp_eq_u32_e32 vcc_lo, 1, v2
	s_and_b32 exec_lo, exec_lo, vcc_lo
	s_cbranch_execz .LBB254_171
; %bb.170:
	v_lshlrev_b64 v[28:29], 2, v[27:28]
	s_delay_alu instid0(VALU_DEP_1) | instskip(NEXT) | instid1(VALU_DEP_2)
	v_add_co_u32 v28, vcc_lo, s0, v28
	v_add_co_ci_u32_e32 v29, vcc_lo, s1, v29, vcc_lo
	global_store_b32 v[28:29], v50, off
.LBB254_171:
	s_or_b32 exec_lo, exec_lo, s2
	s_branch .LBB254_127
.LBB254_172:
	v_and_b32_e32 v2, 1, v59
	s_mov_b32 s0, exec_lo
	s_delay_alu instid0(VALU_DEP_1)
	v_cmpx_eq_u32_e32 1, v2
	s_cbranch_execz .LBB254_174
; %bb.173:
	v_sub_nc_u32_e32 v1, v1, v47
	s_delay_alu instid0(VALU_DEP_1)
	v_lshlrev_b32_e32 v1, 2, v1
	ds_store_b32 v1, v41
.LBB254_174:
	s_or_b32 exec_lo, exec_lo, s0
	v_and_b32_e32 v1, 1, v62
	s_mov_b32 s0, exec_lo
	s_delay_alu instid0(VALU_DEP_1)
	v_cmpx_eq_u32_e32 1, v1
	s_cbranch_execz .LBB254_176
; %bb.175:
	v_sub_nc_u32_e32 v1, v3, v47
	s_delay_alu instid0(VALU_DEP_1)
	v_lshlrev_b32_e32 v1, 2, v1
	ds_store_b32 v1, v42
.LBB254_176:
	s_or_b32 exec_lo, exec_lo, s0
	;; [unrolled: 12-line block ×14, first 2 shown]
	v_mov_b32_e32 v3, 0
	s_mov_b32 s1, exec_lo
	s_waitcnt lgkmcnt(0)
	s_waitcnt_vscnt null, 0x0
	s_barrier
	buffer_gl0_inv
	v_mov_b32_e32 v1, v3
	s_delay_alu instid0(VALU_DEP_1)
	v_cmpx_gt_u64_e64 v[45:46], v[0:1]
	s_cbranch_execz .LBB254_203
; %bb.201:
	v_lshlrev_b64 v[4:5], 2, v[47:48]
	s_lshl_b64 s[2:3], s[6:7], 2
	v_or_b32_e32 v2, 0x80, v0
	s_delay_alu instid0(VALU_DEP_2) | instskip(NEXT) | instid1(VALU_DEP_3)
	v_add_co_u32 v4, vcc_lo, s10, v4
	v_add_co_ci_u32_e32 v5, vcc_lo, s11, v5, vcc_lo
	s_delay_alu instid0(VALU_DEP_2) | instskip(NEXT) | instid1(VALU_DEP_2)
	v_add_co_u32 v6, vcc_lo, v4, s2
	v_add_co_ci_u32_e32 v7, vcc_lo, s3, v5, vcc_lo
	v_dual_mov_b32 v5, v1 :: v_dual_mov_b32 v4, v0
	s_mov_b32 s2, 0
	.p2align	6
.LBB254_202:                            ; =>This Inner Loop Header: Depth=1
	s_delay_alu instid0(VALU_DEP_1) | instskip(NEXT) | instid1(VALU_DEP_2)
	v_lshlrev_b32_e32 v1, 2, v4
	v_lshlrev_b64 v[8:9], 2, v[4:5]
	v_dual_mov_b32 v5, v3 :: v_dual_mov_b32 v4, v2
	v_cmp_le_u64_e32 vcc_lo, v[45:46], v[2:3]
	v_add_nc_u32_e32 v2, 0x80, v2
	ds_load_b32 v1, v1
	v_add_co_u32 v8, s0, v6, v8
	s_delay_alu instid0(VALU_DEP_1)
	v_add_co_ci_u32_e64 v9, s0, v7, v9, s0
	s_or_b32 s2, vcc_lo, s2
	s_waitcnt lgkmcnt(0)
	global_store_b32 v[8:9], v1, off
	s_and_not1_b32 exec_lo, exec_lo, s2
	s_cbranch_execnz .LBB254_202
.LBB254_203:
	s_or_b32 exec_lo, exec_lo, s1
	v_cmp_eq_u32_e32 vcc_lo, 0, v0
	s_and_b32 s0, vcc_lo, s12
	s_delay_alu instid0(SALU_CYCLE_1)
	s_and_saveexec_b32 s1, s0
	s_cbranch_execz .LBB254_128
.LBB254_204:
	v_add_co_u32 v0, vcc_lo, v47, v45
	v_add_co_ci_u32_e32 v1, vcc_lo, v48, v46, vcc_lo
	v_mov_b32_e32 v2, 0
	s_delay_alu instid0(VALU_DEP_3) | instskip(NEXT) | instid1(VALU_DEP_3)
	v_add_co_u32 v0, vcc_lo, v0, s6
	v_add_co_ci_u32_e32 v1, vcc_lo, s7, v1, vcc_lo
	global_store_b64 v2, v[0:1], s[4:5]
	s_nop 0
	s_sendmsg sendmsg(MSG_DEALLOC_VGPRS)
	s_endpgm
	.section	.rodata,"a",@progbits
	.p2align	6, 0x0
	.amdhsa_kernel _ZN7rocprim17ROCPRIM_400000_NS6detail17trampoline_kernelINS0_14default_configENS1_25partition_config_selectorILNS1_17partition_subalgoE6EfNS0_10empty_typeEbEEZZNS1_14partition_implILS5_6ELb0ES3_mN6thrust23THRUST_200600_302600_NS6detail15normal_iteratorINSA_10device_ptrIfEEEEPS6_SG_NS0_5tupleIJSF_S6_EEENSH_IJSG_SG_EEES6_PlJ7is_evenIfEEEE10hipError_tPvRmT3_T4_T5_T6_T7_T9_mT8_P12ihipStream_tbDpT10_ENKUlT_T0_E_clISt17integral_constantIbLb1EES15_IbLb0EEEEDaS11_S12_EUlS11_E_NS1_11comp_targetILNS1_3genE9ELNS1_11target_archE1100ELNS1_3gpuE3ELNS1_3repE0EEENS1_30default_config_static_selectorELNS0_4arch9wavefront6targetE0EEEvT1_
		.amdhsa_group_segment_fixed_size 7184
		.amdhsa_private_segment_fixed_size 0
		.amdhsa_kernarg_size 112
		.amdhsa_user_sgpr_count 15
		.amdhsa_user_sgpr_dispatch_ptr 0
		.amdhsa_user_sgpr_queue_ptr 0
		.amdhsa_user_sgpr_kernarg_segment_ptr 1
		.amdhsa_user_sgpr_dispatch_id 0
		.amdhsa_user_sgpr_private_segment_size 0
		.amdhsa_wavefront_size32 1
		.amdhsa_uses_dynamic_stack 0
		.amdhsa_enable_private_segment 0
		.amdhsa_system_sgpr_workgroup_id_x 1
		.amdhsa_system_sgpr_workgroup_id_y 0
		.amdhsa_system_sgpr_workgroup_id_z 0
		.amdhsa_system_sgpr_workgroup_info 0
		.amdhsa_system_vgpr_workitem_id 0
		.amdhsa_next_free_vgpr 74
		.amdhsa_next_free_sgpr 19
		.amdhsa_reserve_vcc 1
		.amdhsa_float_round_mode_32 0
		.amdhsa_float_round_mode_16_64 0
		.amdhsa_float_denorm_mode_32 3
		.amdhsa_float_denorm_mode_16_64 3
		.amdhsa_dx10_clamp 1
		.amdhsa_ieee_mode 1
		.amdhsa_fp16_overflow 0
		.amdhsa_workgroup_processor_mode 1
		.amdhsa_memory_ordered 1
		.amdhsa_forward_progress 0
		.amdhsa_shared_vgpr_count 0
		.amdhsa_exception_fp_ieee_invalid_op 0
		.amdhsa_exception_fp_denorm_src 0
		.amdhsa_exception_fp_ieee_div_zero 0
		.amdhsa_exception_fp_ieee_overflow 0
		.amdhsa_exception_fp_ieee_underflow 0
		.amdhsa_exception_fp_ieee_inexact 0
		.amdhsa_exception_int_div_zero 0
	.end_amdhsa_kernel
	.section	.text._ZN7rocprim17ROCPRIM_400000_NS6detail17trampoline_kernelINS0_14default_configENS1_25partition_config_selectorILNS1_17partition_subalgoE6EfNS0_10empty_typeEbEEZZNS1_14partition_implILS5_6ELb0ES3_mN6thrust23THRUST_200600_302600_NS6detail15normal_iteratorINSA_10device_ptrIfEEEEPS6_SG_NS0_5tupleIJSF_S6_EEENSH_IJSG_SG_EEES6_PlJ7is_evenIfEEEE10hipError_tPvRmT3_T4_T5_T6_T7_T9_mT8_P12ihipStream_tbDpT10_ENKUlT_T0_E_clISt17integral_constantIbLb1EES15_IbLb0EEEEDaS11_S12_EUlS11_E_NS1_11comp_targetILNS1_3genE9ELNS1_11target_archE1100ELNS1_3gpuE3ELNS1_3repE0EEENS1_30default_config_static_selectorELNS0_4arch9wavefront6targetE0EEEvT1_,"axG",@progbits,_ZN7rocprim17ROCPRIM_400000_NS6detail17trampoline_kernelINS0_14default_configENS1_25partition_config_selectorILNS1_17partition_subalgoE6EfNS0_10empty_typeEbEEZZNS1_14partition_implILS5_6ELb0ES3_mN6thrust23THRUST_200600_302600_NS6detail15normal_iteratorINSA_10device_ptrIfEEEEPS6_SG_NS0_5tupleIJSF_S6_EEENSH_IJSG_SG_EEES6_PlJ7is_evenIfEEEE10hipError_tPvRmT3_T4_T5_T6_T7_T9_mT8_P12ihipStream_tbDpT10_ENKUlT_T0_E_clISt17integral_constantIbLb1EES15_IbLb0EEEEDaS11_S12_EUlS11_E_NS1_11comp_targetILNS1_3genE9ELNS1_11target_archE1100ELNS1_3gpuE3ELNS1_3repE0EEENS1_30default_config_static_selectorELNS0_4arch9wavefront6targetE0EEEvT1_,comdat
.Lfunc_end254:
	.size	_ZN7rocprim17ROCPRIM_400000_NS6detail17trampoline_kernelINS0_14default_configENS1_25partition_config_selectorILNS1_17partition_subalgoE6EfNS0_10empty_typeEbEEZZNS1_14partition_implILS5_6ELb0ES3_mN6thrust23THRUST_200600_302600_NS6detail15normal_iteratorINSA_10device_ptrIfEEEEPS6_SG_NS0_5tupleIJSF_S6_EEENSH_IJSG_SG_EEES6_PlJ7is_evenIfEEEE10hipError_tPvRmT3_T4_T5_T6_T7_T9_mT8_P12ihipStream_tbDpT10_ENKUlT_T0_E_clISt17integral_constantIbLb1EES15_IbLb0EEEEDaS11_S12_EUlS11_E_NS1_11comp_targetILNS1_3genE9ELNS1_11target_archE1100ELNS1_3gpuE3ELNS1_3repE0EEENS1_30default_config_static_selectorELNS0_4arch9wavefront6targetE0EEEvT1_, .Lfunc_end254-_ZN7rocprim17ROCPRIM_400000_NS6detail17trampoline_kernelINS0_14default_configENS1_25partition_config_selectorILNS1_17partition_subalgoE6EfNS0_10empty_typeEbEEZZNS1_14partition_implILS5_6ELb0ES3_mN6thrust23THRUST_200600_302600_NS6detail15normal_iteratorINSA_10device_ptrIfEEEEPS6_SG_NS0_5tupleIJSF_S6_EEENSH_IJSG_SG_EEES6_PlJ7is_evenIfEEEE10hipError_tPvRmT3_T4_T5_T6_T7_T9_mT8_P12ihipStream_tbDpT10_ENKUlT_T0_E_clISt17integral_constantIbLb1EES15_IbLb0EEEEDaS11_S12_EUlS11_E_NS1_11comp_targetILNS1_3genE9ELNS1_11target_archE1100ELNS1_3gpuE3ELNS1_3repE0EEENS1_30default_config_static_selectorELNS0_4arch9wavefront6targetE0EEEvT1_
                                        ; -- End function
	.section	.AMDGPU.csdata,"",@progbits
; Kernel info:
; codeLenInByte = 8688
; NumSgprs: 21
; NumVgprs: 74
; ScratchSize: 0
; MemoryBound: 0
; FloatMode: 240
; IeeeMode: 1
; LDSByteSize: 7184 bytes/workgroup (compile time only)
; SGPRBlocks: 2
; VGPRBlocks: 9
; NumSGPRsForWavesPerEU: 21
; NumVGPRsForWavesPerEU: 74
; Occupancy: 16
; WaveLimiterHint : 1
; COMPUTE_PGM_RSRC2:SCRATCH_EN: 0
; COMPUTE_PGM_RSRC2:USER_SGPR: 15
; COMPUTE_PGM_RSRC2:TRAP_HANDLER: 0
; COMPUTE_PGM_RSRC2:TGID_X_EN: 1
; COMPUTE_PGM_RSRC2:TGID_Y_EN: 0
; COMPUTE_PGM_RSRC2:TGID_Z_EN: 0
; COMPUTE_PGM_RSRC2:TIDIG_COMP_CNT: 0
	.section	.text._ZN7rocprim17ROCPRIM_400000_NS6detail17trampoline_kernelINS0_14default_configENS1_25partition_config_selectorILNS1_17partition_subalgoE6EfNS0_10empty_typeEbEEZZNS1_14partition_implILS5_6ELb0ES3_mN6thrust23THRUST_200600_302600_NS6detail15normal_iteratorINSA_10device_ptrIfEEEEPS6_SG_NS0_5tupleIJSF_S6_EEENSH_IJSG_SG_EEES6_PlJ7is_evenIfEEEE10hipError_tPvRmT3_T4_T5_T6_T7_T9_mT8_P12ihipStream_tbDpT10_ENKUlT_T0_E_clISt17integral_constantIbLb1EES15_IbLb0EEEEDaS11_S12_EUlS11_E_NS1_11comp_targetILNS1_3genE8ELNS1_11target_archE1030ELNS1_3gpuE2ELNS1_3repE0EEENS1_30default_config_static_selectorELNS0_4arch9wavefront6targetE0EEEvT1_,"axG",@progbits,_ZN7rocprim17ROCPRIM_400000_NS6detail17trampoline_kernelINS0_14default_configENS1_25partition_config_selectorILNS1_17partition_subalgoE6EfNS0_10empty_typeEbEEZZNS1_14partition_implILS5_6ELb0ES3_mN6thrust23THRUST_200600_302600_NS6detail15normal_iteratorINSA_10device_ptrIfEEEEPS6_SG_NS0_5tupleIJSF_S6_EEENSH_IJSG_SG_EEES6_PlJ7is_evenIfEEEE10hipError_tPvRmT3_T4_T5_T6_T7_T9_mT8_P12ihipStream_tbDpT10_ENKUlT_T0_E_clISt17integral_constantIbLb1EES15_IbLb0EEEEDaS11_S12_EUlS11_E_NS1_11comp_targetILNS1_3genE8ELNS1_11target_archE1030ELNS1_3gpuE2ELNS1_3repE0EEENS1_30default_config_static_selectorELNS0_4arch9wavefront6targetE0EEEvT1_,comdat
	.protected	_ZN7rocprim17ROCPRIM_400000_NS6detail17trampoline_kernelINS0_14default_configENS1_25partition_config_selectorILNS1_17partition_subalgoE6EfNS0_10empty_typeEbEEZZNS1_14partition_implILS5_6ELb0ES3_mN6thrust23THRUST_200600_302600_NS6detail15normal_iteratorINSA_10device_ptrIfEEEEPS6_SG_NS0_5tupleIJSF_S6_EEENSH_IJSG_SG_EEES6_PlJ7is_evenIfEEEE10hipError_tPvRmT3_T4_T5_T6_T7_T9_mT8_P12ihipStream_tbDpT10_ENKUlT_T0_E_clISt17integral_constantIbLb1EES15_IbLb0EEEEDaS11_S12_EUlS11_E_NS1_11comp_targetILNS1_3genE8ELNS1_11target_archE1030ELNS1_3gpuE2ELNS1_3repE0EEENS1_30default_config_static_selectorELNS0_4arch9wavefront6targetE0EEEvT1_ ; -- Begin function _ZN7rocprim17ROCPRIM_400000_NS6detail17trampoline_kernelINS0_14default_configENS1_25partition_config_selectorILNS1_17partition_subalgoE6EfNS0_10empty_typeEbEEZZNS1_14partition_implILS5_6ELb0ES3_mN6thrust23THRUST_200600_302600_NS6detail15normal_iteratorINSA_10device_ptrIfEEEEPS6_SG_NS0_5tupleIJSF_S6_EEENSH_IJSG_SG_EEES6_PlJ7is_evenIfEEEE10hipError_tPvRmT3_T4_T5_T6_T7_T9_mT8_P12ihipStream_tbDpT10_ENKUlT_T0_E_clISt17integral_constantIbLb1EES15_IbLb0EEEEDaS11_S12_EUlS11_E_NS1_11comp_targetILNS1_3genE8ELNS1_11target_archE1030ELNS1_3gpuE2ELNS1_3repE0EEENS1_30default_config_static_selectorELNS0_4arch9wavefront6targetE0EEEvT1_
	.globl	_ZN7rocprim17ROCPRIM_400000_NS6detail17trampoline_kernelINS0_14default_configENS1_25partition_config_selectorILNS1_17partition_subalgoE6EfNS0_10empty_typeEbEEZZNS1_14partition_implILS5_6ELb0ES3_mN6thrust23THRUST_200600_302600_NS6detail15normal_iteratorINSA_10device_ptrIfEEEEPS6_SG_NS0_5tupleIJSF_S6_EEENSH_IJSG_SG_EEES6_PlJ7is_evenIfEEEE10hipError_tPvRmT3_T4_T5_T6_T7_T9_mT8_P12ihipStream_tbDpT10_ENKUlT_T0_E_clISt17integral_constantIbLb1EES15_IbLb0EEEEDaS11_S12_EUlS11_E_NS1_11comp_targetILNS1_3genE8ELNS1_11target_archE1030ELNS1_3gpuE2ELNS1_3repE0EEENS1_30default_config_static_selectorELNS0_4arch9wavefront6targetE0EEEvT1_
	.p2align	8
	.type	_ZN7rocprim17ROCPRIM_400000_NS6detail17trampoline_kernelINS0_14default_configENS1_25partition_config_selectorILNS1_17partition_subalgoE6EfNS0_10empty_typeEbEEZZNS1_14partition_implILS5_6ELb0ES3_mN6thrust23THRUST_200600_302600_NS6detail15normal_iteratorINSA_10device_ptrIfEEEEPS6_SG_NS0_5tupleIJSF_S6_EEENSH_IJSG_SG_EEES6_PlJ7is_evenIfEEEE10hipError_tPvRmT3_T4_T5_T6_T7_T9_mT8_P12ihipStream_tbDpT10_ENKUlT_T0_E_clISt17integral_constantIbLb1EES15_IbLb0EEEEDaS11_S12_EUlS11_E_NS1_11comp_targetILNS1_3genE8ELNS1_11target_archE1030ELNS1_3gpuE2ELNS1_3repE0EEENS1_30default_config_static_selectorELNS0_4arch9wavefront6targetE0EEEvT1_,@function
_ZN7rocprim17ROCPRIM_400000_NS6detail17trampoline_kernelINS0_14default_configENS1_25partition_config_selectorILNS1_17partition_subalgoE6EfNS0_10empty_typeEbEEZZNS1_14partition_implILS5_6ELb0ES3_mN6thrust23THRUST_200600_302600_NS6detail15normal_iteratorINSA_10device_ptrIfEEEEPS6_SG_NS0_5tupleIJSF_S6_EEENSH_IJSG_SG_EEES6_PlJ7is_evenIfEEEE10hipError_tPvRmT3_T4_T5_T6_T7_T9_mT8_P12ihipStream_tbDpT10_ENKUlT_T0_E_clISt17integral_constantIbLb1EES15_IbLb0EEEEDaS11_S12_EUlS11_E_NS1_11comp_targetILNS1_3genE8ELNS1_11target_archE1030ELNS1_3gpuE2ELNS1_3repE0EEENS1_30default_config_static_selectorELNS0_4arch9wavefront6targetE0EEEvT1_: ; @_ZN7rocprim17ROCPRIM_400000_NS6detail17trampoline_kernelINS0_14default_configENS1_25partition_config_selectorILNS1_17partition_subalgoE6EfNS0_10empty_typeEbEEZZNS1_14partition_implILS5_6ELb0ES3_mN6thrust23THRUST_200600_302600_NS6detail15normal_iteratorINSA_10device_ptrIfEEEEPS6_SG_NS0_5tupleIJSF_S6_EEENSH_IJSG_SG_EEES6_PlJ7is_evenIfEEEE10hipError_tPvRmT3_T4_T5_T6_T7_T9_mT8_P12ihipStream_tbDpT10_ENKUlT_T0_E_clISt17integral_constantIbLb1EES15_IbLb0EEEEDaS11_S12_EUlS11_E_NS1_11comp_targetILNS1_3genE8ELNS1_11target_archE1030ELNS1_3gpuE2ELNS1_3repE0EEENS1_30default_config_static_selectorELNS0_4arch9wavefront6targetE0EEEvT1_
; %bb.0:
	.section	.rodata,"a",@progbits
	.p2align	6, 0x0
	.amdhsa_kernel _ZN7rocprim17ROCPRIM_400000_NS6detail17trampoline_kernelINS0_14default_configENS1_25partition_config_selectorILNS1_17partition_subalgoE6EfNS0_10empty_typeEbEEZZNS1_14partition_implILS5_6ELb0ES3_mN6thrust23THRUST_200600_302600_NS6detail15normal_iteratorINSA_10device_ptrIfEEEEPS6_SG_NS0_5tupleIJSF_S6_EEENSH_IJSG_SG_EEES6_PlJ7is_evenIfEEEE10hipError_tPvRmT3_T4_T5_T6_T7_T9_mT8_P12ihipStream_tbDpT10_ENKUlT_T0_E_clISt17integral_constantIbLb1EES15_IbLb0EEEEDaS11_S12_EUlS11_E_NS1_11comp_targetILNS1_3genE8ELNS1_11target_archE1030ELNS1_3gpuE2ELNS1_3repE0EEENS1_30default_config_static_selectorELNS0_4arch9wavefront6targetE0EEEvT1_
		.amdhsa_group_segment_fixed_size 0
		.amdhsa_private_segment_fixed_size 0
		.amdhsa_kernarg_size 112
		.amdhsa_user_sgpr_count 15
		.amdhsa_user_sgpr_dispatch_ptr 0
		.amdhsa_user_sgpr_queue_ptr 0
		.amdhsa_user_sgpr_kernarg_segment_ptr 1
		.amdhsa_user_sgpr_dispatch_id 0
		.amdhsa_user_sgpr_private_segment_size 0
		.amdhsa_wavefront_size32 1
		.amdhsa_uses_dynamic_stack 0
		.amdhsa_enable_private_segment 0
		.amdhsa_system_sgpr_workgroup_id_x 1
		.amdhsa_system_sgpr_workgroup_id_y 0
		.amdhsa_system_sgpr_workgroup_id_z 0
		.amdhsa_system_sgpr_workgroup_info 0
		.amdhsa_system_vgpr_workitem_id 0
		.amdhsa_next_free_vgpr 1
		.amdhsa_next_free_sgpr 1
		.amdhsa_reserve_vcc 0
		.amdhsa_float_round_mode_32 0
		.amdhsa_float_round_mode_16_64 0
		.amdhsa_float_denorm_mode_32 3
		.amdhsa_float_denorm_mode_16_64 3
		.amdhsa_dx10_clamp 1
		.amdhsa_ieee_mode 1
		.amdhsa_fp16_overflow 0
		.amdhsa_workgroup_processor_mode 1
		.amdhsa_memory_ordered 1
		.amdhsa_forward_progress 0
		.amdhsa_shared_vgpr_count 0
		.amdhsa_exception_fp_ieee_invalid_op 0
		.amdhsa_exception_fp_denorm_src 0
		.amdhsa_exception_fp_ieee_div_zero 0
		.amdhsa_exception_fp_ieee_overflow 0
		.amdhsa_exception_fp_ieee_underflow 0
		.amdhsa_exception_fp_ieee_inexact 0
		.amdhsa_exception_int_div_zero 0
	.end_amdhsa_kernel
	.section	.text._ZN7rocprim17ROCPRIM_400000_NS6detail17trampoline_kernelINS0_14default_configENS1_25partition_config_selectorILNS1_17partition_subalgoE6EfNS0_10empty_typeEbEEZZNS1_14partition_implILS5_6ELb0ES3_mN6thrust23THRUST_200600_302600_NS6detail15normal_iteratorINSA_10device_ptrIfEEEEPS6_SG_NS0_5tupleIJSF_S6_EEENSH_IJSG_SG_EEES6_PlJ7is_evenIfEEEE10hipError_tPvRmT3_T4_T5_T6_T7_T9_mT8_P12ihipStream_tbDpT10_ENKUlT_T0_E_clISt17integral_constantIbLb1EES15_IbLb0EEEEDaS11_S12_EUlS11_E_NS1_11comp_targetILNS1_3genE8ELNS1_11target_archE1030ELNS1_3gpuE2ELNS1_3repE0EEENS1_30default_config_static_selectorELNS0_4arch9wavefront6targetE0EEEvT1_,"axG",@progbits,_ZN7rocprim17ROCPRIM_400000_NS6detail17trampoline_kernelINS0_14default_configENS1_25partition_config_selectorILNS1_17partition_subalgoE6EfNS0_10empty_typeEbEEZZNS1_14partition_implILS5_6ELb0ES3_mN6thrust23THRUST_200600_302600_NS6detail15normal_iteratorINSA_10device_ptrIfEEEEPS6_SG_NS0_5tupleIJSF_S6_EEENSH_IJSG_SG_EEES6_PlJ7is_evenIfEEEE10hipError_tPvRmT3_T4_T5_T6_T7_T9_mT8_P12ihipStream_tbDpT10_ENKUlT_T0_E_clISt17integral_constantIbLb1EES15_IbLb0EEEEDaS11_S12_EUlS11_E_NS1_11comp_targetILNS1_3genE8ELNS1_11target_archE1030ELNS1_3gpuE2ELNS1_3repE0EEENS1_30default_config_static_selectorELNS0_4arch9wavefront6targetE0EEEvT1_,comdat
.Lfunc_end255:
	.size	_ZN7rocprim17ROCPRIM_400000_NS6detail17trampoline_kernelINS0_14default_configENS1_25partition_config_selectorILNS1_17partition_subalgoE6EfNS0_10empty_typeEbEEZZNS1_14partition_implILS5_6ELb0ES3_mN6thrust23THRUST_200600_302600_NS6detail15normal_iteratorINSA_10device_ptrIfEEEEPS6_SG_NS0_5tupleIJSF_S6_EEENSH_IJSG_SG_EEES6_PlJ7is_evenIfEEEE10hipError_tPvRmT3_T4_T5_T6_T7_T9_mT8_P12ihipStream_tbDpT10_ENKUlT_T0_E_clISt17integral_constantIbLb1EES15_IbLb0EEEEDaS11_S12_EUlS11_E_NS1_11comp_targetILNS1_3genE8ELNS1_11target_archE1030ELNS1_3gpuE2ELNS1_3repE0EEENS1_30default_config_static_selectorELNS0_4arch9wavefront6targetE0EEEvT1_, .Lfunc_end255-_ZN7rocprim17ROCPRIM_400000_NS6detail17trampoline_kernelINS0_14default_configENS1_25partition_config_selectorILNS1_17partition_subalgoE6EfNS0_10empty_typeEbEEZZNS1_14partition_implILS5_6ELb0ES3_mN6thrust23THRUST_200600_302600_NS6detail15normal_iteratorINSA_10device_ptrIfEEEEPS6_SG_NS0_5tupleIJSF_S6_EEENSH_IJSG_SG_EEES6_PlJ7is_evenIfEEEE10hipError_tPvRmT3_T4_T5_T6_T7_T9_mT8_P12ihipStream_tbDpT10_ENKUlT_T0_E_clISt17integral_constantIbLb1EES15_IbLb0EEEEDaS11_S12_EUlS11_E_NS1_11comp_targetILNS1_3genE8ELNS1_11target_archE1030ELNS1_3gpuE2ELNS1_3repE0EEENS1_30default_config_static_selectorELNS0_4arch9wavefront6targetE0EEEvT1_
                                        ; -- End function
	.section	.AMDGPU.csdata,"",@progbits
; Kernel info:
; codeLenInByte = 0
; NumSgprs: 0
; NumVgprs: 0
; ScratchSize: 0
; MemoryBound: 0
; FloatMode: 240
; IeeeMode: 1
; LDSByteSize: 0 bytes/workgroup (compile time only)
; SGPRBlocks: 0
; VGPRBlocks: 0
; NumSGPRsForWavesPerEU: 1
; NumVGPRsForWavesPerEU: 1
; Occupancy: 16
; WaveLimiterHint : 0
; COMPUTE_PGM_RSRC2:SCRATCH_EN: 0
; COMPUTE_PGM_RSRC2:USER_SGPR: 15
; COMPUTE_PGM_RSRC2:TRAP_HANDLER: 0
; COMPUTE_PGM_RSRC2:TGID_X_EN: 1
; COMPUTE_PGM_RSRC2:TGID_Y_EN: 0
; COMPUTE_PGM_RSRC2:TGID_Z_EN: 0
; COMPUTE_PGM_RSRC2:TIDIG_COMP_CNT: 0
	.section	.text._ZN7rocprim17ROCPRIM_400000_NS6detail17trampoline_kernelINS0_14default_configENS1_25partition_config_selectorILNS1_17partition_subalgoE6EfNS0_10empty_typeEbEEZZNS1_14partition_implILS5_6ELb0ES3_mN6thrust23THRUST_200600_302600_NS6detail15normal_iteratorINSA_10device_ptrIfEEEEPS6_SG_NS0_5tupleIJSF_S6_EEENSH_IJSG_SG_EEES6_PlJ7is_evenIfEEEE10hipError_tPvRmT3_T4_T5_T6_T7_T9_mT8_P12ihipStream_tbDpT10_ENKUlT_T0_E_clISt17integral_constantIbLb0EES15_IbLb1EEEEDaS11_S12_EUlS11_E_NS1_11comp_targetILNS1_3genE0ELNS1_11target_archE4294967295ELNS1_3gpuE0ELNS1_3repE0EEENS1_30default_config_static_selectorELNS0_4arch9wavefront6targetE0EEEvT1_,"axG",@progbits,_ZN7rocprim17ROCPRIM_400000_NS6detail17trampoline_kernelINS0_14default_configENS1_25partition_config_selectorILNS1_17partition_subalgoE6EfNS0_10empty_typeEbEEZZNS1_14partition_implILS5_6ELb0ES3_mN6thrust23THRUST_200600_302600_NS6detail15normal_iteratorINSA_10device_ptrIfEEEEPS6_SG_NS0_5tupleIJSF_S6_EEENSH_IJSG_SG_EEES6_PlJ7is_evenIfEEEE10hipError_tPvRmT3_T4_T5_T6_T7_T9_mT8_P12ihipStream_tbDpT10_ENKUlT_T0_E_clISt17integral_constantIbLb0EES15_IbLb1EEEEDaS11_S12_EUlS11_E_NS1_11comp_targetILNS1_3genE0ELNS1_11target_archE4294967295ELNS1_3gpuE0ELNS1_3repE0EEENS1_30default_config_static_selectorELNS0_4arch9wavefront6targetE0EEEvT1_,comdat
	.protected	_ZN7rocprim17ROCPRIM_400000_NS6detail17trampoline_kernelINS0_14default_configENS1_25partition_config_selectorILNS1_17partition_subalgoE6EfNS0_10empty_typeEbEEZZNS1_14partition_implILS5_6ELb0ES3_mN6thrust23THRUST_200600_302600_NS6detail15normal_iteratorINSA_10device_ptrIfEEEEPS6_SG_NS0_5tupleIJSF_S6_EEENSH_IJSG_SG_EEES6_PlJ7is_evenIfEEEE10hipError_tPvRmT3_T4_T5_T6_T7_T9_mT8_P12ihipStream_tbDpT10_ENKUlT_T0_E_clISt17integral_constantIbLb0EES15_IbLb1EEEEDaS11_S12_EUlS11_E_NS1_11comp_targetILNS1_3genE0ELNS1_11target_archE4294967295ELNS1_3gpuE0ELNS1_3repE0EEENS1_30default_config_static_selectorELNS0_4arch9wavefront6targetE0EEEvT1_ ; -- Begin function _ZN7rocprim17ROCPRIM_400000_NS6detail17trampoline_kernelINS0_14default_configENS1_25partition_config_selectorILNS1_17partition_subalgoE6EfNS0_10empty_typeEbEEZZNS1_14partition_implILS5_6ELb0ES3_mN6thrust23THRUST_200600_302600_NS6detail15normal_iteratorINSA_10device_ptrIfEEEEPS6_SG_NS0_5tupleIJSF_S6_EEENSH_IJSG_SG_EEES6_PlJ7is_evenIfEEEE10hipError_tPvRmT3_T4_T5_T6_T7_T9_mT8_P12ihipStream_tbDpT10_ENKUlT_T0_E_clISt17integral_constantIbLb0EES15_IbLb1EEEEDaS11_S12_EUlS11_E_NS1_11comp_targetILNS1_3genE0ELNS1_11target_archE4294967295ELNS1_3gpuE0ELNS1_3repE0EEENS1_30default_config_static_selectorELNS0_4arch9wavefront6targetE0EEEvT1_
	.globl	_ZN7rocprim17ROCPRIM_400000_NS6detail17trampoline_kernelINS0_14default_configENS1_25partition_config_selectorILNS1_17partition_subalgoE6EfNS0_10empty_typeEbEEZZNS1_14partition_implILS5_6ELb0ES3_mN6thrust23THRUST_200600_302600_NS6detail15normal_iteratorINSA_10device_ptrIfEEEEPS6_SG_NS0_5tupleIJSF_S6_EEENSH_IJSG_SG_EEES6_PlJ7is_evenIfEEEE10hipError_tPvRmT3_T4_T5_T6_T7_T9_mT8_P12ihipStream_tbDpT10_ENKUlT_T0_E_clISt17integral_constantIbLb0EES15_IbLb1EEEEDaS11_S12_EUlS11_E_NS1_11comp_targetILNS1_3genE0ELNS1_11target_archE4294967295ELNS1_3gpuE0ELNS1_3repE0EEENS1_30default_config_static_selectorELNS0_4arch9wavefront6targetE0EEEvT1_
	.p2align	8
	.type	_ZN7rocprim17ROCPRIM_400000_NS6detail17trampoline_kernelINS0_14default_configENS1_25partition_config_selectorILNS1_17partition_subalgoE6EfNS0_10empty_typeEbEEZZNS1_14partition_implILS5_6ELb0ES3_mN6thrust23THRUST_200600_302600_NS6detail15normal_iteratorINSA_10device_ptrIfEEEEPS6_SG_NS0_5tupleIJSF_S6_EEENSH_IJSG_SG_EEES6_PlJ7is_evenIfEEEE10hipError_tPvRmT3_T4_T5_T6_T7_T9_mT8_P12ihipStream_tbDpT10_ENKUlT_T0_E_clISt17integral_constantIbLb0EES15_IbLb1EEEEDaS11_S12_EUlS11_E_NS1_11comp_targetILNS1_3genE0ELNS1_11target_archE4294967295ELNS1_3gpuE0ELNS1_3repE0EEENS1_30default_config_static_selectorELNS0_4arch9wavefront6targetE0EEEvT1_,@function
_ZN7rocprim17ROCPRIM_400000_NS6detail17trampoline_kernelINS0_14default_configENS1_25partition_config_selectorILNS1_17partition_subalgoE6EfNS0_10empty_typeEbEEZZNS1_14partition_implILS5_6ELb0ES3_mN6thrust23THRUST_200600_302600_NS6detail15normal_iteratorINSA_10device_ptrIfEEEEPS6_SG_NS0_5tupleIJSF_S6_EEENSH_IJSG_SG_EEES6_PlJ7is_evenIfEEEE10hipError_tPvRmT3_T4_T5_T6_T7_T9_mT8_P12ihipStream_tbDpT10_ENKUlT_T0_E_clISt17integral_constantIbLb0EES15_IbLb1EEEEDaS11_S12_EUlS11_E_NS1_11comp_targetILNS1_3genE0ELNS1_11target_archE4294967295ELNS1_3gpuE0ELNS1_3repE0EEENS1_30default_config_static_selectorELNS0_4arch9wavefront6targetE0EEEvT1_: ; @_ZN7rocprim17ROCPRIM_400000_NS6detail17trampoline_kernelINS0_14default_configENS1_25partition_config_selectorILNS1_17partition_subalgoE6EfNS0_10empty_typeEbEEZZNS1_14partition_implILS5_6ELb0ES3_mN6thrust23THRUST_200600_302600_NS6detail15normal_iteratorINSA_10device_ptrIfEEEEPS6_SG_NS0_5tupleIJSF_S6_EEENSH_IJSG_SG_EEES6_PlJ7is_evenIfEEEE10hipError_tPvRmT3_T4_T5_T6_T7_T9_mT8_P12ihipStream_tbDpT10_ENKUlT_T0_E_clISt17integral_constantIbLb0EES15_IbLb1EEEEDaS11_S12_EUlS11_E_NS1_11comp_targetILNS1_3genE0ELNS1_11target_archE4294967295ELNS1_3gpuE0ELNS1_3repE0EEENS1_30default_config_static_selectorELNS0_4arch9wavefront6targetE0EEEvT1_
; %bb.0:
	.section	.rodata,"a",@progbits
	.p2align	6, 0x0
	.amdhsa_kernel _ZN7rocprim17ROCPRIM_400000_NS6detail17trampoline_kernelINS0_14default_configENS1_25partition_config_selectorILNS1_17partition_subalgoE6EfNS0_10empty_typeEbEEZZNS1_14partition_implILS5_6ELb0ES3_mN6thrust23THRUST_200600_302600_NS6detail15normal_iteratorINSA_10device_ptrIfEEEEPS6_SG_NS0_5tupleIJSF_S6_EEENSH_IJSG_SG_EEES6_PlJ7is_evenIfEEEE10hipError_tPvRmT3_T4_T5_T6_T7_T9_mT8_P12ihipStream_tbDpT10_ENKUlT_T0_E_clISt17integral_constantIbLb0EES15_IbLb1EEEEDaS11_S12_EUlS11_E_NS1_11comp_targetILNS1_3genE0ELNS1_11target_archE4294967295ELNS1_3gpuE0ELNS1_3repE0EEENS1_30default_config_static_selectorELNS0_4arch9wavefront6targetE0EEEvT1_
		.amdhsa_group_segment_fixed_size 0
		.amdhsa_private_segment_fixed_size 0
		.amdhsa_kernarg_size 128
		.amdhsa_user_sgpr_count 15
		.amdhsa_user_sgpr_dispatch_ptr 0
		.amdhsa_user_sgpr_queue_ptr 0
		.amdhsa_user_sgpr_kernarg_segment_ptr 1
		.amdhsa_user_sgpr_dispatch_id 0
		.amdhsa_user_sgpr_private_segment_size 0
		.amdhsa_wavefront_size32 1
		.amdhsa_uses_dynamic_stack 0
		.amdhsa_enable_private_segment 0
		.amdhsa_system_sgpr_workgroup_id_x 1
		.amdhsa_system_sgpr_workgroup_id_y 0
		.amdhsa_system_sgpr_workgroup_id_z 0
		.amdhsa_system_sgpr_workgroup_info 0
		.amdhsa_system_vgpr_workitem_id 0
		.amdhsa_next_free_vgpr 1
		.amdhsa_next_free_sgpr 1
		.amdhsa_reserve_vcc 0
		.amdhsa_float_round_mode_32 0
		.amdhsa_float_round_mode_16_64 0
		.amdhsa_float_denorm_mode_32 3
		.amdhsa_float_denorm_mode_16_64 3
		.amdhsa_dx10_clamp 1
		.amdhsa_ieee_mode 1
		.amdhsa_fp16_overflow 0
		.amdhsa_workgroup_processor_mode 1
		.amdhsa_memory_ordered 1
		.amdhsa_forward_progress 0
		.amdhsa_shared_vgpr_count 0
		.amdhsa_exception_fp_ieee_invalid_op 0
		.amdhsa_exception_fp_denorm_src 0
		.amdhsa_exception_fp_ieee_div_zero 0
		.amdhsa_exception_fp_ieee_overflow 0
		.amdhsa_exception_fp_ieee_underflow 0
		.amdhsa_exception_fp_ieee_inexact 0
		.amdhsa_exception_int_div_zero 0
	.end_amdhsa_kernel
	.section	.text._ZN7rocprim17ROCPRIM_400000_NS6detail17trampoline_kernelINS0_14default_configENS1_25partition_config_selectorILNS1_17partition_subalgoE6EfNS0_10empty_typeEbEEZZNS1_14partition_implILS5_6ELb0ES3_mN6thrust23THRUST_200600_302600_NS6detail15normal_iteratorINSA_10device_ptrIfEEEEPS6_SG_NS0_5tupleIJSF_S6_EEENSH_IJSG_SG_EEES6_PlJ7is_evenIfEEEE10hipError_tPvRmT3_T4_T5_T6_T7_T9_mT8_P12ihipStream_tbDpT10_ENKUlT_T0_E_clISt17integral_constantIbLb0EES15_IbLb1EEEEDaS11_S12_EUlS11_E_NS1_11comp_targetILNS1_3genE0ELNS1_11target_archE4294967295ELNS1_3gpuE0ELNS1_3repE0EEENS1_30default_config_static_selectorELNS0_4arch9wavefront6targetE0EEEvT1_,"axG",@progbits,_ZN7rocprim17ROCPRIM_400000_NS6detail17trampoline_kernelINS0_14default_configENS1_25partition_config_selectorILNS1_17partition_subalgoE6EfNS0_10empty_typeEbEEZZNS1_14partition_implILS5_6ELb0ES3_mN6thrust23THRUST_200600_302600_NS6detail15normal_iteratorINSA_10device_ptrIfEEEEPS6_SG_NS0_5tupleIJSF_S6_EEENSH_IJSG_SG_EEES6_PlJ7is_evenIfEEEE10hipError_tPvRmT3_T4_T5_T6_T7_T9_mT8_P12ihipStream_tbDpT10_ENKUlT_T0_E_clISt17integral_constantIbLb0EES15_IbLb1EEEEDaS11_S12_EUlS11_E_NS1_11comp_targetILNS1_3genE0ELNS1_11target_archE4294967295ELNS1_3gpuE0ELNS1_3repE0EEENS1_30default_config_static_selectorELNS0_4arch9wavefront6targetE0EEEvT1_,comdat
.Lfunc_end256:
	.size	_ZN7rocprim17ROCPRIM_400000_NS6detail17trampoline_kernelINS0_14default_configENS1_25partition_config_selectorILNS1_17partition_subalgoE6EfNS0_10empty_typeEbEEZZNS1_14partition_implILS5_6ELb0ES3_mN6thrust23THRUST_200600_302600_NS6detail15normal_iteratorINSA_10device_ptrIfEEEEPS6_SG_NS0_5tupleIJSF_S6_EEENSH_IJSG_SG_EEES6_PlJ7is_evenIfEEEE10hipError_tPvRmT3_T4_T5_T6_T7_T9_mT8_P12ihipStream_tbDpT10_ENKUlT_T0_E_clISt17integral_constantIbLb0EES15_IbLb1EEEEDaS11_S12_EUlS11_E_NS1_11comp_targetILNS1_3genE0ELNS1_11target_archE4294967295ELNS1_3gpuE0ELNS1_3repE0EEENS1_30default_config_static_selectorELNS0_4arch9wavefront6targetE0EEEvT1_, .Lfunc_end256-_ZN7rocprim17ROCPRIM_400000_NS6detail17trampoline_kernelINS0_14default_configENS1_25partition_config_selectorILNS1_17partition_subalgoE6EfNS0_10empty_typeEbEEZZNS1_14partition_implILS5_6ELb0ES3_mN6thrust23THRUST_200600_302600_NS6detail15normal_iteratorINSA_10device_ptrIfEEEEPS6_SG_NS0_5tupleIJSF_S6_EEENSH_IJSG_SG_EEES6_PlJ7is_evenIfEEEE10hipError_tPvRmT3_T4_T5_T6_T7_T9_mT8_P12ihipStream_tbDpT10_ENKUlT_T0_E_clISt17integral_constantIbLb0EES15_IbLb1EEEEDaS11_S12_EUlS11_E_NS1_11comp_targetILNS1_3genE0ELNS1_11target_archE4294967295ELNS1_3gpuE0ELNS1_3repE0EEENS1_30default_config_static_selectorELNS0_4arch9wavefront6targetE0EEEvT1_
                                        ; -- End function
	.section	.AMDGPU.csdata,"",@progbits
; Kernel info:
; codeLenInByte = 0
; NumSgprs: 0
; NumVgprs: 0
; ScratchSize: 0
; MemoryBound: 0
; FloatMode: 240
; IeeeMode: 1
; LDSByteSize: 0 bytes/workgroup (compile time only)
; SGPRBlocks: 0
; VGPRBlocks: 0
; NumSGPRsForWavesPerEU: 1
; NumVGPRsForWavesPerEU: 1
; Occupancy: 16
; WaveLimiterHint : 0
; COMPUTE_PGM_RSRC2:SCRATCH_EN: 0
; COMPUTE_PGM_RSRC2:USER_SGPR: 15
; COMPUTE_PGM_RSRC2:TRAP_HANDLER: 0
; COMPUTE_PGM_RSRC2:TGID_X_EN: 1
; COMPUTE_PGM_RSRC2:TGID_Y_EN: 0
; COMPUTE_PGM_RSRC2:TGID_Z_EN: 0
; COMPUTE_PGM_RSRC2:TIDIG_COMP_CNT: 0
	.section	.text._ZN7rocprim17ROCPRIM_400000_NS6detail17trampoline_kernelINS0_14default_configENS1_25partition_config_selectorILNS1_17partition_subalgoE6EfNS0_10empty_typeEbEEZZNS1_14partition_implILS5_6ELb0ES3_mN6thrust23THRUST_200600_302600_NS6detail15normal_iteratorINSA_10device_ptrIfEEEEPS6_SG_NS0_5tupleIJSF_S6_EEENSH_IJSG_SG_EEES6_PlJ7is_evenIfEEEE10hipError_tPvRmT3_T4_T5_T6_T7_T9_mT8_P12ihipStream_tbDpT10_ENKUlT_T0_E_clISt17integral_constantIbLb0EES15_IbLb1EEEEDaS11_S12_EUlS11_E_NS1_11comp_targetILNS1_3genE5ELNS1_11target_archE942ELNS1_3gpuE9ELNS1_3repE0EEENS1_30default_config_static_selectorELNS0_4arch9wavefront6targetE0EEEvT1_,"axG",@progbits,_ZN7rocprim17ROCPRIM_400000_NS6detail17trampoline_kernelINS0_14default_configENS1_25partition_config_selectorILNS1_17partition_subalgoE6EfNS0_10empty_typeEbEEZZNS1_14partition_implILS5_6ELb0ES3_mN6thrust23THRUST_200600_302600_NS6detail15normal_iteratorINSA_10device_ptrIfEEEEPS6_SG_NS0_5tupleIJSF_S6_EEENSH_IJSG_SG_EEES6_PlJ7is_evenIfEEEE10hipError_tPvRmT3_T4_T5_T6_T7_T9_mT8_P12ihipStream_tbDpT10_ENKUlT_T0_E_clISt17integral_constantIbLb0EES15_IbLb1EEEEDaS11_S12_EUlS11_E_NS1_11comp_targetILNS1_3genE5ELNS1_11target_archE942ELNS1_3gpuE9ELNS1_3repE0EEENS1_30default_config_static_selectorELNS0_4arch9wavefront6targetE0EEEvT1_,comdat
	.protected	_ZN7rocprim17ROCPRIM_400000_NS6detail17trampoline_kernelINS0_14default_configENS1_25partition_config_selectorILNS1_17partition_subalgoE6EfNS0_10empty_typeEbEEZZNS1_14partition_implILS5_6ELb0ES3_mN6thrust23THRUST_200600_302600_NS6detail15normal_iteratorINSA_10device_ptrIfEEEEPS6_SG_NS0_5tupleIJSF_S6_EEENSH_IJSG_SG_EEES6_PlJ7is_evenIfEEEE10hipError_tPvRmT3_T4_T5_T6_T7_T9_mT8_P12ihipStream_tbDpT10_ENKUlT_T0_E_clISt17integral_constantIbLb0EES15_IbLb1EEEEDaS11_S12_EUlS11_E_NS1_11comp_targetILNS1_3genE5ELNS1_11target_archE942ELNS1_3gpuE9ELNS1_3repE0EEENS1_30default_config_static_selectorELNS0_4arch9wavefront6targetE0EEEvT1_ ; -- Begin function _ZN7rocprim17ROCPRIM_400000_NS6detail17trampoline_kernelINS0_14default_configENS1_25partition_config_selectorILNS1_17partition_subalgoE6EfNS0_10empty_typeEbEEZZNS1_14partition_implILS5_6ELb0ES3_mN6thrust23THRUST_200600_302600_NS6detail15normal_iteratorINSA_10device_ptrIfEEEEPS6_SG_NS0_5tupleIJSF_S6_EEENSH_IJSG_SG_EEES6_PlJ7is_evenIfEEEE10hipError_tPvRmT3_T4_T5_T6_T7_T9_mT8_P12ihipStream_tbDpT10_ENKUlT_T0_E_clISt17integral_constantIbLb0EES15_IbLb1EEEEDaS11_S12_EUlS11_E_NS1_11comp_targetILNS1_3genE5ELNS1_11target_archE942ELNS1_3gpuE9ELNS1_3repE0EEENS1_30default_config_static_selectorELNS0_4arch9wavefront6targetE0EEEvT1_
	.globl	_ZN7rocprim17ROCPRIM_400000_NS6detail17trampoline_kernelINS0_14default_configENS1_25partition_config_selectorILNS1_17partition_subalgoE6EfNS0_10empty_typeEbEEZZNS1_14partition_implILS5_6ELb0ES3_mN6thrust23THRUST_200600_302600_NS6detail15normal_iteratorINSA_10device_ptrIfEEEEPS6_SG_NS0_5tupleIJSF_S6_EEENSH_IJSG_SG_EEES6_PlJ7is_evenIfEEEE10hipError_tPvRmT3_T4_T5_T6_T7_T9_mT8_P12ihipStream_tbDpT10_ENKUlT_T0_E_clISt17integral_constantIbLb0EES15_IbLb1EEEEDaS11_S12_EUlS11_E_NS1_11comp_targetILNS1_3genE5ELNS1_11target_archE942ELNS1_3gpuE9ELNS1_3repE0EEENS1_30default_config_static_selectorELNS0_4arch9wavefront6targetE0EEEvT1_
	.p2align	8
	.type	_ZN7rocprim17ROCPRIM_400000_NS6detail17trampoline_kernelINS0_14default_configENS1_25partition_config_selectorILNS1_17partition_subalgoE6EfNS0_10empty_typeEbEEZZNS1_14partition_implILS5_6ELb0ES3_mN6thrust23THRUST_200600_302600_NS6detail15normal_iteratorINSA_10device_ptrIfEEEEPS6_SG_NS0_5tupleIJSF_S6_EEENSH_IJSG_SG_EEES6_PlJ7is_evenIfEEEE10hipError_tPvRmT3_T4_T5_T6_T7_T9_mT8_P12ihipStream_tbDpT10_ENKUlT_T0_E_clISt17integral_constantIbLb0EES15_IbLb1EEEEDaS11_S12_EUlS11_E_NS1_11comp_targetILNS1_3genE5ELNS1_11target_archE942ELNS1_3gpuE9ELNS1_3repE0EEENS1_30default_config_static_selectorELNS0_4arch9wavefront6targetE0EEEvT1_,@function
_ZN7rocprim17ROCPRIM_400000_NS6detail17trampoline_kernelINS0_14default_configENS1_25partition_config_selectorILNS1_17partition_subalgoE6EfNS0_10empty_typeEbEEZZNS1_14partition_implILS5_6ELb0ES3_mN6thrust23THRUST_200600_302600_NS6detail15normal_iteratorINSA_10device_ptrIfEEEEPS6_SG_NS0_5tupleIJSF_S6_EEENSH_IJSG_SG_EEES6_PlJ7is_evenIfEEEE10hipError_tPvRmT3_T4_T5_T6_T7_T9_mT8_P12ihipStream_tbDpT10_ENKUlT_T0_E_clISt17integral_constantIbLb0EES15_IbLb1EEEEDaS11_S12_EUlS11_E_NS1_11comp_targetILNS1_3genE5ELNS1_11target_archE942ELNS1_3gpuE9ELNS1_3repE0EEENS1_30default_config_static_selectorELNS0_4arch9wavefront6targetE0EEEvT1_: ; @_ZN7rocprim17ROCPRIM_400000_NS6detail17trampoline_kernelINS0_14default_configENS1_25partition_config_selectorILNS1_17partition_subalgoE6EfNS0_10empty_typeEbEEZZNS1_14partition_implILS5_6ELb0ES3_mN6thrust23THRUST_200600_302600_NS6detail15normal_iteratorINSA_10device_ptrIfEEEEPS6_SG_NS0_5tupleIJSF_S6_EEENSH_IJSG_SG_EEES6_PlJ7is_evenIfEEEE10hipError_tPvRmT3_T4_T5_T6_T7_T9_mT8_P12ihipStream_tbDpT10_ENKUlT_T0_E_clISt17integral_constantIbLb0EES15_IbLb1EEEEDaS11_S12_EUlS11_E_NS1_11comp_targetILNS1_3genE5ELNS1_11target_archE942ELNS1_3gpuE9ELNS1_3repE0EEENS1_30default_config_static_selectorELNS0_4arch9wavefront6targetE0EEEvT1_
; %bb.0:
	.section	.rodata,"a",@progbits
	.p2align	6, 0x0
	.amdhsa_kernel _ZN7rocprim17ROCPRIM_400000_NS6detail17trampoline_kernelINS0_14default_configENS1_25partition_config_selectorILNS1_17partition_subalgoE6EfNS0_10empty_typeEbEEZZNS1_14partition_implILS5_6ELb0ES3_mN6thrust23THRUST_200600_302600_NS6detail15normal_iteratorINSA_10device_ptrIfEEEEPS6_SG_NS0_5tupleIJSF_S6_EEENSH_IJSG_SG_EEES6_PlJ7is_evenIfEEEE10hipError_tPvRmT3_T4_T5_T6_T7_T9_mT8_P12ihipStream_tbDpT10_ENKUlT_T0_E_clISt17integral_constantIbLb0EES15_IbLb1EEEEDaS11_S12_EUlS11_E_NS1_11comp_targetILNS1_3genE5ELNS1_11target_archE942ELNS1_3gpuE9ELNS1_3repE0EEENS1_30default_config_static_selectorELNS0_4arch9wavefront6targetE0EEEvT1_
		.amdhsa_group_segment_fixed_size 0
		.amdhsa_private_segment_fixed_size 0
		.amdhsa_kernarg_size 128
		.amdhsa_user_sgpr_count 15
		.amdhsa_user_sgpr_dispatch_ptr 0
		.amdhsa_user_sgpr_queue_ptr 0
		.amdhsa_user_sgpr_kernarg_segment_ptr 1
		.amdhsa_user_sgpr_dispatch_id 0
		.amdhsa_user_sgpr_private_segment_size 0
		.amdhsa_wavefront_size32 1
		.amdhsa_uses_dynamic_stack 0
		.amdhsa_enable_private_segment 0
		.amdhsa_system_sgpr_workgroup_id_x 1
		.amdhsa_system_sgpr_workgroup_id_y 0
		.amdhsa_system_sgpr_workgroup_id_z 0
		.amdhsa_system_sgpr_workgroup_info 0
		.amdhsa_system_vgpr_workitem_id 0
		.amdhsa_next_free_vgpr 1
		.amdhsa_next_free_sgpr 1
		.amdhsa_reserve_vcc 0
		.amdhsa_float_round_mode_32 0
		.amdhsa_float_round_mode_16_64 0
		.amdhsa_float_denorm_mode_32 3
		.amdhsa_float_denorm_mode_16_64 3
		.amdhsa_dx10_clamp 1
		.amdhsa_ieee_mode 1
		.amdhsa_fp16_overflow 0
		.amdhsa_workgroup_processor_mode 1
		.amdhsa_memory_ordered 1
		.amdhsa_forward_progress 0
		.amdhsa_shared_vgpr_count 0
		.amdhsa_exception_fp_ieee_invalid_op 0
		.amdhsa_exception_fp_denorm_src 0
		.amdhsa_exception_fp_ieee_div_zero 0
		.amdhsa_exception_fp_ieee_overflow 0
		.amdhsa_exception_fp_ieee_underflow 0
		.amdhsa_exception_fp_ieee_inexact 0
		.amdhsa_exception_int_div_zero 0
	.end_amdhsa_kernel
	.section	.text._ZN7rocprim17ROCPRIM_400000_NS6detail17trampoline_kernelINS0_14default_configENS1_25partition_config_selectorILNS1_17partition_subalgoE6EfNS0_10empty_typeEbEEZZNS1_14partition_implILS5_6ELb0ES3_mN6thrust23THRUST_200600_302600_NS6detail15normal_iteratorINSA_10device_ptrIfEEEEPS6_SG_NS0_5tupleIJSF_S6_EEENSH_IJSG_SG_EEES6_PlJ7is_evenIfEEEE10hipError_tPvRmT3_T4_T5_T6_T7_T9_mT8_P12ihipStream_tbDpT10_ENKUlT_T0_E_clISt17integral_constantIbLb0EES15_IbLb1EEEEDaS11_S12_EUlS11_E_NS1_11comp_targetILNS1_3genE5ELNS1_11target_archE942ELNS1_3gpuE9ELNS1_3repE0EEENS1_30default_config_static_selectorELNS0_4arch9wavefront6targetE0EEEvT1_,"axG",@progbits,_ZN7rocprim17ROCPRIM_400000_NS6detail17trampoline_kernelINS0_14default_configENS1_25partition_config_selectorILNS1_17partition_subalgoE6EfNS0_10empty_typeEbEEZZNS1_14partition_implILS5_6ELb0ES3_mN6thrust23THRUST_200600_302600_NS6detail15normal_iteratorINSA_10device_ptrIfEEEEPS6_SG_NS0_5tupleIJSF_S6_EEENSH_IJSG_SG_EEES6_PlJ7is_evenIfEEEE10hipError_tPvRmT3_T4_T5_T6_T7_T9_mT8_P12ihipStream_tbDpT10_ENKUlT_T0_E_clISt17integral_constantIbLb0EES15_IbLb1EEEEDaS11_S12_EUlS11_E_NS1_11comp_targetILNS1_3genE5ELNS1_11target_archE942ELNS1_3gpuE9ELNS1_3repE0EEENS1_30default_config_static_selectorELNS0_4arch9wavefront6targetE0EEEvT1_,comdat
.Lfunc_end257:
	.size	_ZN7rocprim17ROCPRIM_400000_NS6detail17trampoline_kernelINS0_14default_configENS1_25partition_config_selectorILNS1_17partition_subalgoE6EfNS0_10empty_typeEbEEZZNS1_14partition_implILS5_6ELb0ES3_mN6thrust23THRUST_200600_302600_NS6detail15normal_iteratorINSA_10device_ptrIfEEEEPS6_SG_NS0_5tupleIJSF_S6_EEENSH_IJSG_SG_EEES6_PlJ7is_evenIfEEEE10hipError_tPvRmT3_T4_T5_T6_T7_T9_mT8_P12ihipStream_tbDpT10_ENKUlT_T0_E_clISt17integral_constantIbLb0EES15_IbLb1EEEEDaS11_S12_EUlS11_E_NS1_11comp_targetILNS1_3genE5ELNS1_11target_archE942ELNS1_3gpuE9ELNS1_3repE0EEENS1_30default_config_static_selectorELNS0_4arch9wavefront6targetE0EEEvT1_, .Lfunc_end257-_ZN7rocprim17ROCPRIM_400000_NS6detail17trampoline_kernelINS0_14default_configENS1_25partition_config_selectorILNS1_17partition_subalgoE6EfNS0_10empty_typeEbEEZZNS1_14partition_implILS5_6ELb0ES3_mN6thrust23THRUST_200600_302600_NS6detail15normal_iteratorINSA_10device_ptrIfEEEEPS6_SG_NS0_5tupleIJSF_S6_EEENSH_IJSG_SG_EEES6_PlJ7is_evenIfEEEE10hipError_tPvRmT3_T4_T5_T6_T7_T9_mT8_P12ihipStream_tbDpT10_ENKUlT_T0_E_clISt17integral_constantIbLb0EES15_IbLb1EEEEDaS11_S12_EUlS11_E_NS1_11comp_targetILNS1_3genE5ELNS1_11target_archE942ELNS1_3gpuE9ELNS1_3repE0EEENS1_30default_config_static_selectorELNS0_4arch9wavefront6targetE0EEEvT1_
                                        ; -- End function
	.section	.AMDGPU.csdata,"",@progbits
; Kernel info:
; codeLenInByte = 0
; NumSgprs: 0
; NumVgprs: 0
; ScratchSize: 0
; MemoryBound: 0
; FloatMode: 240
; IeeeMode: 1
; LDSByteSize: 0 bytes/workgroup (compile time only)
; SGPRBlocks: 0
; VGPRBlocks: 0
; NumSGPRsForWavesPerEU: 1
; NumVGPRsForWavesPerEU: 1
; Occupancy: 16
; WaveLimiterHint : 0
; COMPUTE_PGM_RSRC2:SCRATCH_EN: 0
; COMPUTE_PGM_RSRC2:USER_SGPR: 15
; COMPUTE_PGM_RSRC2:TRAP_HANDLER: 0
; COMPUTE_PGM_RSRC2:TGID_X_EN: 1
; COMPUTE_PGM_RSRC2:TGID_Y_EN: 0
; COMPUTE_PGM_RSRC2:TGID_Z_EN: 0
; COMPUTE_PGM_RSRC2:TIDIG_COMP_CNT: 0
	.section	.text._ZN7rocprim17ROCPRIM_400000_NS6detail17trampoline_kernelINS0_14default_configENS1_25partition_config_selectorILNS1_17partition_subalgoE6EfNS0_10empty_typeEbEEZZNS1_14partition_implILS5_6ELb0ES3_mN6thrust23THRUST_200600_302600_NS6detail15normal_iteratorINSA_10device_ptrIfEEEEPS6_SG_NS0_5tupleIJSF_S6_EEENSH_IJSG_SG_EEES6_PlJ7is_evenIfEEEE10hipError_tPvRmT3_T4_T5_T6_T7_T9_mT8_P12ihipStream_tbDpT10_ENKUlT_T0_E_clISt17integral_constantIbLb0EES15_IbLb1EEEEDaS11_S12_EUlS11_E_NS1_11comp_targetILNS1_3genE4ELNS1_11target_archE910ELNS1_3gpuE8ELNS1_3repE0EEENS1_30default_config_static_selectorELNS0_4arch9wavefront6targetE0EEEvT1_,"axG",@progbits,_ZN7rocprim17ROCPRIM_400000_NS6detail17trampoline_kernelINS0_14default_configENS1_25partition_config_selectorILNS1_17partition_subalgoE6EfNS0_10empty_typeEbEEZZNS1_14partition_implILS5_6ELb0ES3_mN6thrust23THRUST_200600_302600_NS6detail15normal_iteratorINSA_10device_ptrIfEEEEPS6_SG_NS0_5tupleIJSF_S6_EEENSH_IJSG_SG_EEES6_PlJ7is_evenIfEEEE10hipError_tPvRmT3_T4_T5_T6_T7_T9_mT8_P12ihipStream_tbDpT10_ENKUlT_T0_E_clISt17integral_constantIbLb0EES15_IbLb1EEEEDaS11_S12_EUlS11_E_NS1_11comp_targetILNS1_3genE4ELNS1_11target_archE910ELNS1_3gpuE8ELNS1_3repE0EEENS1_30default_config_static_selectorELNS0_4arch9wavefront6targetE0EEEvT1_,comdat
	.protected	_ZN7rocprim17ROCPRIM_400000_NS6detail17trampoline_kernelINS0_14default_configENS1_25partition_config_selectorILNS1_17partition_subalgoE6EfNS0_10empty_typeEbEEZZNS1_14partition_implILS5_6ELb0ES3_mN6thrust23THRUST_200600_302600_NS6detail15normal_iteratorINSA_10device_ptrIfEEEEPS6_SG_NS0_5tupleIJSF_S6_EEENSH_IJSG_SG_EEES6_PlJ7is_evenIfEEEE10hipError_tPvRmT3_T4_T5_T6_T7_T9_mT8_P12ihipStream_tbDpT10_ENKUlT_T0_E_clISt17integral_constantIbLb0EES15_IbLb1EEEEDaS11_S12_EUlS11_E_NS1_11comp_targetILNS1_3genE4ELNS1_11target_archE910ELNS1_3gpuE8ELNS1_3repE0EEENS1_30default_config_static_selectorELNS0_4arch9wavefront6targetE0EEEvT1_ ; -- Begin function _ZN7rocprim17ROCPRIM_400000_NS6detail17trampoline_kernelINS0_14default_configENS1_25partition_config_selectorILNS1_17partition_subalgoE6EfNS0_10empty_typeEbEEZZNS1_14partition_implILS5_6ELb0ES3_mN6thrust23THRUST_200600_302600_NS6detail15normal_iteratorINSA_10device_ptrIfEEEEPS6_SG_NS0_5tupleIJSF_S6_EEENSH_IJSG_SG_EEES6_PlJ7is_evenIfEEEE10hipError_tPvRmT3_T4_T5_T6_T7_T9_mT8_P12ihipStream_tbDpT10_ENKUlT_T0_E_clISt17integral_constantIbLb0EES15_IbLb1EEEEDaS11_S12_EUlS11_E_NS1_11comp_targetILNS1_3genE4ELNS1_11target_archE910ELNS1_3gpuE8ELNS1_3repE0EEENS1_30default_config_static_selectorELNS0_4arch9wavefront6targetE0EEEvT1_
	.globl	_ZN7rocprim17ROCPRIM_400000_NS6detail17trampoline_kernelINS0_14default_configENS1_25partition_config_selectorILNS1_17partition_subalgoE6EfNS0_10empty_typeEbEEZZNS1_14partition_implILS5_6ELb0ES3_mN6thrust23THRUST_200600_302600_NS6detail15normal_iteratorINSA_10device_ptrIfEEEEPS6_SG_NS0_5tupleIJSF_S6_EEENSH_IJSG_SG_EEES6_PlJ7is_evenIfEEEE10hipError_tPvRmT3_T4_T5_T6_T7_T9_mT8_P12ihipStream_tbDpT10_ENKUlT_T0_E_clISt17integral_constantIbLb0EES15_IbLb1EEEEDaS11_S12_EUlS11_E_NS1_11comp_targetILNS1_3genE4ELNS1_11target_archE910ELNS1_3gpuE8ELNS1_3repE0EEENS1_30default_config_static_selectorELNS0_4arch9wavefront6targetE0EEEvT1_
	.p2align	8
	.type	_ZN7rocprim17ROCPRIM_400000_NS6detail17trampoline_kernelINS0_14default_configENS1_25partition_config_selectorILNS1_17partition_subalgoE6EfNS0_10empty_typeEbEEZZNS1_14partition_implILS5_6ELb0ES3_mN6thrust23THRUST_200600_302600_NS6detail15normal_iteratorINSA_10device_ptrIfEEEEPS6_SG_NS0_5tupleIJSF_S6_EEENSH_IJSG_SG_EEES6_PlJ7is_evenIfEEEE10hipError_tPvRmT3_T4_T5_T6_T7_T9_mT8_P12ihipStream_tbDpT10_ENKUlT_T0_E_clISt17integral_constantIbLb0EES15_IbLb1EEEEDaS11_S12_EUlS11_E_NS1_11comp_targetILNS1_3genE4ELNS1_11target_archE910ELNS1_3gpuE8ELNS1_3repE0EEENS1_30default_config_static_selectorELNS0_4arch9wavefront6targetE0EEEvT1_,@function
_ZN7rocprim17ROCPRIM_400000_NS6detail17trampoline_kernelINS0_14default_configENS1_25partition_config_selectorILNS1_17partition_subalgoE6EfNS0_10empty_typeEbEEZZNS1_14partition_implILS5_6ELb0ES3_mN6thrust23THRUST_200600_302600_NS6detail15normal_iteratorINSA_10device_ptrIfEEEEPS6_SG_NS0_5tupleIJSF_S6_EEENSH_IJSG_SG_EEES6_PlJ7is_evenIfEEEE10hipError_tPvRmT3_T4_T5_T6_T7_T9_mT8_P12ihipStream_tbDpT10_ENKUlT_T0_E_clISt17integral_constantIbLb0EES15_IbLb1EEEEDaS11_S12_EUlS11_E_NS1_11comp_targetILNS1_3genE4ELNS1_11target_archE910ELNS1_3gpuE8ELNS1_3repE0EEENS1_30default_config_static_selectorELNS0_4arch9wavefront6targetE0EEEvT1_: ; @_ZN7rocprim17ROCPRIM_400000_NS6detail17trampoline_kernelINS0_14default_configENS1_25partition_config_selectorILNS1_17partition_subalgoE6EfNS0_10empty_typeEbEEZZNS1_14partition_implILS5_6ELb0ES3_mN6thrust23THRUST_200600_302600_NS6detail15normal_iteratorINSA_10device_ptrIfEEEEPS6_SG_NS0_5tupleIJSF_S6_EEENSH_IJSG_SG_EEES6_PlJ7is_evenIfEEEE10hipError_tPvRmT3_T4_T5_T6_T7_T9_mT8_P12ihipStream_tbDpT10_ENKUlT_T0_E_clISt17integral_constantIbLb0EES15_IbLb1EEEEDaS11_S12_EUlS11_E_NS1_11comp_targetILNS1_3genE4ELNS1_11target_archE910ELNS1_3gpuE8ELNS1_3repE0EEENS1_30default_config_static_selectorELNS0_4arch9wavefront6targetE0EEEvT1_
; %bb.0:
	.section	.rodata,"a",@progbits
	.p2align	6, 0x0
	.amdhsa_kernel _ZN7rocprim17ROCPRIM_400000_NS6detail17trampoline_kernelINS0_14default_configENS1_25partition_config_selectorILNS1_17partition_subalgoE6EfNS0_10empty_typeEbEEZZNS1_14partition_implILS5_6ELb0ES3_mN6thrust23THRUST_200600_302600_NS6detail15normal_iteratorINSA_10device_ptrIfEEEEPS6_SG_NS0_5tupleIJSF_S6_EEENSH_IJSG_SG_EEES6_PlJ7is_evenIfEEEE10hipError_tPvRmT3_T4_T5_T6_T7_T9_mT8_P12ihipStream_tbDpT10_ENKUlT_T0_E_clISt17integral_constantIbLb0EES15_IbLb1EEEEDaS11_S12_EUlS11_E_NS1_11comp_targetILNS1_3genE4ELNS1_11target_archE910ELNS1_3gpuE8ELNS1_3repE0EEENS1_30default_config_static_selectorELNS0_4arch9wavefront6targetE0EEEvT1_
		.amdhsa_group_segment_fixed_size 0
		.amdhsa_private_segment_fixed_size 0
		.amdhsa_kernarg_size 128
		.amdhsa_user_sgpr_count 15
		.amdhsa_user_sgpr_dispatch_ptr 0
		.amdhsa_user_sgpr_queue_ptr 0
		.amdhsa_user_sgpr_kernarg_segment_ptr 1
		.amdhsa_user_sgpr_dispatch_id 0
		.amdhsa_user_sgpr_private_segment_size 0
		.amdhsa_wavefront_size32 1
		.amdhsa_uses_dynamic_stack 0
		.amdhsa_enable_private_segment 0
		.amdhsa_system_sgpr_workgroup_id_x 1
		.amdhsa_system_sgpr_workgroup_id_y 0
		.amdhsa_system_sgpr_workgroup_id_z 0
		.amdhsa_system_sgpr_workgroup_info 0
		.amdhsa_system_vgpr_workitem_id 0
		.amdhsa_next_free_vgpr 1
		.amdhsa_next_free_sgpr 1
		.amdhsa_reserve_vcc 0
		.amdhsa_float_round_mode_32 0
		.amdhsa_float_round_mode_16_64 0
		.amdhsa_float_denorm_mode_32 3
		.amdhsa_float_denorm_mode_16_64 3
		.amdhsa_dx10_clamp 1
		.amdhsa_ieee_mode 1
		.amdhsa_fp16_overflow 0
		.amdhsa_workgroup_processor_mode 1
		.amdhsa_memory_ordered 1
		.amdhsa_forward_progress 0
		.amdhsa_shared_vgpr_count 0
		.amdhsa_exception_fp_ieee_invalid_op 0
		.amdhsa_exception_fp_denorm_src 0
		.amdhsa_exception_fp_ieee_div_zero 0
		.amdhsa_exception_fp_ieee_overflow 0
		.amdhsa_exception_fp_ieee_underflow 0
		.amdhsa_exception_fp_ieee_inexact 0
		.amdhsa_exception_int_div_zero 0
	.end_amdhsa_kernel
	.section	.text._ZN7rocprim17ROCPRIM_400000_NS6detail17trampoline_kernelINS0_14default_configENS1_25partition_config_selectorILNS1_17partition_subalgoE6EfNS0_10empty_typeEbEEZZNS1_14partition_implILS5_6ELb0ES3_mN6thrust23THRUST_200600_302600_NS6detail15normal_iteratorINSA_10device_ptrIfEEEEPS6_SG_NS0_5tupleIJSF_S6_EEENSH_IJSG_SG_EEES6_PlJ7is_evenIfEEEE10hipError_tPvRmT3_T4_T5_T6_T7_T9_mT8_P12ihipStream_tbDpT10_ENKUlT_T0_E_clISt17integral_constantIbLb0EES15_IbLb1EEEEDaS11_S12_EUlS11_E_NS1_11comp_targetILNS1_3genE4ELNS1_11target_archE910ELNS1_3gpuE8ELNS1_3repE0EEENS1_30default_config_static_selectorELNS0_4arch9wavefront6targetE0EEEvT1_,"axG",@progbits,_ZN7rocprim17ROCPRIM_400000_NS6detail17trampoline_kernelINS0_14default_configENS1_25partition_config_selectorILNS1_17partition_subalgoE6EfNS0_10empty_typeEbEEZZNS1_14partition_implILS5_6ELb0ES3_mN6thrust23THRUST_200600_302600_NS6detail15normal_iteratorINSA_10device_ptrIfEEEEPS6_SG_NS0_5tupleIJSF_S6_EEENSH_IJSG_SG_EEES6_PlJ7is_evenIfEEEE10hipError_tPvRmT3_T4_T5_T6_T7_T9_mT8_P12ihipStream_tbDpT10_ENKUlT_T0_E_clISt17integral_constantIbLb0EES15_IbLb1EEEEDaS11_S12_EUlS11_E_NS1_11comp_targetILNS1_3genE4ELNS1_11target_archE910ELNS1_3gpuE8ELNS1_3repE0EEENS1_30default_config_static_selectorELNS0_4arch9wavefront6targetE0EEEvT1_,comdat
.Lfunc_end258:
	.size	_ZN7rocprim17ROCPRIM_400000_NS6detail17trampoline_kernelINS0_14default_configENS1_25partition_config_selectorILNS1_17partition_subalgoE6EfNS0_10empty_typeEbEEZZNS1_14partition_implILS5_6ELb0ES3_mN6thrust23THRUST_200600_302600_NS6detail15normal_iteratorINSA_10device_ptrIfEEEEPS6_SG_NS0_5tupleIJSF_S6_EEENSH_IJSG_SG_EEES6_PlJ7is_evenIfEEEE10hipError_tPvRmT3_T4_T5_T6_T7_T9_mT8_P12ihipStream_tbDpT10_ENKUlT_T0_E_clISt17integral_constantIbLb0EES15_IbLb1EEEEDaS11_S12_EUlS11_E_NS1_11comp_targetILNS1_3genE4ELNS1_11target_archE910ELNS1_3gpuE8ELNS1_3repE0EEENS1_30default_config_static_selectorELNS0_4arch9wavefront6targetE0EEEvT1_, .Lfunc_end258-_ZN7rocprim17ROCPRIM_400000_NS6detail17trampoline_kernelINS0_14default_configENS1_25partition_config_selectorILNS1_17partition_subalgoE6EfNS0_10empty_typeEbEEZZNS1_14partition_implILS5_6ELb0ES3_mN6thrust23THRUST_200600_302600_NS6detail15normal_iteratorINSA_10device_ptrIfEEEEPS6_SG_NS0_5tupleIJSF_S6_EEENSH_IJSG_SG_EEES6_PlJ7is_evenIfEEEE10hipError_tPvRmT3_T4_T5_T6_T7_T9_mT8_P12ihipStream_tbDpT10_ENKUlT_T0_E_clISt17integral_constantIbLb0EES15_IbLb1EEEEDaS11_S12_EUlS11_E_NS1_11comp_targetILNS1_3genE4ELNS1_11target_archE910ELNS1_3gpuE8ELNS1_3repE0EEENS1_30default_config_static_selectorELNS0_4arch9wavefront6targetE0EEEvT1_
                                        ; -- End function
	.section	.AMDGPU.csdata,"",@progbits
; Kernel info:
; codeLenInByte = 0
; NumSgprs: 0
; NumVgprs: 0
; ScratchSize: 0
; MemoryBound: 0
; FloatMode: 240
; IeeeMode: 1
; LDSByteSize: 0 bytes/workgroup (compile time only)
; SGPRBlocks: 0
; VGPRBlocks: 0
; NumSGPRsForWavesPerEU: 1
; NumVGPRsForWavesPerEU: 1
; Occupancy: 16
; WaveLimiterHint : 0
; COMPUTE_PGM_RSRC2:SCRATCH_EN: 0
; COMPUTE_PGM_RSRC2:USER_SGPR: 15
; COMPUTE_PGM_RSRC2:TRAP_HANDLER: 0
; COMPUTE_PGM_RSRC2:TGID_X_EN: 1
; COMPUTE_PGM_RSRC2:TGID_Y_EN: 0
; COMPUTE_PGM_RSRC2:TGID_Z_EN: 0
; COMPUTE_PGM_RSRC2:TIDIG_COMP_CNT: 0
	.section	.text._ZN7rocprim17ROCPRIM_400000_NS6detail17trampoline_kernelINS0_14default_configENS1_25partition_config_selectorILNS1_17partition_subalgoE6EfNS0_10empty_typeEbEEZZNS1_14partition_implILS5_6ELb0ES3_mN6thrust23THRUST_200600_302600_NS6detail15normal_iteratorINSA_10device_ptrIfEEEEPS6_SG_NS0_5tupleIJSF_S6_EEENSH_IJSG_SG_EEES6_PlJ7is_evenIfEEEE10hipError_tPvRmT3_T4_T5_T6_T7_T9_mT8_P12ihipStream_tbDpT10_ENKUlT_T0_E_clISt17integral_constantIbLb0EES15_IbLb1EEEEDaS11_S12_EUlS11_E_NS1_11comp_targetILNS1_3genE3ELNS1_11target_archE908ELNS1_3gpuE7ELNS1_3repE0EEENS1_30default_config_static_selectorELNS0_4arch9wavefront6targetE0EEEvT1_,"axG",@progbits,_ZN7rocprim17ROCPRIM_400000_NS6detail17trampoline_kernelINS0_14default_configENS1_25partition_config_selectorILNS1_17partition_subalgoE6EfNS0_10empty_typeEbEEZZNS1_14partition_implILS5_6ELb0ES3_mN6thrust23THRUST_200600_302600_NS6detail15normal_iteratorINSA_10device_ptrIfEEEEPS6_SG_NS0_5tupleIJSF_S6_EEENSH_IJSG_SG_EEES6_PlJ7is_evenIfEEEE10hipError_tPvRmT3_T4_T5_T6_T7_T9_mT8_P12ihipStream_tbDpT10_ENKUlT_T0_E_clISt17integral_constantIbLb0EES15_IbLb1EEEEDaS11_S12_EUlS11_E_NS1_11comp_targetILNS1_3genE3ELNS1_11target_archE908ELNS1_3gpuE7ELNS1_3repE0EEENS1_30default_config_static_selectorELNS0_4arch9wavefront6targetE0EEEvT1_,comdat
	.protected	_ZN7rocprim17ROCPRIM_400000_NS6detail17trampoline_kernelINS0_14default_configENS1_25partition_config_selectorILNS1_17partition_subalgoE6EfNS0_10empty_typeEbEEZZNS1_14partition_implILS5_6ELb0ES3_mN6thrust23THRUST_200600_302600_NS6detail15normal_iteratorINSA_10device_ptrIfEEEEPS6_SG_NS0_5tupleIJSF_S6_EEENSH_IJSG_SG_EEES6_PlJ7is_evenIfEEEE10hipError_tPvRmT3_T4_T5_T6_T7_T9_mT8_P12ihipStream_tbDpT10_ENKUlT_T0_E_clISt17integral_constantIbLb0EES15_IbLb1EEEEDaS11_S12_EUlS11_E_NS1_11comp_targetILNS1_3genE3ELNS1_11target_archE908ELNS1_3gpuE7ELNS1_3repE0EEENS1_30default_config_static_selectorELNS0_4arch9wavefront6targetE0EEEvT1_ ; -- Begin function _ZN7rocprim17ROCPRIM_400000_NS6detail17trampoline_kernelINS0_14default_configENS1_25partition_config_selectorILNS1_17partition_subalgoE6EfNS0_10empty_typeEbEEZZNS1_14partition_implILS5_6ELb0ES3_mN6thrust23THRUST_200600_302600_NS6detail15normal_iteratorINSA_10device_ptrIfEEEEPS6_SG_NS0_5tupleIJSF_S6_EEENSH_IJSG_SG_EEES6_PlJ7is_evenIfEEEE10hipError_tPvRmT3_T4_T5_T6_T7_T9_mT8_P12ihipStream_tbDpT10_ENKUlT_T0_E_clISt17integral_constantIbLb0EES15_IbLb1EEEEDaS11_S12_EUlS11_E_NS1_11comp_targetILNS1_3genE3ELNS1_11target_archE908ELNS1_3gpuE7ELNS1_3repE0EEENS1_30default_config_static_selectorELNS0_4arch9wavefront6targetE0EEEvT1_
	.globl	_ZN7rocprim17ROCPRIM_400000_NS6detail17trampoline_kernelINS0_14default_configENS1_25partition_config_selectorILNS1_17partition_subalgoE6EfNS0_10empty_typeEbEEZZNS1_14partition_implILS5_6ELb0ES3_mN6thrust23THRUST_200600_302600_NS6detail15normal_iteratorINSA_10device_ptrIfEEEEPS6_SG_NS0_5tupleIJSF_S6_EEENSH_IJSG_SG_EEES6_PlJ7is_evenIfEEEE10hipError_tPvRmT3_T4_T5_T6_T7_T9_mT8_P12ihipStream_tbDpT10_ENKUlT_T0_E_clISt17integral_constantIbLb0EES15_IbLb1EEEEDaS11_S12_EUlS11_E_NS1_11comp_targetILNS1_3genE3ELNS1_11target_archE908ELNS1_3gpuE7ELNS1_3repE0EEENS1_30default_config_static_selectorELNS0_4arch9wavefront6targetE0EEEvT1_
	.p2align	8
	.type	_ZN7rocprim17ROCPRIM_400000_NS6detail17trampoline_kernelINS0_14default_configENS1_25partition_config_selectorILNS1_17partition_subalgoE6EfNS0_10empty_typeEbEEZZNS1_14partition_implILS5_6ELb0ES3_mN6thrust23THRUST_200600_302600_NS6detail15normal_iteratorINSA_10device_ptrIfEEEEPS6_SG_NS0_5tupleIJSF_S6_EEENSH_IJSG_SG_EEES6_PlJ7is_evenIfEEEE10hipError_tPvRmT3_T4_T5_T6_T7_T9_mT8_P12ihipStream_tbDpT10_ENKUlT_T0_E_clISt17integral_constantIbLb0EES15_IbLb1EEEEDaS11_S12_EUlS11_E_NS1_11comp_targetILNS1_3genE3ELNS1_11target_archE908ELNS1_3gpuE7ELNS1_3repE0EEENS1_30default_config_static_selectorELNS0_4arch9wavefront6targetE0EEEvT1_,@function
_ZN7rocprim17ROCPRIM_400000_NS6detail17trampoline_kernelINS0_14default_configENS1_25partition_config_selectorILNS1_17partition_subalgoE6EfNS0_10empty_typeEbEEZZNS1_14partition_implILS5_6ELb0ES3_mN6thrust23THRUST_200600_302600_NS6detail15normal_iteratorINSA_10device_ptrIfEEEEPS6_SG_NS0_5tupleIJSF_S6_EEENSH_IJSG_SG_EEES6_PlJ7is_evenIfEEEE10hipError_tPvRmT3_T4_T5_T6_T7_T9_mT8_P12ihipStream_tbDpT10_ENKUlT_T0_E_clISt17integral_constantIbLb0EES15_IbLb1EEEEDaS11_S12_EUlS11_E_NS1_11comp_targetILNS1_3genE3ELNS1_11target_archE908ELNS1_3gpuE7ELNS1_3repE0EEENS1_30default_config_static_selectorELNS0_4arch9wavefront6targetE0EEEvT1_: ; @_ZN7rocprim17ROCPRIM_400000_NS6detail17trampoline_kernelINS0_14default_configENS1_25partition_config_selectorILNS1_17partition_subalgoE6EfNS0_10empty_typeEbEEZZNS1_14partition_implILS5_6ELb0ES3_mN6thrust23THRUST_200600_302600_NS6detail15normal_iteratorINSA_10device_ptrIfEEEEPS6_SG_NS0_5tupleIJSF_S6_EEENSH_IJSG_SG_EEES6_PlJ7is_evenIfEEEE10hipError_tPvRmT3_T4_T5_T6_T7_T9_mT8_P12ihipStream_tbDpT10_ENKUlT_T0_E_clISt17integral_constantIbLb0EES15_IbLb1EEEEDaS11_S12_EUlS11_E_NS1_11comp_targetILNS1_3genE3ELNS1_11target_archE908ELNS1_3gpuE7ELNS1_3repE0EEENS1_30default_config_static_selectorELNS0_4arch9wavefront6targetE0EEEvT1_
; %bb.0:
	.section	.rodata,"a",@progbits
	.p2align	6, 0x0
	.amdhsa_kernel _ZN7rocprim17ROCPRIM_400000_NS6detail17trampoline_kernelINS0_14default_configENS1_25partition_config_selectorILNS1_17partition_subalgoE6EfNS0_10empty_typeEbEEZZNS1_14partition_implILS5_6ELb0ES3_mN6thrust23THRUST_200600_302600_NS6detail15normal_iteratorINSA_10device_ptrIfEEEEPS6_SG_NS0_5tupleIJSF_S6_EEENSH_IJSG_SG_EEES6_PlJ7is_evenIfEEEE10hipError_tPvRmT3_T4_T5_T6_T7_T9_mT8_P12ihipStream_tbDpT10_ENKUlT_T0_E_clISt17integral_constantIbLb0EES15_IbLb1EEEEDaS11_S12_EUlS11_E_NS1_11comp_targetILNS1_3genE3ELNS1_11target_archE908ELNS1_3gpuE7ELNS1_3repE0EEENS1_30default_config_static_selectorELNS0_4arch9wavefront6targetE0EEEvT1_
		.amdhsa_group_segment_fixed_size 0
		.amdhsa_private_segment_fixed_size 0
		.amdhsa_kernarg_size 128
		.amdhsa_user_sgpr_count 15
		.amdhsa_user_sgpr_dispatch_ptr 0
		.amdhsa_user_sgpr_queue_ptr 0
		.amdhsa_user_sgpr_kernarg_segment_ptr 1
		.amdhsa_user_sgpr_dispatch_id 0
		.amdhsa_user_sgpr_private_segment_size 0
		.amdhsa_wavefront_size32 1
		.amdhsa_uses_dynamic_stack 0
		.amdhsa_enable_private_segment 0
		.amdhsa_system_sgpr_workgroup_id_x 1
		.amdhsa_system_sgpr_workgroup_id_y 0
		.amdhsa_system_sgpr_workgroup_id_z 0
		.amdhsa_system_sgpr_workgroup_info 0
		.amdhsa_system_vgpr_workitem_id 0
		.amdhsa_next_free_vgpr 1
		.amdhsa_next_free_sgpr 1
		.amdhsa_reserve_vcc 0
		.amdhsa_float_round_mode_32 0
		.amdhsa_float_round_mode_16_64 0
		.amdhsa_float_denorm_mode_32 3
		.amdhsa_float_denorm_mode_16_64 3
		.amdhsa_dx10_clamp 1
		.amdhsa_ieee_mode 1
		.amdhsa_fp16_overflow 0
		.amdhsa_workgroup_processor_mode 1
		.amdhsa_memory_ordered 1
		.amdhsa_forward_progress 0
		.amdhsa_shared_vgpr_count 0
		.amdhsa_exception_fp_ieee_invalid_op 0
		.amdhsa_exception_fp_denorm_src 0
		.amdhsa_exception_fp_ieee_div_zero 0
		.amdhsa_exception_fp_ieee_overflow 0
		.amdhsa_exception_fp_ieee_underflow 0
		.amdhsa_exception_fp_ieee_inexact 0
		.amdhsa_exception_int_div_zero 0
	.end_amdhsa_kernel
	.section	.text._ZN7rocprim17ROCPRIM_400000_NS6detail17trampoline_kernelINS0_14default_configENS1_25partition_config_selectorILNS1_17partition_subalgoE6EfNS0_10empty_typeEbEEZZNS1_14partition_implILS5_6ELb0ES3_mN6thrust23THRUST_200600_302600_NS6detail15normal_iteratorINSA_10device_ptrIfEEEEPS6_SG_NS0_5tupleIJSF_S6_EEENSH_IJSG_SG_EEES6_PlJ7is_evenIfEEEE10hipError_tPvRmT3_T4_T5_T6_T7_T9_mT8_P12ihipStream_tbDpT10_ENKUlT_T0_E_clISt17integral_constantIbLb0EES15_IbLb1EEEEDaS11_S12_EUlS11_E_NS1_11comp_targetILNS1_3genE3ELNS1_11target_archE908ELNS1_3gpuE7ELNS1_3repE0EEENS1_30default_config_static_selectorELNS0_4arch9wavefront6targetE0EEEvT1_,"axG",@progbits,_ZN7rocprim17ROCPRIM_400000_NS6detail17trampoline_kernelINS0_14default_configENS1_25partition_config_selectorILNS1_17partition_subalgoE6EfNS0_10empty_typeEbEEZZNS1_14partition_implILS5_6ELb0ES3_mN6thrust23THRUST_200600_302600_NS6detail15normal_iteratorINSA_10device_ptrIfEEEEPS6_SG_NS0_5tupleIJSF_S6_EEENSH_IJSG_SG_EEES6_PlJ7is_evenIfEEEE10hipError_tPvRmT3_T4_T5_T6_T7_T9_mT8_P12ihipStream_tbDpT10_ENKUlT_T0_E_clISt17integral_constantIbLb0EES15_IbLb1EEEEDaS11_S12_EUlS11_E_NS1_11comp_targetILNS1_3genE3ELNS1_11target_archE908ELNS1_3gpuE7ELNS1_3repE0EEENS1_30default_config_static_selectorELNS0_4arch9wavefront6targetE0EEEvT1_,comdat
.Lfunc_end259:
	.size	_ZN7rocprim17ROCPRIM_400000_NS6detail17trampoline_kernelINS0_14default_configENS1_25partition_config_selectorILNS1_17partition_subalgoE6EfNS0_10empty_typeEbEEZZNS1_14partition_implILS5_6ELb0ES3_mN6thrust23THRUST_200600_302600_NS6detail15normal_iteratorINSA_10device_ptrIfEEEEPS6_SG_NS0_5tupleIJSF_S6_EEENSH_IJSG_SG_EEES6_PlJ7is_evenIfEEEE10hipError_tPvRmT3_T4_T5_T6_T7_T9_mT8_P12ihipStream_tbDpT10_ENKUlT_T0_E_clISt17integral_constantIbLb0EES15_IbLb1EEEEDaS11_S12_EUlS11_E_NS1_11comp_targetILNS1_3genE3ELNS1_11target_archE908ELNS1_3gpuE7ELNS1_3repE0EEENS1_30default_config_static_selectorELNS0_4arch9wavefront6targetE0EEEvT1_, .Lfunc_end259-_ZN7rocprim17ROCPRIM_400000_NS6detail17trampoline_kernelINS0_14default_configENS1_25partition_config_selectorILNS1_17partition_subalgoE6EfNS0_10empty_typeEbEEZZNS1_14partition_implILS5_6ELb0ES3_mN6thrust23THRUST_200600_302600_NS6detail15normal_iteratorINSA_10device_ptrIfEEEEPS6_SG_NS0_5tupleIJSF_S6_EEENSH_IJSG_SG_EEES6_PlJ7is_evenIfEEEE10hipError_tPvRmT3_T4_T5_T6_T7_T9_mT8_P12ihipStream_tbDpT10_ENKUlT_T0_E_clISt17integral_constantIbLb0EES15_IbLb1EEEEDaS11_S12_EUlS11_E_NS1_11comp_targetILNS1_3genE3ELNS1_11target_archE908ELNS1_3gpuE7ELNS1_3repE0EEENS1_30default_config_static_selectorELNS0_4arch9wavefront6targetE0EEEvT1_
                                        ; -- End function
	.section	.AMDGPU.csdata,"",@progbits
; Kernel info:
; codeLenInByte = 0
; NumSgprs: 0
; NumVgprs: 0
; ScratchSize: 0
; MemoryBound: 0
; FloatMode: 240
; IeeeMode: 1
; LDSByteSize: 0 bytes/workgroup (compile time only)
; SGPRBlocks: 0
; VGPRBlocks: 0
; NumSGPRsForWavesPerEU: 1
; NumVGPRsForWavesPerEU: 1
; Occupancy: 16
; WaveLimiterHint : 0
; COMPUTE_PGM_RSRC2:SCRATCH_EN: 0
; COMPUTE_PGM_RSRC2:USER_SGPR: 15
; COMPUTE_PGM_RSRC2:TRAP_HANDLER: 0
; COMPUTE_PGM_RSRC2:TGID_X_EN: 1
; COMPUTE_PGM_RSRC2:TGID_Y_EN: 0
; COMPUTE_PGM_RSRC2:TGID_Z_EN: 0
; COMPUTE_PGM_RSRC2:TIDIG_COMP_CNT: 0
	.section	.text._ZN7rocprim17ROCPRIM_400000_NS6detail17trampoline_kernelINS0_14default_configENS1_25partition_config_selectorILNS1_17partition_subalgoE6EfNS0_10empty_typeEbEEZZNS1_14partition_implILS5_6ELb0ES3_mN6thrust23THRUST_200600_302600_NS6detail15normal_iteratorINSA_10device_ptrIfEEEEPS6_SG_NS0_5tupleIJSF_S6_EEENSH_IJSG_SG_EEES6_PlJ7is_evenIfEEEE10hipError_tPvRmT3_T4_T5_T6_T7_T9_mT8_P12ihipStream_tbDpT10_ENKUlT_T0_E_clISt17integral_constantIbLb0EES15_IbLb1EEEEDaS11_S12_EUlS11_E_NS1_11comp_targetILNS1_3genE2ELNS1_11target_archE906ELNS1_3gpuE6ELNS1_3repE0EEENS1_30default_config_static_selectorELNS0_4arch9wavefront6targetE0EEEvT1_,"axG",@progbits,_ZN7rocprim17ROCPRIM_400000_NS6detail17trampoline_kernelINS0_14default_configENS1_25partition_config_selectorILNS1_17partition_subalgoE6EfNS0_10empty_typeEbEEZZNS1_14partition_implILS5_6ELb0ES3_mN6thrust23THRUST_200600_302600_NS6detail15normal_iteratorINSA_10device_ptrIfEEEEPS6_SG_NS0_5tupleIJSF_S6_EEENSH_IJSG_SG_EEES6_PlJ7is_evenIfEEEE10hipError_tPvRmT3_T4_T5_T6_T7_T9_mT8_P12ihipStream_tbDpT10_ENKUlT_T0_E_clISt17integral_constantIbLb0EES15_IbLb1EEEEDaS11_S12_EUlS11_E_NS1_11comp_targetILNS1_3genE2ELNS1_11target_archE906ELNS1_3gpuE6ELNS1_3repE0EEENS1_30default_config_static_selectorELNS0_4arch9wavefront6targetE0EEEvT1_,comdat
	.protected	_ZN7rocprim17ROCPRIM_400000_NS6detail17trampoline_kernelINS0_14default_configENS1_25partition_config_selectorILNS1_17partition_subalgoE6EfNS0_10empty_typeEbEEZZNS1_14partition_implILS5_6ELb0ES3_mN6thrust23THRUST_200600_302600_NS6detail15normal_iteratorINSA_10device_ptrIfEEEEPS6_SG_NS0_5tupleIJSF_S6_EEENSH_IJSG_SG_EEES6_PlJ7is_evenIfEEEE10hipError_tPvRmT3_T4_T5_T6_T7_T9_mT8_P12ihipStream_tbDpT10_ENKUlT_T0_E_clISt17integral_constantIbLb0EES15_IbLb1EEEEDaS11_S12_EUlS11_E_NS1_11comp_targetILNS1_3genE2ELNS1_11target_archE906ELNS1_3gpuE6ELNS1_3repE0EEENS1_30default_config_static_selectorELNS0_4arch9wavefront6targetE0EEEvT1_ ; -- Begin function _ZN7rocprim17ROCPRIM_400000_NS6detail17trampoline_kernelINS0_14default_configENS1_25partition_config_selectorILNS1_17partition_subalgoE6EfNS0_10empty_typeEbEEZZNS1_14partition_implILS5_6ELb0ES3_mN6thrust23THRUST_200600_302600_NS6detail15normal_iteratorINSA_10device_ptrIfEEEEPS6_SG_NS0_5tupleIJSF_S6_EEENSH_IJSG_SG_EEES6_PlJ7is_evenIfEEEE10hipError_tPvRmT3_T4_T5_T6_T7_T9_mT8_P12ihipStream_tbDpT10_ENKUlT_T0_E_clISt17integral_constantIbLb0EES15_IbLb1EEEEDaS11_S12_EUlS11_E_NS1_11comp_targetILNS1_3genE2ELNS1_11target_archE906ELNS1_3gpuE6ELNS1_3repE0EEENS1_30default_config_static_selectorELNS0_4arch9wavefront6targetE0EEEvT1_
	.globl	_ZN7rocprim17ROCPRIM_400000_NS6detail17trampoline_kernelINS0_14default_configENS1_25partition_config_selectorILNS1_17partition_subalgoE6EfNS0_10empty_typeEbEEZZNS1_14partition_implILS5_6ELb0ES3_mN6thrust23THRUST_200600_302600_NS6detail15normal_iteratorINSA_10device_ptrIfEEEEPS6_SG_NS0_5tupleIJSF_S6_EEENSH_IJSG_SG_EEES6_PlJ7is_evenIfEEEE10hipError_tPvRmT3_T4_T5_T6_T7_T9_mT8_P12ihipStream_tbDpT10_ENKUlT_T0_E_clISt17integral_constantIbLb0EES15_IbLb1EEEEDaS11_S12_EUlS11_E_NS1_11comp_targetILNS1_3genE2ELNS1_11target_archE906ELNS1_3gpuE6ELNS1_3repE0EEENS1_30default_config_static_selectorELNS0_4arch9wavefront6targetE0EEEvT1_
	.p2align	8
	.type	_ZN7rocprim17ROCPRIM_400000_NS6detail17trampoline_kernelINS0_14default_configENS1_25partition_config_selectorILNS1_17partition_subalgoE6EfNS0_10empty_typeEbEEZZNS1_14partition_implILS5_6ELb0ES3_mN6thrust23THRUST_200600_302600_NS6detail15normal_iteratorINSA_10device_ptrIfEEEEPS6_SG_NS0_5tupleIJSF_S6_EEENSH_IJSG_SG_EEES6_PlJ7is_evenIfEEEE10hipError_tPvRmT3_T4_T5_T6_T7_T9_mT8_P12ihipStream_tbDpT10_ENKUlT_T0_E_clISt17integral_constantIbLb0EES15_IbLb1EEEEDaS11_S12_EUlS11_E_NS1_11comp_targetILNS1_3genE2ELNS1_11target_archE906ELNS1_3gpuE6ELNS1_3repE0EEENS1_30default_config_static_selectorELNS0_4arch9wavefront6targetE0EEEvT1_,@function
_ZN7rocprim17ROCPRIM_400000_NS6detail17trampoline_kernelINS0_14default_configENS1_25partition_config_selectorILNS1_17partition_subalgoE6EfNS0_10empty_typeEbEEZZNS1_14partition_implILS5_6ELb0ES3_mN6thrust23THRUST_200600_302600_NS6detail15normal_iteratorINSA_10device_ptrIfEEEEPS6_SG_NS0_5tupleIJSF_S6_EEENSH_IJSG_SG_EEES6_PlJ7is_evenIfEEEE10hipError_tPvRmT3_T4_T5_T6_T7_T9_mT8_P12ihipStream_tbDpT10_ENKUlT_T0_E_clISt17integral_constantIbLb0EES15_IbLb1EEEEDaS11_S12_EUlS11_E_NS1_11comp_targetILNS1_3genE2ELNS1_11target_archE906ELNS1_3gpuE6ELNS1_3repE0EEENS1_30default_config_static_selectorELNS0_4arch9wavefront6targetE0EEEvT1_: ; @_ZN7rocprim17ROCPRIM_400000_NS6detail17trampoline_kernelINS0_14default_configENS1_25partition_config_selectorILNS1_17partition_subalgoE6EfNS0_10empty_typeEbEEZZNS1_14partition_implILS5_6ELb0ES3_mN6thrust23THRUST_200600_302600_NS6detail15normal_iteratorINSA_10device_ptrIfEEEEPS6_SG_NS0_5tupleIJSF_S6_EEENSH_IJSG_SG_EEES6_PlJ7is_evenIfEEEE10hipError_tPvRmT3_T4_T5_T6_T7_T9_mT8_P12ihipStream_tbDpT10_ENKUlT_T0_E_clISt17integral_constantIbLb0EES15_IbLb1EEEEDaS11_S12_EUlS11_E_NS1_11comp_targetILNS1_3genE2ELNS1_11target_archE906ELNS1_3gpuE6ELNS1_3repE0EEENS1_30default_config_static_selectorELNS0_4arch9wavefront6targetE0EEEvT1_
; %bb.0:
	.section	.rodata,"a",@progbits
	.p2align	6, 0x0
	.amdhsa_kernel _ZN7rocprim17ROCPRIM_400000_NS6detail17trampoline_kernelINS0_14default_configENS1_25partition_config_selectorILNS1_17partition_subalgoE6EfNS0_10empty_typeEbEEZZNS1_14partition_implILS5_6ELb0ES3_mN6thrust23THRUST_200600_302600_NS6detail15normal_iteratorINSA_10device_ptrIfEEEEPS6_SG_NS0_5tupleIJSF_S6_EEENSH_IJSG_SG_EEES6_PlJ7is_evenIfEEEE10hipError_tPvRmT3_T4_T5_T6_T7_T9_mT8_P12ihipStream_tbDpT10_ENKUlT_T0_E_clISt17integral_constantIbLb0EES15_IbLb1EEEEDaS11_S12_EUlS11_E_NS1_11comp_targetILNS1_3genE2ELNS1_11target_archE906ELNS1_3gpuE6ELNS1_3repE0EEENS1_30default_config_static_selectorELNS0_4arch9wavefront6targetE0EEEvT1_
		.amdhsa_group_segment_fixed_size 0
		.amdhsa_private_segment_fixed_size 0
		.amdhsa_kernarg_size 128
		.amdhsa_user_sgpr_count 15
		.amdhsa_user_sgpr_dispatch_ptr 0
		.amdhsa_user_sgpr_queue_ptr 0
		.amdhsa_user_sgpr_kernarg_segment_ptr 1
		.amdhsa_user_sgpr_dispatch_id 0
		.amdhsa_user_sgpr_private_segment_size 0
		.amdhsa_wavefront_size32 1
		.amdhsa_uses_dynamic_stack 0
		.amdhsa_enable_private_segment 0
		.amdhsa_system_sgpr_workgroup_id_x 1
		.amdhsa_system_sgpr_workgroup_id_y 0
		.amdhsa_system_sgpr_workgroup_id_z 0
		.amdhsa_system_sgpr_workgroup_info 0
		.amdhsa_system_vgpr_workitem_id 0
		.amdhsa_next_free_vgpr 1
		.amdhsa_next_free_sgpr 1
		.amdhsa_reserve_vcc 0
		.amdhsa_float_round_mode_32 0
		.amdhsa_float_round_mode_16_64 0
		.amdhsa_float_denorm_mode_32 3
		.amdhsa_float_denorm_mode_16_64 3
		.amdhsa_dx10_clamp 1
		.amdhsa_ieee_mode 1
		.amdhsa_fp16_overflow 0
		.amdhsa_workgroup_processor_mode 1
		.amdhsa_memory_ordered 1
		.amdhsa_forward_progress 0
		.amdhsa_shared_vgpr_count 0
		.amdhsa_exception_fp_ieee_invalid_op 0
		.amdhsa_exception_fp_denorm_src 0
		.amdhsa_exception_fp_ieee_div_zero 0
		.amdhsa_exception_fp_ieee_overflow 0
		.amdhsa_exception_fp_ieee_underflow 0
		.amdhsa_exception_fp_ieee_inexact 0
		.amdhsa_exception_int_div_zero 0
	.end_amdhsa_kernel
	.section	.text._ZN7rocprim17ROCPRIM_400000_NS6detail17trampoline_kernelINS0_14default_configENS1_25partition_config_selectorILNS1_17partition_subalgoE6EfNS0_10empty_typeEbEEZZNS1_14partition_implILS5_6ELb0ES3_mN6thrust23THRUST_200600_302600_NS6detail15normal_iteratorINSA_10device_ptrIfEEEEPS6_SG_NS0_5tupleIJSF_S6_EEENSH_IJSG_SG_EEES6_PlJ7is_evenIfEEEE10hipError_tPvRmT3_T4_T5_T6_T7_T9_mT8_P12ihipStream_tbDpT10_ENKUlT_T0_E_clISt17integral_constantIbLb0EES15_IbLb1EEEEDaS11_S12_EUlS11_E_NS1_11comp_targetILNS1_3genE2ELNS1_11target_archE906ELNS1_3gpuE6ELNS1_3repE0EEENS1_30default_config_static_selectorELNS0_4arch9wavefront6targetE0EEEvT1_,"axG",@progbits,_ZN7rocprim17ROCPRIM_400000_NS6detail17trampoline_kernelINS0_14default_configENS1_25partition_config_selectorILNS1_17partition_subalgoE6EfNS0_10empty_typeEbEEZZNS1_14partition_implILS5_6ELb0ES3_mN6thrust23THRUST_200600_302600_NS6detail15normal_iteratorINSA_10device_ptrIfEEEEPS6_SG_NS0_5tupleIJSF_S6_EEENSH_IJSG_SG_EEES6_PlJ7is_evenIfEEEE10hipError_tPvRmT3_T4_T5_T6_T7_T9_mT8_P12ihipStream_tbDpT10_ENKUlT_T0_E_clISt17integral_constantIbLb0EES15_IbLb1EEEEDaS11_S12_EUlS11_E_NS1_11comp_targetILNS1_3genE2ELNS1_11target_archE906ELNS1_3gpuE6ELNS1_3repE0EEENS1_30default_config_static_selectorELNS0_4arch9wavefront6targetE0EEEvT1_,comdat
.Lfunc_end260:
	.size	_ZN7rocprim17ROCPRIM_400000_NS6detail17trampoline_kernelINS0_14default_configENS1_25partition_config_selectorILNS1_17partition_subalgoE6EfNS0_10empty_typeEbEEZZNS1_14partition_implILS5_6ELb0ES3_mN6thrust23THRUST_200600_302600_NS6detail15normal_iteratorINSA_10device_ptrIfEEEEPS6_SG_NS0_5tupleIJSF_S6_EEENSH_IJSG_SG_EEES6_PlJ7is_evenIfEEEE10hipError_tPvRmT3_T4_T5_T6_T7_T9_mT8_P12ihipStream_tbDpT10_ENKUlT_T0_E_clISt17integral_constantIbLb0EES15_IbLb1EEEEDaS11_S12_EUlS11_E_NS1_11comp_targetILNS1_3genE2ELNS1_11target_archE906ELNS1_3gpuE6ELNS1_3repE0EEENS1_30default_config_static_selectorELNS0_4arch9wavefront6targetE0EEEvT1_, .Lfunc_end260-_ZN7rocprim17ROCPRIM_400000_NS6detail17trampoline_kernelINS0_14default_configENS1_25partition_config_selectorILNS1_17partition_subalgoE6EfNS0_10empty_typeEbEEZZNS1_14partition_implILS5_6ELb0ES3_mN6thrust23THRUST_200600_302600_NS6detail15normal_iteratorINSA_10device_ptrIfEEEEPS6_SG_NS0_5tupleIJSF_S6_EEENSH_IJSG_SG_EEES6_PlJ7is_evenIfEEEE10hipError_tPvRmT3_T4_T5_T6_T7_T9_mT8_P12ihipStream_tbDpT10_ENKUlT_T0_E_clISt17integral_constantIbLb0EES15_IbLb1EEEEDaS11_S12_EUlS11_E_NS1_11comp_targetILNS1_3genE2ELNS1_11target_archE906ELNS1_3gpuE6ELNS1_3repE0EEENS1_30default_config_static_selectorELNS0_4arch9wavefront6targetE0EEEvT1_
                                        ; -- End function
	.section	.AMDGPU.csdata,"",@progbits
; Kernel info:
; codeLenInByte = 0
; NumSgprs: 0
; NumVgprs: 0
; ScratchSize: 0
; MemoryBound: 0
; FloatMode: 240
; IeeeMode: 1
; LDSByteSize: 0 bytes/workgroup (compile time only)
; SGPRBlocks: 0
; VGPRBlocks: 0
; NumSGPRsForWavesPerEU: 1
; NumVGPRsForWavesPerEU: 1
; Occupancy: 16
; WaveLimiterHint : 0
; COMPUTE_PGM_RSRC2:SCRATCH_EN: 0
; COMPUTE_PGM_RSRC2:USER_SGPR: 15
; COMPUTE_PGM_RSRC2:TRAP_HANDLER: 0
; COMPUTE_PGM_RSRC2:TGID_X_EN: 1
; COMPUTE_PGM_RSRC2:TGID_Y_EN: 0
; COMPUTE_PGM_RSRC2:TGID_Z_EN: 0
; COMPUTE_PGM_RSRC2:TIDIG_COMP_CNT: 0
	.section	.text._ZN7rocprim17ROCPRIM_400000_NS6detail17trampoline_kernelINS0_14default_configENS1_25partition_config_selectorILNS1_17partition_subalgoE6EfNS0_10empty_typeEbEEZZNS1_14partition_implILS5_6ELb0ES3_mN6thrust23THRUST_200600_302600_NS6detail15normal_iteratorINSA_10device_ptrIfEEEEPS6_SG_NS0_5tupleIJSF_S6_EEENSH_IJSG_SG_EEES6_PlJ7is_evenIfEEEE10hipError_tPvRmT3_T4_T5_T6_T7_T9_mT8_P12ihipStream_tbDpT10_ENKUlT_T0_E_clISt17integral_constantIbLb0EES15_IbLb1EEEEDaS11_S12_EUlS11_E_NS1_11comp_targetILNS1_3genE10ELNS1_11target_archE1200ELNS1_3gpuE4ELNS1_3repE0EEENS1_30default_config_static_selectorELNS0_4arch9wavefront6targetE0EEEvT1_,"axG",@progbits,_ZN7rocprim17ROCPRIM_400000_NS6detail17trampoline_kernelINS0_14default_configENS1_25partition_config_selectorILNS1_17partition_subalgoE6EfNS0_10empty_typeEbEEZZNS1_14partition_implILS5_6ELb0ES3_mN6thrust23THRUST_200600_302600_NS6detail15normal_iteratorINSA_10device_ptrIfEEEEPS6_SG_NS0_5tupleIJSF_S6_EEENSH_IJSG_SG_EEES6_PlJ7is_evenIfEEEE10hipError_tPvRmT3_T4_T5_T6_T7_T9_mT8_P12ihipStream_tbDpT10_ENKUlT_T0_E_clISt17integral_constantIbLb0EES15_IbLb1EEEEDaS11_S12_EUlS11_E_NS1_11comp_targetILNS1_3genE10ELNS1_11target_archE1200ELNS1_3gpuE4ELNS1_3repE0EEENS1_30default_config_static_selectorELNS0_4arch9wavefront6targetE0EEEvT1_,comdat
	.protected	_ZN7rocprim17ROCPRIM_400000_NS6detail17trampoline_kernelINS0_14default_configENS1_25partition_config_selectorILNS1_17partition_subalgoE6EfNS0_10empty_typeEbEEZZNS1_14partition_implILS5_6ELb0ES3_mN6thrust23THRUST_200600_302600_NS6detail15normal_iteratorINSA_10device_ptrIfEEEEPS6_SG_NS0_5tupleIJSF_S6_EEENSH_IJSG_SG_EEES6_PlJ7is_evenIfEEEE10hipError_tPvRmT3_T4_T5_T6_T7_T9_mT8_P12ihipStream_tbDpT10_ENKUlT_T0_E_clISt17integral_constantIbLb0EES15_IbLb1EEEEDaS11_S12_EUlS11_E_NS1_11comp_targetILNS1_3genE10ELNS1_11target_archE1200ELNS1_3gpuE4ELNS1_3repE0EEENS1_30default_config_static_selectorELNS0_4arch9wavefront6targetE0EEEvT1_ ; -- Begin function _ZN7rocprim17ROCPRIM_400000_NS6detail17trampoline_kernelINS0_14default_configENS1_25partition_config_selectorILNS1_17partition_subalgoE6EfNS0_10empty_typeEbEEZZNS1_14partition_implILS5_6ELb0ES3_mN6thrust23THRUST_200600_302600_NS6detail15normal_iteratorINSA_10device_ptrIfEEEEPS6_SG_NS0_5tupleIJSF_S6_EEENSH_IJSG_SG_EEES6_PlJ7is_evenIfEEEE10hipError_tPvRmT3_T4_T5_T6_T7_T9_mT8_P12ihipStream_tbDpT10_ENKUlT_T0_E_clISt17integral_constantIbLb0EES15_IbLb1EEEEDaS11_S12_EUlS11_E_NS1_11comp_targetILNS1_3genE10ELNS1_11target_archE1200ELNS1_3gpuE4ELNS1_3repE0EEENS1_30default_config_static_selectorELNS0_4arch9wavefront6targetE0EEEvT1_
	.globl	_ZN7rocprim17ROCPRIM_400000_NS6detail17trampoline_kernelINS0_14default_configENS1_25partition_config_selectorILNS1_17partition_subalgoE6EfNS0_10empty_typeEbEEZZNS1_14partition_implILS5_6ELb0ES3_mN6thrust23THRUST_200600_302600_NS6detail15normal_iteratorINSA_10device_ptrIfEEEEPS6_SG_NS0_5tupleIJSF_S6_EEENSH_IJSG_SG_EEES6_PlJ7is_evenIfEEEE10hipError_tPvRmT3_T4_T5_T6_T7_T9_mT8_P12ihipStream_tbDpT10_ENKUlT_T0_E_clISt17integral_constantIbLb0EES15_IbLb1EEEEDaS11_S12_EUlS11_E_NS1_11comp_targetILNS1_3genE10ELNS1_11target_archE1200ELNS1_3gpuE4ELNS1_3repE0EEENS1_30default_config_static_selectorELNS0_4arch9wavefront6targetE0EEEvT1_
	.p2align	8
	.type	_ZN7rocprim17ROCPRIM_400000_NS6detail17trampoline_kernelINS0_14default_configENS1_25partition_config_selectorILNS1_17partition_subalgoE6EfNS0_10empty_typeEbEEZZNS1_14partition_implILS5_6ELb0ES3_mN6thrust23THRUST_200600_302600_NS6detail15normal_iteratorINSA_10device_ptrIfEEEEPS6_SG_NS0_5tupleIJSF_S6_EEENSH_IJSG_SG_EEES6_PlJ7is_evenIfEEEE10hipError_tPvRmT3_T4_T5_T6_T7_T9_mT8_P12ihipStream_tbDpT10_ENKUlT_T0_E_clISt17integral_constantIbLb0EES15_IbLb1EEEEDaS11_S12_EUlS11_E_NS1_11comp_targetILNS1_3genE10ELNS1_11target_archE1200ELNS1_3gpuE4ELNS1_3repE0EEENS1_30default_config_static_selectorELNS0_4arch9wavefront6targetE0EEEvT1_,@function
_ZN7rocprim17ROCPRIM_400000_NS6detail17trampoline_kernelINS0_14default_configENS1_25partition_config_selectorILNS1_17partition_subalgoE6EfNS0_10empty_typeEbEEZZNS1_14partition_implILS5_6ELb0ES3_mN6thrust23THRUST_200600_302600_NS6detail15normal_iteratorINSA_10device_ptrIfEEEEPS6_SG_NS0_5tupleIJSF_S6_EEENSH_IJSG_SG_EEES6_PlJ7is_evenIfEEEE10hipError_tPvRmT3_T4_T5_T6_T7_T9_mT8_P12ihipStream_tbDpT10_ENKUlT_T0_E_clISt17integral_constantIbLb0EES15_IbLb1EEEEDaS11_S12_EUlS11_E_NS1_11comp_targetILNS1_3genE10ELNS1_11target_archE1200ELNS1_3gpuE4ELNS1_3repE0EEENS1_30default_config_static_selectorELNS0_4arch9wavefront6targetE0EEEvT1_: ; @_ZN7rocprim17ROCPRIM_400000_NS6detail17trampoline_kernelINS0_14default_configENS1_25partition_config_selectorILNS1_17partition_subalgoE6EfNS0_10empty_typeEbEEZZNS1_14partition_implILS5_6ELb0ES3_mN6thrust23THRUST_200600_302600_NS6detail15normal_iteratorINSA_10device_ptrIfEEEEPS6_SG_NS0_5tupleIJSF_S6_EEENSH_IJSG_SG_EEES6_PlJ7is_evenIfEEEE10hipError_tPvRmT3_T4_T5_T6_T7_T9_mT8_P12ihipStream_tbDpT10_ENKUlT_T0_E_clISt17integral_constantIbLb0EES15_IbLb1EEEEDaS11_S12_EUlS11_E_NS1_11comp_targetILNS1_3genE10ELNS1_11target_archE1200ELNS1_3gpuE4ELNS1_3repE0EEENS1_30default_config_static_selectorELNS0_4arch9wavefront6targetE0EEEvT1_
; %bb.0:
	.section	.rodata,"a",@progbits
	.p2align	6, 0x0
	.amdhsa_kernel _ZN7rocprim17ROCPRIM_400000_NS6detail17trampoline_kernelINS0_14default_configENS1_25partition_config_selectorILNS1_17partition_subalgoE6EfNS0_10empty_typeEbEEZZNS1_14partition_implILS5_6ELb0ES3_mN6thrust23THRUST_200600_302600_NS6detail15normal_iteratorINSA_10device_ptrIfEEEEPS6_SG_NS0_5tupleIJSF_S6_EEENSH_IJSG_SG_EEES6_PlJ7is_evenIfEEEE10hipError_tPvRmT3_T4_T5_T6_T7_T9_mT8_P12ihipStream_tbDpT10_ENKUlT_T0_E_clISt17integral_constantIbLb0EES15_IbLb1EEEEDaS11_S12_EUlS11_E_NS1_11comp_targetILNS1_3genE10ELNS1_11target_archE1200ELNS1_3gpuE4ELNS1_3repE0EEENS1_30default_config_static_selectorELNS0_4arch9wavefront6targetE0EEEvT1_
		.amdhsa_group_segment_fixed_size 0
		.amdhsa_private_segment_fixed_size 0
		.amdhsa_kernarg_size 128
		.amdhsa_user_sgpr_count 15
		.amdhsa_user_sgpr_dispatch_ptr 0
		.amdhsa_user_sgpr_queue_ptr 0
		.amdhsa_user_sgpr_kernarg_segment_ptr 1
		.amdhsa_user_sgpr_dispatch_id 0
		.amdhsa_user_sgpr_private_segment_size 0
		.amdhsa_wavefront_size32 1
		.amdhsa_uses_dynamic_stack 0
		.amdhsa_enable_private_segment 0
		.amdhsa_system_sgpr_workgroup_id_x 1
		.amdhsa_system_sgpr_workgroup_id_y 0
		.amdhsa_system_sgpr_workgroup_id_z 0
		.amdhsa_system_sgpr_workgroup_info 0
		.amdhsa_system_vgpr_workitem_id 0
		.amdhsa_next_free_vgpr 1
		.amdhsa_next_free_sgpr 1
		.amdhsa_reserve_vcc 0
		.amdhsa_float_round_mode_32 0
		.amdhsa_float_round_mode_16_64 0
		.amdhsa_float_denorm_mode_32 3
		.amdhsa_float_denorm_mode_16_64 3
		.amdhsa_dx10_clamp 1
		.amdhsa_ieee_mode 1
		.amdhsa_fp16_overflow 0
		.amdhsa_workgroup_processor_mode 1
		.amdhsa_memory_ordered 1
		.amdhsa_forward_progress 0
		.amdhsa_shared_vgpr_count 0
		.amdhsa_exception_fp_ieee_invalid_op 0
		.amdhsa_exception_fp_denorm_src 0
		.amdhsa_exception_fp_ieee_div_zero 0
		.amdhsa_exception_fp_ieee_overflow 0
		.amdhsa_exception_fp_ieee_underflow 0
		.amdhsa_exception_fp_ieee_inexact 0
		.amdhsa_exception_int_div_zero 0
	.end_amdhsa_kernel
	.section	.text._ZN7rocprim17ROCPRIM_400000_NS6detail17trampoline_kernelINS0_14default_configENS1_25partition_config_selectorILNS1_17partition_subalgoE6EfNS0_10empty_typeEbEEZZNS1_14partition_implILS5_6ELb0ES3_mN6thrust23THRUST_200600_302600_NS6detail15normal_iteratorINSA_10device_ptrIfEEEEPS6_SG_NS0_5tupleIJSF_S6_EEENSH_IJSG_SG_EEES6_PlJ7is_evenIfEEEE10hipError_tPvRmT3_T4_T5_T6_T7_T9_mT8_P12ihipStream_tbDpT10_ENKUlT_T0_E_clISt17integral_constantIbLb0EES15_IbLb1EEEEDaS11_S12_EUlS11_E_NS1_11comp_targetILNS1_3genE10ELNS1_11target_archE1200ELNS1_3gpuE4ELNS1_3repE0EEENS1_30default_config_static_selectorELNS0_4arch9wavefront6targetE0EEEvT1_,"axG",@progbits,_ZN7rocprim17ROCPRIM_400000_NS6detail17trampoline_kernelINS0_14default_configENS1_25partition_config_selectorILNS1_17partition_subalgoE6EfNS0_10empty_typeEbEEZZNS1_14partition_implILS5_6ELb0ES3_mN6thrust23THRUST_200600_302600_NS6detail15normal_iteratorINSA_10device_ptrIfEEEEPS6_SG_NS0_5tupleIJSF_S6_EEENSH_IJSG_SG_EEES6_PlJ7is_evenIfEEEE10hipError_tPvRmT3_T4_T5_T6_T7_T9_mT8_P12ihipStream_tbDpT10_ENKUlT_T0_E_clISt17integral_constantIbLb0EES15_IbLb1EEEEDaS11_S12_EUlS11_E_NS1_11comp_targetILNS1_3genE10ELNS1_11target_archE1200ELNS1_3gpuE4ELNS1_3repE0EEENS1_30default_config_static_selectorELNS0_4arch9wavefront6targetE0EEEvT1_,comdat
.Lfunc_end261:
	.size	_ZN7rocprim17ROCPRIM_400000_NS6detail17trampoline_kernelINS0_14default_configENS1_25partition_config_selectorILNS1_17partition_subalgoE6EfNS0_10empty_typeEbEEZZNS1_14partition_implILS5_6ELb0ES3_mN6thrust23THRUST_200600_302600_NS6detail15normal_iteratorINSA_10device_ptrIfEEEEPS6_SG_NS0_5tupleIJSF_S6_EEENSH_IJSG_SG_EEES6_PlJ7is_evenIfEEEE10hipError_tPvRmT3_T4_T5_T6_T7_T9_mT8_P12ihipStream_tbDpT10_ENKUlT_T0_E_clISt17integral_constantIbLb0EES15_IbLb1EEEEDaS11_S12_EUlS11_E_NS1_11comp_targetILNS1_3genE10ELNS1_11target_archE1200ELNS1_3gpuE4ELNS1_3repE0EEENS1_30default_config_static_selectorELNS0_4arch9wavefront6targetE0EEEvT1_, .Lfunc_end261-_ZN7rocprim17ROCPRIM_400000_NS6detail17trampoline_kernelINS0_14default_configENS1_25partition_config_selectorILNS1_17partition_subalgoE6EfNS0_10empty_typeEbEEZZNS1_14partition_implILS5_6ELb0ES3_mN6thrust23THRUST_200600_302600_NS6detail15normal_iteratorINSA_10device_ptrIfEEEEPS6_SG_NS0_5tupleIJSF_S6_EEENSH_IJSG_SG_EEES6_PlJ7is_evenIfEEEE10hipError_tPvRmT3_T4_T5_T6_T7_T9_mT8_P12ihipStream_tbDpT10_ENKUlT_T0_E_clISt17integral_constantIbLb0EES15_IbLb1EEEEDaS11_S12_EUlS11_E_NS1_11comp_targetILNS1_3genE10ELNS1_11target_archE1200ELNS1_3gpuE4ELNS1_3repE0EEENS1_30default_config_static_selectorELNS0_4arch9wavefront6targetE0EEEvT1_
                                        ; -- End function
	.section	.AMDGPU.csdata,"",@progbits
; Kernel info:
; codeLenInByte = 0
; NumSgprs: 0
; NumVgprs: 0
; ScratchSize: 0
; MemoryBound: 0
; FloatMode: 240
; IeeeMode: 1
; LDSByteSize: 0 bytes/workgroup (compile time only)
; SGPRBlocks: 0
; VGPRBlocks: 0
; NumSGPRsForWavesPerEU: 1
; NumVGPRsForWavesPerEU: 1
; Occupancy: 15
; WaveLimiterHint : 0
; COMPUTE_PGM_RSRC2:SCRATCH_EN: 0
; COMPUTE_PGM_RSRC2:USER_SGPR: 15
; COMPUTE_PGM_RSRC2:TRAP_HANDLER: 0
; COMPUTE_PGM_RSRC2:TGID_X_EN: 1
; COMPUTE_PGM_RSRC2:TGID_Y_EN: 0
; COMPUTE_PGM_RSRC2:TGID_Z_EN: 0
; COMPUTE_PGM_RSRC2:TIDIG_COMP_CNT: 0
	.section	.text._ZN7rocprim17ROCPRIM_400000_NS6detail17trampoline_kernelINS0_14default_configENS1_25partition_config_selectorILNS1_17partition_subalgoE6EfNS0_10empty_typeEbEEZZNS1_14partition_implILS5_6ELb0ES3_mN6thrust23THRUST_200600_302600_NS6detail15normal_iteratorINSA_10device_ptrIfEEEEPS6_SG_NS0_5tupleIJSF_S6_EEENSH_IJSG_SG_EEES6_PlJ7is_evenIfEEEE10hipError_tPvRmT3_T4_T5_T6_T7_T9_mT8_P12ihipStream_tbDpT10_ENKUlT_T0_E_clISt17integral_constantIbLb0EES15_IbLb1EEEEDaS11_S12_EUlS11_E_NS1_11comp_targetILNS1_3genE9ELNS1_11target_archE1100ELNS1_3gpuE3ELNS1_3repE0EEENS1_30default_config_static_selectorELNS0_4arch9wavefront6targetE0EEEvT1_,"axG",@progbits,_ZN7rocprim17ROCPRIM_400000_NS6detail17trampoline_kernelINS0_14default_configENS1_25partition_config_selectorILNS1_17partition_subalgoE6EfNS0_10empty_typeEbEEZZNS1_14partition_implILS5_6ELb0ES3_mN6thrust23THRUST_200600_302600_NS6detail15normal_iteratorINSA_10device_ptrIfEEEEPS6_SG_NS0_5tupleIJSF_S6_EEENSH_IJSG_SG_EEES6_PlJ7is_evenIfEEEE10hipError_tPvRmT3_T4_T5_T6_T7_T9_mT8_P12ihipStream_tbDpT10_ENKUlT_T0_E_clISt17integral_constantIbLb0EES15_IbLb1EEEEDaS11_S12_EUlS11_E_NS1_11comp_targetILNS1_3genE9ELNS1_11target_archE1100ELNS1_3gpuE3ELNS1_3repE0EEENS1_30default_config_static_selectorELNS0_4arch9wavefront6targetE0EEEvT1_,comdat
	.protected	_ZN7rocprim17ROCPRIM_400000_NS6detail17trampoline_kernelINS0_14default_configENS1_25partition_config_selectorILNS1_17partition_subalgoE6EfNS0_10empty_typeEbEEZZNS1_14partition_implILS5_6ELb0ES3_mN6thrust23THRUST_200600_302600_NS6detail15normal_iteratorINSA_10device_ptrIfEEEEPS6_SG_NS0_5tupleIJSF_S6_EEENSH_IJSG_SG_EEES6_PlJ7is_evenIfEEEE10hipError_tPvRmT3_T4_T5_T6_T7_T9_mT8_P12ihipStream_tbDpT10_ENKUlT_T0_E_clISt17integral_constantIbLb0EES15_IbLb1EEEEDaS11_S12_EUlS11_E_NS1_11comp_targetILNS1_3genE9ELNS1_11target_archE1100ELNS1_3gpuE3ELNS1_3repE0EEENS1_30default_config_static_selectorELNS0_4arch9wavefront6targetE0EEEvT1_ ; -- Begin function _ZN7rocprim17ROCPRIM_400000_NS6detail17trampoline_kernelINS0_14default_configENS1_25partition_config_selectorILNS1_17partition_subalgoE6EfNS0_10empty_typeEbEEZZNS1_14partition_implILS5_6ELb0ES3_mN6thrust23THRUST_200600_302600_NS6detail15normal_iteratorINSA_10device_ptrIfEEEEPS6_SG_NS0_5tupleIJSF_S6_EEENSH_IJSG_SG_EEES6_PlJ7is_evenIfEEEE10hipError_tPvRmT3_T4_T5_T6_T7_T9_mT8_P12ihipStream_tbDpT10_ENKUlT_T0_E_clISt17integral_constantIbLb0EES15_IbLb1EEEEDaS11_S12_EUlS11_E_NS1_11comp_targetILNS1_3genE9ELNS1_11target_archE1100ELNS1_3gpuE3ELNS1_3repE0EEENS1_30default_config_static_selectorELNS0_4arch9wavefront6targetE0EEEvT1_
	.globl	_ZN7rocprim17ROCPRIM_400000_NS6detail17trampoline_kernelINS0_14default_configENS1_25partition_config_selectorILNS1_17partition_subalgoE6EfNS0_10empty_typeEbEEZZNS1_14partition_implILS5_6ELb0ES3_mN6thrust23THRUST_200600_302600_NS6detail15normal_iteratorINSA_10device_ptrIfEEEEPS6_SG_NS0_5tupleIJSF_S6_EEENSH_IJSG_SG_EEES6_PlJ7is_evenIfEEEE10hipError_tPvRmT3_T4_T5_T6_T7_T9_mT8_P12ihipStream_tbDpT10_ENKUlT_T0_E_clISt17integral_constantIbLb0EES15_IbLb1EEEEDaS11_S12_EUlS11_E_NS1_11comp_targetILNS1_3genE9ELNS1_11target_archE1100ELNS1_3gpuE3ELNS1_3repE0EEENS1_30default_config_static_selectorELNS0_4arch9wavefront6targetE0EEEvT1_
	.p2align	8
	.type	_ZN7rocprim17ROCPRIM_400000_NS6detail17trampoline_kernelINS0_14default_configENS1_25partition_config_selectorILNS1_17partition_subalgoE6EfNS0_10empty_typeEbEEZZNS1_14partition_implILS5_6ELb0ES3_mN6thrust23THRUST_200600_302600_NS6detail15normal_iteratorINSA_10device_ptrIfEEEEPS6_SG_NS0_5tupleIJSF_S6_EEENSH_IJSG_SG_EEES6_PlJ7is_evenIfEEEE10hipError_tPvRmT3_T4_T5_T6_T7_T9_mT8_P12ihipStream_tbDpT10_ENKUlT_T0_E_clISt17integral_constantIbLb0EES15_IbLb1EEEEDaS11_S12_EUlS11_E_NS1_11comp_targetILNS1_3genE9ELNS1_11target_archE1100ELNS1_3gpuE3ELNS1_3repE0EEENS1_30default_config_static_selectorELNS0_4arch9wavefront6targetE0EEEvT1_,@function
_ZN7rocprim17ROCPRIM_400000_NS6detail17trampoline_kernelINS0_14default_configENS1_25partition_config_selectorILNS1_17partition_subalgoE6EfNS0_10empty_typeEbEEZZNS1_14partition_implILS5_6ELb0ES3_mN6thrust23THRUST_200600_302600_NS6detail15normal_iteratorINSA_10device_ptrIfEEEEPS6_SG_NS0_5tupleIJSF_S6_EEENSH_IJSG_SG_EEES6_PlJ7is_evenIfEEEE10hipError_tPvRmT3_T4_T5_T6_T7_T9_mT8_P12ihipStream_tbDpT10_ENKUlT_T0_E_clISt17integral_constantIbLb0EES15_IbLb1EEEEDaS11_S12_EUlS11_E_NS1_11comp_targetILNS1_3genE9ELNS1_11target_archE1100ELNS1_3gpuE3ELNS1_3repE0EEENS1_30default_config_static_selectorELNS0_4arch9wavefront6targetE0EEEvT1_: ; @_ZN7rocprim17ROCPRIM_400000_NS6detail17trampoline_kernelINS0_14default_configENS1_25partition_config_selectorILNS1_17partition_subalgoE6EfNS0_10empty_typeEbEEZZNS1_14partition_implILS5_6ELb0ES3_mN6thrust23THRUST_200600_302600_NS6detail15normal_iteratorINSA_10device_ptrIfEEEEPS6_SG_NS0_5tupleIJSF_S6_EEENSH_IJSG_SG_EEES6_PlJ7is_evenIfEEEE10hipError_tPvRmT3_T4_T5_T6_T7_T9_mT8_P12ihipStream_tbDpT10_ENKUlT_T0_E_clISt17integral_constantIbLb0EES15_IbLb1EEEEDaS11_S12_EUlS11_E_NS1_11comp_targetILNS1_3genE9ELNS1_11target_archE1100ELNS1_3gpuE3ELNS1_3repE0EEENS1_30default_config_static_selectorELNS0_4arch9wavefront6targetE0EEEvT1_
; %bb.0:
	s_clause 0x3
	s_load_b64 s[12:13], s[0:1], 0x28
	s_load_b128 s[4:7], s[0:1], 0x40
	s_load_b64 s[16:17], s[0:1], 0x50
	s_load_b64 s[14:15], s[0:1], 0x60
	v_cmp_eq_u32_e64 s2, 0, v0
	s_delay_alu instid0(VALU_DEP_1)
	s_and_saveexec_b32 s3, s2
	s_cbranch_execz .LBB262_4
; %bb.1:
	s_mov_b32 s9, exec_lo
	s_mov_b32 s8, exec_lo
	v_mbcnt_lo_u32_b32 v1, s9, 0
                                        ; implicit-def: $vgpr2
	s_delay_alu instid0(VALU_DEP_1)
	v_cmpx_eq_u32_e32 0, v1
	s_cbranch_execz .LBB262_3
; %bb.2:
	s_load_b64 s[10:11], s[0:1], 0x70
	s_bcnt1_i32_b32 s9, s9
	s_delay_alu instid0(SALU_CYCLE_1)
	v_dual_mov_b32 v2, 0 :: v_dual_mov_b32 v3, s9
	s_waitcnt lgkmcnt(0)
	global_atomic_add_u32 v2, v2, v3, s[10:11] glc
.LBB262_3:
	s_or_b32 exec_lo, exec_lo, s8
	s_waitcnt vmcnt(0)
	v_readfirstlane_b32 s8, v2
	s_delay_alu instid0(VALU_DEP_1)
	v_dual_mov_b32 v2, 0 :: v_dual_add_nc_u32 v1, s8, v1
	ds_store_b32 v2, v1
.LBB262_4:
	s_or_b32 exec_lo, exec_lo, s3
	v_dual_mov_b32 v2, 0 :: v_dual_lshlrev_b32 v17, 2, v0
	s_clause 0x1
	s_load_b128 s[8:11], s[0:1], 0x8
	s_load_b32 s0, s[0:1], 0x68
	s_waitcnt lgkmcnt(0)
	s_barrier
	buffer_gl0_inv
	ds_load_b32 v1, v2
	s_waitcnt lgkmcnt(0)
	s_barrier
	buffer_gl0_inv
	global_load_b64 v[49:50], v2, s[6:7]
	s_lshl_b64 s[6:7], s[10:11], 2
	s_mul_i32 s3, s0, 0x700
	s_add_u32 s1, s8, s6
	s_addc_u32 s18, s9, s7
	s_add_i32 s6, s3, s10
	v_readfirstlane_b32 s7, v1
	v_mul_lo_u32 v1, 0x700, v1
	s_add_i32 s19, s0, -1
	s_sub_i32 s0, s16, s6
	s_add_u32 s8, s10, s3
	s_addc_u32 s9, s11, 0
	s_cmp_eq_u32 s7, s19
	v_cmp_ge_u64_e64 s6, s[8:9], s[16:17]
	s_cselect_b32 s3, -1, 0
	v_lshlrev_b64 v[1:2], 2, v[1:2]
	s_delay_alu instid0(VALU_DEP_2) | instskip(NEXT) | instid1(VALU_DEP_1)
	s_and_b32 s6, s6, s3
	v_add_co_u32 v18, vcc_lo, s1, v1
	s_delay_alu instid0(VALU_DEP_2)
	v_add_co_ci_u32_e32 v19, vcc_lo, s18, v2, vcc_lo
	s_xor_b32 s6, s6, -1
	s_mov_b32 s1, -1
	s_and_b32 vcc_lo, exec_lo, s6
	s_cbranch_vccz .LBB262_6
; %bb.5:
	v_add_co_u32 v1, vcc_lo, v18, v17
	v_add_co_ci_u32_e32 v2, vcc_lo, 0, v19, vcc_lo
	s_mov_b32 s1, 0
	s_delay_alu instid0(VALU_DEP_2) | instskip(NEXT) | instid1(VALU_DEP_2)
	v_add_co_u32 v3, vcc_lo, 0x1000, v1
	v_add_co_ci_u32_e32 v4, vcc_lo, 0, v2, vcc_lo
	s_clause 0xd
	flat_load_b32 v5, v[1:2]
	flat_load_b32 v6, v[1:2] offset:512
	flat_load_b32 v7, v[1:2] offset:1024
	;; [unrolled: 1-line block ×7, first 2 shown]
	flat_load_b32 v2, v[3:4]
	flat_load_b32 v12, v[3:4] offset:512
	flat_load_b32 v13, v[3:4] offset:1024
	;; [unrolled: 1-line block ×5, first 2 shown]
	s_waitcnt vmcnt(12) lgkmcnt(12)
	ds_store_2addr_stride64_b32 v17, v5, v6 offset1:2
	s_waitcnt vmcnt(10) lgkmcnt(11)
	ds_store_2addr_stride64_b32 v17, v7, v8 offset0:4 offset1:6
	s_waitcnt vmcnt(8) lgkmcnt(10)
	ds_store_2addr_stride64_b32 v17, v9, v10 offset0:8 offset1:10
	;; [unrolled: 2-line block ×6, first 2 shown]
	s_waitcnt lgkmcnt(0)
	s_barrier
.LBB262_6:
	s_and_not1_b32 vcc_lo, exec_lo, s1
	s_addk_i32 s0, 0x700
	s_cbranch_vccnz .LBB262_36
; %bb.7:
	s_mov_b32 s1, exec_lo
                                        ; implicit-def: $vgpr1_vgpr2_vgpr3_vgpr4_vgpr5_vgpr6_vgpr7_vgpr8_vgpr9_vgpr10_vgpr11_vgpr12_vgpr13_vgpr14_vgpr15_vgpr16
	v_cmpx_gt_u32_e64 s0, v0
	s_cbranch_execz .LBB262_9
; %bb.8:
	v_add_co_u32 v1, vcc_lo, v18, v17
	v_add_co_ci_u32_e32 v2, vcc_lo, 0, v19, vcc_lo
	flat_load_b32 v1, v[1:2]
.LBB262_9:
	s_or_b32 exec_lo, exec_lo, s1
	v_or_b32_e32 v15, 0x80, v0
	s_mov_b32 s1, exec_lo
	s_delay_alu instid0(VALU_DEP_1)
	v_cmpx_gt_u32_e64 s0, v15
	s_cbranch_execz .LBB262_11
; %bb.10:
	v_add_co_u32 v15, vcc_lo, v18, v17
	v_add_co_ci_u32_e32 v16, vcc_lo, 0, v19, vcc_lo
	flat_load_b32 v2, v[15:16] offset:512
.LBB262_11:
	s_or_b32 exec_lo, exec_lo, s1
	v_or_b32_e32 v15, 0x100, v0
	s_mov_b32 s1, exec_lo
	s_delay_alu instid0(VALU_DEP_1)
	v_cmpx_gt_u32_e64 s0, v15
	s_cbranch_execz .LBB262_13
; %bb.12:
	v_add_co_u32 v15, vcc_lo, v18, v17
	v_add_co_ci_u32_e32 v16, vcc_lo, 0, v19, vcc_lo
	flat_load_b32 v3, v[15:16] offset:1024
.LBB262_13:
	;; [unrolled: 11-line block ×7, first 2 shown]
	s_or_b32 exec_lo, exec_lo, s1
	v_or_b32_e32 v15, 0x400, v0
	s_mov_b32 s1, exec_lo
	s_delay_alu instid0(VALU_DEP_1)
	v_cmpx_gt_u32_e64 s0, v15
	s_cbranch_execz .LBB262_25
; %bb.24:
	v_lshlrev_b32_e32 v9, 2, v15
	s_delay_alu instid0(VALU_DEP_1)
	v_add_co_u32 v15, vcc_lo, v18, v9
	v_add_co_ci_u32_e32 v16, vcc_lo, 0, v19, vcc_lo
	flat_load_b32 v9, v[15:16]
.LBB262_25:
	s_or_b32 exec_lo, exec_lo, s1
	v_or_b32_e32 v15, 0x480, v0
	s_mov_b32 s1, exec_lo
	s_delay_alu instid0(VALU_DEP_1)
	v_cmpx_gt_u32_e64 s0, v15
	s_cbranch_execz .LBB262_27
; %bb.26:
	v_lshlrev_b32_e32 v10, 2, v15
	s_delay_alu instid0(VALU_DEP_1)
	v_add_co_u32 v15, vcc_lo, v18, v10
	v_add_co_ci_u32_e32 v16, vcc_lo, 0, v19, vcc_lo
	flat_load_b32 v10, v[15:16]
.LBB262_27:
	;; [unrolled: 13-line block ×6, first 2 shown]
	s_or_b32 exec_lo, exec_lo, s1
	s_waitcnt vmcnt(0) lgkmcnt(0)
	ds_store_2addr_stride64_b32 v17, v1, v2 offset1:2
	ds_store_2addr_stride64_b32 v17, v3, v4 offset0:4 offset1:6
	ds_store_2addr_stride64_b32 v17, v5, v6 offset0:8 offset1:10
	ds_store_2addr_stride64_b32 v17, v7, v8 offset0:12 offset1:14
	ds_store_2addr_stride64_b32 v17, v9, v10 offset0:16 offset1:18
	ds_store_2addr_stride64_b32 v17, v11, v12 offset0:20 offset1:22
	ds_store_2addr_stride64_b32 v17, v13, v14 offset0:24 offset1:26
	s_waitcnt lgkmcnt(0)
	s_barrier
.LBB262_36:
	v_mul_u32_u24_e32 v7, 14, v0
	s_waitcnt vmcnt(0)
	buffer_gl0_inv
	s_and_not1_b32 vcc_lo, exec_lo, s6
	v_lshlrev_b32_e32 v63, 2, v7
	ds_load_2addr_b64 v[41:44], v63 offset1:1
	ds_load_2addr_b64 v[37:40], v63 offset0:2 offset1:3
	ds_load_2addr_b64 v[33:36], v63 offset0:4 offset1:5
	ds_load_b64 v[51:52], v63 offset:48
	s_waitcnt lgkmcnt(0)
	s_barrier
	buffer_gl0_inv
	v_cvt_u32_f32_e32 v1, v41
	v_cvt_u32_f32_e32 v2, v42
	;; [unrolled: 1-line block ×14, first 2 shown]
	v_xor_b32_e32 v13, -1, v1
	v_xor_b32_e32 v14, -1, v2
	;; [unrolled: 1-line block ×14, first 2 shown]
	s_cbranch_vccnz .LBB262_38
; %bb.37:
	v_and_b32_e32 v16, 1, v14
	v_and_b32_e32 v17, 1, v13
	;; [unrolled: 1-line block ×5, first 2 shown]
	v_lshlrev_b16 v16, 8, v16
	v_and_b32_e32 v26, 1, v6
	v_and_b32_e32 v18, 1, v15
	;; [unrolled: 1-line block ×4, first 2 shown]
	v_or_b32_e32 v16, v17, v16
	v_and_b32_e32 v17, 1, v4
	v_and_b32_e32 v24, 1, v3
	;; [unrolled: 1-line block ×3, first 2 shown]
	v_lshlrev_b16 v19, 8, v19
	v_lshlrev_b16 v21, 8, v21
	;; [unrolled: 1-line block ×5, first 2 shown]
	v_or_b32_e32 v18, v18, v19
	v_or_b32_e32 v19, v20, v21
	;; [unrolled: 1-line block ×5, first 2 shown]
	v_and_b32_e32 v16, 0xffff, v16
	v_lshlrev_b32_e32 v18, 16, v18
	v_and_b32_e32 v19, 0xffff, v19
	v_lshlrev_b32_e32 v20, 16, v20
	;; [unrolled: 2-line block ×3, first 2 shown]
	v_and_b32_e32 v56, 1, v1
	v_and_b32_e32 v55, 1, v2
	v_or_b32_e32 v61, v16, v18
	v_or_b32_e32 v58, v19, v20
	;; [unrolled: 1-line block ×3, first 2 shown]
	s_cbranch_execz .LBB262_39
	s_branch .LBB262_40
.LBB262_38:
                                        ; implicit-def: $vgpr55
                                        ; implicit-def: $vgpr56
                                        ; implicit-def: $vgpr57
                                        ; implicit-def: $vgpr58
                                        ; implicit-def: $vgpr61
.LBB262_39:
	v_or_b32_e32 v16, 1, v7
	v_cmp_gt_u32_e32 vcc_lo, s0, v7
	v_add_nc_u32_e32 v17, 2, v7
	v_add_nc_u32_e32 v18, 3, v7
	;; [unrolled: 1-line block ×4, first 2 shown]
	v_cndmask_b32_e64 v27, 0, 1, vcc_lo
	v_cmp_gt_u32_e32 vcc_lo, s0, v16
	v_add_nc_u32_e32 v21, 6, v7
	v_add_nc_u32_e32 v22, 7, v7
	;; [unrolled: 1-line block ×4, first 2 shown]
	v_cndmask_b32_e64 v16, 0, 1, vcc_lo
	v_cmp_gt_u32_e32 vcc_lo, s0, v17
	v_add_nc_u32_e32 v25, 10, v7
	v_add_nc_u32_e32 v26, 11, v7
	;; [unrolled: 1-line block ×3, first 2 shown]
	v_and_b32_e32 v14, v16, v14
	v_cndmask_b32_e64 v17, 0, 1, vcc_lo
	v_cmp_gt_u32_e32 vcc_lo, s0, v18
	v_add_nc_u32_e32 v7, 13, v7
	v_and_b32_e32 v13, v27, v13
	v_lshlrev_b16 v14, 8, v14
	v_and_b32_e32 v15, v17, v15
	v_cndmask_b32_e64 v16, 0, 1, vcc_lo
	v_cmp_gt_u32_e32 vcc_lo, s0, v19
	s_delay_alu instid0(VALU_DEP_4) | instskip(NEXT) | instid1(VALU_DEP_3)
	v_or_b32_e32 v13, v13, v14
	v_and_b32_e32 v8, v16, v8
	v_cndmask_b32_e64 v17, 0, 1, vcc_lo
	v_cmp_gt_u32_e32 vcc_lo, s0, v20
	s_delay_alu instid0(VALU_DEP_4) | instskip(NEXT) | instid1(VALU_DEP_4)
	v_and_b32_e32 v13, 0xffff, v13
	v_lshlrev_b16 v8, 8, v8
	s_delay_alu instid0(VALU_DEP_4) | instskip(SKIP_2) | instid1(VALU_DEP_4)
	v_and_b32_e32 v9, v17, v9
	v_cndmask_b32_e64 v18, 0, 1, vcc_lo
	v_cmp_gt_u32_e32 vcc_lo, s0, v21
	v_or_b32_e32 v8, v15, v8
	s_delay_alu instid0(VALU_DEP_3) | instskip(SKIP_2) | instid1(VALU_DEP_3)
	v_and_b32_e32 v10, v18, v10
	v_cndmask_b32_e64 v19, 0, 1, vcc_lo
	v_cmp_gt_u32_e32 vcc_lo, s0, v22
	v_lshlrev_b16 v10, 8, v10
	s_delay_alu instid0(VALU_DEP_3) | instskip(SKIP_2) | instid1(VALU_DEP_4)
	v_and_b32_e32 v11, v19, v11
	v_cndmask_b32_e64 v20, 0, 1, vcc_lo
	v_cmp_gt_u32_e32 vcc_lo, s0, v23
	v_or_b32_e32 v9, v9, v10
	s_delay_alu instid0(VALU_DEP_3) | instskip(SKIP_2) | instid1(VALU_DEP_3)
	v_and_b32_e32 v12, v20, v12
	v_cndmask_b32_e64 v16, 0, 1, vcc_lo
	v_cmp_gt_u32_e32 vcc_lo, s0, v24
	v_lshlrev_b16 v12, 8, v12
	s_delay_alu instid0(VALU_DEP_3) | instskip(SKIP_2) | instid1(VALU_DEP_4)
	;; [unrolled: 10-line block ×3, first 2 shown]
	v_and_b32_e32 v5, v18, v5
	v_cndmask_b32_e64 v19, 0, 1, vcc_lo
	v_cmp_gt_u32_e32 vcc_lo, s0, v28
	v_or_b32_e32 v3, v3, v4
	s_delay_alu instid0(VALU_DEP_3) | instskip(SKIP_2) | instid1(VALU_DEP_4)
	v_and_b32_e32 v6, v19, v6
	v_cndmask_b32_e64 v14, 0, 1, vcc_lo
	v_cmp_gt_u32_e32 vcc_lo, s0, v7
	v_and_b32_e32 v3, 0xffff, v3
	s_delay_alu instid0(VALU_DEP_4) | instskip(NEXT) | instid1(VALU_DEP_4)
	v_lshlrev_b16 v6, 8, v6
	v_and_b32_e32 v56, v14, v1
	v_cndmask_b32_e64 v7, 0, 1, vcc_lo
	s_delay_alu instid0(VALU_DEP_3)
	v_or_b32_e32 v4, v5, v6
	v_lshlrev_b32_e32 v5, 16, v8
	v_and_b32_e32 v6, 0xffff, v9
	v_lshlrev_b32_e32 v8, 16, v10
	v_and_b32_e32 v55, v7, v2
	v_lshlrev_b32_e32 v4, 16, v4
	v_or_b32_e32 v61, v13, v5
	s_delay_alu instid0(VALU_DEP_4) | instskip(NEXT) | instid1(VALU_DEP_3)
	v_or_b32_e32 v58, v6, v8
	v_or_b32_e32 v57, v3, v4
.LBB262_40:
	s_delay_alu instid0(VALU_DEP_3)
	v_dual_mov_b32 v2, 0 :: v_dual_and_b32 v65, 0xff, v61
	v_bfe_u32 v66, v61, 8, 8
	v_bfe_u32 v67, v61, 16, 8
	v_lshrrev_b32_e32 v62, 24, v61
	v_and_b32_e32 v68, 0xff, v58
	v_bfe_u32 v69, v58, 8, 8
	v_add_co_u32 v1, s0, v66, v65
	s_delay_alu instid0(VALU_DEP_1) | instskip(SKIP_1) | instid1(VALU_DEP_3)
	v_add_co_ci_u32_e64 v3, null, 0, 0, s0
	v_bfe_u32 v70, v58, 16, 8
	v_add_co_u32 v1, vcc_lo, v1, v67
	s_delay_alu instid0(VALU_DEP_3) | instskip(SKIP_1) | instid1(VALU_DEP_3)
	v_add_co_ci_u32_e32 v3, vcc_lo, 0, v3, vcc_lo
	v_lshrrev_b32_e32 v60, 24, v58
	v_add_co_u32 v1, vcc_lo, v1, v62
	s_delay_alu instid0(VALU_DEP_3) | instskip(SKIP_1) | instid1(VALU_DEP_3)
	v_add_co_ci_u32_e32 v3, vcc_lo, 0, v3, vcc_lo
	v_and_b32_e32 v71, 0xff, v57
	v_add_co_u32 v1, vcc_lo, v1, v68
	s_delay_alu instid0(VALU_DEP_3) | instskip(SKIP_1) | instid1(VALU_DEP_3)
	v_add_co_ci_u32_e32 v3, vcc_lo, 0, v3, vcc_lo
	v_bfe_u32 v72, v57, 8, 8
	v_add_co_u32 v1, vcc_lo, v1, v69
	s_delay_alu instid0(VALU_DEP_3) | instskip(SKIP_1) | instid1(VALU_DEP_3)
	v_add_co_ci_u32_e32 v3, vcc_lo, 0, v3, vcc_lo
	v_bfe_u32 v73, v57, 16, 8
	v_add_co_u32 v1, vcc_lo, v1, v70
	s_delay_alu instid0(VALU_DEP_3) | instskip(SKIP_1) | instid1(VALU_DEP_3)
	v_add_co_ci_u32_e32 v3, vcc_lo, 0, v3, vcc_lo
	v_lshrrev_b32_e32 v59, 24, v57
	v_add_co_u32 v1, vcc_lo, v1, v60
	s_delay_alu instid0(VALU_DEP_3) | instskip(SKIP_1) | instid1(VALU_DEP_3)
	v_add_co_ci_u32_e32 v3, vcc_lo, 0, v3, vcc_lo
	v_and_b32_e32 v64, 0xff, v56
	v_add_co_u32 v1, vcc_lo, v1, v71
	s_delay_alu instid0(VALU_DEP_3) | instskip(SKIP_1) | instid1(VALU_DEP_3)
	v_add_co_ci_u32_e32 v3, vcc_lo, 0, v3, vcc_lo
	v_mbcnt_lo_u32_b32 v74, -1, 0
	v_add_co_u32 v1, vcc_lo, v1, v72
	s_delay_alu instid0(VALU_DEP_3) | instskip(SKIP_1) | instid1(VALU_DEP_3)
	v_add_co_ci_u32_e32 v3, vcc_lo, 0, v3, vcc_lo
	v_and_b32_e32 v4, 0xff, v55
	v_add_co_u32 v1, vcc_lo, v1, v73
	s_delay_alu instid0(VALU_DEP_3) | instskip(SKIP_1) | instid1(VALU_DEP_3)
	v_add_co_ci_u32_e32 v3, vcc_lo, 0, v3, vcc_lo
	v_and_b32_e32 v75, 15, v74
	v_add_co_u32 v1, vcc_lo, v1, v59
	s_delay_alu instid0(VALU_DEP_3) | instskip(NEXT) | instid1(VALU_DEP_3)
	v_add_co_ci_u32_e32 v3, vcc_lo, 0, v3, vcc_lo
	v_cmp_ne_u32_e64 s0, 0, v75
	s_delay_alu instid0(VALU_DEP_3) | instskip(NEXT) | instid1(VALU_DEP_3)
	v_add_co_u32 v1, vcc_lo, v1, v64
	v_add_co_ci_u32_e32 v3, vcc_lo, 0, v3, vcc_lo
	s_cmp_lg_u32 s7, 0
	s_delay_alu instid0(VALU_DEP_2) | instskip(NEXT) | instid1(VALU_DEP_2)
	v_add_co_u32 v53, vcc_lo, v1, v4
	v_add_co_ci_u32_e32 v54, vcc_lo, 0, v3, vcc_lo
	s_mov_b32 s1, -1
	s_cbranch_scc0 .LBB262_100
; %bb.41:
	s_delay_alu instid0(VALU_DEP_2)
	v_mov_b32_e32 v3, v53
	v_mov_b32_dpp v1, v53 row_shr:1 row_mask:0xf bank_mask:0xf
	v_mov_b32_dpp v6, v2 row_shr:1 row_mask:0xf bank_mask:0xf
	v_dual_mov_b32 v5, v53 :: v_dual_mov_b32 v4, v54
	s_and_saveexec_b32 s1, s0
; %bb.42:
	s_delay_alu instid0(VALU_DEP_3) | instskip(SKIP_1) | instid1(VALU_DEP_2)
	v_add_co_u32 v5, vcc_lo, v53, v1
	v_add_co_ci_u32_e32 v2, vcc_lo, 0, v54, vcc_lo
	v_add_co_u32 v1, vcc_lo, 0, v5
	s_delay_alu instid0(VALU_DEP_2) | instskip(NEXT) | instid1(VALU_DEP_1)
	v_add_co_ci_u32_e32 v2, vcc_lo, v6, v2, vcc_lo
	v_dual_mov_b32 v4, v2 :: v_dual_mov_b32 v3, v1
; %bb.43:
	s_or_b32 exec_lo, exec_lo, s1
	v_mov_b32_dpp v1, v5 row_shr:2 row_mask:0xf bank_mask:0xf
	v_mov_b32_dpp v6, v2 row_shr:2 row_mask:0xf bank_mask:0xf
	s_mov_b32 s1, exec_lo
	v_cmpx_lt_u32_e32 1, v75
; %bb.44:
	s_delay_alu instid0(VALU_DEP_3) | instskip(SKIP_1) | instid1(VALU_DEP_2)
	v_add_co_u32 v5, vcc_lo, v3, v1
	v_add_co_ci_u32_e32 v2, vcc_lo, 0, v4, vcc_lo
	v_add_co_u32 v1, vcc_lo, 0, v5
	s_delay_alu instid0(VALU_DEP_2) | instskip(NEXT) | instid1(VALU_DEP_1)
	v_add_co_ci_u32_e32 v2, vcc_lo, v6, v2, vcc_lo
	v_dual_mov_b32 v4, v2 :: v_dual_mov_b32 v3, v1
; %bb.45:
	s_or_b32 exec_lo, exec_lo, s1
	v_mov_b32_dpp v1, v5 row_shr:4 row_mask:0xf bank_mask:0xf
	v_mov_b32_dpp v6, v2 row_shr:4 row_mask:0xf bank_mask:0xf
	s_mov_b32 s1, exec_lo
	v_cmpx_lt_u32_e32 3, v75
	;; [unrolled: 14-line block ×3, first 2 shown]
; %bb.48:
	s_delay_alu instid0(VALU_DEP_3) | instskip(SKIP_1) | instid1(VALU_DEP_2)
	v_add_co_u32 v5, vcc_lo, v3, v6
	v_add_co_ci_u32_e32 v2, vcc_lo, 0, v4, vcc_lo
	v_add_co_u32 v3, vcc_lo, 0, v5
	s_delay_alu instid0(VALU_DEP_2) | instskip(NEXT) | instid1(VALU_DEP_1)
	v_add_co_ci_u32_e32 v4, vcc_lo, v1, v2, vcc_lo
	v_mov_b32_e32 v2, v4
; %bb.49:
	s_or_b32 exec_lo, exec_lo, s1
	ds_swizzle_b32 v1, v5 offset:swizzle(BROADCAST,32,15)
	ds_swizzle_b32 v6, v2 offset:swizzle(BROADCAST,32,15)
	v_and_b32_e32 v7, 16, v74
	s_mov_b32 s1, exec_lo
	s_delay_alu instid0(VALU_DEP_1)
	v_cmpx_ne_u32_e32 0, v7
	s_cbranch_execz .LBB262_51
; %bb.50:
	s_waitcnt lgkmcnt(1)
	v_add_co_u32 v5, vcc_lo, v3, v1
	v_add_co_ci_u32_e32 v2, vcc_lo, 0, v4, vcc_lo
	s_delay_alu instid0(VALU_DEP_2) | instskip(SKIP_1) | instid1(VALU_DEP_2)
	v_add_co_u32 v1, vcc_lo, 0, v5
	s_waitcnt lgkmcnt(0)
	v_add_co_ci_u32_e32 v2, vcc_lo, v6, v2, vcc_lo
	s_delay_alu instid0(VALU_DEP_1)
	v_dual_mov_b32 v4, v2 :: v_dual_mov_b32 v3, v1
.LBB262_51:
	s_or_b32 exec_lo, exec_lo, s1
	s_waitcnt lgkmcnt(0)
	v_or_b32_e32 v6, 31, v0
	v_lshrrev_b32_e32 v1, 5, v0
	s_mov_b32 s1, exec_lo
	s_delay_alu instid0(VALU_DEP_2)
	v_cmpx_eq_u32_e64 v6, v0
	s_cbranch_execz .LBB262_53
; %bb.52:
	s_delay_alu instid0(VALU_DEP_2)
	v_lshlrev_b32_e32 v6, 3, v1
	ds_store_b64 v6, v[3:4]
.LBB262_53:
	s_or_b32 exec_lo, exec_lo, s1
	s_delay_alu instid0(SALU_CYCLE_1)
	s_mov_b32 s1, exec_lo
	s_waitcnt lgkmcnt(0)
	s_barrier
	buffer_gl0_inv
	v_cmpx_gt_u32_e32 4, v0
	s_cbranch_execz .LBB262_59
; %bb.54:
	v_lshlrev_b32_e32 v6, 3, v0
	s_mov_b32 s8, exec_lo
	ds_load_b64 v[3:4], v6
	s_waitcnt lgkmcnt(0)
	v_dual_mov_b32 v8, v3 :: v_dual_and_b32 v7, 3, v74
	v_mov_b32_dpp v10, v3 row_shr:1 row_mask:0xf bank_mask:0xf
	v_mov_b32_dpp v9, v4 row_shr:1 row_mask:0xf bank_mask:0xf
	s_delay_alu instid0(VALU_DEP_3)
	v_cmpx_ne_u32_e32 0, v7
; %bb.55:
	s_delay_alu instid0(VALU_DEP_3) | instskip(SKIP_1) | instid1(VALU_DEP_2)
	v_add_co_u32 v8, vcc_lo, v3, v10
	v_add_co_ci_u32_e32 v4, vcc_lo, 0, v4, vcc_lo
	v_add_co_u32 v3, vcc_lo, 0, v8
	s_delay_alu instid0(VALU_DEP_2)
	v_add_co_ci_u32_e32 v4, vcc_lo, v9, v4, vcc_lo
; %bb.56:
	s_or_b32 exec_lo, exec_lo, s8
	v_mov_b32_dpp v9, v8 row_shr:2 row_mask:0xf bank_mask:0xf
	s_delay_alu instid0(VALU_DEP_2)
	v_mov_b32_dpp v8, v4 row_shr:2 row_mask:0xf bank_mask:0xf
	s_mov_b32 s8, exec_lo
	v_cmpx_lt_u32_e32 1, v7
; %bb.57:
	s_delay_alu instid0(VALU_DEP_3) | instskip(SKIP_1) | instid1(VALU_DEP_2)
	v_add_co_u32 v3, vcc_lo, v3, v9
	v_add_co_ci_u32_e32 v4, vcc_lo, 0, v4, vcc_lo
	v_add_co_u32 v3, vcc_lo, v3, 0
	s_delay_alu instid0(VALU_DEP_2)
	v_add_co_ci_u32_e32 v4, vcc_lo, v4, v8, vcc_lo
; %bb.58:
	s_or_b32 exec_lo, exec_lo, s8
	ds_store_b64 v6, v[3:4]
.LBB262_59:
	s_or_b32 exec_lo, exec_lo, s1
	v_cmp_gt_u32_e32 vcc_lo, 32, v0
	s_mov_b32 s8, exec_lo
	s_waitcnt lgkmcnt(0)
	s_barrier
	buffer_gl0_inv
                                        ; implicit-def: $vgpr9_vgpr10
	v_cmpx_lt_u32_e32 31, v0
	s_cbranch_execz .LBB262_61
; %bb.60:
	v_lshl_add_u32 v1, v1, 3, -8
	ds_load_b64 v[9:10], v1
	s_waitcnt lgkmcnt(0)
	v_add_co_u32 v5, s1, v5, v9
	s_delay_alu instid0(VALU_DEP_1)
	v_add_co_ci_u32_e64 v2, s1, v2, v10, s1
.LBB262_61:
	s_or_b32 exec_lo, exec_lo, s8
	v_add_nc_u32_e32 v1, -1, v74
	s_delay_alu instid0(VALU_DEP_1) | instskip(NEXT) | instid1(VALU_DEP_1)
	v_cmp_gt_i32_e64 s1, 0, v1
	v_cndmask_b32_e64 v1, v1, v74, s1
	v_cmp_eq_u32_e64 s1, 0, v74
	s_delay_alu instid0(VALU_DEP_2)
	v_lshlrev_b32_e32 v1, 2, v1
	ds_bpermute_b32 v15, v1, v5
	ds_bpermute_b32 v16, v1, v2
	s_and_saveexec_b32 s8, vcc_lo
	s_cbranch_execz .LBB262_99
; %bb.62:
	v_mov_b32_e32 v4, 0
	ds_load_b64 v[1:2], v4 offset:24
	s_and_saveexec_b32 s9, s1
	s_cbranch_execz .LBB262_64
; %bb.63:
	s_add_i32 s10, s7, 32
	s_mov_b32 s11, 0
	s_delay_alu instid0(SALU_CYCLE_1) | instskip(NEXT) | instid1(SALU_CYCLE_1)
	s_lshl_b64 s[10:11], s[10:11], 4
	s_add_u32 s10, s14, s10
	s_addc_u32 s11, s15, s11
	v_mov_b32_e32 v5, s10
	v_dual_mov_b32 v3, 1 :: v_dual_mov_b32 v6, s11
	s_waitcnt lgkmcnt(0)
	;;#ASMSTART
	global_store_dwordx4 v[5:6], v[1:4] off	
s_waitcnt vmcnt(0)
	;;#ASMEND
.LBB262_64:
	s_or_b32 exec_lo, exec_lo, s9
	v_xad_u32 v11, v74, -1, s7
	s_mov_b32 s10, 0
	s_mov_b32 s9, exec_lo
	s_delay_alu instid0(VALU_DEP_1) | instskip(NEXT) | instid1(VALU_DEP_1)
	v_add_nc_u32_e32 v3, 32, v11
	v_lshlrev_b64 v[3:4], 4, v[3:4]
	s_delay_alu instid0(VALU_DEP_1) | instskip(NEXT) | instid1(VALU_DEP_2)
	v_add_co_u32 v3, vcc_lo, s14, v3
	v_add_co_ci_u32_e32 v4, vcc_lo, s15, v4, vcc_lo
	;;#ASMSTART
	global_load_dwordx4 v[5:8], v[3:4] off glc	
s_waitcnt vmcnt(0)
	;;#ASMEND
	v_and_b32_e32 v8, 0xff, v6
	v_and_b32_e32 v12, 0xff00, v6
	v_or3_b32 v5, v5, 0, 0
	v_and_b32_e32 v13, 0xff000000, v6
	v_and_b32_e32 v6, 0xff0000, v6
	s_delay_alu instid0(VALU_DEP_4) | instskip(SKIP_2) | instid1(VALU_DEP_3)
	v_or3_b32 v8, 0, v8, v12
	v_and_b32_e32 v12, 0xff, v7
	v_or3_b32 v5, v5, 0, 0
	v_or3_b32 v6, v8, v6, v13
	s_delay_alu instid0(VALU_DEP_3)
	v_cmpx_eq_u16_e32 0, v12
	s_cbranch_execz .LBB262_67
.LBB262_65:                             ; =>This Inner Loop Header: Depth=1
	;;#ASMSTART
	global_load_dwordx4 v[5:8], v[3:4] off glc	
s_waitcnt vmcnt(0)
	;;#ASMEND
	v_and_b32_e32 v8, 0xff, v7
	s_delay_alu instid0(VALU_DEP_1) | instskip(SKIP_1) | instid1(SALU_CYCLE_1)
	v_cmp_ne_u16_e32 vcc_lo, 0, v8
	s_or_b32 s10, vcc_lo, s10
	s_and_not1_b32 exec_lo, exec_lo, s10
	s_cbranch_execnz .LBB262_65
; %bb.66:
	s_or_b32 exec_lo, exec_lo, s10
.LBB262_67:
	s_delay_alu instid0(SALU_CYCLE_1)
	s_or_b32 exec_lo, exec_lo, s9
	v_cmp_ne_u32_e32 vcc_lo, 31, v74
	v_and_b32_e32 v4, 0xff, v7
	v_lshlrev_b32_e64 v18, v74, -1
	s_mov_b32 s9, exec_lo
	v_add_co_ci_u32_e32 v3, vcc_lo, 0, v74, vcc_lo
	s_delay_alu instid0(VALU_DEP_3) | instskip(NEXT) | instid1(VALU_DEP_2)
	v_cmp_eq_u16_e32 vcc_lo, 2, v4
	v_dual_mov_b32 v4, v5 :: v_dual_lshlrev_b32 v17, 2, v3
	v_and_or_b32 v3, vcc_lo, v18, 0x80000000
	ds_bpermute_b32 v12, v17, v5
	ds_bpermute_b32 v8, v17, v6
	v_ctz_i32_b32_e32 v3, v3
	s_delay_alu instid0(VALU_DEP_1)
	v_cmpx_lt_u32_e64 v74, v3
	s_cbranch_execz .LBB262_69
; %bb.68:
	s_waitcnt lgkmcnt(1)
	v_add_co_u32 v4, vcc_lo, v5, v12
	v_add_co_ci_u32_e32 v6, vcc_lo, 0, v6, vcc_lo
	s_delay_alu instid0(VALU_DEP_2) | instskip(SKIP_1) | instid1(VALU_DEP_2)
	v_add_co_u32 v5, vcc_lo, 0, v4
	s_waitcnt lgkmcnt(0)
	v_add_co_ci_u32_e32 v6, vcc_lo, v8, v6, vcc_lo
.LBB262_69:
	s_or_b32 exec_lo, exec_lo, s9
	v_cmp_gt_u32_e32 vcc_lo, 30, v74
	v_add_nc_u32_e32 v20, 2, v74
	s_mov_b32 s9, exec_lo
	s_waitcnt lgkmcnt(0)
	v_cndmask_b32_e64 v8, 0, 1, vcc_lo
	s_delay_alu instid0(VALU_DEP_1) | instskip(NEXT) | instid1(VALU_DEP_1)
	v_lshlrev_b32_e32 v8, 1, v8
	v_add_lshl_u32 v19, v8, v74, 2
	ds_bpermute_b32 v12, v19, v4
	ds_bpermute_b32 v8, v19, v6
	v_cmpx_le_u32_e64 v20, v3
	s_cbranch_execz .LBB262_71
; %bb.70:
	s_waitcnt lgkmcnt(1)
	v_add_co_u32 v4, vcc_lo, v5, v12
	v_add_co_ci_u32_e32 v6, vcc_lo, 0, v6, vcc_lo
	s_delay_alu instid0(VALU_DEP_2) | instskip(SKIP_1) | instid1(VALU_DEP_2)
	v_add_co_u32 v5, vcc_lo, 0, v4
	s_waitcnt lgkmcnt(0)
	v_add_co_ci_u32_e32 v6, vcc_lo, v8, v6, vcc_lo
.LBB262_71:
	s_or_b32 exec_lo, exec_lo, s9
	v_cmp_gt_u32_e32 vcc_lo, 28, v74
	v_add_nc_u32_e32 v22, 4, v74
	s_mov_b32 s9, exec_lo
	s_waitcnt lgkmcnt(0)
	v_cndmask_b32_e64 v8, 0, 1, vcc_lo
	s_delay_alu instid0(VALU_DEP_1) | instskip(NEXT) | instid1(VALU_DEP_1)
	v_lshlrev_b32_e32 v8, 2, v8
	v_add_lshl_u32 v21, v8, v74, 2
	ds_bpermute_b32 v12, v21, v4
	ds_bpermute_b32 v8, v21, v6
	v_cmpx_le_u32_e64 v22, v3
	;; [unrolled: 22-line block ×4, first 2 shown]
	s_cbranch_execz .LBB262_77
; %bb.76:
	s_waitcnt lgkmcnt(1)
	v_add_co_u32 v3, vcc_lo, v5, v8
	v_add_co_ci_u32_e32 v6, vcc_lo, 0, v6, vcc_lo
	s_delay_alu instid0(VALU_DEP_2) | instskip(SKIP_1) | instid1(VALU_DEP_2)
	v_add_co_u32 v5, vcc_lo, v3, 0
	s_waitcnt lgkmcnt(0)
	v_add_co_ci_u32_e32 v6, vcc_lo, v6, v4, vcc_lo
.LBB262_77:
	s_or_b32 exec_lo, exec_lo, s9
	v_mov_b32_e32 v12, 0
	s_branch .LBB262_79
.LBB262_78:                             ;   in Loop: Header=BB262_79 Depth=1
	s_or_b32 exec_lo, exec_lo, s9
	v_add_co_u32 v5, vcc_lo, v5, v3
	v_subrev_nc_u32_e32 v11, 32, v11
	v_add_co_ci_u32_e32 v6, vcc_lo, v6, v4, vcc_lo
.LBB262_79:                             ; =>This Loop Header: Depth=1
                                        ;     Child Loop BB262_82 Depth 2
	v_and_b32_e32 v3, 0xff, v7
	s_delay_alu instid0(VALU_DEP_1) | instskip(SKIP_2) | instid1(VALU_DEP_1)
	v_cmp_ne_u16_e32 vcc_lo, 2, v3
	v_cndmask_b32_e64 v3, 0, 1, vcc_lo
	;;#ASMSTART
	;;#ASMEND
	v_cmp_ne_u32_e32 vcc_lo, 0, v3
	s_waitcnt lgkmcnt(0)
	v_dual_mov_b32 v3, v5 :: v_dual_mov_b32 v4, v6
	s_cmp_lg_u32 vcc_lo, exec_lo
	s_cbranch_scc1 .LBB262_94
; %bb.80:                               ;   in Loop: Header=BB262_79 Depth=1
	v_lshlrev_b64 v[5:6], 4, v[11:12]
	s_mov_b32 s9, exec_lo
	s_delay_alu instid0(VALU_DEP_1) | instskip(NEXT) | instid1(VALU_DEP_2)
	v_add_co_u32 v13, vcc_lo, s14, v5
	v_add_co_ci_u32_e32 v14, vcc_lo, s15, v6, vcc_lo
	;;#ASMSTART
	global_load_dwordx4 v[5:8], v[13:14] off glc	
s_waitcnt vmcnt(0)
	;;#ASMEND
	v_and_b32_e32 v8, 0xff, v6
	v_and_b32_e32 v27, 0xff00, v6
	v_or3_b32 v5, v5, 0, 0
	v_and_b32_e32 v28, 0xff000000, v6
	v_and_b32_e32 v6, 0xff0000, v6
	s_delay_alu instid0(VALU_DEP_4) | instskip(SKIP_2) | instid1(VALU_DEP_3)
	v_or3_b32 v8, 0, v8, v27
	v_and_b32_e32 v27, 0xff, v7
	v_or3_b32 v5, v5, 0, 0
	v_or3_b32 v6, v8, v6, v28
	s_delay_alu instid0(VALU_DEP_3)
	v_cmpx_eq_u16_e32 0, v27
	s_cbranch_execz .LBB262_84
; %bb.81:                               ;   in Loop: Header=BB262_79 Depth=1
	s_mov_b32 s10, 0
.LBB262_82:                             ;   Parent Loop BB262_79 Depth=1
                                        ; =>  This Inner Loop Header: Depth=2
	;;#ASMSTART
	global_load_dwordx4 v[5:8], v[13:14] off glc	
s_waitcnt vmcnt(0)
	;;#ASMEND
	v_and_b32_e32 v8, 0xff, v7
	s_delay_alu instid0(VALU_DEP_1) | instskip(SKIP_1) | instid1(SALU_CYCLE_1)
	v_cmp_ne_u16_e32 vcc_lo, 0, v8
	s_or_b32 s10, vcc_lo, s10
	s_and_not1_b32 exec_lo, exec_lo, s10
	s_cbranch_execnz .LBB262_82
; %bb.83:                               ;   in Loop: Header=BB262_79 Depth=1
	s_or_b32 exec_lo, exec_lo, s10
.LBB262_84:                             ;   in Loop: Header=BB262_79 Depth=1
	s_delay_alu instid0(SALU_CYCLE_1)
	s_or_b32 exec_lo, exec_lo, s9
	v_dual_mov_b32 v13, v5 :: v_dual_and_b32 v8, 0xff, v7
	ds_bpermute_b32 v27, v17, v5
	ds_bpermute_b32 v14, v17, v6
	s_mov_b32 s9, exec_lo
	v_cmp_eq_u16_e32 vcc_lo, 2, v8
	v_and_or_b32 v8, vcc_lo, v18, 0x80000000
	s_delay_alu instid0(VALU_DEP_1) | instskip(NEXT) | instid1(VALU_DEP_1)
	v_ctz_i32_b32_e32 v8, v8
	v_cmpx_lt_u32_e64 v74, v8
	s_cbranch_execz .LBB262_86
; %bb.85:                               ;   in Loop: Header=BB262_79 Depth=1
	s_waitcnt lgkmcnt(1)
	v_add_co_u32 v13, vcc_lo, v5, v27
	v_add_co_ci_u32_e32 v6, vcc_lo, 0, v6, vcc_lo
	s_delay_alu instid0(VALU_DEP_2) | instskip(SKIP_1) | instid1(VALU_DEP_2)
	v_add_co_u32 v5, vcc_lo, 0, v13
	s_waitcnt lgkmcnt(0)
	v_add_co_ci_u32_e32 v6, vcc_lo, v14, v6, vcc_lo
.LBB262_86:                             ;   in Loop: Header=BB262_79 Depth=1
	s_or_b32 exec_lo, exec_lo, s9
	s_waitcnt lgkmcnt(1)
	ds_bpermute_b32 v27, v19, v13
	s_waitcnt lgkmcnt(1)
	ds_bpermute_b32 v14, v19, v6
	s_mov_b32 s9, exec_lo
	v_cmpx_le_u32_e64 v20, v8
	s_cbranch_execz .LBB262_88
; %bb.87:                               ;   in Loop: Header=BB262_79 Depth=1
	s_waitcnt lgkmcnt(1)
	v_add_co_u32 v13, vcc_lo, v5, v27
	v_add_co_ci_u32_e32 v6, vcc_lo, 0, v6, vcc_lo
	s_delay_alu instid0(VALU_DEP_2) | instskip(SKIP_1) | instid1(VALU_DEP_2)
	v_add_co_u32 v5, vcc_lo, 0, v13
	s_waitcnt lgkmcnt(0)
	v_add_co_ci_u32_e32 v6, vcc_lo, v14, v6, vcc_lo
.LBB262_88:                             ;   in Loop: Header=BB262_79 Depth=1
	s_or_b32 exec_lo, exec_lo, s9
	s_waitcnt lgkmcnt(1)
	ds_bpermute_b32 v27, v21, v13
	s_waitcnt lgkmcnt(1)
	ds_bpermute_b32 v14, v21, v6
	s_mov_b32 s9, exec_lo
	v_cmpx_le_u32_e64 v22, v8
	;; [unrolled: 17-line block ×3, first 2 shown]
	s_cbranch_execz .LBB262_92
; %bb.91:                               ;   in Loop: Header=BB262_79 Depth=1
	s_waitcnt lgkmcnt(1)
	v_add_co_u32 v13, vcc_lo, v5, v27
	v_add_co_ci_u32_e32 v6, vcc_lo, 0, v6, vcc_lo
	s_delay_alu instid0(VALU_DEP_2) | instskip(SKIP_1) | instid1(VALU_DEP_2)
	v_add_co_u32 v5, vcc_lo, 0, v13
	s_waitcnt lgkmcnt(0)
	v_add_co_ci_u32_e32 v6, vcc_lo, v14, v6, vcc_lo
.LBB262_92:                             ;   in Loop: Header=BB262_79 Depth=1
	s_or_b32 exec_lo, exec_lo, s9
	s_waitcnt lgkmcnt(0)
	ds_bpermute_b32 v14, v25, v13
	ds_bpermute_b32 v13, v25, v6
	s_mov_b32 s9, exec_lo
	v_cmpx_le_u32_e64 v26, v8
	s_cbranch_execz .LBB262_78
; %bb.93:                               ;   in Loop: Header=BB262_79 Depth=1
	s_waitcnt lgkmcnt(1)
	v_add_co_u32 v5, vcc_lo, v5, v14
	v_add_co_ci_u32_e32 v6, vcc_lo, 0, v6, vcc_lo
	s_delay_alu instid0(VALU_DEP_2) | instskip(SKIP_1) | instid1(VALU_DEP_2)
	v_add_co_u32 v5, vcc_lo, v5, 0
	s_waitcnt lgkmcnt(0)
	v_add_co_ci_u32_e32 v6, vcc_lo, v6, v13, vcc_lo
	s_branch .LBB262_78
.LBB262_94:                             ;   in Loop: Header=BB262_79 Depth=1
                                        ; implicit-def: $vgpr5_vgpr6
	s_cbranch_execz .LBB262_79
; %bb.95:
	s_and_saveexec_b32 s9, s1
	s_cbranch_execz .LBB262_97
; %bb.96:
	s_add_i32 s10, s7, 32
	s_mov_b32 s11, 0
	v_add_co_u32 v5, vcc_lo, v3, v1
	s_lshl_b64 s[10:11], s[10:11], 4
	v_dual_mov_b32 v7, 2 :: v_dual_mov_b32 v8, 0
	s_add_u32 s10, s14, s10
	s_addc_u32 s11, s15, s11
	v_add_co_ci_u32_e32 v6, vcc_lo, v4, v2, vcc_lo
	v_dual_mov_b32 v12, s11 :: v_dual_mov_b32 v11, s10
	;;#ASMSTART
	global_store_dwordx4 v[11:12], v[5:8] off	
s_waitcnt vmcnt(0)
	;;#ASMEND
	ds_store_b128 v8, v[1:4] offset:7168
.LBB262_97:
	s_or_b32 exec_lo, exec_lo, s9
	s_delay_alu instid0(SALU_CYCLE_1)
	s_and_b32 exec_lo, exec_lo, s2
	s_cbranch_execz .LBB262_99
; %bb.98:
	v_mov_b32_e32 v1, 0
	ds_store_b64 v1, v[3:4] offset:24
.LBB262_99:
	s_or_b32 exec_lo, exec_lo, s8
	v_mov_b32_e32 v21, 0
	s_waitcnt lgkmcnt(0)
	s_barrier
	buffer_gl0_inv
	v_cndmask_b32_e64 v3, v15, v9, s1
	ds_load_b64 v[1:2], v21 offset:24
	v_cndmask_b32_e64 v4, v16, v10, s1
	s_waitcnt lgkmcnt(0)
	s_barrier
	v_cndmask_b32_e64 v3, v3, 0, s2
	buffer_gl0_inv
	v_cndmask_b32_e64 v4, v4, 0, s2
	ds_load_b128 v[45:48], v21 offset:7168
	v_add_co_u32 v1, vcc_lo, v1, v3
	v_add_co_ci_u32_e32 v2, vcc_lo, v2, v4, vcc_lo
	s_delay_alu instid0(VALU_DEP_2) | instskip(NEXT) | instid1(VALU_DEP_2)
	v_add_co_u32 v3, vcc_lo, v1, v65
	v_add_co_ci_u32_e32 v4, vcc_lo, 0, v2, vcc_lo
	s_delay_alu instid0(VALU_DEP_2) | instskip(NEXT) | instid1(VALU_DEP_2)
	;; [unrolled: 3-line block ×13, first 2 shown]
	v_add_co_u32 v27, vcc_lo, v25, v64
	v_add_co_ci_u32_e32 v28, vcc_lo, 0, v26, vcc_lo
	s_branch .LBB262_124
.LBB262_100:
                                        ; implicit-def: $vgpr47_vgpr48
                                        ; implicit-def: $vgpr1_vgpr2_vgpr3_vgpr4_vgpr5_vgpr6_vgpr7_vgpr8_vgpr9_vgpr10_vgpr11_vgpr12_vgpr13_vgpr14_vgpr15_vgpr16_vgpr17_vgpr18_vgpr19_vgpr20_vgpr21_vgpr22_vgpr23_vgpr24_vgpr25_vgpr26_vgpr27_vgpr28_vgpr29_vgpr30_vgpr31_vgpr32
	s_and_b32 vcc_lo, exec_lo, s1
	s_cbranch_vccz .LBB262_124
; %bb.101:
	v_dual_mov_b32 v2, 0 :: v_dual_mov_b32 v3, v53
	v_mov_b32_dpp v4, v53 row_shr:1 row_mask:0xf bank_mask:0xf
	s_delay_alu instid0(VALU_DEP_2)
	v_mov_b32_dpp v1, v2 row_shr:1 row_mask:0xf bank_mask:0xf
	s_and_saveexec_b32 s1, s0
; %bb.102:
	s_delay_alu instid0(VALU_DEP_2) | instskip(SKIP_1) | instid1(VALU_DEP_2)
	v_add_co_u32 v3, vcc_lo, v53, v4
	v_add_co_ci_u32_e32 v2, vcc_lo, 0, v54, vcc_lo
	v_add_co_u32 v53, vcc_lo, 0, v3
	s_delay_alu instid0(VALU_DEP_2) | instskip(NEXT) | instid1(VALU_DEP_1)
	v_add_co_ci_u32_e32 v54, vcc_lo, v1, v2, vcc_lo
	v_mov_b32_e32 v2, v54
; %bb.103:
	s_or_b32 exec_lo, exec_lo, s1
	v_mov_b32_dpp v1, v3 row_shr:2 row_mask:0xf bank_mask:0xf
	s_delay_alu instid0(VALU_DEP_2)
	v_mov_b32_dpp v4, v2 row_shr:2 row_mask:0xf bank_mask:0xf
	s_mov_b32 s0, exec_lo
	v_cmpx_lt_u32_e32 1, v75
; %bb.104:
	s_delay_alu instid0(VALU_DEP_3) | instskip(SKIP_1) | instid1(VALU_DEP_2)
	v_add_co_u32 v3, vcc_lo, v53, v1
	v_add_co_ci_u32_e32 v2, vcc_lo, 0, v54, vcc_lo
	v_add_co_u32 v1, vcc_lo, 0, v3
	s_delay_alu instid0(VALU_DEP_2) | instskip(NEXT) | instid1(VALU_DEP_1)
	v_add_co_ci_u32_e32 v2, vcc_lo, v4, v2, vcc_lo
	v_dual_mov_b32 v54, v2 :: v_dual_mov_b32 v53, v1
; %bb.105:
	s_or_b32 exec_lo, exec_lo, s0
	v_mov_b32_dpp v1, v3 row_shr:4 row_mask:0xf bank_mask:0xf
	v_mov_b32_dpp v4, v2 row_shr:4 row_mask:0xf bank_mask:0xf
	s_mov_b32 s0, exec_lo
	v_cmpx_lt_u32_e32 3, v75
; %bb.106:
	s_delay_alu instid0(VALU_DEP_3) | instskip(SKIP_1) | instid1(VALU_DEP_2)
	v_add_co_u32 v3, vcc_lo, v53, v1
	v_add_co_ci_u32_e32 v2, vcc_lo, 0, v54, vcc_lo
	v_add_co_u32 v1, vcc_lo, 0, v3
	s_delay_alu instid0(VALU_DEP_2) | instskip(NEXT) | instid1(VALU_DEP_1)
	v_add_co_ci_u32_e32 v2, vcc_lo, v4, v2, vcc_lo
	v_dual_mov_b32 v54, v2 :: v_dual_mov_b32 v53, v1
; %bb.107:
	s_or_b32 exec_lo, exec_lo, s0
	v_mov_b32_dpp v4, v3 row_shr:8 row_mask:0xf bank_mask:0xf
	v_mov_b32_dpp v1, v2 row_shr:8 row_mask:0xf bank_mask:0xf
	s_mov_b32 s0, exec_lo
	v_cmpx_lt_u32_e32 7, v75
; %bb.108:
	s_delay_alu instid0(VALU_DEP_3) | instskip(SKIP_1) | instid1(VALU_DEP_2)
	v_add_co_u32 v3, vcc_lo, v53, v4
	v_add_co_ci_u32_e32 v2, vcc_lo, 0, v54, vcc_lo
	v_add_co_u32 v53, vcc_lo, 0, v3
	s_delay_alu instid0(VALU_DEP_2) | instskip(NEXT) | instid1(VALU_DEP_1)
	v_add_co_ci_u32_e32 v54, vcc_lo, v1, v2, vcc_lo
	v_mov_b32_e32 v2, v54
; %bb.109:
	s_or_b32 exec_lo, exec_lo, s0
	ds_swizzle_b32 v3, v3 offset:swizzle(BROADCAST,32,15)
	ds_swizzle_b32 v1, v2 offset:swizzle(BROADCAST,32,15)
	v_and_b32_e32 v2, 16, v74
	s_mov_b32 s0, exec_lo
	s_delay_alu instid0(VALU_DEP_1)
	v_cmpx_ne_u32_e32 0, v2
	s_cbranch_execz .LBB262_111
; %bb.110:
	s_waitcnt lgkmcnt(1)
	v_add_co_u32 v2, vcc_lo, v53, v3
	v_add_co_ci_u32_e32 v3, vcc_lo, 0, v54, vcc_lo
	s_delay_alu instid0(VALU_DEP_2) | instskip(SKIP_1) | instid1(VALU_DEP_2)
	v_add_co_u32 v53, vcc_lo, v2, 0
	s_waitcnt lgkmcnt(0)
	v_add_co_ci_u32_e32 v54, vcc_lo, v3, v1, vcc_lo
.LBB262_111:
	s_or_b32 exec_lo, exec_lo, s0
	s_waitcnt lgkmcnt(0)
	v_or_b32_e32 v1, 31, v0
	v_lshrrev_b32_e32 v3, 5, v0
	s_mov_b32 s0, exec_lo
	s_delay_alu instid0(VALU_DEP_2)
	v_cmpx_eq_u32_e64 v1, v0
	s_cbranch_execz .LBB262_113
; %bb.112:
	s_delay_alu instid0(VALU_DEP_2)
	v_lshlrev_b32_e32 v1, 3, v3
	ds_store_b64 v1, v[53:54]
.LBB262_113:
	s_or_b32 exec_lo, exec_lo, s0
	s_delay_alu instid0(SALU_CYCLE_1)
	s_mov_b32 s0, exec_lo
	s_waitcnt lgkmcnt(0)
	s_barrier
	buffer_gl0_inv
	v_cmpx_gt_u32_e32 4, v0
	s_cbranch_execz .LBB262_119
; %bb.114:
	v_mad_i32_i24 v1, 0xffffffd0, v0, v63
	s_mov_b32 s1, exec_lo
	ds_load_b64 v[1:2], v1
	s_waitcnt lgkmcnt(0)
	v_dual_mov_b32 v5, v1 :: v_dual_and_b32 v4, 3, v74
	v_mov_b32_dpp v7, v1 row_shr:1 row_mask:0xf bank_mask:0xf
	v_mov_b32_dpp v6, v2 row_shr:1 row_mask:0xf bank_mask:0xf
	s_delay_alu instid0(VALU_DEP_3)
	v_cmpx_ne_u32_e32 0, v4
; %bb.115:
	s_delay_alu instid0(VALU_DEP_3) | instskip(SKIP_1) | instid1(VALU_DEP_2)
	v_add_co_u32 v5, vcc_lo, v1, v7
	v_add_co_ci_u32_e32 v2, vcc_lo, 0, v2, vcc_lo
	v_add_co_u32 v1, vcc_lo, 0, v5
	s_delay_alu instid0(VALU_DEP_2)
	v_add_co_ci_u32_e32 v2, vcc_lo, v6, v2, vcc_lo
; %bb.116:
	s_or_b32 exec_lo, exec_lo, s1
	v_mul_i32_i24_e32 v6, 0xffffffd0, v0
	v_mov_b32_dpp v7, v5 row_shr:2 row_mask:0xf bank_mask:0xf
	s_delay_alu instid0(VALU_DEP_3)
	v_mov_b32_dpp v5, v2 row_shr:2 row_mask:0xf bank_mask:0xf
	s_mov_b32 s1, exec_lo
	v_cmpx_lt_u32_e32 1, v4
; %bb.117:
	s_delay_alu instid0(VALU_DEP_3) | instskip(SKIP_1) | instid1(VALU_DEP_2)
	v_add_co_u32 v1, vcc_lo, v1, v7
	v_add_co_ci_u32_e32 v2, vcc_lo, 0, v2, vcc_lo
	v_add_co_u32 v1, vcc_lo, v1, 0
	s_delay_alu instid0(VALU_DEP_2)
	v_add_co_ci_u32_e32 v2, vcc_lo, v2, v5, vcc_lo
; %bb.118:
	s_or_b32 exec_lo, exec_lo, s1
	v_add_nc_u32_e32 v4, v63, v6
	ds_store_b64 v4, v[1:2]
.LBB262_119:
	s_or_b32 exec_lo, exec_lo, s0
	v_mov_b32_e32 v1, 0
	v_mov_b32_e32 v2, 0
	s_mov_b32 s0, exec_lo
	s_waitcnt lgkmcnt(0)
	s_barrier
	buffer_gl0_inv
	v_cmpx_lt_u32_e32 31, v0
	s_cbranch_execz .LBB262_121
; %bb.120:
	v_lshl_add_u32 v1, v3, 3, -8
	ds_load_b64 v[1:2], v1
.LBB262_121:
	s_or_b32 exec_lo, exec_lo, s0
	v_dual_mov_b32 v48, 0 :: v_dual_add_nc_u32 v3, -1, v74
	s_delay_alu instid0(VALU_DEP_1) | instskip(SKIP_2) | instid1(VALU_DEP_1)
	v_cmp_gt_i32_e32 vcc_lo, 0, v3
	ds_load_b64 v[45:46], v48 offset:24
	v_cndmask_b32_e32 v3, v3, v74, vcc_lo
	v_lshlrev_b32_e32 v4, 2, v3
	s_waitcnt lgkmcnt(1)
	v_add_co_u32 v3, vcc_lo, v1, v53
	v_add_co_ci_u32_e32 v5, vcc_lo, v2, v54, vcc_lo
	ds_bpermute_b32 v3, v4, v3
	ds_bpermute_b32 v4, v4, v5
	s_and_saveexec_b32 s0, s2
	s_cbranch_execz .LBB262_123
; %bb.122:
	s_add_u32 s8, s14, 0x200
	s_addc_u32 s9, s15, 0
	v_mov_b32_e32 v5, s8
	v_dual_mov_b32 v47, 2 :: v_dual_mov_b32 v6, s9
	s_waitcnt lgkmcnt(2)
	;;#ASMSTART
	global_store_dwordx4 v[5:6], v[45:48] off	
s_waitcnt vmcnt(0)
	;;#ASMEND
.LBB262_123:
	s_or_b32 exec_lo, exec_lo, s0
	v_cmp_eq_u32_e32 vcc_lo, 0, v74
	v_mov_b32_e32 v47, 0
	v_mov_b32_e32 v48, 0
	s_waitcnt lgkmcnt(0)
	s_barrier
	v_dual_cndmask_b32 v1, v3, v1 :: v_dual_cndmask_b32 v2, v4, v2
	buffer_gl0_inv
	v_cndmask_b32_e64 v1, v1, 0, s2
	v_cndmask_b32_e64 v2, v2, 0, s2
	s_delay_alu instid0(VALU_DEP_2) | instskip(NEXT) | instid1(VALU_DEP_2)
	v_add_co_u32 v3, vcc_lo, v1, v65
	v_add_co_ci_u32_e32 v4, vcc_lo, 0, v2, vcc_lo
	s_delay_alu instid0(VALU_DEP_2) | instskip(NEXT) | instid1(VALU_DEP_2)
	v_add_co_u32 v5, vcc_lo, v3, v66
	v_add_co_ci_u32_e32 v6, vcc_lo, 0, v4, vcc_lo
	;; [unrolled: 3-line block ×13, first 2 shown]
.LBB262_124:
	s_waitcnt lgkmcnt(0)
	v_cmp_gt_u64_e32 vcc_lo, 0x81, v[45:46]
	v_lshrrev_b32_e32 v53, 16, v58
	v_lshrrev_b32_e32 v54, 8, v58
	;; [unrolled: 1-line block ×6, first 2 shown]
	s_mov_b32 s0, -1
	s_cbranch_vccnz .LBB262_128
; %bb.125:
	s_and_b32 vcc_lo, exec_lo, s0
	s_cbranch_vccnz .LBB262_171
.LBB262_126:
	s_and_b32 s0, s2, s3
	s_delay_alu instid0(SALU_CYCLE_1)
	s_and_saveexec_b32 s1, s0
	s_cbranch_execnz .LBB262_203
.LBB262_127:
	s_nop 0
	s_sendmsg sendmsg(MSG_DEALLOC_VGPRS)
	s_endpgm
.LBB262_128:
	v_add_co_u32 v29, vcc_lo, v47, v45
	v_add_co_ci_u32_e32 v30, vcc_lo, v48, v46, vcc_lo
	v_lshlrev_b64 v[65:66], 2, v[49:50]
	s_delay_alu instid0(VALU_DEP_2) | instskip(NEXT) | instid1(VALU_DEP_2)
	v_cmp_lt_u64_e32 vcc_lo, v[1:2], v[29:30]
	v_add_co_u32 v65, s0, s12, v65
	s_delay_alu instid0(VALU_DEP_1) | instskip(SKIP_1) | instid1(SALU_CYCLE_1)
	v_add_co_ci_u32_e64 v66, s0, s13, v66, s0
	s_or_b32 s1, s6, vcc_lo
	s_and_saveexec_b32 s0, s1
	s_cbranch_execz .LBB262_131
; %bb.129:
	v_and_b32_e32 v67, 1, v61
	s_delay_alu instid0(VALU_DEP_1)
	v_cmp_eq_u32_e32 vcc_lo, 1, v67
	s_and_b32 exec_lo, exec_lo, vcc_lo
	s_cbranch_execz .LBB262_131
; %bb.130:
	v_lshlrev_b64 v[67:68], 2, v[1:2]
	s_delay_alu instid0(VALU_DEP_1) | instskip(NEXT) | instid1(VALU_DEP_2)
	v_add_co_u32 v67, vcc_lo, v65, v67
	v_add_co_ci_u32_e32 v68, vcc_lo, v66, v68, vcc_lo
	global_store_b32 v[67:68], v41, off
.LBB262_131:
	s_or_b32 exec_lo, exec_lo, s0
	v_cmp_lt_u64_e32 vcc_lo, v[3:4], v[29:30]
	s_or_b32 s1, s6, vcc_lo
	s_delay_alu instid0(SALU_CYCLE_1)
	s_and_saveexec_b32 s0, s1
	s_cbranch_execz .LBB262_134
; %bb.132:
	v_and_b32_e32 v2, 1, v64
	s_delay_alu instid0(VALU_DEP_1)
	v_cmp_eq_u32_e32 vcc_lo, 1, v2
	s_and_b32 exec_lo, exec_lo, vcc_lo
	s_cbranch_execz .LBB262_134
; %bb.133:
	v_lshlrev_b64 v[67:68], 2, v[3:4]
	s_delay_alu instid0(VALU_DEP_1) | instskip(NEXT) | instid1(VALU_DEP_2)
	v_add_co_u32 v67, vcc_lo, v65, v67
	v_add_co_ci_u32_e32 v68, vcc_lo, v66, v68, vcc_lo
	global_store_b32 v[67:68], v42, off
.LBB262_134:
	s_or_b32 exec_lo, exec_lo, s0
	v_cmp_lt_u64_e32 vcc_lo, v[5:6], v[29:30]
	s_or_b32 s1, s6, vcc_lo
	s_delay_alu instid0(SALU_CYCLE_1)
	;; [unrolled: 19-line block ×13, first 2 shown]
	s_and_saveexec_b32 s0, s1
	s_cbranch_execz .LBB262_170
; %bb.168:
	v_and_b32_e32 v2, 1, v55
	s_delay_alu instid0(VALU_DEP_1)
	v_cmp_eq_u32_e32 vcc_lo, 1, v2
	s_and_b32 exec_lo, exec_lo, vcc_lo
	s_cbranch_execz .LBB262_170
; %bb.169:
	v_lshlrev_b64 v[28:29], 2, v[27:28]
	s_delay_alu instid0(VALU_DEP_1) | instskip(NEXT) | instid1(VALU_DEP_2)
	v_add_co_u32 v28, vcc_lo, v65, v28
	v_add_co_ci_u32_e32 v29, vcc_lo, v66, v29, vcc_lo
	global_store_b32 v[28:29], v52, off
.LBB262_170:
	s_or_b32 exec_lo, exec_lo, s0
	s_branch .LBB262_126
.LBB262_171:
	v_and_b32_e32 v2, 1, v61
	s_mov_b32 s0, exec_lo
	s_delay_alu instid0(VALU_DEP_1)
	v_cmpx_eq_u32_e32 1, v2
	s_cbranch_execz .LBB262_173
; %bb.172:
	v_sub_nc_u32_e32 v1, v1, v47
	s_delay_alu instid0(VALU_DEP_1)
	v_lshlrev_b32_e32 v1, 2, v1
	ds_store_b32 v1, v41
.LBB262_173:
	s_or_b32 exec_lo, exec_lo, s0
	v_and_b32_e32 v1, 1, v64
	s_mov_b32 s0, exec_lo
	s_delay_alu instid0(VALU_DEP_1)
	v_cmpx_eq_u32_e32 1, v1
	s_cbranch_execz .LBB262_175
; %bb.174:
	v_sub_nc_u32_e32 v1, v3, v47
	s_delay_alu instid0(VALU_DEP_1)
	v_lshlrev_b32_e32 v1, 2, v1
	ds_store_b32 v1, v42
.LBB262_175:
	s_or_b32 exec_lo, exec_lo, s0
	;; [unrolled: 12-line block ×14, first 2 shown]
	v_mov_b32_e32 v1, 0
	s_mov_b32 s1, exec_lo
	s_waitcnt lgkmcnt(0)
	s_waitcnt_vscnt null, 0x0
	s_barrier
	buffer_gl0_inv
	v_cmpx_gt_u64_e64 v[45:46], v[0:1]
	s_cbranch_execz .LBB262_202
; %bb.200:
	v_lshlrev_b64 v[2:3], 2, v[47:48]
	v_lshlrev_b64 v[4:5], 2, v[49:50]
	s_mov_b32 s6, 0
	s_delay_alu instid0(VALU_DEP_2) | instskip(NEXT) | instid1(VALU_DEP_3)
	v_add_co_u32 v6, vcc_lo, s12, v2
	v_add_co_ci_u32_e32 v7, vcc_lo, s13, v3, vcc_lo
	v_dual_mov_b32 v3, v1 :: v_dual_mov_b32 v2, v0
	s_delay_alu instid0(VALU_DEP_3) | instskip(NEXT) | instid1(VALU_DEP_3)
	v_add_co_u32 v4, vcc_lo, v6, v4
	v_add_co_ci_u32_e32 v5, vcc_lo, v7, v5, vcc_lo
	v_or_b32_e32 v0, 0x80, v0
	.p2align	6
.LBB262_201:                            ; =>This Inner Loop Header: Depth=1
	s_delay_alu instid0(VALU_DEP_4) | instskip(NEXT) | instid1(VALU_DEP_2)
	v_lshlrev_b32_e32 v6, 2, v2
	v_cmp_le_u64_e32 vcc_lo, v[45:46], v[0:1]
	ds_load_b32 v8, v6
	v_lshlrev_b64 v[6:7], 2, v[2:3]
	v_dual_mov_b32 v3, v1 :: v_dual_mov_b32 v2, v0
	v_add_nc_u32_e32 v0, 0x80, v0
	s_or_b32 s6, vcc_lo, s6
	s_delay_alu instid0(VALU_DEP_3) | instskip(NEXT) | instid1(VALU_DEP_1)
	v_add_co_u32 v6, s0, v4, v6
	v_add_co_ci_u32_e64 v7, s0, v5, v7, s0
	s_waitcnt lgkmcnt(0)
	global_store_b32 v[6:7], v8, off
	s_and_not1_b32 exec_lo, exec_lo, s6
	s_cbranch_execnz .LBB262_201
.LBB262_202:
	s_or_b32 exec_lo, exec_lo, s1
	s_and_b32 s0, s2, s3
	s_delay_alu instid0(SALU_CYCLE_1)
	s_and_saveexec_b32 s1, s0
	s_cbranch_execz .LBB262_127
.LBB262_203:
	v_add_co_u32 v0, vcc_lo, v47, v45
	v_add_co_ci_u32_e32 v1, vcc_lo, v48, v46, vcc_lo
	v_mov_b32_e32 v2, 0
	s_delay_alu instid0(VALU_DEP_3) | instskip(NEXT) | instid1(VALU_DEP_3)
	v_add_co_u32 v0, vcc_lo, v0, v49
	v_add_co_ci_u32_e32 v1, vcc_lo, v1, v50, vcc_lo
	global_store_b64 v2, v[0:1], s[4:5]
	s_nop 0
	s_sendmsg sendmsg(MSG_DEALLOC_VGPRS)
	s_endpgm
	.section	.rodata,"a",@progbits
	.p2align	6, 0x0
	.amdhsa_kernel _ZN7rocprim17ROCPRIM_400000_NS6detail17trampoline_kernelINS0_14default_configENS1_25partition_config_selectorILNS1_17partition_subalgoE6EfNS0_10empty_typeEbEEZZNS1_14partition_implILS5_6ELb0ES3_mN6thrust23THRUST_200600_302600_NS6detail15normal_iteratorINSA_10device_ptrIfEEEEPS6_SG_NS0_5tupleIJSF_S6_EEENSH_IJSG_SG_EEES6_PlJ7is_evenIfEEEE10hipError_tPvRmT3_T4_T5_T6_T7_T9_mT8_P12ihipStream_tbDpT10_ENKUlT_T0_E_clISt17integral_constantIbLb0EES15_IbLb1EEEEDaS11_S12_EUlS11_E_NS1_11comp_targetILNS1_3genE9ELNS1_11target_archE1100ELNS1_3gpuE3ELNS1_3repE0EEENS1_30default_config_static_selectorELNS0_4arch9wavefront6targetE0EEEvT1_
		.amdhsa_group_segment_fixed_size 7184
		.amdhsa_private_segment_fixed_size 0
		.amdhsa_kernarg_size 128
		.amdhsa_user_sgpr_count 15
		.amdhsa_user_sgpr_dispatch_ptr 0
		.amdhsa_user_sgpr_queue_ptr 0
		.amdhsa_user_sgpr_kernarg_segment_ptr 1
		.amdhsa_user_sgpr_dispatch_id 0
		.amdhsa_user_sgpr_private_segment_size 0
		.amdhsa_wavefront_size32 1
		.amdhsa_uses_dynamic_stack 0
		.amdhsa_enable_private_segment 0
		.amdhsa_system_sgpr_workgroup_id_x 1
		.amdhsa_system_sgpr_workgroup_id_y 0
		.amdhsa_system_sgpr_workgroup_id_z 0
		.amdhsa_system_sgpr_workgroup_info 0
		.amdhsa_system_vgpr_workitem_id 0
		.amdhsa_next_free_vgpr 76
		.amdhsa_next_free_sgpr 20
		.amdhsa_reserve_vcc 1
		.amdhsa_float_round_mode_32 0
		.amdhsa_float_round_mode_16_64 0
		.amdhsa_float_denorm_mode_32 3
		.amdhsa_float_denorm_mode_16_64 3
		.amdhsa_dx10_clamp 1
		.amdhsa_ieee_mode 1
		.amdhsa_fp16_overflow 0
		.amdhsa_workgroup_processor_mode 1
		.amdhsa_memory_ordered 1
		.amdhsa_forward_progress 0
		.amdhsa_shared_vgpr_count 0
		.amdhsa_exception_fp_ieee_invalid_op 0
		.amdhsa_exception_fp_denorm_src 0
		.amdhsa_exception_fp_ieee_div_zero 0
		.amdhsa_exception_fp_ieee_overflow 0
		.amdhsa_exception_fp_ieee_underflow 0
		.amdhsa_exception_fp_ieee_inexact 0
		.amdhsa_exception_int_div_zero 0
	.end_amdhsa_kernel
	.section	.text._ZN7rocprim17ROCPRIM_400000_NS6detail17trampoline_kernelINS0_14default_configENS1_25partition_config_selectorILNS1_17partition_subalgoE6EfNS0_10empty_typeEbEEZZNS1_14partition_implILS5_6ELb0ES3_mN6thrust23THRUST_200600_302600_NS6detail15normal_iteratorINSA_10device_ptrIfEEEEPS6_SG_NS0_5tupleIJSF_S6_EEENSH_IJSG_SG_EEES6_PlJ7is_evenIfEEEE10hipError_tPvRmT3_T4_T5_T6_T7_T9_mT8_P12ihipStream_tbDpT10_ENKUlT_T0_E_clISt17integral_constantIbLb0EES15_IbLb1EEEEDaS11_S12_EUlS11_E_NS1_11comp_targetILNS1_3genE9ELNS1_11target_archE1100ELNS1_3gpuE3ELNS1_3repE0EEENS1_30default_config_static_selectorELNS0_4arch9wavefront6targetE0EEEvT1_,"axG",@progbits,_ZN7rocprim17ROCPRIM_400000_NS6detail17trampoline_kernelINS0_14default_configENS1_25partition_config_selectorILNS1_17partition_subalgoE6EfNS0_10empty_typeEbEEZZNS1_14partition_implILS5_6ELb0ES3_mN6thrust23THRUST_200600_302600_NS6detail15normal_iteratorINSA_10device_ptrIfEEEEPS6_SG_NS0_5tupleIJSF_S6_EEENSH_IJSG_SG_EEES6_PlJ7is_evenIfEEEE10hipError_tPvRmT3_T4_T5_T6_T7_T9_mT8_P12ihipStream_tbDpT10_ENKUlT_T0_E_clISt17integral_constantIbLb0EES15_IbLb1EEEEDaS11_S12_EUlS11_E_NS1_11comp_targetILNS1_3genE9ELNS1_11target_archE1100ELNS1_3gpuE3ELNS1_3repE0EEENS1_30default_config_static_selectorELNS0_4arch9wavefront6targetE0EEEvT1_,comdat
.Lfunc_end262:
	.size	_ZN7rocprim17ROCPRIM_400000_NS6detail17trampoline_kernelINS0_14default_configENS1_25partition_config_selectorILNS1_17partition_subalgoE6EfNS0_10empty_typeEbEEZZNS1_14partition_implILS5_6ELb0ES3_mN6thrust23THRUST_200600_302600_NS6detail15normal_iteratorINSA_10device_ptrIfEEEEPS6_SG_NS0_5tupleIJSF_S6_EEENSH_IJSG_SG_EEES6_PlJ7is_evenIfEEEE10hipError_tPvRmT3_T4_T5_T6_T7_T9_mT8_P12ihipStream_tbDpT10_ENKUlT_T0_E_clISt17integral_constantIbLb0EES15_IbLb1EEEEDaS11_S12_EUlS11_E_NS1_11comp_targetILNS1_3genE9ELNS1_11target_archE1100ELNS1_3gpuE3ELNS1_3repE0EEENS1_30default_config_static_selectorELNS0_4arch9wavefront6targetE0EEEvT1_, .Lfunc_end262-_ZN7rocprim17ROCPRIM_400000_NS6detail17trampoline_kernelINS0_14default_configENS1_25partition_config_selectorILNS1_17partition_subalgoE6EfNS0_10empty_typeEbEEZZNS1_14partition_implILS5_6ELb0ES3_mN6thrust23THRUST_200600_302600_NS6detail15normal_iteratorINSA_10device_ptrIfEEEEPS6_SG_NS0_5tupleIJSF_S6_EEENSH_IJSG_SG_EEES6_PlJ7is_evenIfEEEE10hipError_tPvRmT3_T4_T5_T6_T7_T9_mT8_P12ihipStream_tbDpT10_ENKUlT_T0_E_clISt17integral_constantIbLb0EES15_IbLb1EEEEDaS11_S12_EUlS11_E_NS1_11comp_targetILNS1_3genE9ELNS1_11target_archE1100ELNS1_3gpuE3ELNS1_3repE0EEENS1_30default_config_static_selectorELNS0_4arch9wavefront6targetE0EEEvT1_
                                        ; -- End function
	.section	.AMDGPU.csdata,"",@progbits
; Kernel info:
; codeLenInByte = 8640
; NumSgprs: 22
; NumVgprs: 76
; ScratchSize: 0
; MemoryBound: 0
; FloatMode: 240
; IeeeMode: 1
; LDSByteSize: 7184 bytes/workgroup (compile time only)
; SGPRBlocks: 2
; VGPRBlocks: 9
; NumSGPRsForWavesPerEU: 22
; NumVGPRsForWavesPerEU: 76
; Occupancy: 16
; WaveLimiterHint : 1
; COMPUTE_PGM_RSRC2:SCRATCH_EN: 0
; COMPUTE_PGM_RSRC2:USER_SGPR: 15
; COMPUTE_PGM_RSRC2:TRAP_HANDLER: 0
; COMPUTE_PGM_RSRC2:TGID_X_EN: 1
; COMPUTE_PGM_RSRC2:TGID_Y_EN: 0
; COMPUTE_PGM_RSRC2:TGID_Z_EN: 0
; COMPUTE_PGM_RSRC2:TIDIG_COMP_CNT: 0
	.section	.text._ZN7rocprim17ROCPRIM_400000_NS6detail17trampoline_kernelINS0_14default_configENS1_25partition_config_selectorILNS1_17partition_subalgoE6EfNS0_10empty_typeEbEEZZNS1_14partition_implILS5_6ELb0ES3_mN6thrust23THRUST_200600_302600_NS6detail15normal_iteratorINSA_10device_ptrIfEEEEPS6_SG_NS0_5tupleIJSF_S6_EEENSH_IJSG_SG_EEES6_PlJ7is_evenIfEEEE10hipError_tPvRmT3_T4_T5_T6_T7_T9_mT8_P12ihipStream_tbDpT10_ENKUlT_T0_E_clISt17integral_constantIbLb0EES15_IbLb1EEEEDaS11_S12_EUlS11_E_NS1_11comp_targetILNS1_3genE8ELNS1_11target_archE1030ELNS1_3gpuE2ELNS1_3repE0EEENS1_30default_config_static_selectorELNS0_4arch9wavefront6targetE0EEEvT1_,"axG",@progbits,_ZN7rocprim17ROCPRIM_400000_NS6detail17trampoline_kernelINS0_14default_configENS1_25partition_config_selectorILNS1_17partition_subalgoE6EfNS0_10empty_typeEbEEZZNS1_14partition_implILS5_6ELb0ES3_mN6thrust23THRUST_200600_302600_NS6detail15normal_iteratorINSA_10device_ptrIfEEEEPS6_SG_NS0_5tupleIJSF_S6_EEENSH_IJSG_SG_EEES6_PlJ7is_evenIfEEEE10hipError_tPvRmT3_T4_T5_T6_T7_T9_mT8_P12ihipStream_tbDpT10_ENKUlT_T0_E_clISt17integral_constantIbLb0EES15_IbLb1EEEEDaS11_S12_EUlS11_E_NS1_11comp_targetILNS1_3genE8ELNS1_11target_archE1030ELNS1_3gpuE2ELNS1_3repE0EEENS1_30default_config_static_selectorELNS0_4arch9wavefront6targetE0EEEvT1_,comdat
	.protected	_ZN7rocprim17ROCPRIM_400000_NS6detail17trampoline_kernelINS0_14default_configENS1_25partition_config_selectorILNS1_17partition_subalgoE6EfNS0_10empty_typeEbEEZZNS1_14partition_implILS5_6ELb0ES3_mN6thrust23THRUST_200600_302600_NS6detail15normal_iteratorINSA_10device_ptrIfEEEEPS6_SG_NS0_5tupleIJSF_S6_EEENSH_IJSG_SG_EEES6_PlJ7is_evenIfEEEE10hipError_tPvRmT3_T4_T5_T6_T7_T9_mT8_P12ihipStream_tbDpT10_ENKUlT_T0_E_clISt17integral_constantIbLb0EES15_IbLb1EEEEDaS11_S12_EUlS11_E_NS1_11comp_targetILNS1_3genE8ELNS1_11target_archE1030ELNS1_3gpuE2ELNS1_3repE0EEENS1_30default_config_static_selectorELNS0_4arch9wavefront6targetE0EEEvT1_ ; -- Begin function _ZN7rocprim17ROCPRIM_400000_NS6detail17trampoline_kernelINS0_14default_configENS1_25partition_config_selectorILNS1_17partition_subalgoE6EfNS0_10empty_typeEbEEZZNS1_14partition_implILS5_6ELb0ES3_mN6thrust23THRUST_200600_302600_NS6detail15normal_iteratorINSA_10device_ptrIfEEEEPS6_SG_NS0_5tupleIJSF_S6_EEENSH_IJSG_SG_EEES6_PlJ7is_evenIfEEEE10hipError_tPvRmT3_T4_T5_T6_T7_T9_mT8_P12ihipStream_tbDpT10_ENKUlT_T0_E_clISt17integral_constantIbLb0EES15_IbLb1EEEEDaS11_S12_EUlS11_E_NS1_11comp_targetILNS1_3genE8ELNS1_11target_archE1030ELNS1_3gpuE2ELNS1_3repE0EEENS1_30default_config_static_selectorELNS0_4arch9wavefront6targetE0EEEvT1_
	.globl	_ZN7rocprim17ROCPRIM_400000_NS6detail17trampoline_kernelINS0_14default_configENS1_25partition_config_selectorILNS1_17partition_subalgoE6EfNS0_10empty_typeEbEEZZNS1_14partition_implILS5_6ELb0ES3_mN6thrust23THRUST_200600_302600_NS6detail15normal_iteratorINSA_10device_ptrIfEEEEPS6_SG_NS0_5tupleIJSF_S6_EEENSH_IJSG_SG_EEES6_PlJ7is_evenIfEEEE10hipError_tPvRmT3_T4_T5_T6_T7_T9_mT8_P12ihipStream_tbDpT10_ENKUlT_T0_E_clISt17integral_constantIbLb0EES15_IbLb1EEEEDaS11_S12_EUlS11_E_NS1_11comp_targetILNS1_3genE8ELNS1_11target_archE1030ELNS1_3gpuE2ELNS1_3repE0EEENS1_30default_config_static_selectorELNS0_4arch9wavefront6targetE0EEEvT1_
	.p2align	8
	.type	_ZN7rocprim17ROCPRIM_400000_NS6detail17trampoline_kernelINS0_14default_configENS1_25partition_config_selectorILNS1_17partition_subalgoE6EfNS0_10empty_typeEbEEZZNS1_14partition_implILS5_6ELb0ES3_mN6thrust23THRUST_200600_302600_NS6detail15normal_iteratorINSA_10device_ptrIfEEEEPS6_SG_NS0_5tupleIJSF_S6_EEENSH_IJSG_SG_EEES6_PlJ7is_evenIfEEEE10hipError_tPvRmT3_T4_T5_T6_T7_T9_mT8_P12ihipStream_tbDpT10_ENKUlT_T0_E_clISt17integral_constantIbLb0EES15_IbLb1EEEEDaS11_S12_EUlS11_E_NS1_11comp_targetILNS1_3genE8ELNS1_11target_archE1030ELNS1_3gpuE2ELNS1_3repE0EEENS1_30default_config_static_selectorELNS0_4arch9wavefront6targetE0EEEvT1_,@function
_ZN7rocprim17ROCPRIM_400000_NS6detail17trampoline_kernelINS0_14default_configENS1_25partition_config_selectorILNS1_17partition_subalgoE6EfNS0_10empty_typeEbEEZZNS1_14partition_implILS5_6ELb0ES3_mN6thrust23THRUST_200600_302600_NS6detail15normal_iteratorINSA_10device_ptrIfEEEEPS6_SG_NS0_5tupleIJSF_S6_EEENSH_IJSG_SG_EEES6_PlJ7is_evenIfEEEE10hipError_tPvRmT3_T4_T5_T6_T7_T9_mT8_P12ihipStream_tbDpT10_ENKUlT_T0_E_clISt17integral_constantIbLb0EES15_IbLb1EEEEDaS11_S12_EUlS11_E_NS1_11comp_targetILNS1_3genE8ELNS1_11target_archE1030ELNS1_3gpuE2ELNS1_3repE0EEENS1_30default_config_static_selectorELNS0_4arch9wavefront6targetE0EEEvT1_: ; @_ZN7rocprim17ROCPRIM_400000_NS6detail17trampoline_kernelINS0_14default_configENS1_25partition_config_selectorILNS1_17partition_subalgoE6EfNS0_10empty_typeEbEEZZNS1_14partition_implILS5_6ELb0ES3_mN6thrust23THRUST_200600_302600_NS6detail15normal_iteratorINSA_10device_ptrIfEEEEPS6_SG_NS0_5tupleIJSF_S6_EEENSH_IJSG_SG_EEES6_PlJ7is_evenIfEEEE10hipError_tPvRmT3_T4_T5_T6_T7_T9_mT8_P12ihipStream_tbDpT10_ENKUlT_T0_E_clISt17integral_constantIbLb0EES15_IbLb1EEEEDaS11_S12_EUlS11_E_NS1_11comp_targetILNS1_3genE8ELNS1_11target_archE1030ELNS1_3gpuE2ELNS1_3repE0EEENS1_30default_config_static_selectorELNS0_4arch9wavefront6targetE0EEEvT1_
; %bb.0:
	.section	.rodata,"a",@progbits
	.p2align	6, 0x0
	.amdhsa_kernel _ZN7rocprim17ROCPRIM_400000_NS6detail17trampoline_kernelINS0_14default_configENS1_25partition_config_selectorILNS1_17partition_subalgoE6EfNS0_10empty_typeEbEEZZNS1_14partition_implILS5_6ELb0ES3_mN6thrust23THRUST_200600_302600_NS6detail15normal_iteratorINSA_10device_ptrIfEEEEPS6_SG_NS0_5tupleIJSF_S6_EEENSH_IJSG_SG_EEES6_PlJ7is_evenIfEEEE10hipError_tPvRmT3_T4_T5_T6_T7_T9_mT8_P12ihipStream_tbDpT10_ENKUlT_T0_E_clISt17integral_constantIbLb0EES15_IbLb1EEEEDaS11_S12_EUlS11_E_NS1_11comp_targetILNS1_3genE8ELNS1_11target_archE1030ELNS1_3gpuE2ELNS1_3repE0EEENS1_30default_config_static_selectorELNS0_4arch9wavefront6targetE0EEEvT1_
		.amdhsa_group_segment_fixed_size 0
		.amdhsa_private_segment_fixed_size 0
		.amdhsa_kernarg_size 128
		.amdhsa_user_sgpr_count 15
		.amdhsa_user_sgpr_dispatch_ptr 0
		.amdhsa_user_sgpr_queue_ptr 0
		.amdhsa_user_sgpr_kernarg_segment_ptr 1
		.amdhsa_user_sgpr_dispatch_id 0
		.amdhsa_user_sgpr_private_segment_size 0
		.amdhsa_wavefront_size32 1
		.amdhsa_uses_dynamic_stack 0
		.amdhsa_enable_private_segment 0
		.amdhsa_system_sgpr_workgroup_id_x 1
		.amdhsa_system_sgpr_workgroup_id_y 0
		.amdhsa_system_sgpr_workgroup_id_z 0
		.amdhsa_system_sgpr_workgroup_info 0
		.amdhsa_system_vgpr_workitem_id 0
		.amdhsa_next_free_vgpr 1
		.amdhsa_next_free_sgpr 1
		.amdhsa_reserve_vcc 0
		.amdhsa_float_round_mode_32 0
		.amdhsa_float_round_mode_16_64 0
		.amdhsa_float_denorm_mode_32 3
		.amdhsa_float_denorm_mode_16_64 3
		.amdhsa_dx10_clamp 1
		.amdhsa_ieee_mode 1
		.amdhsa_fp16_overflow 0
		.amdhsa_workgroup_processor_mode 1
		.amdhsa_memory_ordered 1
		.amdhsa_forward_progress 0
		.amdhsa_shared_vgpr_count 0
		.amdhsa_exception_fp_ieee_invalid_op 0
		.amdhsa_exception_fp_denorm_src 0
		.amdhsa_exception_fp_ieee_div_zero 0
		.amdhsa_exception_fp_ieee_overflow 0
		.amdhsa_exception_fp_ieee_underflow 0
		.amdhsa_exception_fp_ieee_inexact 0
		.amdhsa_exception_int_div_zero 0
	.end_amdhsa_kernel
	.section	.text._ZN7rocprim17ROCPRIM_400000_NS6detail17trampoline_kernelINS0_14default_configENS1_25partition_config_selectorILNS1_17partition_subalgoE6EfNS0_10empty_typeEbEEZZNS1_14partition_implILS5_6ELb0ES3_mN6thrust23THRUST_200600_302600_NS6detail15normal_iteratorINSA_10device_ptrIfEEEEPS6_SG_NS0_5tupleIJSF_S6_EEENSH_IJSG_SG_EEES6_PlJ7is_evenIfEEEE10hipError_tPvRmT3_T4_T5_T6_T7_T9_mT8_P12ihipStream_tbDpT10_ENKUlT_T0_E_clISt17integral_constantIbLb0EES15_IbLb1EEEEDaS11_S12_EUlS11_E_NS1_11comp_targetILNS1_3genE8ELNS1_11target_archE1030ELNS1_3gpuE2ELNS1_3repE0EEENS1_30default_config_static_selectorELNS0_4arch9wavefront6targetE0EEEvT1_,"axG",@progbits,_ZN7rocprim17ROCPRIM_400000_NS6detail17trampoline_kernelINS0_14default_configENS1_25partition_config_selectorILNS1_17partition_subalgoE6EfNS0_10empty_typeEbEEZZNS1_14partition_implILS5_6ELb0ES3_mN6thrust23THRUST_200600_302600_NS6detail15normal_iteratorINSA_10device_ptrIfEEEEPS6_SG_NS0_5tupleIJSF_S6_EEENSH_IJSG_SG_EEES6_PlJ7is_evenIfEEEE10hipError_tPvRmT3_T4_T5_T6_T7_T9_mT8_P12ihipStream_tbDpT10_ENKUlT_T0_E_clISt17integral_constantIbLb0EES15_IbLb1EEEEDaS11_S12_EUlS11_E_NS1_11comp_targetILNS1_3genE8ELNS1_11target_archE1030ELNS1_3gpuE2ELNS1_3repE0EEENS1_30default_config_static_selectorELNS0_4arch9wavefront6targetE0EEEvT1_,comdat
.Lfunc_end263:
	.size	_ZN7rocprim17ROCPRIM_400000_NS6detail17trampoline_kernelINS0_14default_configENS1_25partition_config_selectorILNS1_17partition_subalgoE6EfNS0_10empty_typeEbEEZZNS1_14partition_implILS5_6ELb0ES3_mN6thrust23THRUST_200600_302600_NS6detail15normal_iteratorINSA_10device_ptrIfEEEEPS6_SG_NS0_5tupleIJSF_S6_EEENSH_IJSG_SG_EEES6_PlJ7is_evenIfEEEE10hipError_tPvRmT3_T4_T5_T6_T7_T9_mT8_P12ihipStream_tbDpT10_ENKUlT_T0_E_clISt17integral_constantIbLb0EES15_IbLb1EEEEDaS11_S12_EUlS11_E_NS1_11comp_targetILNS1_3genE8ELNS1_11target_archE1030ELNS1_3gpuE2ELNS1_3repE0EEENS1_30default_config_static_selectorELNS0_4arch9wavefront6targetE0EEEvT1_, .Lfunc_end263-_ZN7rocprim17ROCPRIM_400000_NS6detail17trampoline_kernelINS0_14default_configENS1_25partition_config_selectorILNS1_17partition_subalgoE6EfNS0_10empty_typeEbEEZZNS1_14partition_implILS5_6ELb0ES3_mN6thrust23THRUST_200600_302600_NS6detail15normal_iteratorINSA_10device_ptrIfEEEEPS6_SG_NS0_5tupleIJSF_S6_EEENSH_IJSG_SG_EEES6_PlJ7is_evenIfEEEE10hipError_tPvRmT3_T4_T5_T6_T7_T9_mT8_P12ihipStream_tbDpT10_ENKUlT_T0_E_clISt17integral_constantIbLb0EES15_IbLb1EEEEDaS11_S12_EUlS11_E_NS1_11comp_targetILNS1_3genE8ELNS1_11target_archE1030ELNS1_3gpuE2ELNS1_3repE0EEENS1_30default_config_static_selectorELNS0_4arch9wavefront6targetE0EEEvT1_
                                        ; -- End function
	.section	.AMDGPU.csdata,"",@progbits
; Kernel info:
; codeLenInByte = 0
; NumSgprs: 0
; NumVgprs: 0
; ScratchSize: 0
; MemoryBound: 0
; FloatMode: 240
; IeeeMode: 1
; LDSByteSize: 0 bytes/workgroup (compile time only)
; SGPRBlocks: 0
; VGPRBlocks: 0
; NumSGPRsForWavesPerEU: 1
; NumVGPRsForWavesPerEU: 1
; Occupancy: 16
; WaveLimiterHint : 0
; COMPUTE_PGM_RSRC2:SCRATCH_EN: 0
; COMPUTE_PGM_RSRC2:USER_SGPR: 15
; COMPUTE_PGM_RSRC2:TRAP_HANDLER: 0
; COMPUTE_PGM_RSRC2:TGID_X_EN: 1
; COMPUTE_PGM_RSRC2:TGID_Y_EN: 0
; COMPUTE_PGM_RSRC2:TGID_Z_EN: 0
; COMPUTE_PGM_RSRC2:TIDIG_COMP_CNT: 0
	.section	.text._ZN7rocprim17ROCPRIM_400000_NS6detail17trampoline_kernelINS0_14default_configENS1_25partition_config_selectorILNS1_17partition_subalgoE6EyNS0_10empty_typeEbEEZZNS1_14partition_implILS5_6ELb0ES3_mN6thrust23THRUST_200600_302600_NS6detail15normal_iteratorINSA_10device_ptrIyEEEEPS6_SG_NS0_5tupleIJSF_S6_EEENSH_IJSG_SG_EEES6_PlJ7is_evenIyEEEE10hipError_tPvRmT3_T4_T5_T6_T7_T9_mT8_P12ihipStream_tbDpT10_ENKUlT_T0_E_clISt17integral_constantIbLb0EES16_EEDaS11_S12_EUlS11_E_NS1_11comp_targetILNS1_3genE0ELNS1_11target_archE4294967295ELNS1_3gpuE0ELNS1_3repE0EEENS1_30default_config_static_selectorELNS0_4arch9wavefront6targetE0EEEvT1_,"axG",@progbits,_ZN7rocprim17ROCPRIM_400000_NS6detail17trampoline_kernelINS0_14default_configENS1_25partition_config_selectorILNS1_17partition_subalgoE6EyNS0_10empty_typeEbEEZZNS1_14partition_implILS5_6ELb0ES3_mN6thrust23THRUST_200600_302600_NS6detail15normal_iteratorINSA_10device_ptrIyEEEEPS6_SG_NS0_5tupleIJSF_S6_EEENSH_IJSG_SG_EEES6_PlJ7is_evenIyEEEE10hipError_tPvRmT3_T4_T5_T6_T7_T9_mT8_P12ihipStream_tbDpT10_ENKUlT_T0_E_clISt17integral_constantIbLb0EES16_EEDaS11_S12_EUlS11_E_NS1_11comp_targetILNS1_3genE0ELNS1_11target_archE4294967295ELNS1_3gpuE0ELNS1_3repE0EEENS1_30default_config_static_selectorELNS0_4arch9wavefront6targetE0EEEvT1_,comdat
	.protected	_ZN7rocprim17ROCPRIM_400000_NS6detail17trampoline_kernelINS0_14default_configENS1_25partition_config_selectorILNS1_17partition_subalgoE6EyNS0_10empty_typeEbEEZZNS1_14partition_implILS5_6ELb0ES3_mN6thrust23THRUST_200600_302600_NS6detail15normal_iteratorINSA_10device_ptrIyEEEEPS6_SG_NS0_5tupleIJSF_S6_EEENSH_IJSG_SG_EEES6_PlJ7is_evenIyEEEE10hipError_tPvRmT3_T4_T5_T6_T7_T9_mT8_P12ihipStream_tbDpT10_ENKUlT_T0_E_clISt17integral_constantIbLb0EES16_EEDaS11_S12_EUlS11_E_NS1_11comp_targetILNS1_3genE0ELNS1_11target_archE4294967295ELNS1_3gpuE0ELNS1_3repE0EEENS1_30default_config_static_selectorELNS0_4arch9wavefront6targetE0EEEvT1_ ; -- Begin function _ZN7rocprim17ROCPRIM_400000_NS6detail17trampoline_kernelINS0_14default_configENS1_25partition_config_selectorILNS1_17partition_subalgoE6EyNS0_10empty_typeEbEEZZNS1_14partition_implILS5_6ELb0ES3_mN6thrust23THRUST_200600_302600_NS6detail15normal_iteratorINSA_10device_ptrIyEEEEPS6_SG_NS0_5tupleIJSF_S6_EEENSH_IJSG_SG_EEES6_PlJ7is_evenIyEEEE10hipError_tPvRmT3_T4_T5_T6_T7_T9_mT8_P12ihipStream_tbDpT10_ENKUlT_T0_E_clISt17integral_constantIbLb0EES16_EEDaS11_S12_EUlS11_E_NS1_11comp_targetILNS1_3genE0ELNS1_11target_archE4294967295ELNS1_3gpuE0ELNS1_3repE0EEENS1_30default_config_static_selectorELNS0_4arch9wavefront6targetE0EEEvT1_
	.globl	_ZN7rocprim17ROCPRIM_400000_NS6detail17trampoline_kernelINS0_14default_configENS1_25partition_config_selectorILNS1_17partition_subalgoE6EyNS0_10empty_typeEbEEZZNS1_14partition_implILS5_6ELb0ES3_mN6thrust23THRUST_200600_302600_NS6detail15normal_iteratorINSA_10device_ptrIyEEEEPS6_SG_NS0_5tupleIJSF_S6_EEENSH_IJSG_SG_EEES6_PlJ7is_evenIyEEEE10hipError_tPvRmT3_T4_T5_T6_T7_T9_mT8_P12ihipStream_tbDpT10_ENKUlT_T0_E_clISt17integral_constantIbLb0EES16_EEDaS11_S12_EUlS11_E_NS1_11comp_targetILNS1_3genE0ELNS1_11target_archE4294967295ELNS1_3gpuE0ELNS1_3repE0EEENS1_30default_config_static_selectorELNS0_4arch9wavefront6targetE0EEEvT1_
	.p2align	8
	.type	_ZN7rocprim17ROCPRIM_400000_NS6detail17trampoline_kernelINS0_14default_configENS1_25partition_config_selectorILNS1_17partition_subalgoE6EyNS0_10empty_typeEbEEZZNS1_14partition_implILS5_6ELb0ES3_mN6thrust23THRUST_200600_302600_NS6detail15normal_iteratorINSA_10device_ptrIyEEEEPS6_SG_NS0_5tupleIJSF_S6_EEENSH_IJSG_SG_EEES6_PlJ7is_evenIyEEEE10hipError_tPvRmT3_T4_T5_T6_T7_T9_mT8_P12ihipStream_tbDpT10_ENKUlT_T0_E_clISt17integral_constantIbLb0EES16_EEDaS11_S12_EUlS11_E_NS1_11comp_targetILNS1_3genE0ELNS1_11target_archE4294967295ELNS1_3gpuE0ELNS1_3repE0EEENS1_30default_config_static_selectorELNS0_4arch9wavefront6targetE0EEEvT1_,@function
_ZN7rocprim17ROCPRIM_400000_NS6detail17trampoline_kernelINS0_14default_configENS1_25partition_config_selectorILNS1_17partition_subalgoE6EyNS0_10empty_typeEbEEZZNS1_14partition_implILS5_6ELb0ES3_mN6thrust23THRUST_200600_302600_NS6detail15normal_iteratorINSA_10device_ptrIyEEEEPS6_SG_NS0_5tupleIJSF_S6_EEENSH_IJSG_SG_EEES6_PlJ7is_evenIyEEEE10hipError_tPvRmT3_T4_T5_T6_T7_T9_mT8_P12ihipStream_tbDpT10_ENKUlT_T0_E_clISt17integral_constantIbLb0EES16_EEDaS11_S12_EUlS11_E_NS1_11comp_targetILNS1_3genE0ELNS1_11target_archE4294967295ELNS1_3gpuE0ELNS1_3repE0EEENS1_30default_config_static_selectorELNS0_4arch9wavefront6targetE0EEEvT1_: ; @_ZN7rocprim17ROCPRIM_400000_NS6detail17trampoline_kernelINS0_14default_configENS1_25partition_config_selectorILNS1_17partition_subalgoE6EyNS0_10empty_typeEbEEZZNS1_14partition_implILS5_6ELb0ES3_mN6thrust23THRUST_200600_302600_NS6detail15normal_iteratorINSA_10device_ptrIyEEEEPS6_SG_NS0_5tupleIJSF_S6_EEENSH_IJSG_SG_EEES6_PlJ7is_evenIyEEEE10hipError_tPvRmT3_T4_T5_T6_T7_T9_mT8_P12ihipStream_tbDpT10_ENKUlT_T0_E_clISt17integral_constantIbLb0EES16_EEDaS11_S12_EUlS11_E_NS1_11comp_targetILNS1_3genE0ELNS1_11target_archE4294967295ELNS1_3gpuE0ELNS1_3repE0EEENS1_30default_config_static_selectorELNS0_4arch9wavefront6targetE0EEEvT1_
; %bb.0:
	.section	.rodata,"a",@progbits
	.p2align	6, 0x0
	.amdhsa_kernel _ZN7rocprim17ROCPRIM_400000_NS6detail17trampoline_kernelINS0_14default_configENS1_25partition_config_selectorILNS1_17partition_subalgoE6EyNS0_10empty_typeEbEEZZNS1_14partition_implILS5_6ELb0ES3_mN6thrust23THRUST_200600_302600_NS6detail15normal_iteratorINSA_10device_ptrIyEEEEPS6_SG_NS0_5tupleIJSF_S6_EEENSH_IJSG_SG_EEES6_PlJ7is_evenIyEEEE10hipError_tPvRmT3_T4_T5_T6_T7_T9_mT8_P12ihipStream_tbDpT10_ENKUlT_T0_E_clISt17integral_constantIbLb0EES16_EEDaS11_S12_EUlS11_E_NS1_11comp_targetILNS1_3genE0ELNS1_11target_archE4294967295ELNS1_3gpuE0ELNS1_3repE0EEENS1_30default_config_static_selectorELNS0_4arch9wavefront6targetE0EEEvT1_
		.amdhsa_group_segment_fixed_size 0
		.amdhsa_private_segment_fixed_size 0
		.amdhsa_kernarg_size 112
		.amdhsa_user_sgpr_count 15
		.amdhsa_user_sgpr_dispatch_ptr 0
		.amdhsa_user_sgpr_queue_ptr 0
		.amdhsa_user_sgpr_kernarg_segment_ptr 1
		.amdhsa_user_sgpr_dispatch_id 0
		.amdhsa_user_sgpr_private_segment_size 0
		.amdhsa_wavefront_size32 1
		.amdhsa_uses_dynamic_stack 0
		.amdhsa_enable_private_segment 0
		.amdhsa_system_sgpr_workgroup_id_x 1
		.amdhsa_system_sgpr_workgroup_id_y 0
		.amdhsa_system_sgpr_workgroup_id_z 0
		.amdhsa_system_sgpr_workgroup_info 0
		.amdhsa_system_vgpr_workitem_id 0
		.amdhsa_next_free_vgpr 1
		.amdhsa_next_free_sgpr 1
		.amdhsa_reserve_vcc 0
		.amdhsa_float_round_mode_32 0
		.amdhsa_float_round_mode_16_64 0
		.amdhsa_float_denorm_mode_32 3
		.amdhsa_float_denorm_mode_16_64 3
		.amdhsa_dx10_clamp 1
		.amdhsa_ieee_mode 1
		.amdhsa_fp16_overflow 0
		.amdhsa_workgroup_processor_mode 1
		.amdhsa_memory_ordered 1
		.amdhsa_forward_progress 0
		.amdhsa_shared_vgpr_count 0
		.amdhsa_exception_fp_ieee_invalid_op 0
		.amdhsa_exception_fp_denorm_src 0
		.amdhsa_exception_fp_ieee_div_zero 0
		.amdhsa_exception_fp_ieee_overflow 0
		.amdhsa_exception_fp_ieee_underflow 0
		.amdhsa_exception_fp_ieee_inexact 0
		.amdhsa_exception_int_div_zero 0
	.end_amdhsa_kernel
	.section	.text._ZN7rocprim17ROCPRIM_400000_NS6detail17trampoline_kernelINS0_14default_configENS1_25partition_config_selectorILNS1_17partition_subalgoE6EyNS0_10empty_typeEbEEZZNS1_14partition_implILS5_6ELb0ES3_mN6thrust23THRUST_200600_302600_NS6detail15normal_iteratorINSA_10device_ptrIyEEEEPS6_SG_NS0_5tupleIJSF_S6_EEENSH_IJSG_SG_EEES6_PlJ7is_evenIyEEEE10hipError_tPvRmT3_T4_T5_T6_T7_T9_mT8_P12ihipStream_tbDpT10_ENKUlT_T0_E_clISt17integral_constantIbLb0EES16_EEDaS11_S12_EUlS11_E_NS1_11comp_targetILNS1_3genE0ELNS1_11target_archE4294967295ELNS1_3gpuE0ELNS1_3repE0EEENS1_30default_config_static_selectorELNS0_4arch9wavefront6targetE0EEEvT1_,"axG",@progbits,_ZN7rocprim17ROCPRIM_400000_NS6detail17trampoline_kernelINS0_14default_configENS1_25partition_config_selectorILNS1_17partition_subalgoE6EyNS0_10empty_typeEbEEZZNS1_14partition_implILS5_6ELb0ES3_mN6thrust23THRUST_200600_302600_NS6detail15normal_iteratorINSA_10device_ptrIyEEEEPS6_SG_NS0_5tupleIJSF_S6_EEENSH_IJSG_SG_EEES6_PlJ7is_evenIyEEEE10hipError_tPvRmT3_T4_T5_T6_T7_T9_mT8_P12ihipStream_tbDpT10_ENKUlT_T0_E_clISt17integral_constantIbLb0EES16_EEDaS11_S12_EUlS11_E_NS1_11comp_targetILNS1_3genE0ELNS1_11target_archE4294967295ELNS1_3gpuE0ELNS1_3repE0EEENS1_30default_config_static_selectorELNS0_4arch9wavefront6targetE0EEEvT1_,comdat
.Lfunc_end264:
	.size	_ZN7rocprim17ROCPRIM_400000_NS6detail17trampoline_kernelINS0_14default_configENS1_25partition_config_selectorILNS1_17partition_subalgoE6EyNS0_10empty_typeEbEEZZNS1_14partition_implILS5_6ELb0ES3_mN6thrust23THRUST_200600_302600_NS6detail15normal_iteratorINSA_10device_ptrIyEEEEPS6_SG_NS0_5tupleIJSF_S6_EEENSH_IJSG_SG_EEES6_PlJ7is_evenIyEEEE10hipError_tPvRmT3_T4_T5_T6_T7_T9_mT8_P12ihipStream_tbDpT10_ENKUlT_T0_E_clISt17integral_constantIbLb0EES16_EEDaS11_S12_EUlS11_E_NS1_11comp_targetILNS1_3genE0ELNS1_11target_archE4294967295ELNS1_3gpuE0ELNS1_3repE0EEENS1_30default_config_static_selectorELNS0_4arch9wavefront6targetE0EEEvT1_, .Lfunc_end264-_ZN7rocprim17ROCPRIM_400000_NS6detail17trampoline_kernelINS0_14default_configENS1_25partition_config_selectorILNS1_17partition_subalgoE6EyNS0_10empty_typeEbEEZZNS1_14partition_implILS5_6ELb0ES3_mN6thrust23THRUST_200600_302600_NS6detail15normal_iteratorINSA_10device_ptrIyEEEEPS6_SG_NS0_5tupleIJSF_S6_EEENSH_IJSG_SG_EEES6_PlJ7is_evenIyEEEE10hipError_tPvRmT3_T4_T5_T6_T7_T9_mT8_P12ihipStream_tbDpT10_ENKUlT_T0_E_clISt17integral_constantIbLb0EES16_EEDaS11_S12_EUlS11_E_NS1_11comp_targetILNS1_3genE0ELNS1_11target_archE4294967295ELNS1_3gpuE0ELNS1_3repE0EEENS1_30default_config_static_selectorELNS0_4arch9wavefront6targetE0EEEvT1_
                                        ; -- End function
	.section	.AMDGPU.csdata,"",@progbits
; Kernel info:
; codeLenInByte = 0
; NumSgprs: 0
; NumVgprs: 0
; ScratchSize: 0
; MemoryBound: 0
; FloatMode: 240
; IeeeMode: 1
; LDSByteSize: 0 bytes/workgroup (compile time only)
; SGPRBlocks: 0
; VGPRBlocks: 0
; NumSGPRsForWavesPerEU: 1
; NumVGPRsForWavesPerEU: 1
; Occupancy: 16
; WaveLimiterHint : 0
; COMPUTE_PGM_RSRC2:SCRATCH_EN: 0
; COMPUTE_PGM_RSRC2:USER_SGPR: 15
; COMPUTE_PGM_RSRC2:TRAP_HANDLER: 0
; COMPUTE_PGM_RSRC2:TGID_X_EN: 1
; COMPUTE_PGM_RSRC2:TGID_Y_EN: 0
; COMPUTE_PGM_RSRC2:TGID_Z_EN: 0
; COMPUTE_PGM_RSRC2:TIDIG_COMP_CNT: 0
	.section	.text._ZN7rocprim17ROCPRIM_400000_NS6detail17trampoline_kernelINS0_14default_configENS1_25partition_config_selectorILNS1_17partition_subalgoE6EyNS0_10empty_typeEbEEZZNS1_14partition_implILS5_6ELb0ES3_mN6thrust23THRUST_200600_302600_NS6detail15normal_iteratorINSA_10device_ptrIyEEEEPS6_SG_NS0_5tupleIJSF_S6_EEENSH_IJSG_SG_EEES6_PlJ7is_evenIyEEEE10hipError_tPvRmT3_T4_T5_T6_T7_T9_mT8_P12ihipStream_tbDpT10_ENKUlT_T0_E_clISt17integral_constantIbLb0EES16_EEDaS11_S12_EUlS11_E_NS1_11comp_targetILNS1_3genE5ELNS1_11target_archE942ELNS1_3gpuE9ELNS1_3repE0EEENS1_30default_config_static_selectorELNS0_4arch9wavefront6targetE0EEEvT1_,"axG",@progbits,_ZN7rocprim17ROCPRIM_400000_NS6detail17trampoline_kernelINS0_14default_configENS1_25partition_config_selectorILNS1_17partition_subalgoE6EyNS0_10empty_typeEbEEZZNS1_14partition_implILS5_6ELb0ES3_mN6thrust23THRUST_200600_302600_NS6detail15normal_iteratorINSA_10device_ptrIyEEEEPS6_SG_NS0_5tupleIJSF_S6_EEENSH_IJSG_SG_EEES6_PlJ7is_evenIyEEEE10hipError_tPvRmT3_T4_T5_T6_T7_T9_mT8_P12ihipStream_tbDpT10_ENKUlT_T0_E_clISt17integral_constantIbLb0EES16_EEDaS11_S12_EUlS11_E_NS1_11comp_targetILNS1_3genE5ELNS1_11target_archE942ELNS1_3gpuE9ELNS1_3repE0EEENS1_30default_config_static_selectorELNS0_4arch9wavefront6targetE0EEEvT1_,comdat
	.protected	_ZN7rocprim17ROCPRIM_400000_NS6detail17trampoline_kernelINS0_14default_configENS1_25partition_config_selectorILNS1_17partition_subalgoE6EyNS0_10empty_typeEbEEZZNS1_14partition_implILS5_6ELb0ES3_mN6thrust23THRUST_200600_302600_NS6detail15normal_iteratorINSA_10device_ptrIyEEEEPS6_SG_NS0_5tupleIJSF_S6_EEENSH_IJSG_SG_EEES6_PlJ7is_evenIyEEEE10hipError_tPvRmT3_T4_T5_T6_T7_T9_mT8_P12ihipStream_tbDpT10_ENKUlT_T0_E_clISt17integral_constantIbLb0EES16_EEDaS11_S12_EUlS11_E_NS1_11comp_targetILNS1_3genE5ELNS1_11target_archE942ELNS1_3gpuE9ELNS1_3repE0EEENS1_30default_config_static_selectorELNS0_4arch9wavefront6targetE0EEEvT1_ ; -- Begin function _ZN7rocprim17ROCPRIM_400000_NS6detail17trampoline_kernelINS0_14default_configENS1_25partition_config_selectorILNS1_17partition_subalgoE6EyNS0_10empty_typeEbEEZZNS1_14partition_implILS5_6ELb0ES3_mN6thrust23THRUST_200600_302600_NS6detail15normal_iteratorINSA_10device_ptrIyEEEEPS6_SG_NS0_5tupleIJSF_S6_EEENSH_IJSG_SG_EEES6_PlJ7is_evenIyEEEE10hipError_tPvRmT3_T4_T5_T6_T7_T9_mT8_P12ihipStream_tbDpT10_ENKUlT_T0_E_clISt17integral_constantIbLb0EES16_EEDaS11_S12_EUlS11_E_NS1_11comp_targetILNS1_3genE5ELNS1_11target_archE942ELNS1_3gpuE9ELNS1_3repE0EEENS1_30default_config_static_selectorELNS0_4arch9wavefront6targetE0EEEvT1_
	.globl	_ZN7rocprim17ROCPRIM_400000_NS6detail17trampoline_kernelINS0_14default_configENS1_25partition_config_selectorILNS1_17partition_subalgoE6EyNS0_10empty_typeEbEEZZNS1_14partition_implILS5_6ELb0ES3_mN6thrust23THRUST_200600_302600_NS6detail15normal_iteratorINSA_10device_ptrIyEEEEPS6_SG_NS0_5tupleIJSF_S6_EEENSH_IJSG_SG_EEES6_PlJ7is_evenIyEEEE10hipError_tPvRmT3_T4_T5_T6_T7_T9_mT8_P12ihipStream_tbDpT10_ENKUlT_T0_E_clISt17integral_constantIbLb0EES16_EEDaS11_S12_EUlS11_E_NS1_11comp_targetILNS1_3genE5ELNS1_11target_archE942ELNS1_3gpuE9ELNS1_3repE0EEENS1_30default_config_static_selectorELNS0_4arch9wavefront6targetE0EEEvT1_
	.p2align	8
	.type	_ZN7rocprim17ROCPRIM_400000_NS6detail17trampoline_kernelINS0_14default_configENS1_25partition_config_selectorILNS1_17partition_subalgoE6EyNS0_10empty_typeEbEEZZNS1_14partition_implILS5_6ELb0ES3_mN6thrust23THRUST_200600_302600_NS6detail15normal_iteratorINSA_10device_ptrIyEEEEPS6_SG_NS0_5tupleIJSF_S6_EEENSH_IJSG_SG_EEES6_PlJ7is_evenIyEEEE10hipError_tPvRmT3_T4_T5_T6_T7_T9_mT8_P12ihipStream_tbDpT10_ENKUlT_T0_E_clISt17integral_constantIbLb0EES16_EEDaS11_S12_EUlS11_E_NS1_11comp_targetILNS1_3genE5ELNS1_11target_archE942ELNS1_3gpuE9ELNS1_3repE0EEENS1_30default_config_static_selectorELNS0_4arch9wavefront6targetE0EEEvT1_,@function
_ZN7rocprim17ROCPRIM_400000_NS6detail17trampoline_kernelINS0_14default_configENS1_25partition_config_selectorILNS1_17partition_subalgoE6EyNS0_10empty_typeEbEEZZNS1_14partition_implILS5_6ELb0ES3_mN6thrust23THRUST_200600_302600_NS6detail15normal_iteratorINSA_10device_ptrIyEEEEPS6_SG_NS0_5tupleIJSF_S6_EEENSH_IJSG_SG_EEES6_PlJ7is_evenIyEEEE10hipError_tPvRmT3_T4_T5_T6_T7_T9_mT8_P12ihipStream_tbDpT10_ENKUlT_T0_E_clISt17integral_constantIbLb0EES16_EEDaS11_S12_EUlS11_E_NS1_11comp_targetILNS1_3genE5ELNS1_11target_archE942ELNS1_3gpuE9ELNS1_3repE0EEENS1_30default_config_static_selectorELNS0_4arch9wavefront6targetE0EEEvT1_: ; @_ZN7rocprim17ROCPRIM_400000_NS6detail17trampoline_kernelINS0_14default_configENS1_25partition_config_selectorILNS1_17partition_subalgoE6EyNS0_10empty_typeEbEEZZNS1_14partition_implILS5_6ELb0ES3_mN6thrust23THRUST_200600_302600_NS6detail15normal_iteratorINSA_10device_ptrIyEEEEPS6_SG_NS0_5tupleIJSF_S6_EEENSH_IJSG_SG_EEES6_PlJ7is_evenIyEEEE10hipError_tPvRmT3_T4_T5_T6_T7_T9_mT8_P12ihipStream_tbDpT10_ENKUlT_T0_E_clISt17integral_constantIbLb0EES16_EEDaS11_S12_EUlS11_E_NS1_11comp_targetILNS1_3genE5ELNS1_11target_archE942ELNS1_3gpuE9ELNS1_3repE0EEENS1_30default_config_static_selectorELNS0_4arch9wavefront6targetE0EEEvT1_
; %bb.0:
	.section	.rodata,"a",@progbits
	.p2align	6, 0x0
	.amdhsa_kernel _ZN7rocprim17ROCPRIM_400000_NS6detail17trampoline_kernelINS0_14default_configENS1_25partition_config_selectorILNS1_17partition_subalgoE6EyNS0_10empty_typeEbEEZZNS1_14partition_implILS5_6ELb0ES3_mN6thrust23THRUST_200600_302600_NS6detail15normal_iteratorINSA_10device_ptrIyEEEEPS6_SG_NS0_5tupleIJSF_S6_EEENSH_IJSG_SG_EEES6_PlJ7is_evenIyEEEE10hipError_tPvRmT3_T4_T5_T6_T7_T9_mT8_P12ihipStream_tbDpT10_ENKUlT_T0_E_clISt17integral_constantIbLb0EES16_EEDaS11_S12_EUlS11_E_NS1_11comp_targetILNS1_3genE5ELNS1_11target_archE942ELNS1_3gpuE9ELNS1_3repE0EEENS1_30default_config_static_selectorELNS0_4arch9wavefront6targetE0EEEvT1_
		.amdhsa_group_segment_fixed_size 0
		.amdhsa_private_segment_fixed_size 0
		.amdhsa_kernarg_size 112
		.amdhsa_user_sgpr_count 15
		.amdhsa_user_sgpr_dispatch_ptr 0
		.amdhsa_user_sgpr_queue_ptr 0
		.amdhsa_user_sgpr_kernarg_segment_ptr 1
		.amdhsa_user_sgpr_dispatch_id 0
		.amdhsa_user_sgpr_private_segment_size 0
		.amdhsa_wavefront_size32 1
		.amdhsa_uses_dynamic_stack 0
		.amdhsa_enable_private_segment 0
		.amdhsa_system_sgpr_workgroup_id_x 1
		.amdhsa_system_sgpr_workgroup_id_y 0
		.amdhsa_system_sgpr_workgroup_id_z 0
		.amdhsa_system_sgpr_workgroup_info 0
		.amdhsa_system_vgpr_workitem_id 0
		.amdhsa_next_free_vgpr 1
		.amdhsa_next_free_sgpr 1
		.amdhsa_reserve_vcc 0
		.amdhsa_float_round_mode_32 0
		.amdhsa_float_round_mode_16_64 0
		.amdhsa_float_denorm_mode_32 3
		.amdhsa_float_denorm_mode_16_64 3
		.amdhsa_dx10_clamp 1
		.amdhsa_ieee_mode 1
		.amdhsa_fp16_overflow 0
		.amdhsa_workgroup_processor_mode 1
		.amdhsa_memory_ordered 1
		.amdhsa_forward_progress 0
		.amdhsa_shared_vgpr_count 0
		.amdhsa_exception_fp_ieee_invalid_op 0
		.amdhsa_exception_fp_denorm_src 0
		.amdhsa_exception_fp_ieee_div_zero 0
		.amdhsa_exception_fp_ieee_overflow 0
		.amdhsa_exception_fp_ieee_underflow 0
		.amdhsa_exception_fp_ieee_inexact 0
		.amdhsa_exception_int_div_zero 0
	.end_amdhsa_kernel
	.section	.text._ZN7rocprim17ROCPRIM_400000_NS6detail17trampoline_kernelINS0_14default_configENS1_25partition_config_selectorILNS1_17partition_subalgoE6EyNS0_10empty_typeEbEEZZNS1_14partition_implILS5_6ELb0ES3_mN6thrust23THRUST_200600_302600_NS6detail15normal_iteratorINSA_10device_ptrIyEEEEPS6_SG_NS0_5tupleIJSF_S6_EEENSH_IJSG_SG_EEES6_PlJ7is_evenIyEEEE10hipError_tPvRmT3_T4_T5_T6_T7_T9_mT8_P12ihipStream_tbDpT10_ENKUlT_T0_E_clISt17integral_constantIbLb0EES16_EEDaS11_S12_EUlS11_E_NS1_11comp_targetILNS1_3genE5ELNS1_11target_archE942ELNS1_3gpuE9ELNS1_3repE0EEENS1_30default_config_static_selectorELNS0_4arch9wavefront6targetE0EEEvT1_,"axG",@progbits,_ZN7rocprim17ROCPRIM_400000_NS6detail17trampoline_kernelINS0_14default_configENS1_25partition_config_selectorILNS1_17partition_subalgoE6EyNS0_10empty_typeEbEEZZNS1_14partition_implILS5_6ELb0ES3_mN6thrust23THRUST_200600_302600_NS6detail15normal_iteratorINSA_10device_ptrIyEEEEPS6_SG_NS0_5tupleIJSF_S6_EEENSH_IJSG_SG_EEES6_PlJ7is_evenIyEEEE10hipError_tPvRmT3_T4_T5_T6_T7_T9_mT8_P12ihipStream_tbDpT10_ENKUlT_T0_E_clISt17integral_constantIbLb0EES16_EEDaS11_S12_EUlS11_E_NS1_11comp_targetILNS1_3genE5ELNS1_11target_archE942ELNS1_3gpuE9ELNS1_3repE0EEENS1_30default_config_static_selectorELNS0_4arch9wavefront6targetE0EEEvT1_,comdat
.Lfunc_end265:
	.size	_ZN7rocprim17ROCPRIM_400000_NS6detail17trampoline_kernelINS0_14default_configENS1_25partition_config_selectorILNS1_17partition_subalgoE6EyNS0_10empty_typeEbEEZZNS1_14partition_implILS5_6ELb0ES3_mN6thrust23THRUST_200600_302600_NS6detail15normal_iteratorINSA_10device_ptrIyEEEEPS6_SG_NS0_5tupleIJSF_S6_EEENSH_IJSG_SG_EEES6_PlJ7is_evenIyEEEE10hipError_tPvRmT3_T4_T5_T6_T7_T9_mT8_P12ihipStream_tbDpT10_ENKUlT_T0_E_clISt17integral_constantIbLb0EES16_EEDaS11_S12_EUlS11_E_NS1_11comp_targetILNS1_3genE5ELNS1_11target_archE942ELNS1_3gpuE9ELNS1_3repE0EEENS1_30default_config_static_selectorELNS0_4arch9wavefront6targetE0EEEvT1_, .Lfunc_end265-_ZN7rocprim17ROCPRIM_400000_NS6detail17trampoline_kernelINS0_14default_configENS1_25partition_config_selectorILNS1_17partition_subalgoE6EyNS0_10empty_typeEbEEZZNS1_14partition_implILS5_6ELb0ES3_mN6thrust23THRUST_200600_302600_NS6detail15normal_iteratorINSA_10device_ptrIyEEEEPS6_SG_NS0_5tupleIJSF_S6_EEENSH_IJSG_SG_EEES6_PlJ7is_evenIyEEEE10hipError_tPvRmT3_T4_T5_T6_T7_T9_mT8_P12ihipStream_tbDpT10_ENKUlT_T0_E_clISt17integral_constantIbLb0EES16_EEDaS11_S12_EUlS11_E_NS1_11comp_targetILNS1_3genE5ELNS1_11target_archE942ELNS1_3gpuE9ELNS1_3repE0EEENS1_30default_config_static_selectorELNS0_4arch9wavefront6targetE0EEEvT1_
                                        ; -- End function
	.section	.AMDGPU.csdata,"",@progbits
; Kernel info:
; codeLenInByte = 0
; NumSgprs: 0
; NumVgprs: 0
; ScratchSize: 0
; MemoryBound: 0
; FloatMode: 240
; IeeeMode: 1
; LDSByteSize: 0 bytes/workgroup (compile time only)
; SGPRBlocks: 0
; VGPRBlocks: 0
; NumSGPRsForWavesPerEU: 1
; NumVGPRsForWavesPerEU: 1
; Occupancy: 16
; WaveLimiterHint : 0
; COMPUTE_PGM_RSRC2:SCRATCH_EN: 0
; COMPUTE_PGM_RSRC2:USER_SGPR: 15
; COMPUTE_PGM_RSRC2:TRAP_HANDLER: 0
; COMPUTE_PGM_RSRC2:TGID_X_EN: 1
; COMPUTE_PGM_RSRC2:TGID_Y_EN: 0
; COMPUTE_PGM_RSRC2:TGID_Z_EN: 0
; COMPUTE_PGM_RSRC2:TIDIG_COMP_CNT: 0
	.section	.text._ZN7rocprim17ROCPRIM_400000_NS6detail17trampoline_kernelINS0_14default_configENS1_25partition_config_selectorILNS1_17partition_subalgoE6EyNS0_10empty_typeEbEEZZNS1_14partition_implILS5_6ELb0ES3_mN6thrust23THRUST_200600_302600_NS6detail15normal_iteratorINSA_10device_ptrIyEEEEPS6_SG_NS0_5tupleIJSF_S6_EEENSH_IJSG_SG_EEES6_PlJ7is_evenIyEEEE10hipError_tPvRmT3_T4_T5_T6_T7_T9_mT8_P12ihipStream_tbDpT10_ENKUlT_T0_E_clISt17integral_constantIbLb0EES16_EEDaS11_S12_EUlS11_E_NS1_11comp_targetILNS1_3genE4ELNS1_11target_archE910ELNS1_3gpuE8ELNS1_3repE0EEENS1_30default_config_static_selectorELNS0_4arch9wavefront6targetE0EEEvT1_,"axG",@progbits,_ZN7rocprim17ROCPRIM_400000_NS6detail17trampoline_kernelINS0_14default_configENS1_25partition_config_selectorILNS1_17partition_subalgoE6EyNS0_10empty_typeEbEEZZNS1_14partition_implILS5_6ELb0ES3_mN6thrust23THRUST_200600_302600_NS6detail15normal_iteratorINSA_10device_ptrIyEEEEPS6_SG_NS0_5tupleIJSF_S6_EEENSH_IJSG_SG_EEES6_PlJ7is_evenIyEEEE10hipError_tPvRmT3_T4_T5_T6_T7_T9_mT8_P12ihipStream_tbDpT10_ENKUlT_T0_E_clISt17integral_constantIbLb0EES16_EEDaS11_S12_EUlS11_E_NS1_11comp_targetILNS1_3genE4ELNS1_11target_archE910ELNS1_3gpuE8ELNS1_3repE0EEENS1_30default_config_static_selectorELNS0_4arch9wavefront6targetE0EEEvT1_,comdat
	.protected	_ZN7rocprim17ROCPRIM_400000_NS6detail17trampoline_kernelINS0_14default_configENS1_25partition_config_selectorILNS1_17partition_subalgoE6EyNS0_10empty_typeEbEEZZNS1_14partition_implILS5_6ELb0ES3_mN6thrust23THRUST_200600_302600_NS6detail15normal_iteratorINSA_10device_ptrIyEEEEPS6_SG_NS0_5tupleIJSF_S6_EEENSH_IJSG_SG_EEES6_PlJ7is_evenIyEEEE10hipError_tPvRmT3_T4_T5_T6_T7_T9_mT8_P12ihipStream_tbDpT10_ENKUlT_T0_E_clISt17integral_constantIbLb0EES16_EEDaS11_S12_EUlS11_E_NS1_11comp_targetILNS1_3genE4ELNS1_11target_archE910ELNS1_3gpuE8ELNS1_3repE0EEENS1_30default_config_static_selectorELNS0_4arch9wavefront6targetE0EEEvT1_ ; -- Begin function _ZN7rocprim17ROCPRIM_400000_NS6detail17trampoline_kernelINS0_14default_configENS1_25partition_config_selectorILNS1_17partition_subalgoE6EyNS0_10empty_typeEbEEZZNS1_14partition_implILS5_6ELb0ES3_mN6thrust23THRUST_200600_302600_NS6detail15normal_iteratorINSA_10device_ptrIyEEEEPS6_SG_NS0_5tupleIJSF_S6_EEENSH_IJSG_SG_EEES6_PlJ7is_evenIyEEEE10hipError_tPvRmT3_T4_T5_T6_T7_T9_mT8_P12ihipStream_tbDpT10_ENKUlT_T0_E_clISt17integral_constantIbLb0EES16_EEDaS11_S12_EUlS11_E_NS1_11comp_targetILNS1_3genE4ELNS1_11target_archE910ELNS1_3gpuE8ELNS1_3repE0EEENS1_30default_config_static_selectorELNS0_4arch9wavefront6targetE0EEEvT1_
	.globl	_ZN7rocprim17ROCPRIM_400000_NS6detail17trampoline_kernelINS0_14default_configENS1_25partition_config_selectorILNS1_17partition_subalgoE6EyNS0_10empty_typeEbEEZZNS1_14partition_implILS5_6ELb0ES3_mN6thrust23THRUST_200600_302600_NS6detail15normal_iteratorINSA_10device_ptrIyEEEEPS6_SG_NS0_5tupleIJSF_S6_EEENSH_IJSG_SG_EEES6_PlJ7is_evenIyEEEE10hipError_tPvRmT3_T4_T5_T6_T7_T9_mT8_P12ihipStream_tbDpT10_ENKUlT_T0_E_clISt17integral_constantIbLb0EES16_EEDaS11_S12_EUlS11_E_NS1_11comp_targetILNS1_3genE4ELNS1_11target_archE910ELNS1_3gpuE8ELNS1_3repE0EEENS1_30default_config_static_selectorELNS0_4arch9wavefront6targetE0EEEvT1_
	.p2align	8
	.type	_ZN7rocprim17ROCPRIM_400000_NS6detail17trampoline_kernelINS0_14default_configENS1_25partition_config_selectorILNS1_17partition_subalgoE6EyNS0_10empty_typeEbEEZZNS1_14partition_implILS5_6ELb0ES3_mN6thrust23THRUST_200600_302600_NS6detail15normal_iteratorINSA_10device_ptrIyEEEEPS6_SG_NS0_5tupleIJSF_S6_EEENSH_IJSG_SG_EEES6_PlJ7is_evenIyEEEE10hipError_tPvRmT3_T4_T5_T6_T7_T9_mT8_P12ihipStream_tbDpT10_ENKUlT_T0_E_clISt17integral_constantIbLb0EES16_EEDaS11_S12_EUlS11_E_NS1_11comp_targetILNS1_3genE4ELNS1_11target_archE910ELNS1_3gpuE8ELNS1_3repE0EEENS1_30default_config_static_selectorELNS0_4arch9wavefront6targetE0EEEvT1_,@function
_ZN7rocprim17ROCPRIM_400000_NS6detail17trampoline_kernelINS0_14default_configENS1_25partition_config_selectorILNS1_17partition_subalgoE6EyNS0_10empty_typeEbEEZZNS1_14partition_implILS5_6ELb0ES3_mN6thrust23THRUST_200600_302600_NS6detail15normal_iteratorINSA_10device_ptrIyEEEEPS6_SG_NS0_5tupleIJSF_S6_EEENSH_IJSG_SG_EEES6_PlJ7is_evenIyEEEE10hipError_tPvRmT3_T4_T5_T6_T7_T9_mT8_P12ihipStream_tbDpT10_ENKUlT_T0_E_clISt17integral_constantIbLb0EES16_EEDaS11_S12_EUlS11_E_NS1_11comp_targetILNS1_3genE4ELNS1_11target_archE910ELNS1_3gpuE8ELNS1_3repE0EEENS1_30default_config_static_selectorELNS0_4arch9wavefront6targetE0EEEvT1_: ; @_ZN7rocprim17ROCPRIM_400000_NS6detail17trampoline_kernelINS0_14default_configENS1_25partition_config_selectorILNS1_17partition_subalgoE6EyNS0_10empty_typeEbEEZZNS1_14partition_implILS5_6ELb0ES3_mN6thrust23THRUST_200600_302600_NS6detail15normal_iteratorINSA_10device_ptrIyEEEEPS6_SG_NS0_5tupleIJSF_S6_EEENSH_IJSG_SG_EEES6_PlJ7is_evenIyEEEE10hipError_tPvRmT3_T4_T5_T6_T7_T9_mT8_P12ihipStream_tbDpT10_ENKUlT_T0_E_clISt17integral_constantIbLb0EES16_EEDaS11_S12_EUlS11_E_NS1_11comp_targetILNS1_3genE4ELNS1_11target_archE910ELNS1_3gpuE8ELNS1_3repE0EEENS1_30default_config_static_selectorELNS0_4arch9wavefront6targetE0EEEvT1_
; %bb.0:
	.section	.rodata,"a",@progbits
	.p2align	6, 0x0
	.amdhsa_kernel _ZN7rocprim17ROCPRIM_400000_NS6detail17trampoline_kernelINS0_14default_configENS1_25partition_config_selectorILNS1_17partition_subalgoE6EyNS0_10empty_typeEbEEZZNS1_14partition_implILS5_6ELb0ES3_mN6thrust23THRUST_200600_302600_NS6detail15normal_iteratorINSA_10device_ptrIyEEEEPS6_SG_NS0_5tupleIJSF_S6_EEENSH_IJSG_SG_EEES6_PlJ7is_evenIyEEEE10hipError_tPvRmT3_T4_T5_T6_T7_T9_mT8_P12ihipStream_tbDpT10_ENKUlT_T0_E_clISt17integral_constantIbLb0EES16_EEDaS11_S12_EUlS11_E_NS1_11comp_targetILNS1_3genE4ELNS1_11target_archE910ELNS1_3gpuE8ELNS1_3repE0EEENS1_30default_config_static_selectorELNS0_4arch9wavefront6targetE0EEEvT1_
		.amdhsa_group_segment_fixed_size 0
		.amdhsa_private_segment_fixed_size 0
		.amdhsa_kernarg_size 112
		.amdhsa_user_sgpr_count 15
		.amdhsa_user_sgpr_dispatch_ptr 0
		.amdhsa_user_sgpr_queue_ptr 0
		.amdhsa_user_sgpr_kernarg_segment_ptr 1
		.amdhsa_user_sgpr_dispatch_id 0
		.amdhsa_user_sgpr_private_segment_size 0
		.amdhsa_wavefront_size32 1
		.amdhsa_uses_dynamic_stack 0
		.amdhsa_enable_private_segment 0
		.amdhsa_system_sgpr_workgroup_id_x 1
		.amdhsa_system_sgpr_workgroup_id_y 0
		.amdhsa_system_sgpr_workgroup_id_z 0
		.amdhsa_system_sgpr_workgroup_info 0
		.amdhsa_system_vgpr_workitem_id 0
		.amdhsa_next_free_vgpr 1
		.amdhsa_next_free_sgpr 1
		.amdhsa_reserve_vcc 0
		.amdhsa_float_round_mode_32 0
		.amdhsa_float_round_mode_16_64 0
		.amdhsa_float_denorm_mode_32 3
		.amdhsa_float_denorm_mode_16_64 3
		.amdhsa_dx10_clamp 1
		.amdhsa_ieee_mode 1
		.amdhsa_fp16_overflow 0
		.amdhsa_workgroup_processor_mode 1
		.amdhsa_memory_ordered 1
		.amdhsa_forward_progress 0
		.amdhsa_shared_vgpr_count 0
		.amdhsa_exception_fp_ieee_invalid_op 0
		.amdhsa_exception_fp_denorm_src 0
		.amdhsa_exception_fp_ieee_div_zero 0
		.amdhsa_exception_fp_ieee_overflow 0
		.amdhsa_exception_fp_ieee_underflow 0
		.amdhsa_exception_fp_ieee_inexact 0
		.amdhsa_exception_int_div_zero 0
	.end_amdhsa_kernel
	.section	.text._ZN7rocprim17ROCPRIM_400000_NS6detail17trampoline_kernelINS0_14default_configENS1_25partition_config_selectorILNS1_17partition_subalgoE6EyNS0_10empty_typeEbEEZZNS1_14partition_implILS5_6ELb0ES3_mN6thrust23THRUST_200600_302600_NS6detail15normal_iteratorINSA_10device_ptrIyEEEEPS6_SG_NS0_5tupleIJSF_S6_EEENSH_IJSG_SG_EEES6_PlJ7is_evenIyEEEE10hipError_tPvRmT3_T4_T5_T6_T7_T9_mT8_P12ihipStream_tbDpT10_ENKUlT_T0_E_clISt17integral_constantIbLb0EES16_EEDaS11_S12_EUlS11_E_NS1_11comp_targetILNS1_3genE4ELNS1_11target_archE910ELNS1_3gpuE8ELNS1_3repE0EEENS1_30default_config_static_selectorELNS0_4arch9wavefront6targetE0EEEvT1_,"axG",@progbits,_ZN7rocprim17ROCPRIM_400000_NS6detail17trampoline_kernelINS0_14default_configENS1_25partition_config_selectorILNS1_17partition_subalgoE6EyNS0_10empty_typeEbEEZZNS1_14partition_implILS5_6ELb0ES3_mN6thrust23THRUST_200600_302600_NS6detail15normal_iteratorINSA_10device_ptrIyEEEEPS6_SG_NS0_5tupleIJSF_S6_EEENSH_IJSG_SG_EEES6_PlJ7is_evenIyEEEE10hipError_tPvRmT3_T4_T5_T6_T7_T9_mT8_P12ihipStream_tbDpT10_ENKUlT_T0_E_clISt17integral_constantIbLb0EES16_EEDaS11_S12_EUlS11_E_NS1_11comp_targetILNS1_3genE4ELNS1_11target_archE910ELNS1_3gpuE8ELNS1_3repE0EEENS1_30default_config_static_selectorELNS0_4arch9wavefront6targetE0EEEvT1_,comdat
.Lfunc_end266:
	.size	_ZN7rocprim17ROCPRIM_400000_NS6detail17trampoline_kernelINS0_14default_configENS1_25partition_config_selectorILNS1_17partition_subalgoE6EyNS0_10empty_typeEbEEZZNS1_14partition_implILS5_6ELb0ES3_mN6thrust23THRUST_200600_302600_NS6detail15normal_iteratorINSA_10device_ptrIyEEEEPS6_SG_NS0_5tupleIJSF_S6_EEENSH_IJSG_SG_EEES6_PlJ7is_evenIyEEEE10hipError_tPvRmT3_T4_T5_T6_T7_T9_mT8_P12ihipStream_tbDpT10_ENKUlT_T0_E_clISt17integral_constantIbLb0EES16_EEDaS11_S12_EUlS11_E_NS1_11comp_targetILNS1_3genE4ELNS1_11target_archE910ELNS1_3gpuE8ELNS1_3repE0EEENS1_30default_config_static_selectorELNS0_4arch9wavefront6targetE0EEEvT1_, .Lfunc_end266-_ZN7rocprim17ROCPRIM_400000_NS6detail17trampoline_kernelINS0_14default_configENS1_25partition_config_selectorILNS1_17partition_subalgoE6EyNS0_10empty_typeEbEEZZNS1_14partition_implILS5_6ELb0ES3_mN6thrust23THRUST_200600_302600_NS6detail15normal_iteratorINSA_10device_ptrIyEEEEPS6_SG_NS0_5tupleIJSF_S6_EEENSH_IJSG_SG_EEES6_PlJ7is_evenIyEEEE10hipError_tPvRmT3_T4_T5_T6_T7_T9_mT8_P12ihipStream_tbDpT10_ENKUlT_T0_E_clISt17integral_constantIbLb0EES16_EEDaS11_S12_EUlS11_E_NS1_11comp_targetILNS1_3genE4ELNS1_11target_archE910ELNS1_3gpuE8ELNS1_3repE0EEENS1_30default_config_static_selectorELNS0_4arch9wavefront6targetE0EEEvT1_
                                        ; -- End function
	.section	.AMDGPU.csdata,"",@progbits
; Kernel info:
; codeLenInByte = 0
; NumSgprs: 0
; NumVgprs: 0
; ScratchSize: 0
; MemoryBound: 0
; FloatMode: 240
; IeeeMode: 1
; LDSByteSize: 0 bytes/workgroup (compile time only)
; SGPRBlocks: 0
; VGPRBlocks: 0
; NumSGPRsForWavesPerEU: 1
; NumVGPRsForWavesPerEU: 1
; Occupancy: 16
; WaveLimiterHint : 0
; COMPUTE_PGM_RSRC2:SCRATCH_EN: 0
; COMPUTE_PGM_RSRC2:USER_SGPR: 15
; COMPUTE_PGM_RSRC2:TRAP_HANDLER: 0
; COMPUTE_PGM_RSRC2:TGID_X_EN: 1
; COMPUTE_PGM_RSRC2:TGID_Y_EN: 0
; COMPUTE_PGM_RSRC2:TGID_Z_EN: 0
; COMPUTE_PGM_RSRC2:TIDIG_COMP_CNT: 0
	.section	.text._ZN7rocprim17ROCPRIM_400000_NS6detail17trampoline_kernelINS0_14default_configENS1_25partition_config_selectorILNS1_17partition_subalgoE6EyNS0_10empty_typeEbEEZZNS1_14partition_implILS5_6ELb0ES3_mN6thrust23THRUST_200600_302600_NS6detail15normal_iteratorINSA_10device_ptrIyEEEEPS6_SG_NS0_5tupleIJSF_S6_EEENSH_IJSG_SG_EEES6_PlJ7is_evenIyEEEE10hipError_tPvRmT3_T4_T5_T6_T7_T9_mT8_P12ihipStream_tbDpT10_ENKUlT_T0_E_clISt17integral_constantIbLb0EES16_EEDaS11_S12_EUlS11_E_NS1_11comp_targetILNS1_3genE3ELNS1_11target_archE908ELNS1_3gpuE7ELNS1_3repE0EEENS1_30default_config_static_selectorELNS0_4arch9wavefront6targetE0EEEvT1_,"axG",@progbits,_ZN7rocprim17ROCPRIM_400000_NS6detail17trampoline_kernelINS0_14default_configENS1_25partition_config_selectorILNS1_17partition_subalgoE6EyNS0_10empty_typeEbEEZZNS1_14partition_implILS5_6ELb0ES3_mN6thrust23THRUST_200600_302600_NS6detail15normal_iteratorINSA_10device_ptrIyEEEEPS6_SG_NS0_5tupleIJSF_S6_EEENSH_IJSG_SG_EEES6_PlJ7is_evenIyEEEE10hipError_tPvRmT3_T4_T5_T6_T7_T9_mT8_P12ihipStream_tbDpT10_ENKUlT_T0_E_clISt17integral_constantIbLb0EES16_EEDaS11_S12_EUlS11_E_NS1_11comp_targetILNS1_3genE3ELNS1_11target_archE908ELNS1_3gpuE7ELNS1_3repE0EEENS1_30default_config_static_selectorELNS0_4arch9wavefront6targetE0EEEvT1_,comdat
	.protected	_ZN7rocprim17ROCPRIM_400000_NS6detail17trampoline_kernelINS0_14default_configENS1_25partition_config_selectorILNS1_17partition_subalgoE6EyNS0_10empty_typeEbEEZZNS1_14partition_implILS5_6ELb0ES3_mN6thrust23THRUST_200600_302600_NS6detail15normal_iteratorINSA_10device_ptrIyEEEEPS6_SG_NS0_5tupleIJSF_S6_EEENSH_IJSG_SG_EEES6_PlJ7is_evenIyEEEE10hipError_tPvRmT3_T4_T5_T6_T7_T9_mT8_P12ihipStream_tbDpT10_ENKUlT_T0_E_clISt17integral_constantIbLb0EES16_EEDaS11_S12_EUlS11_E_NS1_11comp_targetILNS1_3genE3ELNS1_11target_archE908ELNS1_3gpuE7ELNS1_3repE0EEENS1_30default_config_static_selectorELNS0_4arch9wavefront6targetE0EEEvT1_ ; -- Begin function _ZN7rocprim17ROCPRIM_400000_NS6detail17trampoline_kernelINS0_14default_configENS1_25partition_config_selectorILNS1_17partition_subalgoE6EyNS0_10empty_typeEbEEZZNS1_14partition_implILS5_6ELb0ES3_mN6thrust23THRUST_200600_302600_NS6detail15normal_iteratorINSA_10device_ptrIyEEEEPS6_SG_NS0_5tupleIJSF_S6_EEENSH_IJSG_SG_EEES6_PlJ7is_evenIyEEEE10hipError_tPvRmT3_T4_T5_T6_T7_T9_mT8_P12ihipStream_tbDpT10_ENKUlT_T0_E_clISt17integral_constantIbLb0EES16_EEDaS11_S12_EUlS11_E_NS1_11comp_targetILNS1_3genE3ELNS1_11target_archE908ELNS1_3gpuE7ELNS1_3repE0EEENS1_30default_config_static_selectorELNS0_4arch9wavefront6targetE0EEEvT1_
	.globl	_ZN7rocprim17ROCPRIM_400000_NS6detail17trampoline_kernelINS0_14default_configENS1_25partition_config_selectorILNS1_17partition_subalgoE6EyNS0_10empty_typeEbEEZZNS1_14partition_implILS5_6ELb0ES3_mN6thrust23THRUST_200600_302600_NS6detail15normal_iteratorINSA_10device_ptrIyEEEEPS6_SG_NS0_5tupleIJSF_S6_EEENSH_IJSG_SG_EEES6_PlJ7is_evenIyEEEE10hipError_tPvRmT3_T4_T5_T6_T7_T9_mT8_P12ihipStream_tbDpT10_ENKUlT_T0_E_clISt17integral_constantIbLb0EES16_EEDaS11_S12_EUlS11_E_NS1_11comp_targetILNS1_3genE3ELNS1_11target_archE908ELNS1_3gpuE7ELNS1_3repE0EEENS1_30default_config_static_selectorELNS0_4arch9wavefront6targetE0EEEvT1_
	.p2align	8
	.type	_ZN7rocprim17ROCPRIM_400000_NS6detail17trampoline_kernelINS0_14default_configENS1_25partition_config_selectorILNS1_17partition_subalgoE6EyNS0_10empty_typeEbEEZZNS1_14partition_implILS5_6ELb0ES3_mN6thrust23THRUST_200600_302600_NS6detail15normal_iteratorINSA_10device_ptrIyEEEEPS6_SG_NS0_5tupleIJSF_S6_EEENSH_IJSG_SG_EEES6_PlJ7is_evenIyEEEE10hipError_tPvRmT3_T4_T5_T6_T7_T9_mT8_P12ihipStream_tbDpT10_ENKUlT_T0_E_clISt17integral_constantIbLb0EES16_EEDaS11_S12_EUlS11_E_NS1_11comp_targetILNS1_3genE3ELNS1_11target_archE908ELNS1_3gpuE7ELNS1_3repE0EEENS1_30default_config_static_selectorELNS0_4arch9wavefront6targetE0EEEvT1_,@function
_ZN7rocprim17ROCPRIM_400000_NS6detail17trampoline_kernelINS0_14default_configENS1_25partition_config_selectorILNS1_17partition_subalgoE6EyNS0_10empty_typeEbEEZZNS1_14partition_implILS5_6ELb0ES3_mN6thrust23THRUST_200600_302600_NS6detail15normal_iteratorINSA_10device_ptrIyEEEEPS6_SG_NS0_5tupleIJSF_S6_EEENSH_IJSG_SG_EEES6_PlJ7is_evenIyEEEE10hipError_tPvRmT3_T4_T5_T6_T7_T9_mT8_P12ihipStream_tbDpT10_ENKUlT_T0_E_clISt17integral_constantIbLb0EES16_EEDaS11_S12_EUlS11_E_NS1_11comp_targetILNS1_3genE3ELNS1_11target_archE908ELNS1_3gpuE7ELNS1_3repE0EEENS1_30default_config_static_selectorELNS0_4arch9wavefront6targetE0EEEvT1_: ; @_ZN7rocprim17ROCPRIM_400000_NS6detail17trampoline_kernelINS0_14default_configENS1_25partition_config_selectorILNS1_17partition_subalgoE6EyNS0_10empty_typeEbEEZZNS1_14partition_implILS5_6ELb0ES3_mN6thrust23THRUST_200600_302600_NS6detail15normal_iteratorINSA_10device_ptrIyEEEEPS6_SG_NS0_5tupleIJSF_S6_EEENSH_IJSG_SG_EEES6_PlJ7is_evenIyEEEE10hipError_tPvRmT3_T4_T5_T6_T7_T9_mT8_P12ihipStream_tbDpT10_ENKUlT_T0_E_clISt17integral_constantIbLb0EES16_EEDaS11_S12_EUlS11_E_NS1_11comp_targetILNS1_3genE3ELNS1_11target_archE908ELNS1_3gpuE7ELNS1_3repE0EEENS1_30default_config_static_selectorELNS0_4arch9wavefront6targetE0EEEvT1_
; %bb.0:
	.section	.rodata,"a",@progbits
	.p2align	6, 0x0
	.amdhsa_kernel _ZN7rocprim17ROCPRIM_400000_NS6detail17trampoline_kernelINS0_14default_configENS1_25partition_config_selectorILNS1_17partition_subalgoE6EyNS0_10empty_typeEbEEZZNS1_14partition_implILS5_6ELb0ES3_mN6thrust23THRUST_200600_302600_NS6detail15normal_iteratorINSA_10device_ptrIyEEEEPS6_SG_NS0_5tupleIJSF_S6_EEENSH_IJSG_SG_EEES6_PlJ7is_evenIyEEEE10hipError_tPvRmT3_T4_T5_T6_T7_T9_mT8_P12ihipStream_tbDpT10_ENKUlT_T0_E_clISt17integral_constantIbLb0EES16_EEDaS11_S12_EUlS11_E_NS1_11comp_targetILNS1_3genE3ELNS1_11target_archE908ELNS1_3gpuE7ELNS1_3repE0EEENS1_30default_config_static_selectorELNS0_4arch9wavefront6targetE0EEEvT1_
		.amdhsa_group_segment_fixed_size 0
		.amdhsa_private_segment_fixed_size 0
		.amdhsa_kernarg_size 112
		.amdhsa_user_sgpr_count 15
		.amdhsa_user_sgpr_dispatch_ptr 0
		.amdhsa_user_sgpr_queue_ptr 0
		.amdhsa_user_sgpr_kernarg_segment_ptr 1
		.amdhsa_user_sgpr_dispatch_id 0
		.amdhsa_user_sgpr_private_segment_size 0
		.amdhsa_wavefront_size32 1
		.amdhsa_uses_dynamic_stack 0
		.amdhsa_enable_private_segment 0
		.amdhsa_system_sgpr_workgroup_id_x 1
		.amdhsa_system_sgpr_workgroup_id_y 0
		.amdhsa_system_sgpr_workgroup_id_z 0
		.amdhsa_system_sgpr_workgroup_info 0
		.amdhsa_system_vgpr_workitem_id 0
		.amdhsa_next_free_vgpr 1
		.amdhsa_next_free_sgpr 1
		.amdhsa_reserve_vcc 0
		.amdhsa_float_round_mode_32 0
		.amdhsa_float_round_mode_16_64 0
		.amdhsa_float_denorm_mode_32 3
		.amdhsa_float_denorm_mode_16_64 3
		.amdhsa_dx10_clamp 1
		.amdhsa_ieee_mode 1
		.amdhsa_fp16_overflow 0
		.amdhsa_workgroup_processor_mode 1
		.amdhsa_memory_ordered 1
		.amdhsa_forward_progress 0
		.amdhsa_shared_vgpr_count 0
		.amdhsa_exception_fp_ieee_invalid_op 0
		.amdhsa_exception_fp_denorm_src 0
		.amdhsa_exception_fp_ieee_div_zero 0
		.amdhsa_exception_fp_ieee_overflow 0
		.amdhsa_exception_fp_ieee_underflow 0
		.amdhsa_exception_fp_ieee_inexact 0
		.amdhsa_exception_int_div_zero 0
	.end_amdhsa_kernel
	.section	.text._ZN7rocprim17ROCPRIM_400000_NS6detail17trampoline_kernelINS0_14default_configENS1_25partition_config_selectorILNS1_17partition_subalgoE6EyNS0_10empty_typeEbEEZZNS1_14partition_implILS5_6ELb0ES3_mN6thrust23THRUST_200600_302600_NS6detail15normal_iteratorINSA_10device_ptrIyEEEEPS6_SG_NS0_5tupleIJSF_S6_EEENSH_IJSG_SG_EEES6_PlJ7is_evenIyEEEE10hipError_tPvRmT3_T4_T5_T6_T7_T9_mT8_P12ihipStream_tbDpT10_ENKUlT_T0_E_clISt17integral_constantIbLb0EES16_EEDaS11_S12_EUlS11_E_NS1_11comp_targetILNS1_3genE3ELNS1_11target_archE908ELNS1_3gpuE7ELNS1_3repE0EEENS1_30default_config_static_selectorELNS0_4arch9wavefront6targetE0EEEvT1_,"axG",@progbits,_ZN7rocprim17ROCPRIM_400000_NS6detail17trampoline_kernelINS0_14default_configENS1_25partition_config_selectorILNS1_17partition_subalgoE6EyNS0_10empty_typeEbEEZZNS1_14partition_implILS5_6ELb0ES3_mN6thrust23THRUST_200600_302600_NS6detail15normal_iteratorINSA_10device_ptrIyEEEEPS6_SG_NS0_5tupleIJSF_S6_EEENSH_IJSG_SG_EEES6_PlJ7is_evenIyEEEE10hipError_tPvRmT3_T4_T5_T6_T7_T9_mT8_P12ihipStream_tbDpT10_ENKUlT_T0_E_clISt17integral_constantIbLb0EES16_EEDaS11_S12_EUlS11_E_NS1_11comp_targetILNS1_3genE3ELNS1_11target_archE908ELNS1_3gpuE7ELNS1_3repE0EEENS1_30default_config_static_selectorELNS0_4arch9wavefront6targetE0EEEvT1_,comdat
.Lfunc_end267:
	.size	_ZN7rocprim17ROCPRIM_400000_NS6detail17trampoline_kernelINS0_14default_configENS1_25partition_config_selectorILNS1_17partition_subalgoE6EyNS0_10empty_typeEbEEZZNS1_14partition_implILS5_6ELb0ES3_mN6thrust23THRUST_200600_302600_NS6detail15normal_iteratorINSA_10device_ptrIyEEEEPS6_SG_NS0_5tupleIJSF_S6_EEENSH_IJSG_SG_EEES6_PlJ7is_evenIyEEEE10hipError_tPvRmT3_T4_T5_T6_T7_T9_mT8_P12ihipStream_tbDpT10_ENKUlT_T0_E_clISt17integral_constantIbLb0EES16_EEDaS11_S12_EUlS11_E_NS1_11comp_targetILNS1_3genE3ELNS1_11target_archE908ELNS1_3gpuE7ELNS1_3repE0EEENS1_30default_config_static_selectorELNS0_4arch9wavefront6targetE0EEEvT1_, .Lfunc_end267-_ZN7rocprim17ROCPRIM_400000_NS6detail17trampoline_kernelINS0_14default_configENS1_25partition_config_selectorILNS1_17partition_subalgoE6EyNS0_10empty_typeEbEEZZNS1_14partition_implILS5_6ELb0ES3_mN6thrust23THRUST_200600_302600_NS6detail15normal_iteratorINSA_10device_ptrIyEEEEPS6_SG_NS0_5tupleIJSF_S6_EEENSH_IJSG_SG_EEES6_PlJ7is_evenIyEEEE10hipError_tPvRmT3_T4_T5_T6_T7_T9_mT8_P12ihipStream_tbDpT10_ENKUlT_T0_E_clISt17integral_constantIbLb0EES16_EEDaS11_S12_EUlS11_E_NS1_11comp_targetILNS1_3genE3ELNS1_11target_archE908ELNS1_3gpuE7ELNS1_3repE0EEENS1_30default_config_static_selectorELNS0_4arch9wavefront6targetE0EEEvT1_
                                        ; -- End function
	.section	.AMDGPU.csdata,"",@progbits
; Kernel info:
; codeLenInByte = 0
; NumSgprs: 0
; NumVgprs: 0
; ScratchSize: 0
; MemoryBound: 0
; FloatMode: 240
; IeeeMode: 1
; LDSByteSize: 0 bytes/workgroup (compile time only)
; SGPRBlocks: 0
; VGPRBlocks: 0
; NumSGPRsForWavesPerEU: 1
; NumVGPRsForWavesPerEU: 1
; Occupancy: 16
; WaveLimiterHint : 0
; COMPUTE_PGM_RSRC2:SCRATCH_EN: 0
; COMPUTE_PGM_RSRC2:USER_SGPR: 15
; COMPUTE_PGM_RSRC2:TRAP_HANDLER: 0
; COMPUTE_PGM_RSRC2:TGID_X_EN: 1
; COMPUTE_PGM_RSRC2:TGID_Y_EN: 0
; COMPUTE_PGM_RSRC2:TGID_Z_EN: 0
; COMPUTE_PGM_RSRC2:TIDIG_COMP_CNT: 0
	.section	.text._ZN7rocprim17ROCPRIM_400000_NS6detail17trampoline_kernelINS0_14default_configENS1_25partition_config_selectorILNS1_17partition_subalgoE6EyNS0_10empty_typeEbEEZZNS1_14partition_implILS5_6ELb0ES3_mN6thrust23THRUST_200600_302600_NS6detail15normal_iteratorINSA_10device_ptrIyEEEEPS6_SG_NS0_5tupleIJSF_S6_EEENSH_IJSG_SG_EEES6_PlJ7is_evenIyEEEE10hipError_tPvRmT3_T4_T5_T6_T7_T9_mT8_P12ihipStream_tbDpT10_ENKUlT_T0_E_clISt17integral_constantIbLb0EES16_EEDaS11_S12_EUlS11_E_NS1_11comp_targetILNS1_3genE2ELNS1_11target_archE906ELNS1_3gpuE6ELNS1_3repE0EEENS1_30default_config_static_selectorELNS0_4arch9wavefront6targetE0EEEvT1_,"axG",@progbits,_ZN7rocprim17ROCPRIM_400000_NS6detail17trampoline_kernelINS0_14default_configENS1_25partition_config_selectorILNS1_17partition_subalgoE6EyNS0_10empty_typeEbEEZZNS1_14partition_implILS5_6ELb0ES3_mN6thrust23THRUST_200600_302600_NS6detail15normal_iteratorINSA_10device_ptrIyEEEEPS6_SG_NS0_5tupleIJSF_S6_EEENSH_IJSG_SG_EEES6_PlJ7is_evenIyEEEE10hipError_tPvRmT3_T4_T5_T6_T7_T9_mT8_P12ihipStream_tbDpT10_ENKUlT_T0_E_clISt17integral_constantIbLb0EES16_EEDaS11_S12_EUlS11_E_NS1_11comp_targetILNS1_3genE2ELNS1_11target_archE906ELNS1_3gpuE6ELNS1_3repE0EEENS1_30default_config_static_selectorELNS0_4arch9wavefront6targetE0EEEvT1_,comdat
	.protected	_ZN7rocprim17ROCPRIM_400000_NS6detail17trampoline_kernelINS0_14default_configENS1_25partition_config_selectorILNS1_17partition_subalgoE6EyNS0_10empty_typeEbEEZZNS1_14partition_implILS5_6ELb0ES3_mN6thrust23THRUST_200600_302600_NS6detail15normal_iteratorINSA_10device_ptrIyEEEEPS6_SG_NS0_5tupleIJSF_S6_EEENSH_IJSG_SG_EEES6_PlJ7is_evenIyEEEE10hipError_tPvRmT3_T4_T5_T6_T7_T9_mT8_P12ihipStream_tbDpT10_ENKUlT_T0_E_clISt17integral_constantIbLb0EES16_EEDaS11_S12_EUlS11_E_NS1_11comp_targetILNS1_3genE2ELNS1_11target_archE906ELNS1_3gpuE6ELNS1_3repE0EEENS1_30default_config_static_selectorELNS0_4arch9wavefront6targetE0EEEvT1_ ; -- Begin function _ZN7rocprim17ROCPRIM_400000_NS6detail17trampoline_kernelINS0_14default_configENS1_25partition_config_selectorILNS1_17partition_subalgoE6EyNS0_10empty_typeEbEEZZNS1_14partition_implILS5_6ELb0ES3_mN6thrust23THRUST_200600_302600_NS6detail15normal_iteratorINSA_10device_ptrIyEEEEPS6_SG_NS0_5tupleIJSF_S6_EEENSH_IJSG_SG_EEES6_PlJ7is_evenIyEEEE10hipError_tPvRmT3_T4_T5_T6_T7_T9_mT8_P12ihipStream_tbDpT10_ENKUlT_T0_E_clISt17integral_constantIbLb0EES16_EEDaS11_S12_EUlS11_E_NS1_11comp_targetILNS1_3genE2ELNS1_11target_archE906ELNS1_3gpuE6ELNS1_3repE0EEENS1_30default_config_static_selectorELNS0_4arch9wavefront6targetE0EEEvT1_
	.globl	_ZN7rocprim17ROCPRIM_400000_NS6detail17trampoline_kernelINS0_14default_configENS1_25partition_config_selectorILNS1_17partition_subalgoE6EyNS0_10empty_typeEbEEZZNS1_14partition_implILS5_6ELb0ES3_mN6thrust23THRUST_200600_302600_NS6detail15normal_iteratorINSA_10device_ptrIyEEEEPS6_SG_NS0_5tupleIJSF_S6_EEENSH_IJSG_SG_EEES6_PlJ7is_evenIyEEEE10hipError_tPvRmT3_T4_T5_T6_T7_T9_mT8_P12ihipStream_tbDpT10_ENKUlT_T0_E_clISt17integral_constantIbLb0EES16_EEDaS11_S12_EUlS11_E_NS1_11comp_targetILNS1_3genE2ELNS1_11target_archE906ELNS1_3gpuE6ELNS1_3repE0EEENS1_30default_config_static_selectorELNS0_4arch9wavefront6targetE0EEEvT1_
	.p2align	8
	.type	_ZN7rocprim17ROCPRIM_400000_NS6detail17trampoline_kernelINS0_14default_configENS1_25partition_config_selectorILNS1_17partition_subalgoE6EyNS0_10empty_typeEbEEZZNS1_14partition_implILS5_6ELb0ES3_mN6thrust23THRUST_200600_302600_NS6detail15normal_iteratorINSA_10device_ptrIyEEEEPS6_SG_NS0_5tupleIJSF_S6_EEENSH_IJSG_SG_EEES6_PlJ7is_evenIyEEEE10hipError_tPvRmT3_T4_T5_T6_T7_T9_mT8_P12ihipStream_tbDpT10_ENKUlT_T0_E_clISt17integral_constantIbLb0EES16_EEDaS11_S12_EUlS11_E_NS1_11comp_targetILNS1_3genE2ELNS1_11target_archE906ELNS1_3gpuE6ELNS1_3repE0EEENS1_30default_config_static_selectorELNS0_4arch9wavefront6targetE0EEEvT1_,@function
_ZN7rocprim17ROCPRIM_400000_NS6detail17trampoline_kernelINS0_14default_configENS1_25partition_config_selectorILNS1_17partition_subalgoE6EyNS0_10empty_typeEbEEZZNS1_14partition_implILS5_6ELb0ES3_mN6thrust23THRUST_200600_302600_NS6detail15normal_iteratorINSA_10device_ptrIyEEEEPS6_SG_NS0_5tupleIJSF_S6_EEENSH_IJSG_SG_EEES6_PlJ7is_evenIyEEEE10hipError_tPvRmT3_T4_T5_T6_T7_T9_mT8_P12ihipStream_tbDpT10_ENKUlT_T0_E_clISt17integral_constantIbLb0EES16_EEDaS11_S12_EUlS11_E_NS1_11comp_targetILNS1_3genE2ELNS1_11target_archE906ELNS1_3gpuE6ELNS1_3repE0EEENS1_30default_config_static_selectorELNS0_4arch9wavefront6targetE0EEEvT1_: ; @_ZN7rocprim17ROCPRIM_400000_NS6detail17trampoline_kernelINS0_14default_configENS1_25partition_config_selectorILNS1_17partition_subalgoE6EyNS0_10empty_typeEbEEZZNS1_14partition_implILS5_6ELb0ES3_mN6thrust23THRUST_200600_302600_NS6detail15normal_iteratorINSA_10device_ptrIyEEEEPS6_SG_NS0_5tupleIJSF_S6_EEENSH_IJSG_SG_EEES6_PlJ7is_evenIyEEEE10hipError_tPvRmT3_T4_T5_T6_T7_T9_mT8_P12ihipStream_tbDpT10_ENKUlT_T0_E_clISt17integral_constantIbLb0EES16_EEDaS11_S12_EUlS11_E_NS1_11comp_targetILNS1_3genE2ELNS1_11target_archE906ELNS1_3gpuE6ELNS1_3repE0EEENS1_30default_config_static_selectorELNS0_4arch9wavefront6targetE0EEEvT1_
; %bb.0:
	.section	.rodata,"a",@progbits
	.p2align	6, 0x0
	.amdhsa_kernel _ZN7rocprim17ROCPRIM_400000_NS6detail17trampoline_kernelINS0_14default_configENS1_25partition_config_selectorILNS1_17partition_subalgoE6EyNS0_10empty_typeEbEEZZNS1_14partition_implILS5_6ELb0ES3_mN6thrust23THRUST_200600_302600_NS6detail15normal_iteratorINSA_10device_ptrIyEEEEPS6_SG_NS0_5tupleIJSF_S6_EEENSH_IJSG_SG_EEES6_PlJ7is_evenIyEEEE10hipError_tPvRmT3_T4_T5_T6_T7_T9_mT8_P12ihipStream_tbDpT10_ENKUlT_T0_E_clISt17integral_constantIbLb0EES16_EEDaS11_S12_EUlS11_E_NS1_11comp_targetILNS1_3genE2ELNS1_11target_archE906ELNS1_3gpuE6ELNS1_3repE0EEENS1_30default_config_static_selectorELNS0_4arch9wavefront6targetE0EEEvT1_
		.amdhsa_group_segment_fixed_size 0
		.amdhsa_private_segment_fixed_size 0
		.amdhsa_kernarg_size 112
		.amdhsa_user_sgpr_count 15
		.amdhsa_user_sgpr_dispatch_ptr 0
		.amdhsa_user_sgpr_queue_ptr 0
		.amdhsa_user_sgpr_kernarg_segment_ptr 1
		.amdhsa_user_sgpr_dispatch_id 0
		.amdhsa_user_sgpr_private_segment_size 0
		.amdhsa_wavefront_size32 1
		.amdhsa_uses_dynamic_stack 0
		.amdhsa_enable_private_segment 0
		.amdhsa_system_sgpr_workgroup_id_x 1
		.amdhsa_system_sgpr_workgroup_id_y 0
		.amdhsa_system_sgpr_workgroup_id_z 0
		.amdhsa_system_sgpr_workgroup_info 0
		.amdhsa_system_vgpr_workitem_id 0
		.amdhsa_next_free_vgpr 1
		.amdhsa_next_free_sgpr 1
		.amdhsa_reserve_vcc 0
		.amdhsa_float_round_mode_32 0
		.amdhsa_float_round_mode_16_64 0
		.amdhsa_float_denorm_mode_32 3
		.amdhsa_float_denorm_mode_16_64 3
		.amdhsa_dx10_clamp 1
		.amdhsa_ieee_mode 1
		.amdhsa_fp16_overflow 0
		.amdhsa_workgroup_processor_mode 1
		.amdhsa_memory_ordered 1
		.amdhsa_forward_progress 0
		.amdhsa_shared_vgpr_count 0
		.amdhsa_exception_fp_ieee_invalid_op 0
		.amdhsa_exception_fp_denorm_src 0
		.amdhsa_exception_fp_ieee_div_zero 0
		.amdhsa_exception_fp_ieee_overflow 0
		.amdhsa_exception_fp_ieee_underflow 0
		.amdhsa_exception_fp_ieee_inexact 0
		.amdhsa_exception_int_div_zero 0
	.end_amdhsa_kernel
	.section	.text._ZN7rocprim17ROCPRIM_400000_NS6detail17trampoline_kernelINS0_14default_configENS1_25partition_config_selectorILNS1_17partition_subalgoE6EyNS0_10empty_typeEbEEZZNS1_14partition_implILS5_6ELb0ES3_mN6thrust23THRUST_200600_302600_NS6detail15normal_iteratorINSA_10device_ptrIyEEEEPS6_SG_NS0_5tupleIJSF_S6_EEENSH_IJSG_SG_EEES6_PlJ7is_evenIyEEEE10hipError_tPvRmT3_T4_T5_T6_T7_T9_mT8_P12ihipStream_tbDpT10_ENKUlT_T0_E_clISt17integral_constantIbLb0EES16_EEDaS11_S12_EUlS11_E_NS1_11comp_targetILNS1_3genE2ELNS1_11target_archE906ELNS1_3gpuE6ELNS1_3repE0EEENS1_30default_config_static_selectorELNS0_4arch9wavefront6targetE0EEEvT1_,"axG",@progbits,_ZN7rocprim17ROCPRIM_400000_NS6detail17trampoline_kernelINS0_14default_configENS1_25partition_config_selectorILNS1_17partition_subalgoE6EyNS0_10empty_typeEbEEZZNS1_14partition_implILS5_6ELb0ES3_mN6thrust23THRUST_200600_302600_NS6detail15normal_iteratorINSA_10device_ptrIyEEEEPS6_SG_NS0_5tupleIJSF_S6_EEENSH_IJSG_SG_EEES6_PlJ7is_evenIyEEEE10hipError_tPvRmT3_T4_T5_T6_T7_T9_mT8_P12ihipStream_tbDpT10_ENKUlT_T0_E_clISt17integral_constantIbLb0EES16_EEDaS11_S12_EUlS11_E_NS1_11comp_targetILNS1_3genE2ELNS1_11target_archE906ELNS1_3gpuE6ELNS1_3repE0EEENS1_30default_config_static_selectorELNS0_4arch9wavefront6targetE0EEEvT1_,comdat
.Lfunc_end268:
	.size	_ZN7rocprim17ROCPRIM_400000_NS6detail17trampoline_kernelINS0_14default_configENS1_25partition_config_selectorILNS1_17partition_subalgoE6EyNS0_10empty_typeEbEEZZNS1_14partition_implILS5_6ELb0ES3_mN6thrust23THRUST_200600_302600_NS6detail15normal_iteratorINSA_10device_ptrIyEEEEPS6_SG_NS0_5tupleIJSF_S6_EEENSH_IJSG_SG_EEES6_PlJ7is_evenIyEEEE10hipError_tPvRmT3_T4_T5_T6_T7_T9_mT8_P12ihipStream_tbDpT10_ENKUlT_T0_E_clISt17integral_constantIbLb0EES16_EEDaS11_S12_EUlS11_E_NS1_11comp_targetILNS1_3genE2ELNS1_11target_archE906ELNS1_3gpuE6ELNS1_3repE0EEENS1_30default_config_static_selectorELNS0_4arch9wavefront6targetE0EEEvT1_, .Lfunc_end268-_ZN7rocprim17ROCPRIM_400000_NS6detail17trampoline_kernelINS0_14default_configENS1_25partition_config_selectorILNS1_17partition_subalgoE6EyNS0_10empty_typeEbEEZZNS1_14partition_implILS5_6ELb0ES3_mN6thrust23THRUST_200600_302600_NS6detail15normal_iteratorINSA_10device_ptrIyEEEEPS6_SG_NS0_5tupleIJSF_S6_EEENSH_IJSG_SG_EEES6_PlJ7is_evenIyEEEE10hipError_tPvRmT3_T4_T5_T6_T7_T9_mT8_P12ihipStream_tbDpT10_ENKUlT_T0_E_clISt17integral_constantIbLb0EES16_EEDaS11_S12_EUlS11_E_NS1_11comp_targetILNS1_3genE2ELNS1_11target_archE906ELNS1_3gpuE6ELNS1_3repE0EEENS1_30default_config_static_selectorELNS0_4arch9wavefront6targetE0EEEvT1_
                                        ; -- End function
	.section	.AMDGPU.csdata,"",@progbits
; Kernel info:
; codeLenInByte = 0
; NumSgprs: 0
; NumVgprs: 0
; ScratchSize: 0
; MemoryBound: 0
; FloatMode: 240
; IeeeMode: 1
; LDSByteSize: 0 bytes/workgroup (compile time only)
; SGPRBlocks: 0
; VGPRBlocks: 0
; NumSGPRsForWavesPerEU: 1
; NumVGPRsForWavesPerEU: 1
; Occupancy: 16
; WaveLimiterHint : 0
; COMPUTE_PGM_RSRC2:SCRATCH_EN: 0
; COMPUTE_PGM_RSRC2:USER_SGPR: 15
; COMPUTE_PGM_RSRC2:TRAP_HANDLER: 0
; COMPUTE_PGM_RSRC2:TGID_X_EN: 1
; COMPUTE_PGM_RSRC2:TGID_Y_EN: 0
; COMPUTE_PGM_RSRC2:TGID_Z_EN: 0
; COMPUTE_PGM_RSRC2:TIDIG_COMP_CNT: 0
	.section	.text._ZN7rocprim17ROCPRIM_400000_NS6detail17trampoline_kernelINS0_14default_configENS1_25partition_config_selectorILNS1_17partition_subalgoE6EyNS0_10empty_typeEbEEZZNS1_14partition_implILS5_6ELb0ES3_mN6thrust23THRUST_200600_302600_NS6detail15normal_iteratorINSA_10device_ptrIyEEEEPS6_SG_NS0_5tupleIJSF_S6_EEENSH_IJSG_SG_EEES6_PlJ7is_evenIyEEEE10hipError_tPvRmT3_T4_T5_T6_T7_T9_mT8_P12ihipStream_tbDpT10_ENKUlT_T0_E_clISt17integral_constantIbLb0EES16_EEDaS11_S12_EUlS11_E_NS1_11comp_targetILNS1_3genE10ELNS1_11target_archE1200ELNS1_3gpuE4ELNS1_3repE0EEENS1_30default_config_static_selectorELNS0_4arch9wavefront6targetE0EEEvT1_,"axG",@progbits,_ZN7rocprim17ROCPRIM_400000_NS6detail17trampoline_kernelINS0_14default_configENS1_25partition_config_selectorILNS1_17partition_subalgoE6EyNS0_10empty_typeEbEEZZNS1_14partition_implILS5_6ELb0ES3_mN6thrust23THRUST_200600_302600_NS6detail15normal_iteratorINSA_10device_ptrIyEEEEPS6_SG_NS0_5tupleIJSF_S6_EEENSH_IJSG_SG_EEES6_PlJ7is_evenIyEEEE10hipError_tPvRmT3_T4_T5_T6_T7_T9_mT8_P12ihipStream_tbDpT10_ENKUlT_T0_E_clISt17integral_constantIbLb0EES16_EEDaS11_S12_EUlS11_E_NS1_11comp_targetILNS1_3genE10ELNS1_11target_archE1200ELNS1_3gpuE4ELNS1_3repE0EEENS1_30default_config_static_selectorELNS0_4arch9wavefront6targetE0EEEvT1_,comdat
	.protected	_ZN7rocprim17ROCPRIM_400000_NS6detail17trampoline_kernelINS0_14default_configENS1_25partition_config_selectorILNS1_17partition_subalgoE6EyNS0_10empty_typeEbEEZZNS1_14partition_implILS5_6ELb0ES3_mN6thrust23THRUST_200600_302600_NS6detail15normal_iteratorINSA_10device_ptrIyEEEEPS6_SG_NS0_5tupleIJSF_S6_EEENSH_IJSG_SG_EEES6_PlJ7is_evenIyEEEE10hipError_tPvRmT3_T4_T5_T6_T7_T9_mT8_P12ihipStream_tbDpT10_ENKUlT_T0_E_clISt17integral_constantIbLb0EES16_EEDaS11_S12_EUlS11_E_NS1_11comp_targetILNS1_3genE10ELNS1_11target_archE1200ELNS1_3gpuE4ELNS1_3repE0EEENS1_30default_config_static_selectorELNS0_4arch9wavefront6targetE0EEEvT1_ ; -- Begin function _ZN7rocprim17ROCPRIM_400000_NS6detail17trampoline_kernelINS0_14default_configENS1_25partition_config_selectorILNS1_17partition_subalgoE6EyNS0_10empty_typeEbEEZZNS1_14partition_implILS5_6ELb0ES3_mN6thrust23THRUST_200600_302600_NS6detail15normal_iteratorINSA_10device_ptrIyEEEEPS6_SG_NS0_5tupleIJSF_S6_EEENSH_IJSG_SG_EEES6_PlJ7is_evenIyEEEE10hipError_tPvRmT3_T4_T5_T6_T7_T9_mT8_P12ihipStream_tbDpT10_ENKUlT_T0_E_clISt17integral_constantIbLb0EES16_EEDaS11_S12_EUlS11_E_NS1_11comp_targetILNS1_3genE10ELNS1_11target_archE1200ELNS1_3gpuE4ELNS1_3repE0EEENS1_30default_config_static_selectorELNS0_4arch9wavefront6targetE0EEEvT1_
	.globl	_ZN7rocprim17ROCPRIM_400000_NS6detail17trampoline_kernelINS0_14default_configENS1_25partition_config_selectorILNS1_17partition_subalgoE6EyNS0_10empty_typeEbEEZZNS1_14partition_implILS5_6ELb0ES3_mN6thrust23THRUST_200600_302600_NS6detail15normal_iteratorINSA_10device_ptrIyEEEEPS6_SG_NS0_5tupleIJSF_S6_EEENSH_IJSG_SG_EEES6_PlJ7is_evenIyEEEE10hipError_tPvRmT3_T4_T5_T6_T7_T9_mT8_P12ihipStream_tbDpT10_ENKUlT_T0_E_clISt17integral_constantIbLb0EES16_EEDaS11_S12_EUlS11_E_NS1_11comp_targetILNS1_3genE10ELNS1_11target_archE1200ELNS1_3gpuE4ELNS1_3repE0EEENS1_30default_config_static_selectorELNS0_4arch9wavefront6targetE0EEEvT1_
	.p2align	8
	.type	_ZN7rocprim17ROCPRIM_400000_NS6detail17trampoline_kernelINS0_14default_configENS1_25partition_config_selectorILNS1_17partition_subalgoE6EyNS0_10empty_typeEbEEZZNS1_14partition_implILS5_6ELb0ES3_mN6thrust23THRUST_200600_302600_NS6detail15normal_iteratorINSA_10device_ptrIyEEEEPS6_SG_NS0_5tupleIJSF_S6_EEENSH_IJSG_SG_EEES6_PlJ7is_evenIyEEEE10hipError_tPvRmT3_T4_T5_T6_T7_T9_mT8_P12ihipStream_tbDpT10_ENKUlT_T0_E_clISt17integral_constantIbLb0EES16_EEDaS11_S12_EUlS11_E_NS1_11comp_targetILNS1_3genE10ELNS1_11target_archE1200ELNS1_3gpuE4ELNS1_3repE0EEENS1_30default_config_static_selectorELNS0_4arch9wavefront6targetE0EEEvT1_,@function
_ZN7rocprim17ROCPRIM_400000_NS6detail17trampoline_kernelINS0_14default_configENS1_25partition_config_selectorILNS1_17partition_subalgoE6EyNS0_10empty_typeEbEEZZNS1_14partition_implILS5_6ELb0ES3_mN6thrust23THRUST_200600_302600_NS6detail15normal_iteratorINSA_10device_ptrIyEEEEPS6_SG_NS0_5tupleIJSF_S6_EEENSH_IJSG_SG_EEES6_PlJ7is_evenIyEEEE10hipError_tPvRmT3_T4_T5_T6_T7_T9_mT8_P12ihipStream_tbDpT10_ENKUlT_T0_E_clISt17integral_constantIbLb0EES16_EEDaS11_S12_EUlS11_E_NS1_11comp_targetILNS1_3genE10ELNS1_11target_archE1200ELNS1_3gpuE4ELNS1_3repE0EEENS1_30default_config_static_selectorELNS0_4arch9wavefront6targetE0EEEvT1_: ; @_ZN7rocprim17ROCPRIM_400000_NS6detail17trampoline_kernelINS0_14default_configENS1_25partition_config_selectorILNS1_17partition_subalgoE6EyNS0_10empty_typeEbEEZZNS1_14partition_implILS5_6ELb0ES3_mN6thrust23THRUST_200600_302600_NS6detail15normal_iteratorINSA_10device_ptrIyEEEEPS6_SG_NS0_5tupleIJSF_S6_EEENSH_IJSG_SG_EEES6_PlJ7is_evenIyEEEE10hipError_tPvRmT3_T4_T5_T6_T7_T9_mT8_P12ihipStream_tbDpT10_ENKUlT_T0_E_clISt17integral_constantIbLb0EES16_EEDaS11_S12_EUlS11_E_NS1_11comp_targetILNS1_3genE10ELNS1_11target_archE1200ELNS1_3gpuE4ELNS1_3repE0EEENS1_30default_config_static_selectorELNS0_4arch9wavefront6targetE0EEEvT1_
; %bb.0:
	.section	.rodata,"a",@progbits
	.p2align	6, 0x0
	.amdhsa_kernel _ZN7rocprim17ROCPRIM_400000_NS6detail17trampoline_kernelINS0_14default_configENS1_25partition_config_selectorILNS1_17partition_subalgoE6EyNS0_10empty_typeEbEEZZNS1_14partition_implILS5_6ELb0ES3_mN6thrust23THRUST_200600_302600_NS6detail15normal_iteratorINSA_10device_ptrIyEEEEPS6_SG_NS0_5tupleIJSF_S6_EEENSH_IJSG_SG_EEES6_PlJ7is_evenIyEEEE10hipError_tPvRmT3_T4_T5_T6_T7_T9_mT8_P12ihipStream_tbDpT10_ENKUlT_T0_E_clISt17integral_constantIbLb0EES16_EEDaS11_S12_EUlS11_E_NS1_11comp_targetILNS1_3genE10ELNS1_11target_archE1200ELNS1_3gpuE4ELNS1_3repE0EEENS1_30default_config_static_selectorELNS0_4arch9wavefront6targetE0EEEvT1_
		.amdhsa_group_segment_fixed_size 0
		.amdhsa_private_segment_fixed_size 0
		.amdhsa_kernarg_size 112
		.amdhsa_user_sgpr_count 15
		.amdhsa_user_sgpr_dispatch_ptr 0
		.amdhsa_user_sgpr_queue_ptr 0
		.amdhsa_user_sgpr_kernarg_segment_ptr 1
		.amdhsa_user_sgpr_dispatch_id 0
		.amdhsa_user_sgpr_private_segment_size 0
		.amdhsa_wavefront_size32 1
		.amdhsa_uses_dynamic_stack 0
		.amdhsa_enable_private_segment 0
		.amdhsa_system_sgpr_workgroup_id_x 1
		.amdhsa_system_sgpr_workgroup_id_y 0
		.amdhsa_system_sgpr_workgroup_id_z 0
		.amdhsa_system_sgpr_workgroup_info 0
		.amdhsa_system_vgpr_workitem_id 0
		.amdhsa_next_free_vgpr 1
		.amdhsa_next_free_sgpr 1
		.amdhsa_reserve_vcc 0
		.amdhsa_float_round_mode_32 0
		.amdhsa_float_round_mode_16_64 0
		.amdhsa_float_denorm_mode_32 3
		.amdhsa_float_denorm_mode_16_64 3
		.amdhsa_dx10_clamp 1
		.amdhsa_ieee_mode 1
		.amdhsa_fp16_overflow 0
		.amdhsa_workgroup_processor_mode 1
		.amdhsa_memory_ordered 1
		.amdhsa_forward_progress 0
		.amdhsa_shared_vgpr_count 0
		.amdhsa_exception_fp_ieee_invalid_op 0
		.amdhsa_exception_fp_denorm_src 0
		.amdhsa_exception_fp_ieee_div_zero 0
		.amdhsa_exception_fp_ieee_overflow 0
		.amdhsa_exception_fp_ieee_underflow 0
		.amdhsa_exception_fp_ieee_inexact 0
		.amdhsa_exception_int_div_zero 0
	.end_amdhsa_kernel
	.section	.text._ZN7rocprim17ROCPRIM_400000_NS6detail17trampoline_kernelINS0_14default_configENS1_25partition_config_selectorILNS1_17partition_subalgoE6EyNS0_10empty_typeEbEEZZNS1_14partition_implILS5_6ELb0ES3_mN6thrust23THRUST_200600_302600_NS6detail15normal_iteratorINSA_10device_ptrIyEEEEPS6_SG_NS0_5tupleIJSF_S6_EEENSH_IJSG_SG_EEES6_PlJ7is_evenIyEEEE10hipError_tPvRmT3_T4_T5_T6_T7_T9_mT8_P12ihipStream_tbDpT10_ENKUlT_T0_E_clISt17integral_constantIbLb0EES16_EEDaS11_S12_EUlS11_E_NS1_11comp_targetILNS1_3genE10ELNS1_11target_archE1200ELNS1_3gpuE4ELNS1_3repE0EEENS1_30default_config_static_selectorELNS0_4arch9wavefront6targetE0EEEvT1_,"axG",@progbits,_ZN7rocprim17ROCPRIM_400000_NS6detail17trampoline_kernelINS0_14default_configENS1_25partition_config_selectorILNS1_17partition_subalgoE6EyNS0_10empty_typeEbEEZZNS1_14partition_implILS5_6ELb0ES3_mN6thrust23THRUST_200600_302600_NS6detail15normal_iteratorINSA_10device_ptrIyEEEEPS6_SG_NS0_5tupleIJSF_S6_EEENSH_IJSG_SG_EEES6_PlJ7is_evenIyEEEE10hipError_tPvRmT3_T4_T5_T6_T7_T9_mT8_P12ihipStream_tbDpT10_ENKUlT_T0_E_clISt17integral_constantIbLb0EES16_EEDaS11_S12_EUlS11_E_NS1_11comp_targetILNS1_3genE10ELNS1_11target_archE1200ELNS1_3gpuE4ELNS1_3repE0EEENS1_30default_config_static_selectorELNS0_4arch9wavefront6targetE0EEEvT1_,comdat
.Lfunc_end269:
	.size	_ZN7rocprim17ROCPRIM_400000_NS6detail17trampoline_kernelINS0_14default_configENS1_25partition_config_selectorILNS1_17partition_subalgoE6EyNS0_10empty_typeEbEEZZNS1_14partition_implILS5_6ELb0ES3_mN6thrust23THRUST_200600_302600_NS6detail15normal_iteratorINSA_10device_ptrIyEEEEPS6_SG_NS0_5tupleIJSF_S6_EEENSH_IJSG_SG_EEES6_PlJ7is_evenIyEEEE10hipError_tPvRmT3_T4_T5_T6_T7_T9_mT8_P12ihipStream_tbDpT10_ENKUlT_T0_E_clISt17integral_constantIbLb0EES16_EEDaS11_S12_EUlS11_E_NS1_11comp_targetILNS1_3genE10ELNS1_11target_archE1200ELNS1_3gpuE4ELNS1_3repE0EEENS1_30default_config_static_selectorELNS0_4arch9wavefront6targetE0EEEvT1_, .Lfunc_end269-_ZN7rocprim17ROCPRIM_400000_NS6detail17trampoline_kernelINS0_14default_configENS1_25partition_config_selectorILNS1_17partition_subalgoE6EyNS0_10empty_typeEbEEZZNS1_14partition_implILS5_6ELb0ES3_mN6thrust23THRUST_200600_302600_NS6detail15normal_iteratorINSA_10device_ptrIyEEEEPS6_SG_NS0_5tupleIJSF_S6_EEENSH_IJSG_SG_EEES6_PlJ7is_evenIyEEEE10hipError_tPvRmT3_T4_T5_T6_T7_T9_mT8_P12ihipStream_tbDpT10_ENKUlT_T0_E_clISt17integral_constantIbLb0EES16_EEDaS11_S12_EUlS11_E_NS1_11comp_targetILNS1_3genE10ELNS1_11target_archE1200ELNS1_3gpuE4ELNS1_3repE0EEENS1_30default_config_static_selectorELNS0_4arch9wavefront6targetE0EEEvT1_
                                        ; -- End function
	.section	.AMDGPU.csdata,"",@progbits
; Kernel info:
; codeLenInByte = 0
; NumSgprs: 0
; NumVgprs: 0
; ScratchSize: 0
; MemoryBound: 0
; FloatMode: 240
; IeeeMode: 1
; LDSByteSize: 0 bytes/workgroup (compile time only)
; SGPRBlocks: 0
; VGPRBlocks: 0
; NumSGPRsForWavesPerEU: 1
; NumVGPRsForWavesPerEU: 1
; Occupancy: 16
; WaveLimiterHint : 0
; COMPUTE_PGM_RSRC2:SCRATCH_EN: 0
; COMPUTE_PGM_RSRC2:USER_SGPR: 15
; COMPUTE_PGM_RSRC2:TRAP_HANDLER: 0
; COMPUTE_PGM_RSRC2:TGID_X_EN: 1
; COMPUTE_PGM_RSRC2:TGID_Y_EN: 0
; COMPUTE_PGM_RSRC2:TGID_Z_EN: 0
; COMPUTE_PGM_RSRC2:TIDIG_COMP_CNT: 0
	.section	.text._ZN7rocprim17ROCPRIM_400000_NS6detail17trampoline_kernelINS0_14default_configENS1_25partition_config_selectorILNS1_17partition_subalgoE6EyNS0_10empty_typeEbEEZZNS1_14partition_implILS5_6ELb0ES3_mN6thrust23THRUST_200600_302600_NS6detail15normal_iteratorINSA_10device_ptrIyEEEEPS6_SG_NS0_5tupleIJSF_S6_EEENSH_IJSG_SG_EEES6_PlJ7is_evenIyEEEE10hipError_tPvRmT3_T4_T5_T6_T7_T9_mT8_P12ihipStream_tbDpT10_ENKUlT_T0_E_clISt17integral_constantIbLb0EES16_EEDaS11_S12_EUlS11_E_NS1_11comp_targetILNS1_3genE9ELNS1_11target_archE1100ELNS1_3gpuE3ELNS1_3repE0EEENS1_30default_config_static_selectorELNS0_4arch9wavefront6targetE0EEEvT1_,"axG",@progbits,_ZN7rocprim17ROCPRIM_400000_NS6detail17trampoline_kernelINS0_14default_configENS1_25partition_config_selectorILNS1_17partition_subalgoE6EyNS0_10empty_typeEbEEZZNS1_14partition_implILS5_6ELb0ES3_mN6thrust23THRUST_200600_302600_NS6detail15normal_iteratorINSA_10device_ptrIyEEEEPS6_SG_NS0_5tupleIJSF_S6_EEENSH_IJSG_SG_EEES6_PlJ7is_evenIyEEEE10hipError_tPvRmT3_T4_T5_T6_T7_T9_mT8_P12ihipStream_tbDpT10_ENKUlT_T0_E_clISt17integral_constantIbLb0EES16_EEDaS11_S12_EUlS11_E_NS1_11comp_targetILNS1_3genE9ELNS1_11target_archE1100ELNS1_3gpuE3ELNS1_3repE0EEENS1_30default_config_static_selectorELNS0_4arch9wavefront6targetE0EEEvT1_,comdat
	.protected	_ZN7rocprim17ROCPRIM_400000_NS6detail17trampoline_kernelINS0_14default_configENS1_25partition_config_selectorILNS1_17partition_subalgoE6EyNS0_10empty_typeEbEEZZNS1_14partition_implILS5_6ELb0ES3_mN6thrust23THRUST_200600_302600_NS6detail15normal_iteratorINSA_10device_ptrIyEEEEPS6_SG_NS0_5tupleIJSF_S6_EEENSH_IJSG_SG_EEES6_PlJ7is_evenIyEEEE10hipError_tPvRmT3_T4_T5_T6_T7_T9_mT8_P12ihipStream_tbDpT10_ENKUlT_T0_E_clISt17integral_constantIbLb0EES16_EEDaS11_S12_EUlS11_E_NS1_11comp_targetILNS1_3genE9ELNS1_11target_archE1100ELNS1_3gpuE3ELNS1_3repE0EEENS1_30default_config_static_selectorELNS0_4arch9wavefront6targetE0EEEvT1_ ; -- Begin function _ZN7rocprim17ROCPRIM_400000_NS6detail17trampoline_kernelINS0_14default_configENS1_25partition_config_selectorILNS1_17partition_subalgoE6EyNS0_10empty_typeEbEEZZNS1_14partition_implILS5_6ELb0ES3_mN6thrust23THRUST_200600_302600_NS6detail15normal_iteratorINSA_10device_ptrIyEEEEPS6_SG_NS0_5tupleIJSF_S6_EEENSH_IJSG_SG_EEES6_PlJ7is_evenIyEEEE10hipError_tPvRmT3_T4_T5_T6_T7_T9_mT8_P12ihipStream_tbDpT10_ENKUlT_T0_E_clISt17integral_constantIbLb0EES16_EEDaS11_S12_EUlS11_E_NS1_11comp_targetILNS1_3genE9ELNS1_11target_archE1100ELNS1_3gpuE3ELNS1_3repE0EEENS1_30default_config_static_selectorELNS0_4arch9wavefront6targetE0EEEvT1_
	.globl	_ZN7rocprim17ROCPRIM_400000_NS6detail17trampoline_kernelINS0_14default_configENS1_25partition_config_selectorILNS1_17partition_subalgoE6EyNS0_10empty_typeEbEEZZNS1_14partition_implILS5_6ELb0ES3_mN6thrust23THRUST_200600_302600_NS6detail15normal_iteratorINSA_10device_ptrIyEEEEPS6_SG_NS0_5tupleIJSF_S6_EEENSH_IJSG_SG_EEES6_PlJ7is_evenIyEEEE10hipError_tPvRmT3_T4_T5_T6_T7_T9_mT8_P12ihipStream_tbDpT10_ENKUlT_T0_E_clISt17integral_constantIbLb0EES16_EEDaS11_S12_EUlS11_E_NS1_11comp_targetILNS1_3genE9ELNS1_11target_archE1100ELNS1_3gpuE3ELNS1_3repE0EEENS1_30default_config_static_selectorELNS0_4arch9wavefront6targetE0EEEvT1_
	.p2align	8
	.type	_ZN7rocprim17ROCPRIM_400000_NS6detail17trampoline_kernelINS0_14default_configENS1_25partition_config_selectorILNS1_17partition_subalgoE6EyNS0_10empty_typeEbEEZZNS1_14partition_implILS5_6ELb0ES3_mN6thrust23THRUST_200600_302600_NS6detail15normal_iteratorINSA_10device_ptrIyEEEEPS6_SG_NS0_5tupleIJSF_S6_EEENSH_IJSG_SG_EEES6_PlJ7is_evenIyEEEE10hipError_tPvRmT3_T4_T5_T6_T7_T9_mT8_P12ihipStream_tbDpT10_ENKUlT_T0_E_clISt17integral_constantIbLb0EES16_EEDaS11_S12_EUlS11_E_NS1_11comp_targetILNS1_3genE9ELNS1_11target_archE1100ELNS1_3gpuE3ELNS1_3repE0EEENS1_30default_config_static_selectorELNS0_4arch9wavefront6targetE0EEEvT1_,@function
_ZN7rocprim17ROCPRIM_400000_NS6detail17trampoline_kernelINS0_14default_configENS1_25partition_config_selectorILNS1_17partition_subalgoE6EyNS0_10empty_typeEbEEZZNS1_14partition_implILS5_6ELb0ES3_mN6thrust23THRUST_200600_302600_NS6detail15normal_iteratorINSA_10device_ptrIyEEEEPS6_SG_NS0_5tupleIJSF_S6_EEENSH_IJSG_SG_EEES6_PlJ7is_evenIyEEEE10hipError_tPvRmT3_T4_T5_T6_T7_T9_mT8_P12ihipStream_tbDpT10_ENKUlT_T0_E_clISt17integral_constantIbLb0EES16_EEDaS11_S12_EUlS11_E_NS1_11comp_targetILNS1_3genE9ELNS1_11target_archE1100ELNS1_3gpuE3ELNS1_3repE0EEENS1_30default_config_static_selectorELNS0_4arch9wavefront6targetE0EEEvT1_: ; @_ZN7rocprim17ROCPRIM_400000_NS6detail17trampoline_kernelINS0_14default_configENS1_25partition_config_selectorILNS1_17partition_subalgoE6EyNS0_10empty_typeEbEEZZNS1_14partition_implILS5_6ELb0ES3_mN6thrust23THRUST_200600_302600_NS6detail15normal_iteratorINSA_10device_ptrIyEEEEPS6_SG_NS0_5tupleIJSF_S6_EEENSH_IJSG_SG_EEES6_PlJ7is_evenIyEEEE10hipError_tPvRmT3_T4_T5_T6_T7_T9_mT8_P12ihipStream_tbDpT10_ENKUlT_T0_E_clISt17integral_constantIbLb0EES16_EEDaS11_S12_EUlS11_E_NS1_11comp_targetILNS1_3genE9ELNS1_11target_archE1100ELNS1_3gpuE3ELNS1_3repE0EEENS1_30default_config_static_selectorELNS0_4arch9wavefront6targetE0EEEvT1_
; %bb.0:
	s_clause 0x3
	s_load_b128 s[16:19], s[0:1], 0x8
	s_load_b128 s[8:11], s[0:1], 0x40
	s_load_b32 s12, s[0:1], 0x68
	s_load_b64 s[4:5], s[0:1], 0x50
	s_waitcnt lgkmcnt(0)
	s_lshl_b64 s[2:3], s[18:19], 3
	s_load_b64 s[6:7], s[10:11], 0x0
	s_mul_i32 s10, s12, 0x900
	s_add_u32 s14, s16, s2
	s_addc_u32 s16, s17, s3
	s_add_i32 s2, s10, s18
	s_add_i32 s12, s12, -1
	s_sub_i32 s2, s4, s2
	s_add_u32 s10, s18, s10
	s_addc_u32 s11, s19, 0
	s_cmp_eq_u32 s15, s12
	v_cmp_ge_u64_e64 s3, s[10:11], s[4:5]
	s_cselect_b32 s12, -1, 0
	s_mov_b32 s5, 0
	s_mul_i32 s4, s15, 0x900
	s_delay_alu instid0(SALU_CYCLE_1) | instskip(NEXT) | instid1(VALU_DEP_1)
	s_lshl_b64 s[4:5], s[4:5], 3
	s_and_b32 s3, s12, s3
	s_delay_alu instid0(SALU_CYCLE_1)
	s_xor_b32 s13, s3, -1
	s_add_u32 s3, s14, s4
	s_addc_u32 s4, s16, s5
	s_and_b32 vcc_lo, exec_lo, s13
	s_mov_b32 s5, -1
	s_cbranch_vccz .LBB270_2
; %bb.1:
	v_lshlrev_b32_e32 v13, 3, v0
	s_delay_alu instid0(VALU_DEP_1) | instskip(NEXT) | instid1(VALU_DEP_1)
	v_add_co_u32 v1, s5, s3, v13
	v_add_co_ci_u32_e64 v2, null, s4, 0, s5
	s_mov_b32 s5, 0
	s_delay_alu instid0(VALU_DEP_2) | instskip(NEXT) | instid1(VALU_DEP_2)
	v_add_co_u32 v3, vcc_lo, 0x1000, v1
	v_add_co_ci_u32_e32 v4, vcc_lo, 0, v2, vcc_lo
	v_add_co_u32 v5, vcc_lo, 0x2000, v1
	v_add_co_ci_u32_e32 v6, vcc_lo, 0, v2, vcc_lo
	;; [unrolled: 2-line block ×3, first 2 shown]
	s_clause 0x5
	flat_load_b64 v[9:10], v[1:2]
	flat_load_b64 v[1:2], v[1:2] offset:3072
	flat_load_b64 v[3:4], v[3:4] offset:2048
	;; [unrolled: 1-line block ×3, first 2 shown]
	flat_load_b64 v[11:12], v[7:8]
	flat_load_b64 v[7:8], v[7:8] offset:3072
	s_waitcnt vmcnt(4) lgkmcnt(0)
	ds_store_2addr_stride64_b64 v13, v[9:10], v[1:2] offset1:6
	s_waitcnt vmcnt(2)
	ds_store_2addr_stride64_b64 v13, v[3:4], v[5:6] offset0:12 offset1:18
	s_waitcnt vmcnt(0)
	ds_store_2addr_stride64_b64 v13, v[11:12], v[7:8] offset0:24 offset1:30
	s_waitcnt lgkmcnt(0)
	s_barrier
.LBB270_2:
	s_and_not1_b32 vcc_lo, exec_lo, s5
	s_addk_i32 s2, 0x900
	s_cbranch_vccnz .LBB270_16
; %bb.3:
	s_mov_b32 s5, exec_lo
                                        ; implicit-def: $vgpr1_vgpr2_vgpr3_vgpr4_vgpr5_vgpr6_vgpr7_vgpr8_vgpr9_vgpr10_vgpr11_vgpr12_vgpr13_vgpr14_vgpr15_vgpr16
	v_cmpx_gt_u32_e64 s2, v0
	s_cbranch_execz .LBB270_5
; %bb.4:
	v_lshlrev_b32_e32 v1, 3, v0
	s_delay_alu instid0(VALU_DEP_1) | instskip(NEXT) | instid1(VALU_DEP_1)
	v_add_co_u32 v1, s10, s3, v1
	v_add_co_ci_u32_e64 v2, null, s4, 0, s10
	flat_load_b64 v[1:2], v[1:2]
.LBB270_5:
	s_or_b32 exec_lo, exec_lo, s5
	v_add_nc_u32_e32 v13, 0x180, v0
	s_mov_b32 s5, exec_lo
	s_delay_alu instid0(VALU_DEP_1)
	v_cmpx_gt_u32_e64 s2, v13
	s_cbranch_execz .LBB270_7
; %bb.6:
	v_lshlrev_b32_e32 v3, 3, v0
	s_delay_alu instid0(VALU_DEP_1) | instskip(NEXT) | instid1(VALU_DEP_1)
	v_add_co_u32 v3, s10, s3, v3
	v_add_co_ci_u32_e64 v4, null, s4, 0, s10
	flat_load_b64 v[3:4], v[3:4] offset:3072
.LBB270_7:
	s_or_b32 exec_lo, exec_lo, s5
	v_add_nc_u32_e32 v13, 0x300, v0
	s_mov_b32 s5, exec_lo
	s_delay_alu instid0(VALU_DEP_1)
	v_cmpx_gt_u32_e64 s2, v13
	s_cbranch_execz .LBB270_9
; %bb.8:
	v_lshlrev_b32_e32 v5, 3, v13
	s_delay_alu instid0(VALU_DEP_1) | instskip(NEXT) | instid1(VALU_DEP_1)
	v_add_co_u32 v5, s10, s3, v5
	v_add_co_ci_u32_e64 v6, null, s4, 0, s10
	flat_load_b64 v[5:6], v[5:6]
.LBB270_9:
	s_or_b32 exec_lo, exec_lo, s5
	v_add_nc_u32_e32 v13, 0x480, v0
	s_mov_b32 s5, exec_lo
	s_delay_alu instid0(VALU_DEP_1)
	v_cmpx_gt_u32_e64 s2, v13
	s_cbranch_execz .LBB270_11
; %bb.10:
	v_lshlrev_b32_e32 v7, 3, v13
	s_delay_alu instid0(VALU_DEP_1) | instskip(NEXT) | instid1(VALU_DEP_1)
	v_add_co_u32 v7, s10, s3, v7
	v_add_co_ci_u32_e64 v8, null, s4, 0, s10
	flat_load_b64 v[7:8], v[7:8]
.LBB270_11:
	s_or_b32 exec_lo, exec_lo, s5
	v_or_b32_e32 v13, 0x600, v0
	s_mov_b32 s5, exec_lo
	s_delay_alu instid0(VALU_DEP_1)
	v_cmpx_gt_u32_e64 s2, v13
	s_cbranch_execz .LBB270_13
; %bb.12:
	v_lshlrev_b32_e32 v9, 3, v13
	s_delay_alu instid0(VALU_DEP_1) | instskip(NEXT) | instid1(VALU_DEP_1)
	v_add_co_u32 v9, s10, s3, v9
	v_add_co_ci_u32_e64 v10, null, s4, 0, s10
	flat_load_b64 v[9:10], v[9:10]
.LBB270_13:
	s_or_b32 exec_lo, exec_lo, s5
	v_add_nc_u32_e32 v13, 0x780, v0
	s_mov_b32 s5, exec_lo
	s_delay_alu instid0(VALU_DEP_1)
	v_cmpx_gt_u32_e64 s2, v13
	s_cbranch_execz .LBB270_15
; %bb.14:
	v_lshlrev_b32_e32 v11, 3, v13
	s_delay_alu instid0(VALU_DEP_1) | instskip(NEXT) | instid1(VALU_DEP_1)
	v_add_co_u32 v11, s3, s3, v11
	v_add_co_ci_u32_e64 v12, null, s4, 0, s3
	flat_load_b64 v[11:12], v[11:12]
.LBB270_15:
	s_or_b32 exec_lo, exec_lo, s5
	v_lshlrev_b32_e32 v13, 3, v0
	s_waitcnt vmcnt(0) lgkmcnt(0)
	ds_store_2addr_stride64_b64 v13, v[1:2], v[3:4] offset1:6
	ds_store_2addr_stride64_b64 v13, v[5:6], v[7:8] offset0:12 offset1:18
	ds_store_2addr_stride64_b64 v13, v[9:10], v[11:12] offset0:24 offset1:30
	s_waitcnt lgkmcnt(0)
	s_barrier
.LBB270_16:
	v_mul_u32_u24_e32 v13, 6, v0
	s_waitcnt lgkmcnt(0)
	buffer_gl0_inv
	s_and_not1_b32 vcc_lo, exec_lo, s13
	v_lshlrev_b32_e32 v35, 3, v13
	ds_load_b128 v[9:12], v35
	ds_load_b128 v[5:8], v35 offset:16
	ds_load_b128 v[1:4], v35 offset:32
	s_waitcnt lgkmcnt(0)
	s_barrier
	buffer_gl0_inv
	v_xor_b32_e32 v16, -1, v9
	v_xor_b32_e32 v18, -1, v11
	;; [unrolled: 1-line block ×6, first 2 shown]
	s_cbranch_vccnz .LBB270_18
; %bb.17:
	v_and_b32_e32 v20, 1, v18
	v_and_b32_e32 v21, 1, v19
	;; [unrolled: 1-line block ×5, first 2 shown]
	v_lshlrev_b16 v20, 8, v20
	v_lshlrev_b16 v21, 8, v21
	v_and_b32_e32 v31, 1, v15
	s_delay_alu instid0(VALU_DEP_3) | instskip(NEXT) | instid1(VALU_DEP_3)
	v_or_b32_e32 v20, v22, v20
	v_or_b32_e32 v21, v23, v21
	s_delay_alu instid0(VALU_DEP_2) | instskip(NEXT) | instid1(VALU_DEP_2)
	v_and_b32_e32 v20, 0xffff, v20
	v_lshlrev_b32_e32 v21, 16, v21
	s_delay_alu instid0(VALU_DEP_1)
	v_or_b32_e32 v34, v20, v21
	s_load_b64 s[10:11], s[0:1], 0x60
	s_cbranch_execz .LBB270_19
	s_branch .LBB270_20
.LBB270_18:
                                        ; implicit-def: $vgpr31
                                        ; implicit-def: $vgpr32
                                        ; implicit-def: $vgpr34
	s_load_b64 s[10:11], s[0:1], 0x60
.LBB270_19:
	v_or_b32_e32 v20, 1, v13
	v_add_nc_u32_e32 v21, 3, v13
	v_add_nc_u32_e32 v22, 2, v13
	s_delay_alu instid0(VALU_DEP_3) | instskip(SKIP_1) | instid1(VALU_DEP_4)
	v_cmp_gt_u32_e32 vcc_lo, s2, v20
	v_cndmask_b32_e64 v20, 0, 1, vcc_lo
	v_cmp_gt_u32_e32 vcc_lo, s2, v21
	s_delay_alu instid0(VALU_DEP_2)
	v_and_b32_e32 v18, v20, v18
	v_cndmask_b32_e64 v21, 0, 1, vcc_lo
	v_cmp_gt_u32_e32 vcc_lo, s2, v13
	v_add_nc_u32_e32 v20, 4, v13
	v_add_nc_u32_e32 v13, 5, v13
	v_lshlrev_b16 v18, 8, v18
	v_and_b32_e32 v19, v21, v19
	v_cndmask_b32_e64 v23, 0, 1, vcc_lo
	v_cmp_gt_u32_e32 vcc_lo, s2, v22
	s_delay_alu instid0(VALU_DEP_3) | instskip(NEXT) | instid1(VALU_DEP_3)
	v_lshlrev_b16 v19, 8, v19
	v_and_b32_e32 v16, v23, v16
	v_cndmask_b32_e64 v22, 0, 1, vcc_lo
	v_cmp_gt_u32_e32 vcc_lo, s2, v20
	s_delay_alu instid0(VALU_DEP_3) | instskip(NEXT) | instid1(VALU_DEP_3)
	v_or_b32_e32 v16, v16, v18
	v_and_b32_e32 v17, v22, v17
	v_cndmask_b32_e64 v18, 0, 1, vcc_lo
	v_cmp_gt_u32_e32 vcc_lo, s2, v13
	s_delay_alu instid0(VALU_DEP_4) | instskip(NEXT) | instid1(VALU_DEP_4)
	v_and_b32_e32 v16, 0xffff, v16
	v_or_b32_e32 v17, v17, v19
	s_delay_alu instid0(VALU_DEP_4) | instskip(SKIP_1) | instid1(VALU_DEP_3)
	v_and_b32_e32 v32, v18, v14
	v_cndmask_b32_e64 v13, 0, 1, vcc_lo
	v_lshlrev_b32_e32 v17, 16, v17
	s_delay_alu instid0(VALU_DEP_2) | instskip(NEXT) | instid1(VALU_DEP_2)
	v_and_b32_e32 v31, v13, v15
	v_or_b32_e32 v34, v16, v17
.LBB270_20:
	s_delay_alu instid0(VALU_DEP_1)
	v_dual_mov_b32 v14, 0 :: v_dual_and_b32 v39, 0xff, v34
	v_bfe_u32 v38, v34, 8, 8
	v_bfe_u32 v37, v34, 16, 8
	v_lshrrev_b32_e32 v33, 24, v34
	v_and_b32_e32 v36, 0xff, v32
	v_mbcnt_lo_u32_b32 v40, -1, 0
	v_add_co_u32 v13, s2, v38, v39
	s_delay_alu instid0(VALU_DEP_1) | instskip(SKIP_1) | instid1(VALU_DEP_3)
	v_add_co_ci_u32_e64 v15, null, 0, 0, s2
	v_and_b32_e32 v16, 0xff, v31
	v_add_co_u32 v13, vcc_lo, v13, v37
	s_delay_alu instid0(VALU_DEP_3) | instskip(SKIP_1) | instid1(VALU_DEP_3)
	v_add_co_ci_u32_e32 v15, vcc_lo, 0, v15, vcc_lo
	v_and_b32_e32 v41, 15, v40
	v_add_co_u32 v13, vcc_lo, v13, v33
	s_delay_alu instid0(VALU_DEP_3) | instskip(NEXT) | instid1(VALU_DEP_3)
	v_add_co_ci_u32_e32 v15, vcc_lo, 0, v15, vcc_lo
	v_cmp_ne_u32_e64 s2, 0, v41
	s_delay_alu instid0(VALU_DEP_3) | instskip(NEXT) | instid1(VALU_DEP_3)
	v_add_co_u32 v13, vcc_lo, v13, v36
	v_add_co_ci_u32_e32 v15, vcc_lo, 0, v15, vcc_lo
	s_cmp_lg_u32 s15, 0
	s_delay_alu instid0(VALU_DEP_2) | instskip(NEXT) | instid1(VALU_DEP_2)
	v_add_co_u32 v21, vcc_lo, v13, v16
	v_add_co_ci_u32_e32 v22, vcc_lo, 0, v15, vcc_lo
	s_mov_b32 s3, -1
	s_cbranch_scc0 .LBB270_84
; %bb.21:
	s_delay_alu instid0(VALU_DEP_2)
	v_mov_b32_e32 v15, v21
	v_mov_b32_dpp v13, v21 row_shr:1 row_mask:0xf bank_mask:0xf
	v_mov_b32_dpp v18, v14 row_shr:1 row_mask:0xf bank_mask:0xf
	v_dual_mov_b32 v17, v21 :: v_dual_mov_b32 v16, v22
	s_and_saveexec_b32 s3, s2
; %bb.22:
	s_delay_alu instid0(VALU_DEP_3) | instskip(SKIP_1) | instid1(VALU_DEP_2)
	v_add_co_u32 v17, vcc_lo, v21, v13
	v_add_co_ci_u32_e32 v14, vcc_lo, 0, v22, vcc_lo
	v_add_co_u32 v13, vcc_lo, 0, v17
	s_delay_alu instid0(VALU_DEP_2) | instskip(NEXT) | instid1(VALU_DEP_1)
	v_add_co_ci_u32_e32 v14, vcc_lo, v18, v14, vcc_lo
	v_dual_mov_b32 v16, v14 :: v_dual_mov_b32 v15, v13
; %bb.23:
	s_or_b32 exec_lo, exec_lo, s3
	v_mov_b32_dpp v13, v17 row_shr:2 row_mask:0xf bank_mask:0xf
	v_mov_b32_dpp v18, v14 row_shr:2 row_mask:0xf bank_mask:0xf
	v_cmp_lt_u32_e32 vcc_lo, 1, v41
	s_and_saveexec_b32 s4, vcc_lo
; %bb.24:
	s_delay_alu instid0(VALU_DEP_3) | instskip(NEXT) | instid1(VALU_DEP_1)
	v_add_co_u32 v17, s3, v15, v13
	v_add_co_ci_u32_e64 v14, s3, 0, v16, s3
	s_delay_alu instid0(VALU_DEP_2) | instskip(NEXT) | instid1(VALU_DEP_1)
	v_add_co_u32 v13, s3, 0, v17
	v_add_co_ci_u32_e64 v14, s3, v18, v14, s3
	s_delay_alu instid0(VALU_DEP_1)
	v_dual_mov_b32 v16, v14 :: v_dual_mov_b32 v15, v13
; %bb.25:
	s_or_b32 exec_lo, exec_lo, s4
	v_mov_b32_dpp v13, v17 row_shr:4 row_mask:0xf bank_mask:0xf
	v_mov_b32_dpp v18, v14 row_shr:4 row_mask:0xf bank_mask:0xf
	v_cmp_lt_u32_e64 s3, 3, v41
	s_delay_alu instid0(VALU_DEP_1)
	s_and_saveexec_b32 s5, s3
; %bb.26:
	s_delay_alu instid0(VALU_DEP_3) | instskip(NEXT) | instid1(VALU_DEP_1)
	v_add_co_u32 v17, s4, v15, v13
	v_add_co_ci_u32_e64 v14, s4, 0, v16, s4
	s_delay_alu instid0(VALU_DEP_2) | instskip(NEXT) | instid1(VALU_DEP_1)
	v_add_co_u32 v13, s4, 0, v17
	v_add_co_ci_u32_e64 v14, s4, v18, v14, s4
	s_delay_alu instid0(VALU_DEP_1)
	v_dual_mov_b32 v16, v14 :: v_dual_mov_b32 v15, v13
; %bb.27:
	s_or_b32 exec_lo, exec_lo, s5
	v_mov_b32_dpp v18, v17 row_shr:8 row_mask:0xf bank_mask:0xf
	v_mov_b32_dpp v13, v14 row_shr:8 row_mask:0xf bank_mask:0xf
	v_cmp_lt_u32_e64 s4, 7, v41
	s_delay_alu instid0(VALU_DEP_1)
	s_and_saveexec_b32 s14, s4
; %bb.28:
	s_delay_alu instid0(VALU_DEP_3) | instskip(NEXT) | instid1(VALU_DEP_1)
	v_add_co_u32 v17, s5, v15, v18
	v_add_co_ci_u32_e64 v14, s5, 0, v16, s5
	s_delay_alu instid0(VALU_DEP_2) | instskip(NEXT) | instid1(VALU_DEP_1)
	v_add_co_u32 v15, s5, 0, v17
	v_add_co_ci_u32_e64 v16, s5, v13, v14, s5
	s_delay_alu instid0(VALU_DEP_1)
	v_mov_b32_e32 v14, v16
; %bb.29:
	s_or_b32 exec_lo, exec_lo, s14
	ds_swizzle_b32 v13, v17 offset:swizzle(BROADCAST,32,15)
	ds_swizzle_b32 v18, v14 offset:swizzle(BROADCAST,32,15)
	v_and_b32_e32 v19, 16, v40
	s_mov_b32 s14, exec_lo
	s_delay_alu instid0(VALU_DEP_1)
	v_cmpx_ne_u32_e32 0, v19
	s_cbranch_execz .LBB270_31
; %bb.30:
	s_waitcnt lgkmcnt(0)
	v_add_co_u32 v17, s5, v15, v13
	s_delay_alu instid0(VALU_DEP_1) | instskip(NEXT) | instid1(VALU_DEP_2)
	v_add_co_ci_u32_e64 v14, s5, 0, v16, s5
	v_add_co_u32 v13, s5, 0, v17
	s_delay_alu instid0(VALU_DEP_1) | instskip(NEXT) | instid1(VALU_DEP_1)
	v_add_co_ci_u32_e64 v14, s5, v18, v14, s5
	v_dual_mov_b32 v16, v14 :: v_dual_mov_b32 v15, v13
.LBB270_31:
	s_or_b32 exec_lo, exec_lo, s14
	s_waitcnt lgkmcnt(0)
	v_and_b32_e32 v13, 0x1e0, v0
	s_mov_b32 s14, exec_lo
	s_delay_alu instid0(VALU_DEP_1) | instskip(NEXT) | instid1(VALU_DEP_1)
	v_min_u32_e32 v13, 0x160, v13
	v_or_b32_e32 v18, 31, v13
	v_lshrrev_b32_e32 v13, 5, v0
	s_delay_alu instid0(VALU_DEP_2)
	v_cmpx_eq_u32_e64 v18, v0
	s_cbranch_execz .LBB270_33
; %bb.32:
	s_delay_alu instid0(VALU_DEP_2)
	v_lshlrev_b32_e32 v18, 3, v13
	ds_store_b64 v18, v[15:16]
.LBB270_33:
	s_or_b32 exec_lo, exec_lo, s14
	s_delay_alu instid0(SALU_CYCLE_1)
	s_mov_b32 s14, exec_lo
	s_waitcnt lgkmcnt(0)
	s_barrier
	buffer_gl0_inv
	v_cmpx_gt_u32_e32 12, v0
	s_cbranch_execz .LBB270_43
; %bb.34:
	v_lshlrev_b32_e32 v18, 3, v0
	ds_load_b64 v[15:16], v18
	s_waitcnt lgkmcnt(0)
	v_mov_b32_e32 v19, v15
	v_mov_b32_dpp v23, v15 row_shr:1 row_mask:0xf bank_mask:0xf
	v_mov_b32_dpp v20, v16 row_shr:1 row_mask:0xf bank_mask:0xf
	s_and_saveexec_b32 s16, s2
; %bb.35:
	s_delay_alu instid0(VALU_DEP_2) | instskip(NEXT) | instid1(VALU_DEP_1)
	v_add_co_u32 v19, s5, v15, v23
	v_add_co_ci_u32_e64 v16, s5, 0, v16, s5
	s_delay_alu instid0(VALU_DEP_2) | instskip(NEXT) | instid1(VALU_DEP_1)
	v_add_co_u32 v15, s5, 0, v19
	v_add_co_ci_u32_e64 v16, s5, v20, v16, s5
; %bb.36:
	s_or_b32 exec_lo, exec_lo, s16
	v_mov_b32_dpp v23, v19 row_shr:2 row_mask:0xf bank_mask:0xf
	s_delay_alu instid0(VALU_DEP_2)
	v_mov_b32_dpp v20, v16 row_shr:2 row_mask:0xf bank_mask:0xf
	s_and_saveexec_b32 s5, vcc_lo
; %bb.37:
	s_delay_alu instid0(VALU_DEP_2) | instskip(SKIP_1) | instid1(VALU_DEP_2)
	v_add_co_u32 v19, vcc_lo, v15, v23
	v_add_co_ci_u32_e32 v16, vcc_lo, 0, v16, vcc_lo
	v_add_co_u32 v15, vcc_lo, 0, v19
	s_delay_alu instid0(VALU_DEP_2)
	v_add_co_ci_u32_e32 v16, vcc_lo, v20, v16, vcc_lo
; %bb.38:
	s_or_b32 exec_lo, exec_lo, s5
	v_mov_b32_dpp v23, v19 row_shr:4 row_mask:0xf bank_mask:0xf
	s_delay_alu instid0(VALU_DEP_2)
	v_mov_b32_dpp v20, v16 row_shr:4 row_mask:0xf bank_mask:0xf
	s_and_saveexec_b32 s5, s3
; %bb.39:
	s_delay_alu instid0(VALU_DEP_2) | instskip(SKIP_1) | instid1(VALU_DEP_2)
	v_add_co_u32 v19, vcc_lo, v15, v23
	v_add_co_ci_u32_e32 v16, vcc_lo, 0, v16, vcc_lo
	v_add_co_u32 v15, vcc_lo, 0, v19
	s_delay_alu instid0(VALU_DEP_2)
	v_add_co_ci_u32_e32 v16, vcc_lo, v20, v16, vcc_lo
; %bb.40:
	s_or_b32 exec_lo, exec_lo, s5
	v_mov_b32_dpp v20, v19 row_shr:8 row_mask:0xf bank_mask:0xf
	s_delay_alu instid0(VALU_DEP_2)
	v_mov_b32_dpp v19, v16 row_shr:8 row_mask:0xf bank_mask:0xf
	s_and_saveexec_b32 s3, s4
; %bb.41:
	s_delay_alu instid0(VALU_DEP_2) | instskip(SKIP_1) | instid1(VALU_DEP_2)
	v_add_co_u32 v15, vcc_lo, v15, v20
	v_add_co_ci_u32_e32 v16, vcc_lo, 0, v16, vcc_lo
	v_add_co_u32 v15, vcc_lo, v15, 0
	s_delay_alu instid0(VALU_DEP_2)
	v_add_co_ci_u32_e32 v16, vcc_lo, v16, v19, vcc_lo
; %bb.42:
	s_or_b32 exec_lo, exec_lo, s3
	ds_store_b64 v18, v[15:16]
.LBB270_43:
	s_or_b32 exec_lo, exec_lo, s14
	v_cmp_gt_u32_e32 vcc_lo, 32, v0
	s_mov_b32 s4, exec_lo
	s_waitcnt lgkmcnt(0)
	s_barrier
	buffer_gl0_inv
                                        ; implicit-def: $vgpr23_vgpr24
	v_cmpx_lt_u32_e32 31, v0
	s_cbranch_execz .LBB270_45
; %bb.44:
	v_lshl_add_u32 v13, v13, 3, -8
	ds_load_b64 v[23:24], v13
	s_waitcnt lgkmcnt(0)
	v_add_co_u32 v17, s3, v17, v23
	s_delay_alu instid0(VALU_DEP_1)
	v_add_co_ci_u32_e64 v14, s3, v14, v24, s3
.LBB270_45:
	s_or_b32 exec_lo, exec_lo, s4
	v_add_nc_u32_e32 v13, -1, v40
	s_delay_alu instid0(VALU_DEP_1) | instskip(NEXT) | instid1(VALU_DEP_1)
	v_cmp_gt_i32_e64 s3, 0, v13
	v_cndmask_b32_e64 v13, v13, v40, s3
	v_cmp_eq_u32_e64 s3, 0, v40
	s_delay_alu instid0(VALU_DEP_2)
	v_lshlrev_b32_e32 v13, 2, v13
	ds_bpermute_b32 v29, v13, v17
	ds_bpermute_b32 v30, v13, v14
	s_and_saveexec_b32 s4, vcc_lo
	s_cbranch_execz .LBB270_83
; %bb.46:
	v_mov_b32_e32 v16, 0
	ds_load_b64 v[13:14], v16 offset:88
	s_and_saveexec_b32 s5, s3
	s_cbranch_execz .LBB270_48
; %bb.47:
	s_add_i32 s16, s15, 32
	s_mov_b32 s17, 0
	s_delay_alu instid0(SALU_CYCLE_1) | instskip(NEXT) | instid1(SALU_CYCLE_1)
	s_lshl_b64 s[16:17], s[16:17], 4
	s_add_u32 s16, s10, s16
	s_addc_u32 s17, s11, s17
	s_delay_alu instid0(SALU_CYCLE_1)
	v_dual_mov_b32 v15, 1 :: v_dual_mov_b32 v18, s17
	v_mov_b32_e32 v17, s16
	s_waitcnt lgkmcnt(0)
	;;#ASMSTART
	global_store_dwordx4 v[17:18], v[13:16] off	
s_waitcnt vmcnt(0)
	;;#ASMEND
.LBB270_48:
	s_or_b32 exec_lo, exec_lo, s5
	v_xad_u32 v25, v40, -1, s15
	s_mov_b32 s14, 0
	s_mov_b32 s5, exec_lo
	s_delay_alu instid0(VALU_DEP_1) | instskip(NEXT) | instid1(VALU_DEP_1)
	v_add_nc_u32_e32 v15, 32, v25
	v_lshlrev_b64 v[15:16], 4, v[15:16]
	s_delay_alu instid0(VALU_DEP_1) | instskip(NEXT) | instid1(VALU_DEP_2)
	v_add_co_u32 v15, vcc_lo, s10, v15
	v_add_co_ci_u32_e32 v16, vcc_lo, s11, v16, vcc_lo
	;;#ASMSTART
	global_load_dwordx4 v[17:20], v[15:16] off glc	
s_waitcnt vmcnt(0)
	;;#ASMEND
	v_and_b32_e32 v20, 0xff, v18
	v_and_b32_e32 v26, 0xff00, v18
	v_or3_b32 v17, v17, 0, 0
	v_and_b32_e32 v27, 0xff000000, v18
	v_and_b32_e32 v18, 0xff0000, v18
	s_delay_alu instid0(VALU_DEP_4) | instskip(SKIP_2) | instid1(VALU_DEP_3)
	v_or3_b32 v20, 0, v20, v26
	v_and_b32_e32 v26, 0xff, v19
	v_or3_b32 v17, v17, 0, 0
	v_or3_b32 v18, v20, v18, v27
	s_delay_alu instid0(VALU_DEP_3)
	v_cmpx_eq_u16_e32 0, v26
	s_cbranch_execz .LBB270_51
.LBB270_49:                             ; =>This Inner Loop Header: Depth=1
	;;#ASMSTART
	global_load_dwordx4 v[17:20], v[15:16] off glc	
s_waitcnt vmcnt(0)
	;;#ASMEND
	v_and_b32_e32 v20, 0xff, v19
	s_delay_alu instid0(VALU_DEP_1) | instskip(SKIP_1) | instid1(SALU_CYCLE_1)
	v_cmp_ne_u16_e32 vcc_lo, 0, v20
	s_or_b32 s14, vcc_lo, s14
	s_and_not1_b32 exec_lo, exec_lo, s14
	s_cbranch_execnz .LBB270_49
; %bb.50:
	s_or_b32 exec_lo, exec_lo, s14
.LBB270_51:
	s_delay_alu instid0(SALU_CYCLE_1)
	s_or_b32 exec_lo, exec_lo, s5
	v_cmp_ne_u32_e32 vcc_lo, 31, v40
	v_and_b32_e32 v16, 0xff, v19
	v_lshlrev_b32_e64 v43, v40, -1
	s_mov_b32 s5, exec_lo
	v_add_co_ci_u32_e32 v15, vcc_lo, 0, v40, vcc_lo
	s_delay_alu instid0(VALU_DEP_3) | instskip(SKIP_1) | instid1(VALU_DEP_3)
	v_cmp_eq_u16_e32 vcc_lo, 2, v16
	v_mov_b32_e32 v16, v17
	v_lshlrev_b32_e32 v42, 2, v15
	v_and_or_b32 v15, vcc_lo, v43, 0x80000000
	ds_bpermute_b32 v26, v42, v17
	ds_bpermute_b32 v20, v42, v18
	v_ctz_i32_b32_e32 v15, v15
	s_delay_alu instid0(VALU_DEP_1)
	v_cmpx_lt_u32_e64 v40, v15
	s_cbranch_execz .LBB270_53
; %bb.52:
	s_waitcnt lgkmcnt(1)
	v_add_co_u32 v16, vcc_lo, v17, v26
	v_add_co_ci_u32_e32 v18, vcc_lo, 0, v18, vcc_lo
	s_delay_alu instid0(VALU_DEP_2) | instskip(SKIP_1) | instid1(VALU_DEP_2)
	v_add_co_u32 v17, vcc_lo, 0, v16
	s_waitcnt lgkmcnt(0)
	v_add_co_ci_u32_e32 v18, vcc_lo, v20, v18, vcc_lo
.LBB270_53:
	s_or_b32 exec_lo, exec_lo, s5
	v_cmp_gt_u32_e32 vcc_lo, 30, v40
	v_add_nc_u32_e32 v45, 2, v40
	s_mov_b32 s5, exec_lo
	s_waitcnt lgkmcnt(0)
	v_cndmask_b32_e64 v20, 0, 1, vcc_lo
	s_delay_alu instid0(VALU_DEP_1) | instskip(NEXT) | instid1(VALU_DEP_1)
	v_lshlrev_b32_e32 v20, 1, v20
	v_add_lshl_u32 v44, v20, v40, 2
	ds_bpermute_b32 v26, v44, v16
	ds_bpermute_b32 v20, v44, v18
	v_cmpx_le_u32_e64 v45, v15
	s_cbranch_execz .LBB270_55
; %bb.54:
	s_waitcnt lgkmcnt(1)
	v_add_co_u32 v16, vcc_lo, v17, v26
	v_add_co_ci_u32_e32 v18, vcc_lo, 0, v18, vcc_lo
	s_delay_alu instid0(VALU_DEP_2) | instskip(SKIP_1) | instid1(VALU_DEP_2)
	v_add_co_u32 v17, vcc_lo, 0, v16
	s_waitcnt lgkmcnt(0)
	v_add_co_ci_u32_e32 v18, vcc_lo, v20, v18, vcc_lo
.LBB270_55:
	s_or_b32 exec_lo, exec_lo, s5
	v_cmp_gt_u32_e32 vcc_lo, 28, v40
	v_add_nc_u32_e32 v47, 4, v40
	s_mov_b32 s5, exec_lo
	s_waitcnt lgkmcnt(0)
	v_cndmask_b32_e64 v20, 0, 1, vcc_lo
	s_delay_alu instid0(VALU_DEP_1) | instskip(NEXT) | instid1(VALU_DEP_1)
	v_lshlrev_b32_e32 v20, 2, v20
	v_add_lshl_u32 v46, v20, v40, 2
	ds_bpermute_b32 v26, v46, v16
	ds_bpermute_b32 v20, v46, v18
	v_cmpx_le_u32_e64 v47, v15
	s_cbranch_execz .LBB270_57
; %bb.56:
	s_waitcnt lgkmcnt(1)
	v_add_co_u32 v16, vcc_lo, v17, v26
	v_add_co_ci_u32_e32 v18, vcc_lo, 0, v18, vcc_lo
	s_delay_alu instid0(VALU_DEP_2) | instskip(SKIP_1) | instid1(VALU_DEP_2)
	v_add_co_u32 v17, vcc_lo, 0, v16
	s_waitcnt lgkmcnt(0)
	v_add_co_ci_u32_e32 v18, vcc_lo, v20, v18, vcc_lo
.LBB270_57:
	s_or_b32 exec_lo, exec_lo, s5
	v_cmp_gt_u32_e32 vcc_lo, 24, v40
	v_add_nc_u32_e32 v49, 8, v40
	s_mov_b32 s5, exec_lo
	s_waitcnt lgkmcnt(0)
	v_cndmask_b32_e64 v20, 0, 1, vcc_lo
	s_delay_alu instid0(VALU_DEP_1) | instskip(NEXT) | instid1(VALU_DEP_1)
	v_lshlrev_b32_e32 v20, 3, v20
	v_add_lshl_u32 v48, v20, v40, 2
	ds_bpermute_b32 v26, v48, v16
	ds_bpermute_b32 v20, v48, v18
	v_cmpx_le_u32_e64 v49, v15
	s_cbranch_execz .LBB270_59
; %bb.58:
	s_waitcnt lgkmcnt(1)
	v_add_co_u32 v16, vcc_lo, v17, v26
	v_add_co_ci_u32_e32 v18, vcc_lo, 0, v18, vcc_lo
	s_delay_alu instid0(VALU_DEP_2) | instskip(SKIP_1) | instid1(VALU_DEP_2)
	v_add_co_u32 v17, vcc_lo, 0, v16
	s_waitcnt lgkmcnt(0)
	v_add_co_ci_u32_e32 v18, vcc_lo, v20, v18, vcc_lo
.LBB270_59:
	s_or_b32 exec_lo, exec_lo, s5
	v_cmp_gt_u32_e32 vcc_lo, 16, v40
	v_add_nc_u32_e32 v51, 16, v40
	s_mov_b32 s5, exec_lo
	s_waitcnt lgkmcnt(0)
	v_cndmask_b32_e64 v20, 0, 1, vcc_lo
	s_delay_alu instid0(VALU_DEP_1) | instskip(NEXT) | instid1(VALU_DEP_1)
	v_lshlrev_b32_e32 v20, 4, v20
	v_add_lshl_u32 v50, v20, v40, 2
	ds_bpermute_b32 v20, v50, v16
	ds_bpermute_b32 v16, v50, v18
	v_cmpx_le_u32_e64 v51, v15
	s_cbranch_execz .LBB270_61
; %bb.60:
	s_waitcnt lgkmcnt(1)
	v_add_co_u32 v15, vcc_lo, v17, v20
	v_add_co_ci_u32_e32 v18, vcc_lo, 0, v18, vcc_lo
	s_delay_alu instid0(VALU_DEP_2) | instskip(SKIP_1) | instid1(VALU_DEP_2)
	v_add_co_u32 v17, vcc_lo, v15, 0
	s_waitcnt lgkmcnt(0)
	v_add_co_ci_u32_e32 v18, vcc_lo, v18, v16, vcc_lo
.LBB270_61:
	s_or_b32 exec_lo, exec_lo, s5
	v_mov_b32_e32 v26, 0
	s_branch .LBB270_63
.LBB270_62:                             ;   in Loop: Header=BB270_63 Depth=1
	s_or_b32 exec_lo, exec_lo, s5
	v_add_co_u32 v17, vcc_lo, v17, v15
	v_subrev_nc_u32_e32 v25, 32, v25
	v_add_co_ci_u32_e32 v18, vcc_lo, v18, v16, vcc_lo
.LBB270_63:                             ; =>This Loop Header: Depth=1
                                        ;     Child Loop BB270_66 Depth 2
	v_and_b32_e32 v15, 0xff, v19
	s_delay_alu instid0(VALU_DEP_1) | instskip(SKIP_2) | instid1(VALU_DEP_1)
	v_cmp_ne_u16_e32 vcc_lo, 2, v15
	v_cndmask_b32_e64 v15, 0, 1, vcc_lo
	;;#ASMSTART
	;;#ASMEND
	v_cmp_ne_u32_e32 vcc_lo, 0, v15
	s_waitcnt lgkmcnt(0)
	v_dual_mov_b32 v15, v17 :: v_dual_mov_b32 v16, v18
	s_cmp_lg_u32 vcc_lo, exec_lo
	s_cbranch_scc1 .LBB270_78
; %bb.64:                               ;   in Loop: Header=BB270_63 Depth=1
	v_lshlrev_b64 v[17:18], 4, v[25:26]
	s_mov_b32 s5, exec_lo
	s_delay_alu instid0(VALU_DEP_1) | instskip(NEXT) | instid1(VALU_DEP_2)
	v_add_co_u32 v27, vcc_lo, s10, v17
	v_add_co_ci_u32_e32 v28, vcc_lo, s11, v18, vcc_lo
	;;#ASMSTART
	global_load_dwordx4 v[17:20], v[27:28] off glc	
s_waitcnt vmcnt(0)
	;;#ASMEND
	v_and_b32_e32 v20, 0xff, v18
	v_and_b32_e32 v52, 0xff00, v18
	v_or3_b32 v17, v17, 0, 0
	v_and_b32_e32 v53, 0xff000000, v18
	v_and_b32_e32 v18, 0xff0000, v18
	s_delay_alu instid0(VALU_DEP_4) | instskip(SKIP_2) | instid1(VALU_DEP_3)
	v_or3_b32 v20, 0, v20, v52
	v_and_b32_e32 v52, 0xff, v19
	v_or3_b32 v17, v17, 0, 0
	v_or3_b32 v18, v20, v18, v53
	s_delay_alu instid0(VALU_DEP_3)
	v_cmpx_eq_u16_e32 0, v52
	s_cbranch_execz .LBB270_68
; %bb.65:                               ;   in Loop: Header=BB270_63 Depth=1
	s_mov_b32 s14, 0
.LBB270_66:                             ;   Parent Loop BB270_63 Depth=1
                                        ; =>  This Inner Loop Header: Depth=2
	;;#ASMSTART
	global_load_dwordx4 v[17:20], v[27:28] off glc	
s_waitcnt vmcnt(0)
	;;#ASMEND
	v_and_b32_e32 v20, 0xff, v19
	s_delay_alu instid0(VALU_DEP_1) | instskip(SKIP_1) | instid1(SALU_CYCLE_1)
	v_cmp_ne_u16_e32 vcc_lo, 0, v20
	s_or_b32 s14, vcc_lo, s14
	s_and_not1_b32 exec_lo, exec_lo, s14
	s_cbranch_execnz .LBB270_66
; %bb.67:                               ;   in Loop: Header=BB270_63 Depth=1
	s_or_b32 exec_lo, exec_lo, s14
.LBB270_68:                             ;   in Loop: Header=BB270_63 Depth=1
	s_delay_alu instid0(SALU_CYCLE_1)
	s_or_b32 exec_lo, exec_lo, s5
	v_dual_mov_b32 v27, v17 :: v_dual_and_b32 v20, 0xff, v19
	ds_bpermute_b32 v52, v42, v17
	ds_bpermute_b32 v28, v42, v18
	s_mov_b32 s5, exec_lo
	v_cmp_eq_u16_e32 vcc_lo, 2, v20
	v_and_or_b32 v20, vcc_lo, v43, 0x80000000
	s_delay_alu instid0(VALU_DEP_1) | instskip(NEXT) | instid1(VALU_DEP_1)
	v_ctz_i32_b32_e32 v20, v20
	v_cmpx_lt_u32_e64 v40, v20
	s_cbranch_execz .LBB270_70
; %bb.69:                               ;   in Loop: Header=BB270_63 Depth=1
	s_waitcnt lgkmcnt(1)
	v_add_co_u32 v27, vcc_lo, v17, v52
	v_add_co_ci_u32_e32 v18, vcc_lo, 0, v18, vcc_lo
	s_delay_alu instid0(VALU_DEP_2) | instskip(SKIP_1) | instid1(VALU_DEP_2)
	v_add_co_u32 v17, vcc_lo, 0, v27
	s_waitcnt lgkmcnt(0)
	v_add_co_ci_u32_e32 v18, vcc_lo, v28, v18, vcc_lo
.LBB270_70:                             ;   in Loop: Header=BB270_63 Depth=1
	s_or_b32 exec_lo, exec_lo, s5
	s_waitcnt lgkmcnt(1)
	ds_bpermute_b32 v52, v44, v27
	s_waitcnt lgkmcnt(1)
	ds_bpermute_b32 v28, v44, v18
	s_mov_b32 s5, exec_lo
	v_cmpx_le_u32_e64 v45, v20
	s_cbranch_execz .LBB270_72
; %bb.71:                               ;   in Loop: Header=BB270_63 Depth=1
	s_waitcnt lgkmcnt(1)
	v_add_co_u32 v27, vcc_lo, v17, v52
	v_add_co_ci_u32_e32 v18, vcc_lo, 0, v18, vcc_lo
	s_delay_alu instid0(VALU_DEP_2) | instskip(SKIP_1) | instid1(VALU_DEP_2)
	v_add_co_u32 v17, vcc_lo, 0, v27
	s_waitcnt lgkmcnt(0)
	v_add_co_ci_u32_e32 v18, vcc_lo, v28, v18, vcc_lo
.LBB270_72:                             ;   in Loop: Header=BB270_63 Depth=1
	s_or_b32 exec_lo, exec_lo, s5
	s_waitcnt lgkmcnt(1)
	ds_bpermute_b32 v52, v46, v27
	s_waitcnt lgkmcnt(1)
	ds_bpermute_b32 v28, v46, v18
	s_mov_b32 s5, exec_lo
	v_cmpx_le_u32_e64 v47, v20
	;; [unrolled: 17-line block ×3, first 2 shown]
	s_cbranch_execz .LBB270_76
; %bb.75:                               ;   in Loop: Header=BB270_63 Depth=1
	s_waitcnt lgkmcnt(1)
	v_add_co_u32 v27, vcc_lo, v17, v52
	v_add_co_ci_u32_e32 v18, vcc_lo, 0, v18, vcc_lo
	s_delay_alu instid0(VALU_DEP_2) | instskip(SKIP_1) | instid1(VALU_DEP_2)
	v_add_co_u32 v17, vcc_lo, 0, v27
	s_waitcnt lgkmcnt(0)
	v_add_co_ci_u32_e32 v18, vcc_lo, v28, v18, vcc_lo
.LBB270_76:                             ;   in Loop: Header=BB270_63 Depth=1
	s_or_b32 exec_lo, exec_lo, s5
	s_waitcnt lgkmcnt(0)
	ds_bpermute_b32 v28, v50, v27
	ds_bpermute_b32 v27, v50, v18
	s_mov_b32 s5, exec_lo
	v_cmpx_le_u32_e64 v51, v20
	s_cbranch_execz .LBB270_62
; %bb.77:                               ;   in Loop: Header=BB270_63 Depth=1
	s_waitcnt lgkmcnt(1)
	v_add_co_u32 v17, vcc_lo, v17, v28
	v_add_co_ci_u32_e32 v18, vcc_lo, 0, v18, vcc_lo
	s_delay_alu instid0(VALU_DEP_2) | instskip(SKIP_1) | instid1(VALU_DEP_2)
	v_add_co_u32 v17, vcc_lo, v17, 0
	s_waitcnt lgkmcnt(0)
	v_add_co_ci_u32_e32 v18, vcc_lo, v18, v27, vcc_lo
	s_branch .LBB270_62
.LBB270_78:                             ;   in Loop: Header=BB270_63 Depth=1
                                        ; implicit-def: $vgpr17_vgpr18
	s_cbranch_execz .LBB270_63
; %bb.79:
	s_and_saveexec_b32 s5, s3
	s_cbranch_execz .LBB270_81
; %bb.80:
	s_add_i32 s14, s15, 32
	s_mov_b32 s15, 0
	v_add_co_u32 v17, vcc_lo, v15, v13
	s_lshl_b64 s[14:15], s[14:15], 4
	v_dual_mov_b32 v19, 2 :: v_dual_mov_b32 v20, 0
	s_add_u32 s14, s10, s14
	s_addc_u32 s15, s11, s15
	v_add_co_ci_u32_e32 v18, vcc_lo, v16, v14, vcc_lo
	v_dual_mov_b32 v26, s15 :: v_dual_mov_b32 v25, s14
	;;#ASMSTART
	global_store_dwordx4 v[25:26], v[17:20] off	
s_waitcnt vmcnt(0)
	;;#ASMEND
	ds_store_b128 v20, v[13:16] offset:18432
.LBB270_81:
	s_or_b32 exec_lo, exec_lo, s5
	v_cmp_eq_u32_e32 vcc_lo, 0, v0
	s_and_b32 exec_lo, exec_lo, vcc_lo
	s_cbranch_execz .LBB270_83
; %bb.82:
	v_mov_b32_e32 v13, 0
	ds_store_b64 v13, v[15:16] offset:88
.LBB270_83:
	s_or_b32 exec_lo, exec_lo, s4
	s_waitcnt lgkmcnt(1)
	v_cndmask_b32_e64 v16, v29, v23, s3
	v_cmp_ne_u32_e32 vcc_lo, 0, v0
	v_mov_b32_e32 v15, 0
	s_waitcnt lgkmcnt(0)
	s_barrier
	buffer_gl0_inv
	v_cndmask_b32_e32 v16, 0, v16, vcc_lo
	ds_load_b64 v[13:14], v15 offset:88
	v_cndmask_b32_e64 v17, v30, v24, s3
	s_waitcnt lgkmcnt(0)
	s_barrier
	buffer_gl0_inv
	v_cndmask_b32_e32 v17, 0, v17, vcc_lo
	v_add_co_u32 v29, vcc_lo, v13, v16
	s_delay_alu instid0(VALU_DEP_2) | instskip(SKIP_3) | instid1(VALU_DEP_2)
	v_add_co_ci_u32_e32 v30, vcc_lo, v14, v17, vcc_lo
	ds_load_b128 v[13:16], v15 offset:18432
	v_add_co_u32 v27, vcc_lo, v29, v39
	v_add_co_ci_u32_e32 v28, vcc_lo, 0, v30, vcc_lo
	v_add_co_u32 v25, vcc_lo, v27, v38
	s_delay_alu instid0(VALU_DEP_2) | instskip(NEXT) | instid1(VALU_DEP_2)
	v_add_co_ci_u32_e32 v26, vcc_lo, 0, v28, vcc_lo
	v_add_co_u32 v23, vcc_lo, v25, v37
	s_delay_alu instid0(VALU_DEP_2) | instskip(NEXT) | instid1(VALU_DEP_2)
	;; [unrolled: 3-line block ×3, first 2 shown]
	v_add_co_ci_u32_e32 v20, vcc_lo, 0, v24, vcc_lo
	v_add_co_u32 v17, vcc_lo, v19, v36
	s_delay_alu instid0(VALU_DEP_2)
	v_add_co_ci_u32_e32 v18, vcc_lo, 0, v20, vcc_lo
	s_load_b64 s[4:5], s[0:1], 0x28
	s_branch .LBB270_112
.LBB270_84:
                                        ; implicit-def: $vgpr17_vgpr18
                                        ; implicit-def: $vgpr19_vgpr20
                                        ; implicit-def: $vgpr23_vgpr24
                                        ; implicit-def: $vgpr25_vgpr26
                                        ; implicit-def: $vgpr27_vgpr28
                                        ; implicit-def: $vgpr29_vgpr30
                                        ; implicit-def: $vgpr15_vgpr16
	s_load_b64 s[4:5], s[0:1], 0x28
	s_and_b32 vcc_lo, exec_lo, s3
	s_cbranch_vccz .LBB270_112
; %bb.85:
	s_waitcnt lgkmcnt(0)
	v_dual_mov_b32 v14, 0 :: v_dual_mov_b32 v15, v21
	v_mov_b32_dpp v16, v21 row_shr:1 row_mask:0xf bank_mask:0xf
	s_delay_alu instid0(VALU_DEP_2)
	v_mov_b32_dpp v13, v14 row_shr:1 row_mask:0xf bank_mask:0xf
	s_and_saveexec_b32 s0, s2
; %bb.86:
	s_delay_alu instid0(VALU_DEP_2) | instskip(SKIP_1) | instid1(VALU_DEP_2)
	v_add_co_u32 v15, vcc_lo, v21, v16
	v_add_co_ci_u32_e32 v14, vcc_lo, 0, v22, vcc_lo
	v_add_co_u32 v21, vcc_lo, 0, v15
	s_delay_alu instid0(VALU_DEP_2) | instskip(NEXT) | instid1(VALU_DEP_1)
	v_add_co_ci_u32_e32 v22, vcc_lo, v13, v14, vcc_lo
	v_mov_b32_e32 v14, v22
; %bb.87:
	s_or_b32 exec_lo, exec_lo, s0
	v_mov_b32_dpp v13, v15 row_shr:2 row_mask:0xf bank_mask:0xf
	s_delay_alu instid0(VALU_DEP_2)
	v_mov_b32_dpp v16, v14 row_shr:2 row_mask:0xf bank_mask:0xf
	v_cmp_lt_u32_e32 vcc_lo, 1, v41
	s_and_saveexec_b32 s1, vcc_lo
; %bb.88:
	s_delay_alu instid0(VALU_DEP_3) | instskip(NEXT) | instid1(VALU_DEP_1)
	v_add_co_u32 v15, s0, v21, v13
	v_add_co_ci_u32_e64 v14, s0, 0, v22, s0
	s_delay_alu instid0(VALU_DEP_2) | instskip(NEXT) | instid1(VALU_DEP_1)
	v_add_co_u32 v13, s0, 0, v15
	v_add_co_ci_u32_e64 v14, s0, v16, v14, s0
	s_delay_alu instid0(VALU_DEP_1)
	v_dual_mov_b32 v22, v14 :: v_dual_mov_b32 v21, v13
; %bb.89:
	s_or_b32 exec_lo, exec_lo, s1
	v_mov_b32_dpp v13, v15 row_shr:4 row_mask:0xf bank_mask:0xf
	v_mov_b32_dpp v16, v14 row_shr:4 row_mask:0xf bank_mask:0xf
	v_cmp_lt_u32_e64 s0, 3, v41
	s_delay_alu instid0(VALU_DEP_1)
	s_and_saveexec_b32 s3, s0
; %bb.90:
	s_delay_alu instid0(VALU_DEP_3) | instskip(NEXT) | instid1(VALU_DEP_1)
	v_add_co_u32 v15, s1, v21, v13
	v_add_co_ci_u32_e64 v14, s1, 0, v22, s1
	s_delay_alu instid0(VALU_DEP_2) | instskip(NEXT) | instid1(VALU_DEP_1)
	v_add_co_u32 v13, s1, 0, v15
	v_add_co_ci_u32_e64 v14, s1, v16, v14, s1
	s_delay_alu instid0(VALU_DEP_1)
	v_dual_mov_b32 v22, v14 :: v_dual_mov_b32 v21, v13
; %bb.91:
	s_or_b32 exec_lo, exec_lo, s3
	v_mov_b32_dpp v16, v15 row_shr:8 row_mask:0xf bank_mask:0xf
	v_mov_b32_dpp v13, v14 row_shr:8 row_mask:0xf bank_mask:0xf
	v_cmp_lt_u32_e64 s1, 7, v41
	s_delay_alu instid0(VALU_DEP_1)
	s_and_saveexec_b32 s14, s1
; %bb.92:
	s_delay_alu instid0(VALU_DEP_3) | instskip(NEXT) | instid1(VALU_DEP_1)
	v_add_co_u32 v15, s3, v21, v16
	v_add_co_ci_u32_e64 v14, s3, 0, v22, s3
	s_delay_alu instid0(VALU_DEP_2) | instskip(NEXT) | instid1(VALU_DEP_1)
	v_add_co_u32 v21, s3, 0, v15
	v_add_co_ci_u32_e64 v22, s3, v13, v14, s3
	s_delay_alu instid0(VALU_DEP_1)
	v_mov_b32_e32 v14, v22
; %bb.93:
	s_or_b32 exec_lo, exec_lo, s14
	ds_swizzle_b32 v15, v15 offset:swizzle(BROADCAST,32,15)
	ds_swizzle_b32 v13, v14 offset:swizzle(BROADCAST,32,15)
	v_and_b32_e32 v14, 16, v40
	s_mov_b32 s14, exec_lo
	s_delay_alu instid0(VALU_DEP_1)
	v_cmpx_ne_u32_e32 0, v14
	s_cbranch_execz .LBB270_95
; %bb.94:
	s_waitcnt lgkmcnt(1)
	v_add_co_u32 v14, s3, v21, v15
	s_delay_alu instid0(VALU_DEP_1) | instskip(NEXT) | instid1(VALU_DEP_2)
	v_add_co_ci_u32_e64 v15, s3, 0, v22, s3
	v_add_co_u32 v21, s3, v14, 0
	s_waitcnt lgkmcnt(0)
	s_delay_alu instid0(VALU_DEP_2)
	v_add_co_ci_u32_e64 v22, s3, v15, v13, s3
.LBB270_95:
	s_or_b32 exec_lo, exec_lo, s14
	s_waitcnt lgkmcnt(0)
	v_and_b32_e32 v13, 0x1e0, v0
	v_lshrrev_b32_e32 v15, 5, v0
	s_mov_b32 s14, exec_lo
	s_delay_alu instid0(VALU_DEP_2) | instskip(NEXT) | instid1(VALU_DEP_1)
	v_min_u32_e32 v13, 0x160, v13
	v_or_b32_e32 v13, 31, v13
	s_delay_alu instid0(VALU_DEP_1)
	v_cmpx_eq_u32_e64 v13, v0
	s_cbranch_execz .LBB270_97
; %bb.96:
	v_lshlrev_b32_e32 v13, 3, v15
	ds_store_b64 v13, v[21:22]
.LBB270_97:
	s_or_b32 exec_lo, exec_lo, s14
	s_delay_alu instid0(SALU_CYCLE_1)
	s_mov_b32 s14, exec_lo
	s_waitcnt lgkmcnt(0)
	s_barrier
	buffer_gl0_inv
	v_cmpx_gt_u32_e32 12, v0
	s_cbranch_execz .LBB270_107
; %bb.98:
	v_mad_i32_i24 v13, 0xffffffd8, v0, v35
	ds_load_b64 v[13:14], v13
	s_waitcnt lgkmcnt(0)
	v_mov_b32_dpp v18, v13 row_shr:1 row_mask:0xf bank_mask:0xf
	v_mov_b32_dpp v17, v14 row_shr:1 row_mask:0xf bank_mask:0xf
	v_mov_b32_e32 v16, v13
	s_and_saveexec_b32 s3, s2
; %bb.99:
	s_delay_alu instid0(VALU_DEP_3) | instskip(NEXT) | instid1(VALU_DEP_1)
	v_add_co_u32 v16, s2, v13, v18
	v_add_co_ci_u32_e64 v14, s2, 0, v14, s2
	s_delay_alu instid0(VALU_DEP_2) | instskip(NEXT) | instid1(VALU_DEP_1)
	v_add_co_u32 v13, s2, 0, v16
	v_add_co_ci_u32_e64 v14, s2, v17, v14, s2
; %bb.100:
	s_or_b32 exec_lo, exec_lo, s3
	v_mov_b32_dpp v18, v16 row_shr:2 row_mask:0xf bank_mask:0xf
	s_delay_alu instid0(VALU_DEP_2)
	v_mov_b32_dpp v17, v14 row_shr:2 row_mask:0xf bank_mask:0xf
	s_and_saveexec_b32 s2, vcc_lo
; %bb.101:
	s_delay_alu instid0(VALU_DEP_2) | instskip(SKIP_1) | instid1(VALU_DEP_2)
	v_add_co_u32 v16, vcc_lo, v13, v18
	v_add_co_ci_u32_e32 v14, vcc_lo, 0, v14, vcc_lo
	v_add_co_u32 v13, vcc_lo, 0, v16
	s_delay_alu instid0(VALU_DEP_2)
	v_add_co_ci_u32_e32 v14, vcc_lo, v17, v14, vcc_lo
; %bb.102:
	s_or_b32 exec_lo, exec_lo, s2
	v_mov_b32_dpp v18, v16 row_shr:4 row_mask:0xf bank_mask:0xf
	s_delay_alu instid0(VALU_DEP_2)
	v_mov_b32_dpp v17, v14 row_shr:4 row_mask:0xf bank_mask:0xf
	s_and_saveexec_b32 s2, s0
; %bb.103:
	s_delay_alu instid0(VALU_DEP_2) | instskip(SKIP_1) | instid1(VALU_DEP_2)
	v_add_co_u32 v16, vcc_lo, v13, v18
	v_add_co_ci_u32_e32 v14, vcc_lo, 0, v14, vcc_lo
	v_add_co_u32 v13, vcc_lo, 0, v16
	s_delay_alu instid0(VALU_DEP_2)
	v_add_co_ci_u32_e32 v14, vcc_lo, v17, v14, vcc_lo
; %bb.104:
	s_or_b32 exec_lo, exec_lo, s2
	v_mul_i32_i24_e32 v17, 0xffffffd8, v0
	v_mov_b32_dpp v18, v16 row_shr:8 row_mask:0xf bank_mask:0xf
	s_delay_alu instid0(VALU_DEP_3)
	v_mov_b32_dpp v16, v14 row_shr:8 row_mask:0xf bank_mask:0xf
	s_and_saveexec_b32 s0, s1
; %bb.105:
	s_delay_alu instid0(VALU_DEP_2) | instskip(SKIP_1) | instid1(VALU_DEP_2)
	v_add_co_u32 v13, vcc_lo, v13, v18
	v_add_co_ci_u32_e32 v14, vcc_lo, 0, v14, vcc_lo
	v_add_co_u32 v13, vcc_lo, v13, 0
	s_delay_alu instid0(VALU_DEP_2)
	v_add_co_ci_u32_e32 v14, vcc_lo, v14, v16, vcc_lo
; %bb.106:
	s_or_b32 exec_lo, exec_lo, s0
	v_add_nc_u32_e32 v16, v35, v17
	ds_store_b64 v16, v[13:14]
.LBB270_107:
	s_or_b32 exec_lo, exec_lo, s14
	v_mov_b32_e32 v17, 0
	v_mov_b32_e32 v18, 0
	s_mov_b32 s0, exec_lo
	s_waitcnt lgkmcnt(0)
	s_barrier
	buffer_gl0_inv
	v_cmpx_lt_u32_e32 31, v0
	s_cbranch_execz .LBB270_109
; %bb.108:
	v_lshl_add_u32 v13, v15, 3, -8
	ds_load_b64 v[17:18], v13
.LBB270_109:
	s_or_b32 exec_lo, exec_lo, s0
	v_dual_mov_b32 v16, 0 :: v_dual_add_nc_u32 v13, -1, v40
	s_delay_alu instid0(VALU_DEP_1) | instskip(SKIP_4) | instid1(VALU_DEP_3)
	v_cmp_gt_i32_e32 vcc_lo, 0, v13
	v_cndmask_b32_e32 v13, v13, v40, vcc_lo
	s_waitcnt lgkmcnt(0)
	v_add_co_u32 v14, vcc_lo, v17, v21
	v_add_co_ci_u32_e32 v15, vcc_lo, v18, v22, vcc_lo
	v_lshlrev_b32_e32 v13, 2, v13
	v_cmp_eq_u32_e32 vcc_lo, 0, v0
	ds_bpermute_b32 v19, v13, v14
	ds_bpermute_b32 v20, v13, v15
	ds_load_b64 v[13:14], v16 offset:88
	s_and_saveexec_b32 s0, vcc_lo
	s_cbranch_execz .LBB270_111
; %bb.110:
	s_add_u32 s2, s10, 0x200
	s_addc_u32 s3, s11, 0
	s_delay_alu instid0(SALU_CYCLE_1)
	v_dual_mov_b32 v15, 2 :: v_dual_mov_b32 v22, s3
	v_mov_b32_e32 v21, s2
	s_waitcnt lgkmcnt(0)
	;;#ASMSTART
	global_store_dwordx4 v[21:22], v[13:16] off	
s_waitcnt vmcnt(0)
	;;#ASMEND
.LBB270_111:
	s_or_b32 exec_lo, exec_lo, s0
	v_cmp_eq_u32_e64 s0, 0, v40
	s_waitcnt lgkmcnt(0)
	s_barrier
	buffer_gl0_inv
	v_cndmask_b32_e64 v15, v19, v17, s0
	v_cndmask_b32_e64 v16, v20, v18, s0
	s_delay_alu instid0(VALU_DEP_2) | instskip(NEXT) | instid1(VALU_DEP_2)
	v_cndmask_b32_e64 v29, v15, 0, vcc_lo
	v_cndmask_b32_e64 v30, v16, 0, vcc_lo
	v_mov_b32_e32 v15, 0
	v_mov_b32_e32 v16, 0
	s_delay_alu instid0(VALU_DEP_4) | instskip(NEXT) | instid1(VALU_DEP_4)
	v_add_co_u32 v27, vcc_lo, v29, v39
	v_add_co_ci_u32_e32 v28, vcc_lo, 0, v30, vcc_lo
	s_delay_alu instid0(VALU_DEP_2) | instskip(NEXT) | instid1(VALU_DEP_2)
	v_add_co_u32 v25, vcc_lo, v27, v38
	v_add_co_ci_u32_e32 v26, vcc_lo, 0, v28, vcc_lo
	s_delay_alu instid0(VALU_DEP_2) | instskip(NEXT) | instid1(VALU_DEP_2)
	;; [unrolled: 3-line block ×4, first 2 shown]
	v_add_co_u32 v17, vcc_lo, v19, v36
	v_add_co_ci_u32_e32 v18, vcc_lo, 0, v20, vcc_lo
.LBB270_112:
	s_waitcnt lgkmcnt(0)
	v_cmp_gt_u64_e32 vcc_lo, 0x181, v[13:14]
	v_lshrrev_b32_e32 v36, 8, v34
	v_lshrrev_b32_e32 v35, 16, v34
	s_mov_b32 s0, -1
	s_cbranch_vccnz .LBB270_116
; %bb.113:
	s_and_b32 vcc_lo, exec_lo, s0
	s_cbranch_vccnz .LBB270_135
.LBB270_114:
	v_cmp_eq_u32_e32 vcc_lo, 0, v0
	s_and_b32 s0, vcc_lo, s12
	s_delay_alu instid0(SALU_CYCLE_1)
	s_and_saveexec_b32 s1, s0
	s_cbranch_execnz .LBB270_151
.LBB270_115:
	s_nop 0
	s_sendmsg sendmsg(MSG_DEALLOC_VGPRS)
	s_endpgm
.LBB270_116:
	v_add_co_u32 v21, vcc_lo, v15, v13
	v_add_co_ci_u32_e32 v22, vcc_lo, v16, v14, vcc_lo
	s_lshl_b64 s[0:1], s[6:7], 3
	s_delay_alu instid0(SALU_CYCLE_1) | instskip(NEXT) | instid1(VALU_DEP_1)
	s_add_u32 s0, s4, s0
	v_cmp_lt_u64_e32 vcc_lo, v[29:30], v[21:22]
	s_addc_u32 s1, s5, s1
	s_or_b32 s3, s13, vcc_lo
	s_delay_alu instid0(SALU_CYCLE_1)
	s_and_saveexec_b32 s2, s3
	s_cbranch_execz .LBB270_119
; %bb.117:
	v_and_b32_e32 v37, 1, v34
	s_delay_alu instid0(VALU_DEP_1)
	v_cmp_eq_u32_e32 vcc_lo, 1, v37
	s_and_b32 exec_lo, exec_lo, vcc_lo
	s_cbranch_execz .LBB270_119
; %bb.118:
	v_lshlrev_b64 v[37:38], 3, v[29:30]
	s_delay_alu instid0(VALU_DEP_1) | instskip(NEXT) | instid1(VALU_DEP_2)
	v_add_co_u32 v37, vcc_lo, s0, v37
	v_add_co_ci_u32_e32 v38, vcc_lo, s1, v38, vcc_lo
	global_store_b64 v[37:38], v[9:10], off
.LBB270_119:
	s_or_b32 exec_lo, exec_lo, s2
	v_cmp_lt_u64_e32 vcc_lo, v[27:28], v[21:22]
	s_or_b32 s3, s13, vcc_lo
	s_delay_alu instid0(SALU_CYCLE_1)
	s_and_saveexec_b32 s2, s3
	s_cbranch_execz .LBB270_122
; %bb.120:
	v_and_b32_e32 v30, 1, v36
	s_delay_alu instid0(VALU_DEP_1)
	v_cmp_eq_u32_e32 vcc_lo, 1, v30
	s_and_b32 exec_lo, exec_lo, vcc_lo
	s_cbranch_execz .LBB270_122
; %bb.121:
	v_lshlrev_b64 v[37:38], 3, v[27:28]
	s_delay_alu instid0(VALU_DEP_1) | instskip(NEXT) | instid1(VALU_DEP_2)
	v_add_co_u32 v37, vcc_lo, s0, v37
	v_add_co_ci_u32_e32 v38, vcc_lo, s1, v38, vcc_lo
	global_store_b64 v[37:38], v[11:12], off
.LBB270_122:
	s_or_b32 exec_lo, exec_lo, s2
	v_cmp_lt_u64_e32 vcc_lo, v[25:26], v[21:22]
	;; [unrolled: 19-line block ×5, first 2 shown]
	s_or_b32 s3, s13, vcc_lo
	s_delay_alu instid0(SALU_CYCLE_1)
	s_and_saveexec_b32 s2, s3
	s_cbranch_execz .LBB270_134
; %bb.132:
	v_and_b32_e32 v20, 1, v31
	s_delay_alu instid0(VALU_DEP_1)
	v_cmp_eq_u32_e32 vcc_lo, 1, v20
	s_and_b32 exec_lo, exec_lo, vcc_lo
	s_cbranch_execz .LBB270_134
; %bb.133:
	v_lshlrev_b64 v[20:21], 3, v[17:18]
	s_delay_alu instid0(VALU_DEP_1) | instskip(NEXT) | instid1(VALU_DEP_2)
	v_add_co_u32 v20, vcc_lo, s0, v20
	v_add_co_ci_u32_e32 v21, vcc_lo, s1, v21, vcc_lo
	global_store_b64 v[20:21], v[3:4], off
.LBB270_134:
	s_or_b32 exec_lo, exec_lo, s2
	s_branch .LBB270_114
.LBB270_135:
	v_and_b32_e32 v18, 1, v34
	s_mov_b32 s0, exec_lo
	s_delay_alu instid0(VALU_DEP_1)
	v_cmpx_eq_u32_e32 1, v18
	s_cbranch_execz .LBB270_137
; %bb.136:
	v_sub_nc_u32_e32 v18, v29, v15
	s_delay_alu instid0(VALU_DEP_1)
	v_lshlrev_b32_e32 v18, 3, v18
	ds_store_b64 v18, v[9:10]
.LBB270_137:
	s_or_b32 exec_lo, exec_lo, s0
	v_and_b32_e32 v9, 1, v36
	s_mov_b32 s0, exec_lo
	s_delay_alu instid0(VALU_DEP_1)
	v_cmpx_eq_u32_e32 1, v9
	s_cbranch_execz .LBB270_139
; %bb.138:
	v_sub_nc_u32_e32 v9, v27, v15
	s_delay_alu instid0(VALU_DEP_1)
	v_lshlrev_b32_e32 v9, 3, v9
	ds_store_b64 v9, v[11:12]
.LBB270_139:
	s_or_b32 exec_lo, exec_lo, s0
	;; [unrolled: 12-line block ×6, first 2 shown]
	v_mov_b32_e32 v3, 0
	s_mov_b32 s1, exec_lo
	s_waitcnt lgkmcnt(0)
	s_waitcnt_vscnt null, 0x0
	s_barrier
	buffer_gl0_inv
	v_mov_b32_e32 v1, v3
	s_delay_alu instid0(VALU_DEP_1)
	v_cmpx_gt_u64_e64 v[13:14], v[0:1]
	s_cbranch_execz .LBB270_150
; %bb.148:
	v_lshlrev_b64 v[4:5], 3, v[15:16]
	s_lshl_b64 s[2:3], s[6:7], 3
	v_add_nc_u32_e32 v2, 0x180, v0
	s_delay_alu instid0(VALU_DEP_2) | instskip(NEXT) | instid1(VALU_DEP_3)
	v_add_co_u32 v4, vcc_lo, s4, v4
	v_add_co_ci_u32_e32 v5, vcc_lo, s5, v5, vcc_lo
	s_delay_alu instid0(VALU_DEP_2) | instskip(NEXT) | instid1(VALU_DEP_2)
	v_add_co_u32 v6, vcc_lo, v4, s2
	v_add_co_ci_u32_e32 v7, vcc_lo, s3, v5, vcc_lo
	v_dual_mov_b32 v5, v1 :: v_dual_mov_b32 v4, v0
	s_mov_b32 s2, 0
	.p2align	6
.LBB270_149:                            ; =>This Inner Loop Header: Depth=1
	s_delay_alu instid0(VALU_DEP_1) | instskip(NEXT) | instid1(VALU_DEP_2)
	v_lshlrev_b32_e32 v1, 3, v4
	v_lshlrev_b64 v[10:11], 3, v[4:5]
	v_dual_mov_b32 v5, v3 :: v_dual_mov_b32 v4, v2
	v_cmp_le_u64_e32 vcc_lo, v[13:14], v[2:3]
	v_add_nc_u32_e32 v2, 0x180, v2
	ds_load_b64 v[8:9], v1
	v_add_co_u32 v10, s0, v6, v10
	s_delay_alu instid0(VALU_DEP_1)
	v_add_co_ci_u32_e64 v11, s0, v7, v11, s0
	s_or_b32 s2, vcc_lo, s2
	s_waitcnt lgkmcnt(0)
	global_store_b64 v[10:11], v[8:9], off
	s_and_not1_b32 exec_lo, exec_lo, s2
	s_cbranch_execnz .LBB270_149
.LBB270_150:
	s_or_b32 exec_lo, exec_lo, s1
	v_cmp_eq_u32_e32 vcc_lo, 0, v0
	s_and_b32 s0, vcc_lo, s12
	s_delay_alu instid0(SALU_CYCLE_1)
	s_and_saveexec_b32 s1, s0
	s_cbranch_execz .LBB270_115
.LBB270_151:
	v_add_co_u32 v0, vcc_lo, v15, v13
	v_add_co_ci_u32_e32 v1, vcc_lo, v16, v14, vcc_lo
	v_mov_b32_e32 v2, 0
	s_delay_alu instid0(VALU_DEP_3) | instskip(NEXT) | instid1(VALU_DEP_3)
	v_add_co_u32 v0, vcc_lo, v0, s6
	v_add_co_ci_u32_e32 v1, vcc_lo, s7, v1, vcc_lo
	global_store_b64 v2, v[0:1], s[8:9]
	s_nop 0
	s_sendmsg sendmsg(MSG_DEALLOC_VGPRS)
	s_endpgm
	.section	.rodata,"a",@progbits
	.p2align	6, 0x0
	.amdhsa_kernel _ZN7rocprim17ROCPRIM_400000_NS6detail17trampoline_kernelINS0_14default_configENS1_25partition_config_selectorILNS1_17partition_subalgoE6EyNS0_10empty_typeEbEEZZNS1_14partition_implILS5_6ELb0ES3_mN6thrust23THRUST_200600_302600_NS6detail15normal_iteratorINSA_10device_ptrIyEEEEPS6_SG_NS0_5tupleIJSF_S6_EEENSH_IJSG_SG_EEES6_PlJ7is_evenIyEEEE10hipError_tPvRmT3_T4_T5_T6_T7_T9_mT8_P12ihipStream_tbDpT10_ENKUlT_T0_E_clISt17integral_constantIbLb0EES16_EEDaS11_S12_EUlS11_E_NS1_11comp_targetILNS1_3genE9ELNS1_11target_archE1100ELNS1_3gpuE3ELNS1_3repE0EEENS1_30default_config_static_selectorELNS0_4arch9wavefront6targetE0EEEvT1_
		.amdhsa_group_segment_fixed_size 18448
		.amdhsa_private_segment_fixed_size 0
		.amdhsa_kernarg_size 112
		.amdhsa_user_sgpr_count 15
		.amdhsa_user_sgpr_dispatch_ptr 0
		.amdhsa_user_sgpr_queue_ptr 0
		.amdhsa_user_sgpr_kernarg_segment_ptr 1
		.amdhsa_user_sgpr_dispatch_id 0
		.amdhsa_user_sgpr_private_segment_size 0
		.amdhsa_wavefront_size32 1
		.amdhsa_uses_dynamic_stack 0
		.amdhsa_enable_private_segment 0
		.amdhsa_system_sgpr_workgroup_id_x 1
		.amdhsa_system_sgpr_workgroup_id_y 0
		.amdhsa_system_sgpr_workgroup_id_z 0
		.amdhsa_system_sgpr_workgroup_info 0
		.amdhsa_system_vgpr_workitem_id 0
		.amdhsa_next_free_vgpr 54
		.amdhsa_next_free_sgpr 20
		.amdhsa_reserve_vcc 1
		.amdhsa_float_round_mode_32 0
		.amdhsa_float_round_mode_16_64 0
		.amdhsa_float_denorm_mode_32 3
		.amdhsa_float_denorm_mode_16_64 3
		.amdhsa_dx10_clamp 1
		.amdhsa_ieee_mode 1
		.amdhsa_fp16_overflow 0
		.amdhsa_workgroup_processor_mode 1
		.amdhsa_memory_ordered 1
		.amdhsa_forward_progress 0
		.amdhsa_shared_vgpr_count 0
		.amdhsa_exception_fp_ieee_invalid_op 0
		.amdhsa_exception_fp_denorm_src 0
		.amdhsa_exception_fp_ieee_div_zero 0
		.amdhsa_exception_fp_ieee_overflow 0
		.amdhsa_exception_fp_ieee_underflow 0
		.amdhsa_exception_fp_ieee_inexact 0
		.amdhsa_exception_int_div_zero 0
	.end_amdhsa_kernel
	.section	.text._ZN7rocprim17ROCPRIM_400000_NS6detail17trampoline_kernelINS0_14default_configENS1_25partition_config_selectorILNS1_17partition_subalgoE6EyNS0_10empty_typeEbEEZZNS1_14partition_implILS5_6ELb0ES3_mN6thrust23THRUST_200600_302600_NS6detail15normal_iteratorINSA_10device_ptrIyEEEEPS6_SG_NS0_5tupleIJSF_S6_EEENSH_IJSG_SG_EEES6_PlJ7is_evenIyEEEE10hipError_tPvRmT3_T4_T5_T6_T7_T9_mT8_P12ihipStream_tbDpT10_ENKUlT_T0_E_clISt17integral_constantIbLb0EES16_EEDaS11_S12_EUlS11_E_NS1_11comp_targetILNS1_3genE9ELNS1_11target_archE1100ELNS1_3gpuE3ELNS1_3repE0EEENS1_30default_config_static_selectorELNS0_4arch9wavefront6targetE0EEEvT1_,"axG",@progbits,_ZN7rocprim17ROCPRIM_400000_NS6detail17trampoline_kernelINS0_14default_configENS1_25partition_config_selectorILNS1_17partition_subalgoE6EyNS0_10empty_typeEbEEZZNS1_14partition_implILS5_6ELb0ES3_mN6thrust23THRUST_200600_302600_NS6detail15normal_iteratorINSA_10device_ptrIyEEEEPS6_SG_NS0_5tupleIJSF_S6_EEENSH_IJSG_SG_EEES6_PlJ7is_evenIyEEEE10hipError_tPvRmT3_T4_T5_T6_T7_T9_mT8_P12ihipStream_tbDpT10_ENKUlT_T0_E_clISt17integral_constantIbLb0EES16_EEDaS11_S12_EUlS11_E_NS1_11comp_targetILNS1_3genE9ELNS1_11target_archE1100ELNS1_3gpuE3ELNS1_3repE0EEENS1_30default_config_static_selectorELNS0_4arch9wavefront6targetE0EEEvT1_,comdat
.Lfunc_end270:
	.size	_ZN7rocprim17ROCPRIM_400000_NS6detail17trampoline_kernelINS0_14default_configENS1_25partition_config_selectorILNS1_17partition_subalgoE6EyNS0_10empty_typeEbEEZZNS1_14partition_implILS5_6ELb0ES3_mN6thrust23THRUST_200600_302600_NS6detail15normal_iteratorINSA_10device_ptrIyEEEEPS6_SG_NS0_5tupleIJSF_S6_EEENSH_IJSG_SG_EEES6_PlJ7is_evenIyEEEE10hipError_tPvRmT3_T4_T5_T6_T7_T9_mT8_P12ihipStream_tbDpT10_ENKUlT_T0_E_clISt17integral_constantIbLb0EES16_EEDaS11_S12_EUlS11_E_NS1_11comp_targetILNS1_3genE9ELNS1_11target_archE1100ELNS1_3gpuE3ELNS1_3repE0EEENS1_30default_config_static_selectorELNS0_4arch9wavefront6targetE0EEEvT1_, .Lfunc_end270-_ZN7rocprim17ROCPRIM_400000_NS6detail17trampoline_kernelINS0_14default_configENS1_25partition_config_selectorILNS1_17partition_subalgoE6EyNS0_10empty_typeEbEEZZNS1_14partition_implILS5_6ELb0ES3_mN6thrust23THRUST_200600_302600_NS6detail15normal_iteratorINSA_10device_ptrIyEEEEPS6_SG_NS0_5tupleIJSF_S6_EEENSH_IJSG_SG_EEES6_PlJ7is_evenIyEEEE10hipError_tPvRmT3_T4_T5_T6_T7_T9_mT8_P12ihipStream_tbDpT10_ENKUlT_T0_E_clISt17integral_constantIbLb0EES16_EEDaS11_S12_EUlS11_E_NS1_11comp_targetILNS1_3genE9ELNS1_11target_archE1100ELNS1_3gpuE3ELNS1_3repE0EEENS1_30default_config_static_selectorELNS0_4arch9wavefront6targetE0EEEvT1_
                                        ; -- End function
	.section	.AMDGPU.csdata,"",@progbits
; Kernel info:
; codeLenInByte = 6524
; NumSgprs: 22
; NumVgprs: 54
; ScratchSize: 0
; MemoryBound: 0
; FloatMode: 240
; IeeeMode: 1
; LDSByteSize: 18448 bytes/workgroup (compile time only)
; SGPRBlocks: 2
; VGPRBlocks: 6
; NumSGPRsForWavesPerEU: 22
; NumVGPRsForWavesPerEU: 54
; Occupancy: 15
; WaveLimiterHint : 1
; COMPUTE_PGM_RSRC2:SCRATCH_EN: 0
; COMPUTE_PGM_RSRC2:USER_SGPR: 15
; COMPUTE_PGM_RSRC2:TRAP_HANDLER: 0
; COMPUTE_PGM_RSRC2:TGID_X_EN: 1
; COMPUTE_PGM_RSRC2:TGID_Y_EN: 0
; COMPUTE_PGM_RSRC2:TGID_Z_EN: 0
; COMPUTE_PGM_RSRC2:TIDIG_COMP_CNT: 0
	.section	.text._ZN7rocprim17ROCPRIM_400000_NS6detail17trampoline_kernelINS0_14default_configENS1_25partition_config_selectorILNS1_17partition_subalgoE6EyNS0_10empty_typeEbEEZZNS1_14partition_implILS5_6ELb0ES3_mN6thrust23THRUST_200600_302600_NS6detail15normal_iteratorINSA_10device_ptrIyEEEEPS6_SG_NS0_5tupleIJSF_S6_EEENSH_IJSG_SG_EEES6_PlJ7is_evenIyEEEE10hipError_tPvRmT3_T4_T5_T6_T7_T9_mT8_P12ihipStream_tbDpT10_ENKUlT_T0_E_clISt17integral_constantIbLb0EES16_EEDaS11_S12_EUlS11_E_NS1_11comp_targetILNS1_3genE8ELNS1_11target_archE1030ELNS1_3gpuE2ELNS1_3repE0EEENS1_30default_config_static_selectorELNS0_4arch9wavefront6targetE0EEEvT1_,"axG",@progbits,_ZN7rocprim17ROCPRIM_400000_NS6detail17trampoline_kernelINS0_14default_configENS1_25partition_config_selectorILNS1_17partition_subalgoE6EyNS0_10empty_typeEbEEZZNS1_14partition_implILS5_6ELb0ES3_mN6thrust23THRUST_200600_302600_NS6detail15normal_iteratorINSA_10device_ptrIyEEEEPS6_SG_NS0_5tupleIJSF_S6_EEENSH_IJSG_SG_EEES6_PlJ7is_evenIyEEEE10hipError_tPvRmT3_T4_T5_T6_T7_T9_mT8_P12ihipStream_tbDpT10_ENKUlT_T0_E_clISt17integral_constantIbLb0EES16_EEDaS11_S12_EUlS11_E_NS1_11comp_targetILNS1_3genE8ELNS1_11target_archE1030ELNS1_3gpuE2ELNS1_3repE0EEENS1_30default_config_static_selectorELNS0_4arch9wavefront6targetE0EEEvT1_,comdat
	.protected	_ZN7rocprim17ROCPRIM_400000_NS6detail17trampoline_kernelINS0_14default_configENS1_25partition_config_selectorILNS1_17partition_subalgoE6EyNS0_10empty_typeEbEEZZNS1_14partition_implILS5_6ELb0ES3_mN6thrust23THRUST_200600_302600_NS6detail15normal_iteratorINSA_10device_ptrIyEEEEPS6_SG_NS0_5tupleIJSF_S6_EEENSH_IJSG_SG_EEES6_PlJ7is_evenIyEEEE10hipError_tPvRmT3_T4_T5_T6_T7_T9_mT8_P12ihipStream_tbDpT10_ENKUlT_T0_E_clISt17integral_constantIbLb0EES16_EEDaS11_S12_EUlS11_E_NS1_11comp_targetILNS1_3genE8ELNS1_11target_archE1030ELNS1_3gpuE2ELNS1_3repE0EEENS1_30default_config_static_selectorELNS0_4arch9wavefront6targetE0EEEvT1_ ; -- Begin function _ZN7rocprim17ROCPRIM_400000_NS6detail17trampoline_kernelINS0_14default_configENS1_25partition_config_selectorILNS1_17partition_subalgoE6EyNS0_10empty_typeEbEEZZNS1_14partition_implILS5_6ELb0ES3_mN6thrust23THRUST_200600_302600_NS6detail15normal_iteratorINSA_10device_ptrIyEEEEPS6_SG_NS0_5tupleIJSF_S6_EEENSH_IJSG_SG_EEES6_PlJ7is_evenIyEEEE10hipError_tPvRmT3_T4_T5_T6_T7_T9_mT8_P12ihipStream_tbDpT10_ENKUlT_T0_E_clISt17integral_constantIbLb0EES16_EEDaS11_S12_EUlS11_E_NS1_11comp_targetILNS1_3genE8ELNS1_11target_archE1030ELNS1_3gpuE2ELNS1_3repE0EEENS1_30default_config_static_selectorELNS0_4arch9wavefront6targetE0EEEvT1_
	.globl	_ZN7rocprim17ROCPRIM_400000_NS6detail17trampoline_kernelINS0_14default_configENS1_25partition_config_selectorILNS1_17partition_subalgoE6EyNS0_10empty_typeEbEEZZNS1_14partition_implILS5_6ELb0ES3_mN6thrust23THRUST_200600_302600_NS6detail15normal_iteratorINSA_10device_ptrIyEEEEPS6_SG_NS0_5tupleIJSF_S6_EEENSH_IJSG_SG_EEES6_PlJ7is_evenIyEEEE10hipError_tPvRmT3_T4_T5_T6_T7_T9_mT8_P12ihipStream_tbDpT10_ENKUlT_T0_E_clISt17integral_constantIbLb0EES16_EEDaS11_S12_EUlS11_E_NS1_11comp_targetILNS1_3genE8ELNS1_11target_archE1030ELNS1_3gpuE2ELNS1_3repE0EEENS1_30default_config_static_selectorELNS0_4arch9wavefront6targetE0EEEvT1_
	.p2align	8
	.type	_ZN7rocprim17ROCPRIM_400000_NS6detail17trampoline_kernelINS0_14default_configENS1_25partition_config_selectorILNS1_17partition_subalgoE6EyNS0_10empty_typeEbEEZZNS1_14partition_implILS5_6ELb0ES3_mN6thrust23THRUST_200600_302600_NS6detail15normal_iteratorINSA_10device_ptrIyEEEEPS6_SG_NS0_5tupleIJSF_S6_EEENSH_IJSG_SG_EEES6_PlJ7is_evenIyEEEE10hipError_tPvRmT3_T4_T5_T6_T7_T9_mT8_P12ihipStream_tbDpT10_ENKUlT_T0_E_clISt17integral_constantIbLb0EES16_EEDaS11_S12_EUlS11_E_NS1_11comp_targetILNS1_3genE8ELNS1_11target_archE1030ELNS1_3gpuE2ELNS1_3repE0EEENS1_30default_config_static_selectorELNS0_4arch9wavefront6targetE0EEEvT1_,@function
_ZN7rocprim17ROCPRIM_400000_NS6detail17trampoline_kernelINS0_14default_configENS1_25partition_config_selectorILNS1_17partition_subalgoE6EyNS0_10empty_typeEbEEZZNS1_14partition_implILS5_6ELb0ES3_mN6thrust23THRUST_200600_302600_NS6detail15normal_iteratorINSA_10device_ptrIyEEEEPS6_SG_NS0_5tupleIJSF_S6_EEENSH_IJSG_SG_EEES6_PlJ7is_evenIyEEEE10hipError_tPvRmT3_T4_T5_T6_T7_T9_mT8_P12ihipStream_tbDpT10_ENKUlT_T0_E_clISt17integral_constantIbLb0EES16_EEDaS11_S12_EUlS11_E_NS1_11comp_targetILNS1_3genE8ELNS1_11target_archE1030ELNS1_3gpuE2ELNS1_3repE0EEENS1_30default_config_static_selectorELNS0_4arch9wavefront6targetE0EEEvT1_: ; @_ZN7rocprim17ROCPRIM_400000_NS6detail17trampoline_kernelINS0_14default_configENS1_25partition_config_selectorILNS1_17partition_subalgoE6EyNS0_10empty_typeEbEEZZNS1_14partition_implILS5_6ELb0ES3_mN6thrust23THRUST_200600_302600_NS6detail15normal_iteratorINSA_10device_ptrIyEEEEPS6_SG_NS0_5tupleIJSF_S6_EEENSH_IJSG_SG_EEES6_PlJ7is_evenIyEEEE10hipError_tPvRmT3_T4_T5_T6_T7_T9_mT8_P12ihipStream_tbDpT10_ENKUlT_T0_E_clISt17integral_constantIbLb0EES16_EEDaS11_S12_EUlS11_E_NS1_11comp_targetILNS1_3genE8ELNS1_11target_archE1030ELNS1_3gpuE2ELNS1_3repE0EEENS1_30default_config_static_selectorELNS0_4arch9wavefront6targetE0EEEvT1_
; %bb.0:
	.section	.rodata,"a",@progbits
	.p2align	6, 0x0
	.amdhsa_kernel _ZN7rocprim17ROCPRIM_400000_NS6detail17trampoline_kernelINS0_14default_configENS1_25partition_config_selectorILNS1_17partition_subalgoE6EyNS0_10empty_typeEbEEZZNS1_14partition_implILS5_6ELb0ES3_mN6thrust23THRUST_200600_302600_NS6detail15normal_iteratorINSA_10device_ptrIyEEEEPS6_SG_NS0_5tupleIJSF_S6_EEENSH_IJSG_SG_EEES6_PlJ7is_evenIyEEEE10hipError_tPvRmT3_T4_T5_T6_T7_T9_mT8_P12ihipStream_tbDpT10_ENKUlT_T0_E_clISt17integral_constantIbLb0EES16_EEDaS11_S12_EUlS11_E_NS1_11comp_targetILNS1_3genE8ELNS1_11target_archE1030ELNS1_3gpuE2ELNS1_3repE0EEENS1_30default_config_static_selectorELNS0_4arch9wavefront6targetE0EEEvT1_
		.amdhsa_group_segment_fixed_size 0
		.amdhsa_private_segment_fixed_size 0
		.amdhsa_kernarg_size 112
		.amdhsa_user_sgpr_count 15
		.amdhsa_user_sgpr_dispatch_ptr 0
		.amdhsa_user_sgpr_queue_ptr 0
		.amdhsa_user_sgpr_kernarg_segment_ptr 1
		.amdhsa_user_sgpr_dispatch_id 0
		.amdhsa_user_sgpr_private_segment_size 0
		.amdhsa_wavefront_size32 1
		.amdhsa_uses_dynamic_stack 0
		.amdhsa_enable_private_segment 0
		.amdhsa_system_sgpr_workgroup_id_x 1
		.amdhsa_system_sgpr_workgroup_id_y 0
		.amdhsa_system_sgpr_workgroup_id_z 0
		.amdhsa_system_sgpr_workgroup_info 0
		.amdhsa_system_vgpr_workitem_id 0
		.amdhsa_next_free_vgpr 1
		.amdhsa_next_free_sgpr 1
		.amdhsa_reserve_vcc 0
		.amdhsa_float_round_mode_32 0
		.amdhsa_float_round_mode_16_64 0
		.amdhsa_float_denorm_mode_32 3
		.amdhsa_float_denorm_mode_16_64 3
		.amdhsa_dx10_clamp 1
		.amdhsa_ieee_mode 1
		.amdhsa_fp16_overflow 0
		.amdhsa_workgroup_processor_mode 1
		.amdhsa_memory_ordered 1
		.amdhsa_forward_progress 0
		.amdhsa_shared_vgpr_count 0
		.amdhsa_exception_fp_ieee_invalid_op 0
		.amdhsa_exception_fp_denorm_src 0
		.amdhsa_exception_fp_ieee_div_zero 0
		.amdhsa_exception_fp_ieee_overflow 0
		.amdhsa_exception_fp_ieee_underflow 0
		.amdhsa_exception_fp_ieee_inexact 0
		.amdhsa_exception_int_div_zero 0
	.end_amdhsa_kernel
	.section	.text._ZN7rocprim17ROCPRIM_400000_NS6detail17trampoline_kernelINS0_14default_configENS1_25partition_config_selectorILNS1_17partition_subalgoE6EyNS0_10empty_typeEbEEZZNS1_14partition_implILS5_6ELb0ES3_mN6thrust23THRUST_200600_302600_NS6detail15normal_iteratorINSA_10device_ptrIyEEEEPS6_SG_NS0_5tupleIJSF_S6_EEENSH_IJSG_SG_EEES6_PlJ7is_evenIyEEEE10hipError_tPvRmT3_T4_T5_T6_T7_T9_mT8_P12ihipStream_tbDpT10_ENKUlT_T0_E_clISt17integral_constantIbLb0EES16_EEDaS11_S12_EUlS11_E_NS1_11comp_targetILNS1_3genE8ELNS1_11target_archE1030ELNS1_3gpuE2ELNS1_3repE0EEENS1_30default_config_static_selectorELNS0_4arch9wavefront6targetE0EEEvT1_,"axG",@progbits,_ZN7rocprim17ROCPRIM_400000_NS6detail17trampoline_kernelINS0_14default_configENS1_25partition_config_selectorILNS1_17partition_subalgoE6EyNS0_10empty_typeEbEEZZNS1_14partition_implILS5_6ELb0ES3_mN6thrust23THRUST_200600_302600_NS6detail15normal_iteratorINSA_10device_ptrIyEEEEPS6_SG_NS0_5tupleIJSF_S6_EEENSH_IJSG_SG_EEES6_PlJ7is_evenIyEEEE10hipError_tPvRmT3_T4_T5_T6_T7_T9_mT8_P12ihipStream_tbDpT10_ENKUlT_T0_E_clISt17integral_constantIbLb0EES16_EEDaS11_S12_EUlS11_E_NS1_11comp_targetILNS1_3genE8ELNS1_11target_archE1030ELNS1_3gpuE2ELNS1_3repE0EEENS1_30default_config_static_selectorELNS0_4arch9wavefront6targetE0EEEvT1_,comdat
.Lfunc_end271:
	.size	_ZN7rocprim17ROCPRIM_400000_NS6detail17trampoline_kernelINS0_14default_configENS1_25partition_config_selectorILNS1_17partition_subalgoE6EyNS0_10empty_typeEbEEZZNS1_14partition_implILS5_6ELb0ES3_mN6thrust23THRUST_200600_302600_NS6detail15normal_iteratorINSA_10device_ptrIyEEEEPS6_SG_NS0_5tupleIJSF_S6_EEENSH_IJSG_SG_EEES6_PlJ7is_evenIyEEEE10hipError_tPvRmT3_T4_T5_T6_T7_T9_mT8_P12ihipStream_tbDpT10_ENKUlT_T0_E_clISt17integral_constantIbLb0EES16_EEDaS11_S12_EUlS11_E_NS1_11comp_targetILNS1_3genE8ELNS1_11target_archE1030ELNS1_3gpuE2ELNS1_3repE0EEENS1_30default_config_static_selectorELNS0_4arch9wavefront6targetE0EEEvT1_, .Lfunc_end271-_ZN7rocprim17ROCPRIM_400000_NS6detail17trampoline_kernelINS0_14default_configENS1_25partition_config_selectorILNS1_17partition_subalgoE6EyNS0_10empty_typeEbEEZZNS1_14partition_implILS5_6ELb0ES3_mN6thrust23THRUST_200600_302600_NS6detail15normal_iteratorINSA_10device_ptrIyEEEEPS6_SG_NS0_5tupleIJSF_S6_EEENSH_IJSG_SG_EEES6_PlJ7is_evenIyEEEE10hipError_tPvRmT3_T4_T5_T6_T7_T9_mT8_P12ihipStream_tbDpT10_ENKUlT_T0_E_clISt17integral_constantIbLb0EES16_EEDaS11_S12_EUlS11_E_NS1_11comp_targetILNS1_3genE8ELNS1_11target_archE1030ELNS1_3gpuE2ELNS1_3repE0EEENS1_30default_config_static_selectorELNS0_4arch9wavefront6targetE0EEEvT1_
                                        ; -- End function
	.section	.AMDGPU.csdata,"",@progbits
; Kernel info:
; codeLenInByte = 0
; NumSgprs: 0
; NumVgprs: 0
; ScratchSize: 0
; MemoryBound: 0
; FloatMode: 240
; IeeeMode: 1
; LDSByteSize: 0 bytes/workgroup (compile time only)
; SGPRBlocks: 0
; VGPRBlocks: 0
; NumSGPRsForWavesPerEU: 1
; NumVGPRsForWavesPerEU: 1
; Occupancy: 16
; WaveLimiterHint : 0
; COMPUTE_PGM_RSRC2:SCRATCH_EN: 0
; COMPUTE_PGM_RSRC2:USER_SGPR: 15
; COMPUTE_PGM_RSRC2:TRAP_HANDLER: 0
; COMPUTE_PGM_RSRC2:TGID_X_EN: 1
; COMPUTE_PGM_RSRC2:TGID_Y_EN: 0
; COMPUTE_PGM_RSRC2:TGID_Z_EN: 0
; COMPUTE_PGM_RSRC2:TIDIG_COMP_CNT: 0
	.section	.text._ZN7rocprim17ROCPRIM_400000_NS6detail17trampoline_kernelINS0_14default_configENS1_25partition_config_selectorILNS1_17partition_subalgoE6EyNS0_10empty_typeEbEEZZNS1_14partition_implILS5_6ELb0ES3_mN6thrust23THRUST_200600_302600_NS6detail15normal_iteratorINSA_10device_ptrIyEEEEPS6_SG_NS0_5tupleIJSF_S6_EEENSH_IJSG_SG_EEES6_PlJ7is_evenIyEEEE10hipError_tPvRmT3_T4_T5_T6_T7_T9_mT8_P12ihipStream_tbDpT10_ENKUlT_T0_E_clISt17integral_constantIbLb1EES16_EEDaS11_S12_EUlS11_E_NS1_11comp_targetILNS1_3genE0ELNS1_11target_archE4294967295ELNS1_3gpuE0ELNS1_3repE0EEENS1_30default_config_static_selectorELNS0_4arch9wavefront6targetE0EEEvT1_,"axG",@progbits,_ZN7rocprim17ROCPRIM_400000_NS6detail17trampoline_kernelINS0_14default_configENS1_25partition_config_selectorILNS1_17partition_subalgoE6EyNS0_10empty_typeEbEEZZNS1_14partition_implILS5_6ELb0ES3_mN6thrust23THRUST_200600_302600_NS6detail15normal_iteratorINSA_10device_ptrIyEEEEPS6_SG_NS0_5tupleIJSF_S6_EEENSH_IJSG_SG_EEES6_PlJ7is_evenIyEEEE10hipError_tPvRmT3_T4_T5_T6_T7_T9_mT8_P12ihipStream_tbDpT10_ENKUlT_T0_E_clISt17integral_constantIbLb1EES16_EEDaS11_S12_EUlS11_E_NS1_11comp_targetILNS1_3genE0ELNS1_11target_archE4294967295ELNS1_3gpuE0ELNS1_3repE0EEENS1_30default_config_static_selectorELNS0_4arch9wavefront6targetE0EEEvT1_,comdat
	.protected	_ZN7rocprim17ROCPRIM_400000_NS6detail17trampoline_kernelINS0_14default_configENS1_25partition_config_selectorILNS1_17partition_subalgoE6EyNS0_10empty_typeEbEEZZNS1_14partition_implILS5_6ELb0ES3_mN6thrust23THRUST_200600_302600_NS6detail15normal_iteratorINSA_10device_ptrIyEEEEPS6_SG_NS0_5tupleIJSF_S6_EEENSH_IJSG_SG_EEES6_PlJ7is_evenIyEEEE10hipError_tPvRmT3_T4_T5_T6_T7_T9_mT8_P12ihipStream_tbDpT10_ENKUlT_T0_E_clISt17integral_constantIbLb1EES16_EEDaS11_S12_EUlS11_E_NS1_11comp_targetILNS1_3genE0ELNS1_11target_archE4294967295ELNS1_3gpuE0ELNS1_3repE0EEENS1_30default_config_static_selectorELNS0_4arch9wavefront6targetE0EEEvT1_ ; -- Begin function _ZN7rocprim17ROCPRIM_400000_NS6detail17trampoline_kernelINS0_14default_configENS1_25partition_config_selectorILNS1_17partition_subalgoE6EyNS0_10empty_typeEbEEZZNS1_14partition_implILS5_6ELb0ES3_mN6thrust23THRUST_200600_302600_NS6detail15normal_iteratorINSA_10device_ptrIyEEEEPS6_SG_NS0_5tupleIJSF_S6_EEENSH_IJSG_SG_EEES6_PlJ7is_evenIyEEEE10hipError_tPvRmT3_T4_T5_T6_T7_T9_mT8_P12ihipStream_tbDpT10_ENKUlT_T0_E_clISt17integral_constantIbLb1EES16_EEDaS11_S12_EUlS11_E_NS1_11comp_targetILNS1_3genE0ELNS1_11target_archE4294967295ELNS1_3gpuE0ELNS1_3repE0EEENS1_30default_config_static_selectorELNS0_4arch9wavefront6targetE0EEEvT1_
	.globl	_ZN7rocprim17ROCPRIM_400000_NS6detail17trampoline_kernelINS0_14default_configENS1_25partition_config_selectorILNS1_17partition_subalgoE6EyNS0_10empty_typeEbEEZZNS1_14partition_implILS5_6ELb0ES3_mN6thrust23THRUST_200600_302600_NS6detail15normal_iteratorINSA_10device_ptrIyEEEEPS6_SG_NS0_5tupleIJSF_S6_EEENSH_IJSG_SG_EEES6_PlJ7is_evenIyEEEE10hipError_tPvRmT3_T4_T5_T6_T7_T9_mT8_P12ihipStream_tbDpT10_ENKUlT_T0_E_clISt17integral_constantIbLb1EES16_EEDaS11_S12_EUlS11_E_NS1_11comp_targetILNS1_3genE0ELNS1_11target_archE4294967295ELNS1_3gpuE0ELNS1_3repE0EEENS1_30default_config_static_selectorELNS0_4arch9wavefront6targetE0EEEvT1_
	.p2align	8
	.type	_ZN7rocprim17ROCPRIM_400000_NS6detail17trampoline_kernelINS0_14default_configENS1_25partition_config_selectorILNS1_17partition_subalgoE6EyNS0_10empty_typeEbEEZZNS1_14partition_implILS5_6ELb0ES3_mN6thrust23THRUST_200600_302600_NS6detail15normal_iteratorINSA_10device_ptrIyEEEEPS6_SG_NS0_5tupleIJSF_S6_EEENSH_IJSG_SG_EEES6_PlJ7is_evenIyEEEE10hipError_tPvRmT3_T4_T5_T6_T7_T9_mT8_P12ihipStream_tbDpT10_ENKUlT_T0_E_clISt17integral_constantIbLb1EES16_EEDaS11_S12_EUlS11_E_NS1_11comp_targetILNS1_3genE0ELNS1_11target_archE4294967295ELNS1_3gpuE0ELNS1_3repE0EEENS1_30default_config_static_selectorELNS0_4arch9wavefront6targetE0EEEvT1_,@function
_ZN7rocprim17ROCPRIM_400000_NS6detail17trampoline_kernelINS0_14default_configENS1_25partition_config_selectorILNS1_17partition_subalgoE6EyNS0_10empty_typeEbEEZZNS1_14partition_implILS5_6ELb0ES3_mN6thrust23THRUST_200600_302600_NS6detail15normal_iteratorINSA_10device_ptrIyEEEEPS6_SG_NS0_5tupleIJSF_S6_EEENSH_IJSG_SG_EEES6_PlJ7is_evenIyEEEE10hipError_tPvRmT3_T4_T5_T6_T7_T9_mT8_P12ihipStream_tbDpT10_ENKUlT_T0_E_clISt17integral_constantIbLb1EES16_EEDaS11_S12_EUlS11_E_NS1_11comp_targetILNS1_3genE0ELNS1_11target_archE4294967295ELNS1_3gpuE0ELNS1_3repE0EEENS1_30default_config_static_selectorELNS0_4arch9wavefront6targetE0EEEvT1_: ; @_ZN7rocprim17ROCPRIM_400000_NS6detail17trampoline_kernelINS0_14default_configENS1_25partition_config_selectorILNS1_17partition_subalgoE6EyNS0_10empty_typeEbEEZZNS1_14partition_implILS5_6ELb0ES3_mN6thrust23THRUST_200600_302600_NS6detail15normal_iteratorINSA_10device_ptrIyEEEEPS6_SG_NS0_5tupleIJSF_S6_EEENSH_IJSG_SG_EEES6_PlJ7is_evenIyEEEE10hipError_tPvRmT3_T4_T5_T6_T7_T9_mT8_P12ihipStream_tbDpT10_ENKUlT_T0_E_clISt17integral_constantIbLb1EES16_EEDaS11_S12_EUlS11_E_NS1_11comp_targetILNS1_3genE0ELNS1_11target_archE4294967295ELNS1_3gpuE0ELNS1_3repE0EEENS1_30default_config_static_selectorELNS0_4arch9wavefront6targetE0EEEvT1_
; %bb.0:
	.section	.rodata,"a",@progbits
	.p2align	6, 0x0
	.amdhsa_kernel _ZN7rocprim17ROCPRIM_400000_NS6detail17trampoline_kernelINS0_14default_configENS1_25partition_config_selectorILNS1_17partition_subalgoE6EyNS0_10empty_typeEbEEZZNS1_14partition_implILS5_6ELb0ES3_mN6thrust23THRUST_200600_302600_NS6detail15normal_iteratorINSA_10device_ptrIyEEEEPS6_SG_NS0_5tupleIJSF_S6_EEENSH_IJSG_SG_EEES6_PlJ7is_evenIyEEEE10hipError_tPvRmT3_T4_T5_T6_T7_T9_mT8_P12ihipStream_tbDpT10_ENKUlT_T0_E_clISt17integral_constantIbLb1EES16_EEDaS11_S12_EUlS11_E_NS1_11comp_targetILNS1_3genE0ELNS1_11target_archE4294967295ELNS1_3gpuE0ELNS1_3repE0EEENS1_30default_config_static_selectorELNS0_4arch9wavefront6targetE0EEEvT1_
		.amdhsa_group_segment_fixed_size 0
		.amdhsa_private_segment_fixed_size 0
		.amdhsa_kernarg_size 128
		.amdhsa_user_sgpr_count 15
		.amdhsa_user_sgpr_dispatch_ptr 0
		.amdhsa_user_sgpr_queue_ptr 0
		.amdhsa_user_sgpr_kernarg_segment_ptr 1
		.amdhsa_user_sgpr_dispatch_id 0
		.amdhsa_user_sgpr_private_segment_size 0
		.amdhsa_wavefront_size32 1
		.amdhsa_uses_dynamic_stack 0
		.amdhsa_enable_private_segment 0
		.amdhsa_system_sgpr_workgroup_id_x 1
		.amdhsa_system_sgpr_workgroup_id_y 0
		.amdhsa_system_sgpr_workgroup_id_z 0
		.amdhsa_system_sgpr_workgroup_info 0
		.amdhsa_system_vgpr_workitem_id 0
		.amdhsa_next_free_vgpr 1
		.amdhsa_next_free_sgpr 1
		.amdhsa_reserve_vcc 0
		.amdhsa_float_round_mode_32 0
		.amdhsa_float_round_mode_16_64 0
		.amdhsa_float_denorm_mode_32 3
		.amdhsa_float_denorm_mode_16_64 3
		.amdhsa_dx10_clamp 1
		.amdhsa_ieee_mode 1
		.amdhsa_fp16_overflow 0
		.amdhsa_workgroup_processor_mode 1
		.amdhsa_memory_ordered 1
		.amdhsa_forward_progress 0
		.amdhsa_shared_vgpr_count 0
		.amdhsa_exception_fp_ieee_invalid_op 0
		.amdhsa_exception_fp_denorm_src 0
		.amdhsa_exception_fp_ieee_div_zero 0
		.amdhsa_exception_fp_ieee_overflow 0
		.amdhsa_exception_fp_ieee_underflow 0
		.amdhsa_exception_fp_ieee_inexact 0
		.amdhsa_exception_int_div_zero 0
	.end_amdhsa_kernel
	.section	.text._ZN7rocprim17ROCPRIM_400000_NS6detail17trampoline_kernelINS0_14default_configENS1_25partition_config_selectorILNS1_17partition_subalgoE6EyNS0_10empty_typeEbEEZZNS1_14partition_implILS5_6ELb0ES3_mN6thrust23THRUST_200600_302600_NS6detail15normal_iteratorINSA_10device_ptrIyEEEEPS6_SG_NS0_5tupleIJSF_S6_EEENSH_IJSG_SG_EEES6_PlJ7is_evenIyEEEE10hipError_tPvRmT3_T4_T5_T6_T7_T9_mT8_P12ihipStream_tbDpT10_ENKUlT_T0_E_clISt17integral_constantIbLb1EES16_EEDaS11_S12_EUlS11_E_NS1_11comp_targetILNS1_3genE0ELNS1_11target_archE4294967295ELNS1_3gpuE0ELNS1_3repE0EEENS1_30default_config_static_selectorELNS0_4arch9wavefront6targetE0EEEvT1_,"axG",@progbits,_ZN7rocprim17ROCPRIM_400000_NS6detail17trampoline_kernelINS0_14default_configENS1_25partition_config_selectorILNS1_17partition_subalgoE6EyNS0_10empty_typeEbEEZZNS1_14partition_implILS5_6ELb0ES3_mN6thrust23THRUST_200600_302600_NS6detail15normal_iteratorINSA_10device_ptrIyEEEEPS6_SG_NS0_5tupleIJSF_S6_EEENSH_IJSG_SG_EEES6_PlJ7is_evenIyEEEE10hipError_tPvRmT3_T4_T5_T6_T7_T9_mT8_P12ihipStream_tbDpT10_ENKUlT_T0_E_clISt17integral_constantIbLb1EES16_EEDaS11_S12_EUlS11_E_NS1_11comp_targetILNS1_3genE0ELNS1_11target_archE4294967295ELNS1_3gpuE0ELNS1_3repE0EEENS1_30default_config_static_selectorELNS0_4arch9wavefront6targetE0EEEvT1_,comdat
.Lfunc_end272:
	.size	_ZN7rocprim17ROCPRIM_400000_NS6detail17trampoline_kernelINS0_14default_configENS1_25partition_config_selectorILNS1_17partition_subalgoE6EyNS0_10empty_typeEbEEZZNS1_14partition_implILS5_6ELb0ES3_mN6thrust23THRUST_200600_302600_NS6detail15normal_iteratorINSA_10device_ptrIyEEEEPS6_SG_NS0_5tupleIJSF_S6_EEENSH_IJSG_SG_EEES6_PlJ7is_evenIyEEEE10hipError_tPvRmT3_T4_T5_T6_T7_T9_mT8_P12ihipStream_tbDpT10_ENKUlT_T0_E_clISt17integral_constantIbLb1EES16_EEDaS11_S12_EUlS11_E_NS1_11comp_targetILNS1_3genE0ELNS1_11target_archE4294967295ELNS1_3gpuE0ELNS1_3repE0EEENS1_30default_config_static_selectorELNS0_4arch9wavefront6targetE0EEEvT1_, .Lfunc_end272-_ZN7rocprim17ROCPRIM_400000_NS6detail17trampoline_kernelINS0_14default_configENS1_25partition_config_selectorILNS1_17partition_subalgoE6EyNS0_10empty_typeEbEEZZNS1_14partition_implILS5_6ELb0ES3_mN6thrust23THRUST_200600_302600_NS6detail15normal_iteratorINSA_10device_ptrIyEEEEPS6_SG_NS0_5tupleIJSF_S6_EEENSH_IJSG_SG_EEES6_PlJ7is_evenIyEEEE10hipError_tPvRmT3_T4_T5_T6_T7_T9_mT8_P12ihipStream_tbDpT10_ENKUlT_T0_E_clISt17integral_constantIbLb1EES16_EEDaS11_S12_EUlS11_E_NS1_11comp_targetILNS1_3genE0ELNS1_11target_archE4294967295ELNS1_3gpuE0ELNS1_3repE0EEENS1_30default_config_static_selectorELNS0_4arch9wavefront6targetE0EEEvT1_
                                        ; -- End function
	.section	.AMDGPU.csdata,"",@progbits
; Kernel info:
; codeLenInByte = 0
; NumSgprs: 0
; NumVgprs: 0
; ScratchSize: 0
; MemoryBound: 0
; FloatMode: 240
; IeeeMode: 1
; LDSByteSize: 0 bytes/workgroup (compile time only)
; SGPRBlocks: 0
; VGPRBlocks: 0
; NumSGPRsForWavesPerEU: 1
; NumVGPRsForWavesPerEU: 1
; Occupancy: 16
; WaveLimiterHint : 0
; COMPUTE_PGM_RSRC2:SCRATCH_EN: 0
; COMPUTE_PGM_RSRC2:USER_SGPR: 15
; COMPUTE_PGM_RSRC2:TRAP_HANDLER: 0
; COMPUTE_PGM_RSRC2:TGID_X_EN: 1
; COMPUTE_PGM_RSRC2:TGID_Y_EN: 0
; COMPUTE_PGM_RSRC2:TGID_Z_EN: 0
; COMPUTE_PGM_RSRC2:TIDIG_COMP_CNT: 0
	.section	.text._ZN7rocprim17ROCPRIM_400000_NS6detail17trampoline_kernelINS0_14default_configENS1_25partition_config_selectorILNS1_17partition_subalgoE6EyNS0_10empty_typeEbEEZZNS1_14partition_implILS5_6ELb0ES3_mN6thrust23THRUST_200600_302600_NS6detail15normal_iteratorINSA_10device_ptrIyEEEEPS6_SG_NS0_5tupleIJSF_S6_EEENSH_IJSG_SG_EEES6_PlJ7is_evenIyEEEE10hipError_tPvRmT3_T4_T5_T6_T7_T9_mT8_P12ihipStream_tbDpT10_ENKUlT_T0_E_clISt17integral_constantIbLb1EES16_EEDaS11_S12_EUlS11_E_NS1_11comp_targetILNS1_3genE5ELNS1_11target_archE942ELNS1_3gpuE9ELNS1_3repE0EEENS1_30default_config_static_selectorELNS0_4arch9wavefront6targetE0EEEvT1_,"axG",@progbits,_ZN7rocprim17ROCPRIM_400000_NS6detail17trampoline_kernelINS0_14default_configENS1_25partition_config_selectorILNS1_17partition_subalgoE6EyNS0_10empty_typeEbEEZZNS1_14partition_implILS5_6ELb0ES3_mN6thrust23THRUST_200600_302600_NS6detail15normal_iteratorINSA_10device_ptrIyEEEEPS6_SG_NS0_5tupleIJSF_S6_EEENSH_IJSG_SG_EEES6_PlJ7is_evenIyEEEE10hipError_tPvRmT3_T4_T5_T6_T7_T9_mT8_P12ihipStream_tbDpT10_ENKUlT_T0_E_clISt17integral_constantIbLb1EES16_EEDaS11_S12_EUlS11_E_NS1_11comp_targetILNS1_3genE5ELNS1_11target_archE942ELNS1_3gpuE9ELNS1_3repE0EEENS1_30default_config_static_selectorELNS0_4arch9wavefront6targetE0EEEvT1_,comdat
	.protected	_ZN7rocprim17ROCPRIM_400000_NS6detail17trampoline_kernelINS0_14default_configENS1_25partition_config_selectorILNS1_17partition_subalgoE6EyNS0_10empty_typeEbEEZZNS1_14partition_implILS5_6ELb0ES3_mN6thrust23THRUST_200600_302600_NS6detail15normal_iteratorINSA_10device_ptrIyEEEEPS6_SG_NS0_5tupleIJSF_S6_EEENSH_IJSG_SG_EEES6_PlJ7is_evenIyEEEE10hipError_tPvRmT3_T4_T5_T6_T7_T9_mT8_P12ihipStream_tbDpT10_ENKUlT_T0_E_clISt17integral_constantIbLb1EES16_EEDaS11_S12_EUlS11_E_NS1_11comp_targetILNS1_3genE5ELNS1_11target_archE942ELNS1_3gpuE9ELNS1_3repE0EEENS1_30default_config_static_selectorELNS0_4arch9wavefront6targetE0EEEvT1_ ; -- Begin function _ZN7rocprim17ROCPRIM_400000_NS6detail17trampoline_kernelINS0_14default_configENS1_25partition_config_selectorILNS1_17partition_subalgoE6EyNS0_10empty_typeEbEEZZNS1_14partition_implILS5_6ELb0ES3_mN6thrust23THRUST_200600_302600_NS6detail15normal_iteratorINSA_10device_ptrIyEEEEPS6_SG_NS0_5tupleIJSF_S6_EEENSH_IJSG_SG_EEES6_PlJ7is_evenIyEEEE10hipError_tPvRmT3_T4_T5_T6_T7_T9_mT8_P12ihipStream_tbDpT10_ENKUlT_T0_E_clISt17integral_constantIbLb1EES16_EEDaS11_S12_EUlS11_E_NS1_11comp_targetILNS1_3genE5ELNS1_11target_archE942ELNS1_3gpuE9ELNS1_3repE0EEENS1_30default_config_static_selectorELNS0_4arch9wavefront6targetE0EEEvT1_
	.globl	_ZN7rocprim17ROCPRIM_400000_NS6detail17trampoline_kernelINS0_14default_configENS1_25partition_config_selectorILNS1_17partition_subalgoE6EyNS0_10empty_typeEbEEZZNS1_14partition_implILS5_6ELb0ES3_mN6thrust23THRUST_200600_302600_NS6detail15normal_iteratorINSA_10device_ptrIyEEEEPS6_SG_NS0_5tupleIJSF_S6_EEENSH_IJSG_SG_EEES6_PlJ7is_evenIyEEEE10hipError_tPvRmT3_T4_T5_T6_T7_T9_mT8_P12ihipStream_tbDpT10_ENKUlT_T0_E_clISt17integral_constantIbLb1EES16_EEDaS11_S12_EUlS11_E_NS1_11comp_targetILNS1_3genE5ELNS1_11target_archE942ELNS1_3gpuE9ELNS1_3repE0EEENS1_30default_config_static_selectorELNS0_4arch9wavefront6targetE0EEEvT1_
	.p2align	8
	.type	_ZN7rocprim17ROCPRIM_400000_NS6detail17trampoline_kernelINS0_14default_configENS1_25partition_config_selectorILNS1_17partition_subalgoE6EyNS0_10empty_typeEbEEZZNS1_14partition_implILS5_6ELb0ES3_mN6thrust23THRUST_200600_302600_NS6detail15normal_iteratorINSA_10device_ptrIyEEEEPS6_SG_NS0_5tupleIJSF_S6_EEENSH_IJSG_SG_EEES6_PlJ7is_evenIyEEEE10hipError_tPvRmT3_T4_T5_T6_T7_T9_mT8_P12ihipStream_tbDpT10_ENKUlT_T0_E_clISt17integral_constantIbLb1EES16_EEDaS11_S12_EUlS11_E_NS1_11comp_targetILNS1_3genE5ELNS1_11target_archE942ELNS1_3gpuE9ELNS1_3repE0EEENS1_30default_config_static_selectorELNS0_4arch9wavefront6targetE0EEEvT1_,@function
_ZN7rocprim17ROCPRIM_400000_NS6detail17trampoline_kernelINS0_14default_configENS1_25partition_config_selectorILNS1_17partition_subalgoE6EyNS0_10empty_typeEbEEZZNS1_14partition_implILS5_6ELb0ES3_mN6thrust23THRUST_200600_302600_NS6detail15normal_iteratorINSA_10device_ptrIyEEEEPS6_SG_NS0_5tupleIJSF_S6_EEENSH_IJSG_SG_EEES6_PlJ7is_evenIyEEEE10hipError_tPvRmT3_T4_T5_T6_T7_T9_mT8_P12ihipStream_tbDpT10_ENKUlT_T0_E_clISt17integral_constantIbLb1EES16_EEDaS11_S12_EUlS11_E_NS1_11comp_targetILNS1_3genE5ELNS1_11target_archE942ELNS1_3gpuE9ELNS1_3repE0EEENS1_30default_config_static_selectorELNS0_4arch9wavefront6targetE0EEEvT1_: ; @_ZN7rocprim17ROCPRIM_400000_NS6detail17trampoline_kernelINS0_14default_configENS1_25partition_config_selectorILNS1_17partition_subalgoE6EyNS0_10empty_typeEbEEZZNS1_14partition_implILS5_6ELb0ES3_mN6thrust23THRUST_200600_302600_NS6detail15normal_iteratorINSA_10device_ptrIyEEEEPS6_SG_NS0_5tupleIJSF_S6_EEENSH_IJSG_SG_EEES6_PlJ7is_evenIyEEEE10hipError_tPvRmT3_T4_T5_T6_T7_T9_mT8_P12ihipStream_tbDpT10_ENKUlT_T0_E_clISt17integral_constantIbLb1EES16_EEDaS11_S12_EUlS11_E_NS1_11comp_targetILNS1_3genE5ELNS1_11target_archE942ELNS1_3gpuE9ELNS1_3repE0EEENS1_30default_config_static_selectorELNS0_4arch9wavefront6targetE0EEEvT1_
; %bb.0:
	.section	.rodata,"a",@progbits
	.p2align	6, 0x0
	.amdhsa_kernel _ZN7rocprim17ROCPRIM_400000_NS6detail17trampoline_kernelINS0_14default_configENS1_25partition_config_selectorILNS1_17partition_subalgoE6EyNS0_10empty_typeEbEEZZNS1_14partition_implILS5_6ELb0ES3_mN6thrust23THRUST_200600_302600_NS6detail15normal_iteratorINSA_10device_ptrIyEEEEPS6_SG_NS0_5tupleIJSF_S6_EEENSH_IJSG_SG_EEES6_PlJ7is_evenIyEEEE10hipError_tPvRmT3_T4_T5_T6_T7_T9_mT8_P12ihipStream_tbDpT10_ENKUlT_T0_E_clISt17integral_constantIbLb1EES16_EEDaS11_S12_EUlS11_E_NS1_11comp_targetILNS1_3genE5ELNS1_11target_archE942ELNS1_3gpuE9ELNS1_3repE0EEENS1_30default_config_static_selectorELNS0_4arch9wavefront6targetE0EEEvT1_
		.amdhsa_group_segment_fixed_size 0
		.amdhsa_private_segment_fixed_size 0
		.amdhsa_kernarg_size 128
		.amdhsa_user_sgpr_count 15
		.amdhsa_user_sgpr_dispatch_ptr 0
		.amdhsa_user_sgpr_queue_ptr 0
		.amdhsa_user_sgpr_kernarg_segment_ptr 1
		.amdhsa_user_sgpr_dispatch_id 0
		.amdhsa_user_sgpr_private_segment_size 0
		.amdhsa_wavefront_size32 1
		.amdhsa_uses_dynamic_stack 0
		.amdhsa_enable_private_segment 0
		.amdhsa_system_sgpr_workgroup_id_x 1
		.amdhsa_system_sgpr_workgroup_id_y 0
		.amdhsa_system_sgpr_workgroup_id_z 0
		.amdhsa_system_sgpr_workgroup_info 0
		.amdhsa_system_vgpr_workitem_id 0
		.amdhsa_next_free_vgpr 1
		.amdhsa_next_free_sgpr 1
		.amdhsa_reserve_vcc 0
		.amdhsa_float_round_mode_32 0
		.amdhsa_float_round_mode_16_64 0
		.amdhsa_float_denorm_mode_32 3
		.amdhsa_float_denorm_mode_16_64 3
		.amdhsa_dx10_clamp 1
		.amdhsa_ieee_mode 1
		.amdhsa_fp16_overflow 0
		.amdhsa_workgroup_processor_mode 1
		.amdhsa_memory_ordered 1
		.amdhsa_forward_progress 0
		.amdhsa_shared_vgpr_count 0
		.amdhsa_exception_fp_ieee_invalid_op 0
		.amdhsa_exception_fp_denorm_src 0
		.amdhsa_exception_fp_ieee_div_zero 0
		.amdhsa_exception_fp_ieee_overflow 0
		.amdhsa_exception_fp_ieee_underflow 0
		.amdhsa_exception_fp_ieee_inexact 0
		.amdhsa_exception_int_div_zero 0
	.end_amdhsa_kernel
	.section	.text._ZN7rocprim17ROCPRIM_400000_NS6detail17trampoline_kernelINS0_14default_configENS1_25partition_config_selectorILNS1_17partition_subalgoE6EyNS0_10empty_typeEbEEZZNS1_14partition_implILS5_6ELb0ES3_mN6thrust23THRUST_200600_302600_NS6detail15normal_iteratorINSA_10device_ptrIyEEEEPS6_SG_NS0_5tupleIJSF_S6_EEENSH_IJSG_SG_EEES6_PlJ7is_evenIyEEEE10hipError_tPvRmT3_T4_T5_T6_T7_T9_mT8_P12ihipStream_tbDpT10_ENKUlT_T0_E_clISt17integral_constantIbLb1EES16_EEDaS11_S12_EUlS11_E_NS1_11comp_targetILNS1_3genE5ELNS1_11target_archE942ELNS1_3gpuE9ELNS1_3repE0EEENS1_30default_config_static_selectorELNS0_4arch9wavefront6targetE0EEEvT1_,"axG",@progbits,_ZN7rocprim17ROCPRIM_400000_NS6detail17trampoline_kernelINS0_14default_configENS1_25partition_config_selectorILNS1_17partition_subalgoE6EyNS0_10empty_typeEbEEZZNS1_14partition_implILS5_6ELb0ES3_mN6thrust23THRUST_200600_302600_NS6detail15normal_iteratorINSA_10device_ptrIyEEEEPS6_SG_NS0_5tupleIJSF_S6_EEENSH_IJSG_SG_EEES6_PlJ7is_evenIyEEEE10hipError_tPvRmT3_T4_T5_T6_T7_T9_mT8_P12ihipStream_tbDpT10_ENKUlT_T0_E_clISt17integral_constantIbLb1EES16_EEDaS11_S12_EUlS11_E_NS1_11comp_targetILNS1_3genE5ELNS1_11target_archE942ELNS1_3gpuE9ELNS1_3repE0EEENS1_30default_config_static_selectorELNS0_4arch9wavefront6targetE0EEEvT1_,comdat
.Lfunc_end273:
	.size	_ZN7rocprim17ROCPRIM_400000_NS6detail17trampoline_kernelINS0_14default_configENS1_25partition_config_selectorILNS1_17partition_subalgoE6EyNS0_10empty_typeEbEEZZNS1_14partition_implILS5_6ELb0ES3_mN6thrust23THRUST_200600_302600_NS6detail15normal_iteratorINSA_10device_ptrIyEEEEPS6_SG_NS0_5tupleIJSF_S6_EEENSH_IJSG_SG_EEES6_PlJ7is_evenIyEEEE10hipError_tPvRmT3_T4_T5_T6_T7_T9_mT8_P12ihipStream_tbDpT10_ENKUlT_T0_E_clISt17integral_constantIbLb1EES16_EEDaS11_S12_EUlS11_E_NS1_11comp_targetILNS1_3genE5ELNS1_11target_archE942ELNS1_3gpuE9ELNS1_3repE0EEENS1_30default_config_static_selectorELNS0_4arch9wavefront6targetE0EEEvT1_, .Lfunc_end273-_ZN7rocprim17ROCPRIM_400000_NS6detail17trampoline_kernelINS0_14default_configENS1_25partition_config_selectorILNS1_17partition_subalgoE6EyNS0_10empty_typeEbEEZZNS1_14partition_implILS5_6ELb0ES3_mN6thrust23THRUST_200600_302600_NS6detail15normal_iteratorINSA_10device_ptrIyEEEEPS6_SG_NS0_5tupleIJSF_S6_EEENSH_IJSG_SG_EEES6_PlJ7is_evenIyEEEE10hipError_tPvRmT3_T4_T5_T6_T7_T9_mT8_P12ihipStream_tbDpT10_ENKUlT_T0_E_clISt17integral_constantIbLb1EES16_EEDaS11_S12_EUlS11_E_NS1_11comp_targetILNS1_3genE5ELNS1_11target_archE942ELNS1_3gpuE9ELNS1_3repE0EEENS1_30default_config_static_selectorELNS0_4arch9wavefront6targetE0EEEvT1_
                                        ; -- End function
	.section	.AMDGPU.csdata,"",@progbits
; Kernel info:
; codeLenInByte = 0
; NumSgprs: 0
; NumVgprs: 0
; ScratchSize: 0
; MemoryBound: 0
; FloatMode: 240
; IeeeMode: 1
; LDSByteSize: 0 bytes/workgroup (compile time only)
; SGPRBlocks: 0
; VGPRBlocks: 0
; NumSGPRsForWavesPerEU: 1
; NumVGPRsForWavesPerEU: 1
; Occupancy: 16
; WaveLimiterHint : 0
; COMPUTE_PGM_RSRC2:SCRATCH_EN: 0
; COMPUTE_PGM_RSRC2:USER_SGPR: 15
; COMPUTE_PGM_RSRC2:TRAP_HANDLER: 0
; COMPUTE_PGM_RSRC2:TGID_X_EN: 1
; COMPUTE_PGM_RSRC2:TGID_Y_EN: 0
; COMPUTE_PGM_RSRC2:TGID_Z_EN: 0
; COMPUTE_PGM_RSRC2:TIDIG_COMP_CNT: 0
	.section	.text._ZN7rocprim17ROCPRIM_400000_NS6detail17trampoline_kernelINS0_14default_configENS1_25partition_config_selectorILNS1_17partition_subalgoE6EyNS0_10empty_typeEbEEZZNS1_14partition_implILS5_6ELb0ES3_mN6thrust23THRUST_200600_302600_NS6detail15normal_iteratorINSA_10device_ptrIyEEEEPS6_SG_NS0_5tupleIJSF_S6_EEENSH_IJSG_SG_EEES6_PlJ7is_evenIyEEEE10hipError_tPvRmT3_T4_T5_T6_T7_T9_mT8_P12ihipStream_tbDpT10_ENKUlT_T0_E_clISt17integral_constantIbLb1EES16_EEDaS11_S12_EUlS11_E_NS1_11comp_targetILNS1_3genE4ELNS1_11target_archE910ELNS1_3gpuE8ELNS1_3repE0EEENS1_30default_config_static_selectorELNS0_4arch9wavefront6targetE0EEEvT1_,"axG",@progbits,_ZN7rocprim17ROCPRIM_400000_NS6detail17trampoline_kernelINS0_14default_configENS1_25partition_config_selectorILNS1_17partition_subalgoE6EyNS0_10empty_typeEbEEZZNS1_14partition_implILS5_6ELb0ES3_mN6thrust23THRUST_200600_302600_NS6detail15normal_iteratorINSA_10device_ptrIyEEEEPS6_SG_NS0_5tupleIJSF_S6_EEENSH_IJSG_SG_EEES6_PlJ7is_evenIyEEEE10hipError_tPvRmT3_T4_T5_T6_T7_T9_mT8_P12ihipStream_tbDpT10_ENKUlT_T0_E_clISt17integral_constantIbLb1EES16_EEDaS11_S12_EUlS11_E_NS1_11comp_targetILNS1_3genE4ELNS1_11target_archE910ELNS1_3gpuE8ELNS1_3repE0EEENS1_30default_config_static_selectorELNS0_4arch9wavefront6targetE0EEEvT1_,comdat
	.protected	_ZN7rocprim17ROCPRIM_400000_NS6detail17trampoline_kernelINS0_14default_configENS1_25partition_config_selectorILNS1_17partition_subalgoE6EyNS0_10empty_typeEbEEZZNS1_14partition_implILS5_6ELb0ES3_mN6thrust23THRUST_200600_302600_NS6detail15normal_iteratorINSA_10device_ptrIyEEEEPS6_SG_NS0_5tupleIJSF_S6_EEENSH_IJSG_SG_EEES6_PlJ7is_evenIyEEEE10hipError_tPvRmT3_T4_T5_T6_T7_T9_mT8_P12ihipStream_tbDpT10_ENKUlT_T0_E_clISt17integral_constantIbLb1EES16_EEDaS11_S12_EUlS11_E_NS1_11comp_targetILNS1_3genE4ELNS1_11target_archE910ELNS1_3gpuE8ELNS1_3repE0EEENS1_30default_config_static_selectorELNS0_4arch9wavefront6targetE0EEEvT1_ ; -- Begin function _ZN7rocprim17ROCPRIM_400000_NS6detail17trampoline_kernelINS0_14default_configENS1_25partition_config_selectorILNS1_17partition_subalgoE6EyNS0_10empty_typeEbEEZZNS1_14partition_implILS5_6ELb0ES3_mN6thrust23THRUST_200600_302600_NS6detail15normal_iteratorINSA_10device_ptrIyEEEEPS6_SG_NS0_5tupleIJSF_S6_EEENSH_IJSG_SG_EEES6_PlJ7is_evenIyEEEE10hipError_tPvRmT3_T4_T5_T6_T7_T9_mT8_P12ihipStream_tbDpT10_ENKUlT_T0_E_clISt17integral_constantIbLb1EES16_EEDaS11_S12_EUlS11_E_NS1_11comp_targetILNS1_3genE4ELNS1_11target_archE910ELNS1_3gpuE8ELNS1_3repE0EEENS1_30default_config_static_selectorELNS0_4arch9wavefront6targetE0EEEvT1_
	.globl	_ZN7rocprim17ROCPRIM_400000_NS6detail17trampoline_kernelINS0_14default_configENS1_25partition_config_selectorILNS1_17partition_subalgoE6EyNS0_10empty_typeEbEEZZNS1_14partition_implILS5_6ELb0ES3_mN6thrust23THRUST_200600_302600_NS6detail15normal_iteratorINSA_10device_ptrIyEEEEPS6_SG_NS0_5tupleIJSF_S6_EEENSH_IJSG_SG_EEES6_PlJ7is_evenIyEEEE10hipError_tPvRmT3_T4_T5_T6_T7_T9_mT8_P12ihipStream_tbDpT10_ENKUlT_T0_E_clISt17integral_constantIbLb1EES16_EEDaS11_S12_EUlS11_E_NS1_11comp_targetILNS1_3genE4ELNS1_11target_archE910ELNS1_3gpuE8ELNS1_3repE0EEENS1_30default_config_static_selectorELNS0_4arch9wavefront6targetE0EEEvT1_
	.p2align	8
	.type	_ZN7rocprim17ROCPRIM_400000_NS6detail17trampoline_kernelINS0_14default_configENS1_25partition_config_selectorILNS1_17partition_subalgoE6EyNS0_10empty_typeEbEEZZNS1_14partition_implILS5_6ELb0ES3_mN6thrust23THRUST_200600_302600_NS6detail15normal_iteratorINSA_10device_ptrIyEEEEPS6_SG_NS0_5tupleIJSF_S6_EEENSH_IJSG_SG_EEES6_PlJ7is_evenIyEEEE10hipError_tPvRmT3_T4_T5_T6_T7_T9_mT8_P12ihipStream_tbDpT10_ENKUlT_T0_E_clISt17integral_constantIbLb1EES16_EEDaS11_S12_EUlS11_E_NS1_11comp_targetILNS1_3genE4ELNS1_11target_archE910ELNS1_3gpuE8ELNS1_3repE0EEENS1_30default_config_static_selectorELNS0_4arch9wavefront6targetE0EEEvT1_,@function
_ZN7rocprim17ROCPRIM_400000_NS6detail17trampoline_kernelINS0_14default_configENS1_25partition_config_selectorILNS1_17partition_subalgoE6EyNS0_10empty_typeEbEEZZNS1_14partition_implILS5_6ELb0ES3_mN6thrust23THRUST_200600_302600_NS6detail15normal_iteratorINSA_10device_ptrIyEEEEPS6_SG_NS0_5tupleIJSF_S6_EEENSH_IJSG_SG_EEES6_PlJ7is_evenIyEEEE10hipError_tPvRmT3_T4_T5_T6_T7_T9_mT8_P12ihipStream_tbDpT10_ENKUlT_T0_E_clISt17integral_constantIbLb1EES16_EEDaS11_S12_EUlS11_E_NS1_11comp_targetILNS1_3genE4ELNS1_11target_archE910ELNS1_3gpuE8ELNS1_3repE0EEENS1_30default_config_static_selectorELNS0_4arch9wavefront6targetE0EEEvT1_: ; @_ZN7rocprim17ROCPRIM_400000_NS6detail17trampoline_kernelINS0_14default_configENS1_25partition_config_selectorILNS1_17partition_subalgoE6EyNS0_10empty_typeEbEEZZNS1_14partition_implILS5_6ELb0ES3_mN6thrust23THRUST_200600_302600_NS6detail15normal_iteratorINSA_10device_ptrIyEEEEPS6_SG_NS0_5tupleIJSF_S6_EEENSH_IJSG_SG_EEES6_PlJ7is_evenIyEEEE10hipError_tPvRmT3_T4_T5_T6_T7_T9_mT8_P12ihipStream_tbDpT10_ENKUlT_T0_E_clISt17integral_constantIbLb1EES16_EEDaS11_S12_EUlS11_E_NS1_11comp_targetILNS1_3genE4ELNS1_11target_archE910ELNS1_3gpuE8ELNS1_3repE0EEENS1_30default_config_static_selectorELNS0_4arch9wavefront6targetE0EEEvT1_
; %bb.0:
	.section	.rodata,"a",@progbits
	.p2align	6, 0x0
	.amdhsa_kernel _ZN7rocprim17ROCPRIM_400000_NS6detail17trampoline_kernelINS0_14default_configENS1_25partition_config_selectorILNS1_17partition_subalgoE6EyNS0_10empty_typeEbEEZZNS1_14partition_implILS5_6ELb0ES3_mN6thrust23THRUST_200600_302600_NS6detail15normal_iteratorINSA_10device_ptrIyEEEEPS6_SG_NS0_5tupleIJSF_S6_EEENSH_IJSG_SG_EEES6_PlJ7is_evenIyEEEE10hipError_tPvRmT3_T4_T5_T6_T7_T9_mT8_P12ihipStream_tbDpT10_ENKUlT_T0_E_clISt17integral_constantIbLb1EES16_EEDaS11_S12_EUlS11_E_NS1_11comp_targetILNS1_3genE4ELNS1_11target_archE910ELNS1_3gpuE8ELNS1_3repE0EEENS1_30default_config_static_selectorELNS0_4arch9wavefront6targetE0EEEvT1_
		.amdhsa_group_segment_fixed_size 0
		.amdhsa_private_segment_fixed_size 0
		.amdhsa_kernarg_size 128
		.amdhsa_user_sgpr_count 15
		.amdhsa_user_sgpr_dispatch_ptr 0
		.amdhsa_user_sgpr_queue_ptr 0
		.amdhsa_user_sgpr_kernarg_segment_ptr 1
		.amdhsa_user_sgpr_dispatch_id 0
		.amdhsa_user_sgpr_private_segment_size 0
		.amdhsa_wavefront_size32 1
		.amdhsa_uses_dynamic_stack 0
		.amdhsa_enable_private_segment 0
		.amdhsa_system_sgpr_workgroup_id_x 1
		.amdhsa_system_sgpr_workgroup_id_y 0
		.amdhsa_system_sgpr_workgroup_id_z 0
		.amdhsa_system_sgpr_workgroup_info 0
		.amdhsa_system_vgpr_workitem_id 0
		.amdhsa_next_free_vgpr 1
		.amdhsa_next_free_sgpr 1
		.amdhsa_reserve_vcc 0
		.amdhsa_float_round_mode_32 0
		.amdhsa_float_round_mode_16_64 0
		.amdhsa_float_denorm_mode_32 3
		.amdhsa_float_denorm_mode_16_64 3
		.amdhsa_dx10_clamp 1
		.amdhsa_ieee_mode 1
		.amdhsa_fp16_overflow 0
		.amdhsa_workgroup_processor_mode 1
		.amdhsa_memory_ordered 1
		.amdhsa_forward_progress 0
		.amdhsa_shared_vgpr_count 0
		.amdhsa_exception_fp_ieee_invalid_op 0
		.amdhsa_exception_fp_denorm_src 0
		.amdhsa_exception_fp_ieee_div_zero 0
		.amdhsa_exception_fp_ieee_overflow 0
		.amdhsa_exception_fp_ieee_underflow 0
		.amdhsa_exception_fp_ieee_inexact 0
		.amdhsa_exception_int_div_zero 0
	.end_amdhsa_kernel
	.section	.text._ZN7rocprim17ROCPRIM_400000_NS6detail17trampoline_kernelINS0_14default_configENS1_25partition_config_selectorILNS1_17partition_subalgoE6EyNS0_10empty_typeEbEEZZNS1_14partition_implILS5_6ELb0ES3_mN6thrust23THRUST_200600_302600_NS6detail15normal_iteratorINSA_10device_ptrIyEEEEPS6_SG_NS0_5tupleIJSF_S6_EEENSH_IJSG_SG_EEES6_PlJ7is_evenIyEEEE10hipError_tPvRmT3_T4_T5_T6_T7_T9_mT8_P12ihipStream_tbDpT10_ENKUlT_T0_E_clISt17integral_constantIbLb1EES16_EEDaS11_S12_EUlS11_E_NS1_11comp_targetILNS1_3genE4ELNS1_11target_archE910ELNS1_3gpuE8ELNS1_3repE0EEENS1_30default_config_static_selectorELNS0_4arch9wavefront6targetE0EEEvT1_,"axG",@progbits,_ZN7rocprim17ROCPRIM_400000_NS6detail17trampoline_kernelINS0_14default_configENS1_25partition_config_selectorILNS1_17partition_subalgoE6EyNS0_10empty_typeEbEEZZNS1_14partition_implILS5_6ELb0ES3_mN6thrust23THRUST_200600_302600_NS6detail15normal_iteratorINSA_10device_ptrIyEEEEPS6_SG_NS0_5tupleIJSF_S6_EEENSH_IJSG_SG_EEES6_PlJ7is_evenIyEEEE10hipError_tPvRmT3_T4_T5_T6_T7_T9_mT8_P12ihipStream_tbDpT10_ENKUlT_T0_E_clISt17integral_constantIbLb1EES16_EEDaS11_S12_EUlS11_E_NS1_11comp_targetILNS1_3genE4ELNS1_11target_archE910ELNS1_3gpuE8ELNS1_3repE0EEENS1_30default_config_static_selectorELNS0_4arch9wavefront6targetE0EEEvT1_,comdat
.Lfunc_end274:
	.size	_ZN7rocprim17ROCPRIM_400000_NS6detail17trampoline_kernelINS0_14default_configENS1_25partition_config_selectorILNS1_17partition_subalgoE6EyNS0_10empty_typeEbEEZZNS1_14partition_implILS5_6ELb0ES3_mN6thrust23THRUST_200600_302600_NS6detail15normal_iteratorINSA_10device_ptrIyEEEEPS6_SG_NS0_5tupleIJSF_S6_EEENSH_IJSG_SG_EEES6_PlJ7is_evenIyEEEE10hipError_tPvRmT3_T4_T5_T6_T7_T9_mT8_P12ihipStream_tbDpT10_ENKUlT_T0_E_clISt17integral_constantIbLb1EES16_EEDaS11_S12_EUlS11_E_NS1_11comp_targetILNS1_3genE4ELNS1_11target_archE910ELNS1_3gpuE8ELNS1_3repE0EEENS1_30default_config_static_selectorELNS0_4arch9wavefront6targetE0EEEvT1_, .Lfunc_end274-_ZN7rocprim17ROCPRIM_400000_NS6detail17trampoline_kernelINS0_14default_configENS1_25partition_config_selectorILNS1_17partition_subalgoE6EyNS0_10empty_typeEbEEZZNS1_14partition_implILS5_6ELb0ES3_mN6thrust23THRUST_200600_302600_NS6detail15normal_iteratorINSA_10device_ptrIyEEEEPS6_SG_NS0_5tupleIJSF_S6_EEENSH_IJSG_SG_EEES6_PlJ7is_evenIyEEEE10hipError_tPvRmT3_T4_T5_T6_T7_T9_mT8_P12ihipStream_tbDpT10_ENKUlT_T0_E_clISt17integral_constantIbLb1EES16_EEDaS11_S12_EUlS11_E_NS1_11comp_targetILNS1_3genE4ELNS1_11target_archE910ELNS1_3gpuE8ELNS1_3repE0EEENS1_30default_config_static_selectorELNS0_4arch9wavefront6targetE0EEEvT1_
                                        ; -- End function
	.section	.AMDGPU.csdata,"",@progbits
; Kernel info:
; codeLenInByte = 0
; NumSgprs: 0
; NumVgprs: 0
; ScratchSize: 0
; MemoryBound: 0
; FloatMode: 240
; IeeeMode: 1
; LDSByteSize: 0 bytes/workgroup (compile time only)
; SGPRBlocks: 0
; VGPRBlocks: 0
; NumSGPRsForWavesPerEU: 1
; NumVGPRsForWavesPerEU: 1
; Occupancy: 16
; WaveLimiterHint : 0
; COMPUTE_PGM_RSRC2:SCRATCH_EN: 0
; COMPUTE_PGM_RSRC2:USER_SGPR: 15
; COMPUTE_PGM_RSRC2:TRAP_HANDLER: 0
; COMPUTE_PGM_RSRC2:TGID_X_EN: 1
; COMPUTE_PGM_RSRC2:TGID_Y_EN: 0
; COMPUTE_PGM_RSRC2:TGID_Z_EN: 0
; COMPUTE_PGM_RSRC2:TIDIG_COMP_CNT: 0
	.section	.text._ZN7rocprim17ROCPRIM_400000_NS6detail17trampoline_kernelINS0_14default_configENS1_25partition_config_selectorILNS1_17partition_subalgoE6EyNS0_10empty_typeEbEEZZNS1_14partition_implILS5_6ELb0ES3_mN6thrust23THRUST_200600_302600_NS6detail15normal_iteratorINSA_10device_ptrIyEEEEPS6_SG_NS0_5tupleIJSF_S6_EEENSH_IJSG_SG_EEES6_PlJ7is_evenIyEEEE10hipError_tPvRmT3_T4_T5_T6_T7_T9_mT8_P12ihipStream_tbDpT10_ENKUlT_T0_E_clISt17integral_constantIbLb1EES16_EEDaS11_S12_EUlS11_E_NS1_11comp_targetILNS1_3genE3ELNS1_11target_archE908ELNS1_3gpuE7ELNS1_3repE0EEENS1_30default_config_static_selectorELNS0_4arch9wavefront6targetE0EEEvT1_,"axG",@progbits,_ZN7rocprim17ROCPRIM_400000_NS6detail17trampoline_kernelINS0_14default_configENS1_25partition_config_selectorILNS1_17partition_subalgoE6EyNS0_10empty_typeEbEEZZNS1_14partition_implILS5_6ELb0ES3_mN6thrust23THRUST_200600_302600_NS6detail15normal_iteratorINSA_10device_ptrIyEEEEPS6_SG_NS0_5tupleIJSF_S6_EEENSH_IJSG_SG_EEES6_PlJ7is_evenIyEEEE10hipError_tPvRmT3_T4_T5_T6_T7_T9_mT8_P12ihipStream_tbDpT10_ENKUlT_T0_E_clISt17integral_constantIbLb1EES16_EEDaS11_S12_EUlS11_E_NS1_11comp_targetILNS1_3genE3ELNS1_11target_archE908ELNS1_3gpuE7ELNS1_3repE0EEENS1_30default_config_static_selectorELNS0_4arch9wavefront6targetE0EEEvT1_,comdat
	.protected	_ZN7rocprim17ROCPRIM_400000_NS6detail17trampoline_kernelINS0_14default_configENS1_25partition_config_selectorILNS1_17partition_subalgoE6EyNS0_10empty_typeEbEEZZNS1_14partition_implILS5_6ELb0ES3_mN6thrust23THRUST_200600_302600_NS6detail15normal_iteratorINSA_10device_ptrIyEEEEPS6_SG_NS0_5tupleIJSF_S6_EEENSH_IJSG_SG_EEES6_PlJ7is_evenIyEEEE10hipError_tPvRmT3_T4_T5_T6_T7_T9_mT8_P12ihipStream_tbDpT10_ENKUlT_T0_E_clISt17integral_constantIbLb1EES16_EEDaS11_S12_EUlS11_E_NS1_11comp_targetILNS1_3genE3ELNS1_11target_archE908ELNS1_3gpuE7ELNS1_3repE0EEENS1_30default_config_static_selectorELNS0_4arch9wavefront6targetE0EEEvT1_ ; -- Begin function _ZN7rocprim17ROCPRIM_400000_NS6detail17trampoline_kernelINS0_14default_configENS1_25partition_config_selectorILNS1_17partition_subalgoE6EyNS0_10empty_typeEbEEZZNS1_14partition_implILS5_6ELb0ES3_mN6thrust23THRUST_200600_302600_NS6detail15normal_iteratorINSA_10device_ptrIyEEEEPS6_SG_NS0_5tupleIJSF_S6_EEENSH_IJSG_SG_EEES6_PlJ7is_evenIyEEEE10hipError_tPvRmT3_T4_T5_T6_T7_T9_mT8_P12ihipStream_tbDpT10_ENKUlT_T0_E_clISt17integral_constantIbLb1EES16_EEDaS11_S12_EUlS11_E_NS1_11comp_targetILNS1_3genE3ELNS1_11target_archE908ELNS1_3gpuE7ELNS1_3repE0EEENS1_30default_config_static_selectorELNS0_4arch9wavefront6targetE0EEEvT1_
	.globl	_ZN7rocprim17ROCPRIM_400000_NS6detail17trampoline_kernelINS0_14default_configENS1_25partition_config_selectorILNS1_17partition_subalgoE6EyNS0_10empty_typeEbEEZZNS1_14partition_implILS5_6ELb0ES3_mN6thrust23THRUST_200600_302600_NS6detail15normal_iteratorINSA_10device_ptrIyEEEEPS6_SG_NS0_5tupleIJSF_S6_EEENSH_IJSG_SG_EEES6_PlJ7is_evenIyEEEE10hipError_tPvRmT3_T4_T5_T6_T7_T9_mT8_P12ihipStream_tbDpT10_ENKUlT_T0_E_clISt17integral_constantIbLb1EES16_EEDaS11_S12_EUlS11_E_NS1_11comp_targetILNS1_3genE3ELNS1_11target_archE908ELNS1_3gpuE7ELNS1_3repE0EEENS1_30default_config_static_selectorELNS0_4arch9wavefront6targetE0EEEvT1_
	.p2align	8
	.type	_ZN7rocprim17ROCPRIM_400000_NS6detail17trampoline_kernelINS0_14default_configENS1_25partition_config_selectorILNS1_17partition_subalgoE6EyNS0_10empty_typeEbEEZZNS1_14partition_implILS5_6ELb0ES3_mN6thrust23THRUST_200600_302600_NS6detail15normal_iteratorINSA_10device_ptrIyEEEEPS6_SG_NS0_5tupleIJSF_S6_EEENSH_IJSG_SG_EEES6_PlJ7is_evenIyEEEE10hipError_tPvRmT3_T4_T5_T6_T7_T9_mT8_P12ihipStream_tbDpT10_ENKUlT_T0_E_clISt17integral_constantIbLb1EES16_EEDaS11_S12_EUlS11_E_NS1_11comp_targetILNS1_3genE3ELNS1_11target_archE908ELNS1_3gpuE7ELNS1_3repE0EEENS1_30default_config_static_selectorELNS0_4arch9wavefront6targetE0EEEvT1_,@function
_ZN7rocprim17ROCPRIM_400000_NS6detail17trampoline_kernelINS0_14default_configENS1_25partition_config_selectorILNS1_17partition_subalgoE6EyNS0_10empty_typeEbEEZZNS1_14partition_implILS5_6ELb0ES3_mN6thrust23THRUST_200600_302600_NS6detail15normal_iteratorINSA_10device_ptrIyEEEEPS6_SG_NS0_5tupleIJSF_S6_EEENSH_IJSG_SG_EEES6_PlJ7is_evenIyEEEE10hipError_tPvRmT3_T4_T5_T6_T7_T9_mT8_P12ihipStream_tbDpT10_ENKUlT_T0_E_clISt17integral_constantIbLb1EES16_EEDaS11_S12_EUlS11_E_NS1_11comp_targetILNS1_3genE3ELNS1_11target_archE908ELNS1_3gpuE7ELNS1_3repE0EEENS1_30default_config_static_selectorELNS0_4arch9wavefront6targetE0EEEvT1_: ; @_ZN7rocprim17ROCPRIM_400000_NS6detail17trampoline_kernelINS0_14default_configENS1_25partition_config_selectorILNS1_17partition_subalgoE6EyNS0_10empty_typeEbEEZZNS1_14partition_implILS5_6ELb0ES3_mN6thrust23THRUST_200600_302600_NS6detail15normal_iteratorINSA_10device_ptrIyEEEEPS6_SG_NS0_5tupleIJSF_S6_EEENSH_IJSG_SG_EEES6_PlJ7is_evenIyEEEE10hipError_tPvRmT3_T4_T5_T6_T7_T9_mT8_P12ihipStream_tbDpT10_ENKUlT_T0_E_clISt17integral_constantIbLb1EES16_EEDaS11_S12_EUlS11_E_NS1_11comp_targetILNS1_3genE3ELNS1_11target_archE908ELNS1_3gpuE7ELNS1_3repE0EEENS1_30default_config_static_selectorELNS0_4arch9wavefront6targetE0EEEvT1_
; %bb.0:
	.section	.rodata,"a",@progbits
	.p2align	6, 0x0
	.amdhsa_kernel _ZN7rocprim17ROCPRIM_400000_NS6detail17trampoline_kernelINS0_14default_configENS1_25partition_config_selectorILNS1_17partition_subalgoE6EyNS0_10empty_typeEbEEZZNS1_14partition_implILS5_6ELb0ES3_mN6thrust23THRUST_200600_302600_NS6detail15normal_iteratorINSA_10device_ptrIyEEEEPS6_SG_NS0_5tupleIJSF_S6_EEENSH_IJSG_SG_EEES6_PlJ7is_evenIyEEEE10hipError_tPvRmT3_T4_T5_T6_T7_T9_mT8_P12ihipStream_tbDpT10_ENKUlT_T0_E_clISt17integral_constantIbLb1EES16_EEDaS11_S12_EUlS11_E_NS1_11comp_targetILNS1_3genE3ELNS1_11target_archE908ELNS1_3gpuE7ELNS1_3repE0EEENS1_30default_config_static_selectorELNS0_4arch9wavefront6targetE0EEEvT1_
		.amdhsa_group_segment_fixed_size 0
		.amdhsa_private_segment_fixed_size 0
		.amdhsa_kernarg_size 128
		.amdhsa_user_sgpr_count 15
		.amdhsa_user_sgpr_dispatch_ptr 0
		.amdhsa_user_sgpr_queue_ptr 0
		.amdhsa_user_sgpr_kernarg_segment_ptr 1
		.amdhsa_user_sgpr_dispatch_id 0
		.amdhsa_user_sgpr_private_segment_size 0
		.amdhsa_wavefront_size32 1
		.amdhsa_uses_dynamic_stack 0
		.amdhsa_enable_private_segment 0
		.amdhsa_system_sgpr_workgroup_id_x 1
		.amdhsa_system_sgpr_workgroup_id_y 0
		.amdhsa_system_sgpr_workgroup_id_z 0
		.amdhsa_system_sgpr_workgroup_info 0
		.amdhsa_system_vgpr_workitem_id 0
		.amdhsa_next_free_vgpr 1
		.amdhsa_next_free_sgpr 1
		.amdhsa_reserve_vcc 0
		.amdhsa_float_round_mode_32 0
		.amdhsa_float_round_mode_16_64 0
		.amdhsa_float_denorm_mode_32 3
		.amdhsa_float_denorm_mode_16_64 3
		.amdhsa_dx10_clamp 1
		.amdhsa_ieee_mode 1
		.amdhsa_fp16_overflow 0
		.amdhsa_workgroup_processor_mode 1
		.amdhsa_memory_ordered 1
		.amdhsa_forward_progress 0
		.amdhsa_shared_vgpr_count 0
		.amdhsa_exception_fp_ieee_invalid_op 0
		.amdhsa_exception_fp_denorm_src 0
		.amdhsa_exception_fp_ieee_div_zero 0
		.amdhsa_exception_fp_ieee_overflow 0
		.amdhsa_exception_fp_ieee_underflow 0
		.amdhsa_exception_fp_ieee_inexact 0
		.amdhsa_exception_int_div_zero 0
	.end_amdhsa_kernel
	.section	.text._ZN7rocprim17ROCPRIM_400000_NS6detail17trampoline_kernelINS0_14default_configENS1_25partition_config_selectorILNS1_17partition_subalgoE6EyNS0_10empty_typeEbEEZZNS1_14partition_implILS5_6ELb0ES3_mN6thrust23THRUST_200600_302600_NS6detail15normal_iteratorINSA_10device_ptrIyEEEEPS6_SG_NS0_5tupleIJSF_S6_EEENSH_IJSG_SG_EEES6_PlJ7is_evenIyEEEE10hipError_tPvRmT3_T4_T5_T6_T7_T9_mT8_P12ihipStream_tbDpT10_ENKUlT_T0_E_clISt17integral_constantIbLb1EES16_EEDaS11_S12_EUlS11_E_NS1_11comp_targetILNS1_3genE3ELNS1_11target_archE908ELNS1_3gpuE7ELNS1_3repE0EEENS1_30default_config_static_selectorELNS0_4arch9wavefront6targetE0EEEvT1_,"axG",@progbits,_ZN7rocprim17ROCPRIM_400000_NS6detail17trampoline_kernelINS0_14default_configENS1_25partition_config_selectorILNS1_17partition_subalgoE6EyNS0_10empty_typeEbEEZZNS1_14partition_implILS5_6ELb0ES3_mN6thrust23THRUST_200600_302600_NS6detail15normal_iteratorINSA_10device_ptrIyEEEEPS6_SG_NS0_5tupleIJSF_S6_EEENSH_IJSG_SG_EEES6_PlJ7is_evenIyEEEE10hipError_tPvRmT3_T4_T5_T6_T7_T9_mT8_P12ihipStream_tbDpT10_ENKUlT_T0_E_clISt17integral_constantIbLb1EES16_EEDaS11_S12_EUlS11_E_NS1_11comp_targetILNS1_3genE3ELNS1_11target_archE908ELNS1_3gpuE7ELNS1_3repE0EEENS1_30default_config_static_selectorELNS0_4arch9wavefront6targetE0EEEvT1_,comdat
.Lfunc_end275:
	.size	_ZN7rocprim17ROCPRIM_400000_NS6detail17trampoline_kernelINS0_14default_configENS1_25partition_config_selectorILNS1_17partition_subalgoE6EyNS0_10empty_typeEbEEZZNS1_14partition_implILS5_6ELb0ES3_mN6thrust23THRUST_200600_302600_NS6detail15normal_iteratorINSA_10device_ptrIyEEEEPS6_SG_NS0_5tupleIJSF_S6_EEENSH_IJSG_SG_EEES6_PlJ7is_evenIyEEEE10hipError_tPvRmT3_T4_T5_T6_T7_T9_mT8_P12ihipStream_tbDpT10_ENKUlT_T0_E_clISt17integral_constantIbLb1EES16_EEDaS11_S12_EUlS11_E_NS1_11comp_targetILNS1_3genE3ELNS1_11target_archE908ELNS1_3gpuE7ELNS1_3repE0EEENS1_30default_config_static_selectorELNS0_4arch9wavefront6targetE0EEEvT1_, .Lfunc_end275-_ZN7rocprim17ROCPRIM_400000_NS6detail17trampoline_kernelINS0_14default_configENS1_25partition_config_selectorILNS1_17partition_subalgoE6EyNS0_10empty_typeEbEEZZNS1_14partition_implILS5_6ELb0ES3_mN6thrust23THRUST_200600_302600_NS6detail15normal_iteratorINSA_10device_ptrIyEEEEPS6_SG_NS0_5tupleIJSF_S6_EEENSH_IJSG_SG_EEES6_PlJ7is_evenIyEEEE10hipError_tPvRmT3_T4_T5_T6_T7_T9_mT8_P12ihipStream_tbDpT10_ENKUlT_T0_E_clISt17integral_constantIbLb1EES16_EEDaS11_S12_EUlS11_E_NS1_11comp_targetILNS1_3genE3ELNS1_11target_archE908ELNS1_3gpuE7ELNS1_3repE0EEENS1_30default_config_static_selectorELNS0_4arch9wavefront6targetE0EEEvT1_
                                        ; -- End function
	.section	.AMDGPU.csdata,"",@progbits
; Kernel info:
; codeLenInByte = 0
; NumSgprs: 0
; NumVgprs: 0
; ScratchSize: 0
; MemoryBound: 0
; FloatMode: 240
; IeeeMode: 1
; LDSByteSize: 0 bytes/workgroup (compile time only)
; SGPRBlocks: 0
; VGPRBlocks: 0
; NumSGPRsForWavesPerEU: 1
; NumVGPRsForWavesPerEU: 1
; Occupancy: 16
; WaveLimiterHint : 0
; COMPUTE_PGM_RSRC2:SCRATCH_EN: 0
; COMPUTE_PGM_RSRC2:USER_SGPR: 15
; COMPUTE_PGM_RSRC2:TRAP_HANDLER: 0
; COMPUTE_PGM_RSRC2:TGID_X_EN: 1
; COMPUTE_PGM_RSRC2:TGID_Y_EN: 0
; COMPUTE_PGM_RSRC2:TGID_Z_EN: 0
; COMPUTE_PGM_RSRC2:TIDIG_COMP_CNT: 0
	.section	.text._ZN7rocprim17ROCPRIM_400000_NS6detail17trampoline_kernelINS0_14default_configENS1_25partition_config_selectorILNS1_17partition_subalgoE6EyNS0_10empty_typeEbEEZZNS1_14partition_implILS5_6ELb0ES3_mN6thrust23THRUST_200600_302600_NS6detail15normal_iteratorINSA_10device_ptrIyEEEEPS6_SG_NS0_5tupleIJSF_S6_EEENSH_IJSG_SG_EEES6_PlJ7is_evenIyEEEE10hipError_tPvRmT3_T4_T5_T6_T7_T9_mT8_P12ihipStream_tbDpT10_ENKUlT_T0_E_clISt17integral_constantIbLb1EES16_EEDaS11_S12_EUlS11_E_NS1_11comp_targetILNS1_3genE2ELNS1_11target_archE906ELNS1_3gpuE6ELNS1_3repE0EEENS1_30default_config_static_selectorELNS0_4arch9wavefront6targetE0EEEvT1_,"axG",@progbits,_ZN7rocprim17ROCPRIM_400000_NS6detail17trampoline_kernelINS0_14default_configENS1_25partition_config_selectorILNS1_17partition_subalgoE6EyNS0_10empty_typeEbEEZZNS1_14partition_implILS5_6ELb0ES3_mN6thrust23THRUST_200600_302600_NS6detail15normal_iteratorINSA_10device_ptrIyEEEEPS6_SG_NS0_5tupleIJSF_S6_EEENSH_IJSG_SG_EEES6_PlJ7is_evenIyEEEE10hipError_tPvRmT3_T4_T5_T6_T7_T9_mT8_P12ihipStream_tbDpT10_ENKUlT_T0_E_clISt17integral_constantIbLb1EES16_EEDaS11_S12_EUlS11_E_NS1_11comp_targetILNS1_3genE2ELNS1_11target_archE906ELNS1_3gpuE6ELNS1_3repE0EEENS1_30default_config_static_selectorELNS0_4arch9wavefront6targetE0EEEvT1_,comdat
	.protected	_ZN7rocprim17ROCPRIM_400000_NS6detail17trampoline_kernelINS0_14default_configENS1_25partition_config_selectorILNS1_17partition_subalgoE6EyNS0_10empty_typeEbEEZZNS1_14partition_implILS5_6ELb0ES3_mN6thrust23THRUST_200600_302600_NS6detail15normal_iteratorINSA_10device_ptrIyEEEEPS6_SG_NS0_5tupleIJSF_S6_EEENSH_IJSG_SG_EEES6_PlJ7is_evenIyEEEE10hipError_tPvRmT3_T4_T5_T6_T7_T9_mT8_P12ihipStream_tbDpT10_ENKUlT_T0_E_clISt17integral_constantIbLb1EES16_EEDaS11_S12_EUlS11_E_NS1_11comp_targetILNS1_3genE2ELNS1_11target_archE906ELNS1_3gpuE6ELNS1_3repE0EEENS1_30default_config_static_selectorELNS0_4arch9wavefront6targetE0EEEvT1_ ; -- Begin function _ZN7rocprim17ROCPRIM_400000_NS6detail17trampoline_kernelINS0_14default_configENS1_25partition_config_selectorILNS1_17partition_subalgoE6EyNS0_10empty_typeEbEEZZNS1_14partition_implILS5_6ELb0ES3_mN6thrust23THRUST_200600_302600_NS6detail15normal_iteratorINSA_10device_ptrIyEEEEPS6_SG_NS0_5tupleIJSF_S6_EEENSH_IJSG_SG_EEES6_PlJ7is_evenIyEEEE10hipError_tPvRmT3_T4_T5_T6_T7_T9_mT8_P12ihipStream_tbDpT10_ENKUlT_T0_E_clISt17integral_constantIbLb1EES16_EEDaS11_S12_EUlS11_E_NS1_11comp_targetILNS1_3genE2ELNS1_11target_archE906ELNS1_3gpuE6ELNS1_3repE0EEENS1_30default_config_static_selectorELNS0_4arch9wavefront6targetE0EEEvT1_
	.globl	_ZN7rocprim17ROCPRIM_400000_NS6detail17trampoline_kernelINS0_14default_configENS1_25partition_config_selectorILNS1_17partition_subalgoE6EyNS0_10empty_typeEbEEZZNS1_14partition_implILS5_6ELb0ES3_mN6thrust23THRUST_200600_302600_NS6detail15normal_iteratorINSA_10device_ptrIyEEEEPS6_SG_NS0_5tupleIJSF_S6_EEENSH_IJSG_SG_EEES6_PlJ7is_evenIyEEEE10hipError_tPvRmT3_T4_T5_T6_T7_T9_mT8_P12ihipStream_tbDpT10_ENKUlT_T0_E_clISt17integral_constantIbLb1EES16_EEDaS11_S12_EUlS11_E_NS1_11comp_targetILNS1_3genE2ELNS1_11target_archE906ELNS1_3gpuE6ELNS1_3repE0EEENS1_30default_config_static_selectorELNS0_4arch9wavefront6targetE0EEEvT1_
	.p2align	8
	.type	_ZN7rocprim17ROCPRIM_400000_NS6detail17trampoline_kernelINS0_14default_configENS1_25partition_config_selectorILNS1_17partition_subalgoE6EyNS0_10empty_typeEbEEZZNS1_14partition_implILS5_6ELb0ES3_mN6thrust23THRUST_200600_302600_NS6detail15normal_iteratorINSA_10device_ptrIyEEEEPS6_SG_NS0_5tupleIJSF_S6_EEENSH_IJSG_SG_EEES6_PlJ7is_evenIyEEEE10hipError_tPvRmT3_T4_T5_T6_T7_T9_mT8_P12ihipStream_tbDpT10_ENKUlT_T0_E_clISt17integral_constantIbLb1EES16_EEDaS11_S12_EUlS11_E_NS1_11comp_targetILNS1_3genE2ELNS1_11target_archE906ELNS1_3gpuE6ELNS1_3repE0EEENS1_30default_config_static_selectorELNS0_4arch9wavefront6targetE0EEEvT1_,@function
_ZN7rocprim17ROCPRIM_400000_NS6detail17trampoline_kernelINS0_14default_configENS1_25partition_config_selectorILNS1_17partition_subalgoE6EyNS0_10empty_typeEbEEZZNS1_14partition_implILS5_6ELb0ES3_mN6thrust23THRUST_200600_302600_NS6detail15normal_iteratorINSA_10device_ptrIyEEEEPS6_SG_NS0_5tupleIJSF_S6_EEENSH_IJSG_SG_EEES6_PlJ7is_evenIyEEEE10hipError_tPvRmT3_T4_T5_T6_T7_T9_mT8_P12ihipStream_tbDpT10_ENKUlT_T0_E_clISt17integral_constantIbLb1EES16_EEDaS11_S12_EUlS11_E_NS1_11comp_targetILNS1_3genE2ELNS1_11target_archE906ELNS1_3gpuE6ELNS1_3repE0EEENS1_30default_config_static_selectorELNS0_4arch9wavefront6targetE0EEEvT1_: ; @_ZN7rocprim17ROCPRIM_400000_NS6detail17trampoline_kernelINS0_14default_configENS1_25partition_config_selectorILNS1_17partition_subalgoE6EyNS0_10empty_typeEbEEZZNS1_14partition_implILS5_6ELb0ES3_mN6thrust23THRUST_200600_302600_NS6detail15normal_iteratorINSA_10device_ptrIyEEEEPS6_SG_NS0_5tupleIJSF_S6_EEENSH_IJSG_SG_EEES6_PlJ7is_evenIyEEEE10hipError_tPvRmT3_T4_T5_T6_T7_T9_mT8_P12ihipStream_tbDpT10_ENKUlT_T0_E_clISt17integral_constantIbLb1EES16_EEDaS11_S12_EUlS11_E_NS1_11comp_targetILNS1_3genE2ELNS1_11target_archE906ELNS1_3gpuE6ELNS1_3repE0EEENS1_30default_config_static_selectorELNS0_4arch9wavefront6targetE0EEEvT1_
; %bb.0:
	.section	.rodata,"a",@progbits
	.p2align	6, 0x0
	.amdhsa_kernel _ZN7rocprim17ROCPRIM_400000_NS6detail17trampoline_kernelINS0_14default_configENS1_25partition_config_selectorILNS1_17partition_subalgoE6EyNS0_10empty_typeEbEEZZNS1_14partition_implILS5_6ELb0ES3_mN6thrust23THRUST_200600_302600_NS6detail15normal_iteratorINSA_10device_ptrIyEEEEPS6_SG_NS0_5tupleIJSF_S6_EEENSH_IJSG_SG_EEES6_PlJ7is_evenIyEEEE10hipError_tPvRmT3_T4_T5_T6_T7_T9_mT8_P12ihipStream_tbDpT10_ENKUlT_T0_E_clISt17integral_constantIbLb1EES16_EEDaS11_S12_EUlS11_E_NS1_11comp_targetILNS1_3genE2ELNS1_11target_archE906ELNS1_3gpuE6ELNS1_3repE0EEENS1_30default_config_static_selectorELNS0_4arch9wavefront6targetE0EEEvT1_
		.amdhsa_group_segment_fixed_size 0
		.amdhsa_private_segment_fixed_size 0
		.amdhsa_kernarg_size 128
		.amdhsa_user_sgpr_count 15
		.amdhsa_user_sgpr_dispatch_ptr 0
		.amdhsa_user_sgpr_queue_ptr 0
		.amdhsa_user_sgpr_kernarg_segment_ptr 1
		.amdhsa_user_sgpr_dispatch_id 0
		.amdhsa_user_sgpr_private_segment_size 0
		.amdhsa_wavefront_size32 1
		.amdhsa_uses_dynamic_stack 0
		.amdhsa_enable_private_segment 0
		.amdhsa_system_sgpr_workgroup_id_x 1
		.amdhsa_system_sgpr_workgroup_id_y 0
		.amdhsa_system_sgpr_workgroup_id_z 0
		.amdhsa_system_sgpr_workgroup_info 0
		.amdhsa_system_vgpr_workitem_id 0
		.amdhsa_next_free_vgpr 1
		.amdhsa_next_free_sgpr 1
		.amdhsa_reserve_vcc 0
		.amdhsa_float_round_mode_32 0
		.amdhsa_float_round_mode_16_64 0
		.amdhsa_float_denorm_mode_32 3
		.amdhsa_float_denorm_mode_16_64 3
		.amdhsa_dx10_clamp 1
		.amdhsa_ieee_mode 1
		.amdhsa_fp16_overflow 0
		.amdhsa_workgroup_processor_mode 1
		.amdhsa_memory_ordered 1
		.amdhsa_forward_progress 0
		.amdhsa_shared_vgpr_count 0
		.amdhsa_exception_fp_ieee_invalid_op 0
		.amdhsa_exception_fp_denorm_src 0
		.amdhsa_exception_fp_ieee_div_zero 0
		.amdhsa_exception_fp_ieee_overflow 0
		.amdhsa_exception_fp_ieee_underflow 0
		.amdhsa_exception_fp_ieee_inexact 0
		.amdhsa_exception_int_div_zero 0
	.end_amdhsa_kernel
	.section	.text._ZN7rocprim17ROCPRIM_400000_NS6detail17trampoline_kernelINS0_14default_configENS1_25partition_config_selectorILNS1_17partition_subalgoE6EyNS0_10empty_typeEbEEZZNS1_14partition_implILS5_6ELb0ES3_mN6thrust23THRUST_200600_302600_NS6detail15normal_iteratorINSA_10device_ptrIyEEEEPS6_SG_NS0_5tupleIJSF_S6_EEENSH_IJSG_SG_EEES6_PlJ7is_evenIyEEEE10hipError_tPvRmT3_T4_T5_T6_T7_T9_mT8_P12ihipStream_tbDpT10_ENKUlT_T0_E_clISt17integral_constantIbLb1EES16_EEDaS11_S12_EUlS11_E_NS1_11comp_targetILNS1_3genE2ELNS1_11target_archE906ELNS1_3gpuE6ELNS1_3repE0EEENS1_30default_config_static_selectorELNS0_4arch9wavefront6targetE0EEEvT1_,"axG",@progbits,_ZN7rocprim17ROCPRIM_400000_NS6detail17trampoline_kernelINS0_14default_configENS1_25partition_config_selectorILNS1_17partition_subalgoE6EyNS0_10empty_typeEbEEZZNS1_14partition_implILS5_6ELb0ES3_mN6thrust23THRUST_200600_302600_NS6detail15normal_iteratorINSA_10device_ptrIyEEEEPS6_SG_NS0_5tupleIJSF_S6_EEENSH_IJSG_SG_EEES6_PlJ7is_evenIyEEEE10hipError_tPvRmT3_T4_T5_T6_T7_T9_mT8_P12ihipStream_tbDpT10_ENKUlT_T0_E_clISt17integral_constantIbLb1EES16_EEDaS11_S12_EUlS11_E_NS1_11comp_targetILNS1_3genE2ELNS1_11target_archE906ELNS1_3gpuE6ELNS1_3repE0EEENS1_30default_config_static_selectorELNS0_4arch9wavefront6targetE0EEEvT1_,comdat
.Lfunc_end276:
	.size	_ZN7rocprim17ROCPRIM_400000_NS6detail17trampoline_kernelINS0_14default_configENS1_25partition_config_selectorILNS1_17partition_subalgoE6EyNS0_10empty_typeEbEEZZNS1_14partition_implILS5_6ELb0ES3_mN6thrust23THRUST_200600_302600_NS6detail15normal_iteratorINSA_10device_ptrIyEEEEPS6_SG_NS0_5tupleIJSF_S6_EEENSH_IJSG_SG_EEES6_PlJ7is_evenIyEEEE10hipError_tPvRmT3_T4_T5_T6_T7_T9_mT8_P12ihipStream_tbDpT10_ENKUlT_T0_E_clISt17integral_constantIbLb1EES16_EEDaS11_S12_EUlS11_E_NS1_11comp_targetILNS1_3genE2ELNS1_11target_archE906ELNS1_3gpuE6ELNS1_3repE0EEENS1_30default_config_static_selectorELNS0_4arch9wavefront6targetE0EEEvT1_, .Lfunc_end276-_ZN7rocprim17ROCPRIM_400000_NS6detail17trampoline_kernelINS0_14default_configENS1_25partition_config_selectorILNS1_17partition_subalgoE6EyNS0_10empty_typeEbEEZZNS1_14partition_implILS5_6ELb0ES3_mN6thrust23THRUST_200600_302600_NS6detail15normal_iteratorINSA_10device_ptrIyEEEEPS6_SG_NS0_5tupleIJSF_S6_EEENSH_IJSG_SG_EEES6_PlJ7is_evenIyEEEE10hipError_tPvRmT3_T4_T5_T6_T7_T9_mT8_P12ihipStream_tbDpT10_ENKUlT_T0_E_clISt17integral_constantIbLb1EES16_EEDaS11_S12_EUlS11_E_NS1_11comp_targetILNS1_3genE2ELNS1_11target_archE906ELNS1_3gpuE6ELNS1_3repE0EEENS1_30default_config_static_selectorELNS0_4arch9wavefront6targetE0EEEvT1_
                                        ; -- End function
	.section	.AMDGPU.csdata,"",@progbits
; Kernel info:
; codeLenInByte = 0
; NumSgprs: 0
; NumVgprs: 0
; ScratchSize: 0
; MemoryBound: 0
; FloatMode: 240
; IeeeMode: 1
; LDSByteSize: 0 bytes/workgroup (compile time only)
; SGPRBlocks: 0
; VGPRBlocks: 0
; NumSGPRsForWavesPerEU: 1
; NumVGPRsForWavesPerEU: 1
; Occupancy: 16
; WaveLimiterHint : 0
; COMPUTE_PGM_RSRC2:SCRATCH_EN: 0
; COMPUTE_PGM_RSRC2:USER_SGPR: 15
; COMPUTE_PGM_RSRC2:TRAP_HANDLER: 0
; COMPUTE_PGM_RSRC2:TGID_X_EN: 1
; COMPUTE_PGM_RSRC2:TGID_Y_EN: 0
; COMPUTE_PGM_RSRC2:TGID_Z_EN: 0
; COMPUTE_PGM_RSRC2:TIDIG_COMP_CNT: 0
	.section	.text._ZN7rocprim17ROCPRIM_400000_NS6detail17trampoline_kernelINS0_14default_configENS1_25partition_config_selectorILNS1_17partition_subalgoE6EyNS0_10empty_typeEbEEZZNS1_14partition_implILS5_6ELb0ES3_mN6thrust23THRUST_200600_302600_NS6detail15normal_iteratorINSA_10device_ptrIyEEEEPS6_SG_NS0_5tupleIJSF_S6_EEENSH_IJSG_SG_EEES6_PlJ7is_evenIyEEEE10hipError_tPvRmT3_T4_T5_T6_T7_T9_mT8_P12ihipStream_tbDpT10_ENKUlT_T0_E_clISt17integral_constantIbLb1EES16_EEDaS11_S12_EUlS11_E_NS1_11comp_targetILNS1_3genE10ELNS1_11target_archE1200ELNS1_3gpuE4ELNS1_3repE0EEENS1_30default_config_static_selectorELNS0_4arch9wavefront6targetE0EEEvT1_,"axG",@progbits,_ZN7rocprim17ROCPRIM_400000_NS6detail17trampoline_kernelINS0_14default_configENS1_25partition_config_selectorILNS1_17partition_subalgoE6EyNS0_10empty_typeEbEEZZNS1_14partition_implILS5_6ELb0ES3_mN6thrust23THRUST_200600_302600_NS6detail15normal_iteratorINSA_10device_ptrIyEEEEPS6_SG_NS0_5tupleIJSF_S6_EEENSH_IJSG_SG_EEES6_PlJ7is_evenIyEEEE10hipError_tPvRmT3_T4_T5_T6_T7_T9_mT8_P12ihipStream_tbDpT10_ENKUlT_T0_E_clISt17integral_constantIbLb1EES16_EEDaS11_S12_EUlS11_E_NS1_11comp_targetILNS1_3genE10ELNS1_11target_archE1200ELNS1_3gpuE4ELNS1_3repE0EEENS1_30default_config_static_selectorELNS0_4arch9wavefront6targetE0EEEvT1_,comdat
	.protected	_ZN7rocprim17ROCPRIM_400000_NS6detail17trampoline_kernelINS0_14default_configENS1_25partition_config_selectorILNS1_17partition_subalgoE6EyNS0_10empty_typeEbEEZZNS1_14partition_implILS5_6ELb0ES3_mN6thrust23THRUST_200600_302600_NS6detail15normal_iteratorINSA_10device_ptrIyEEEEPS6_SG_NS0_5tupleIJSF_S6_EEENSH_IJSG_SG_EEES6_PlJ7is_evenIyEEEE10hipError_tPvRmT3_T4_T5_T6_T7_T9_mT8_P12ihipStream_tbDpT10_ENKUlT_T0_E_clISt17integral_constantIbLb1EES16_EEDaS11_S12_EUlS11_E_NS1_11comp_targetILNS1_3genE10ELNS1_11target_archE1200ELNS1_3gpuE4ELNS1_3repE0EEENS1_30default_config_static_selectorELNS0_4arch9wavefront6targetE0EEEvT1_ ; -- Begin function _ZN7rocprim17ROCPRIM_400000_NS6detail17trampoline_kernelINS0_14default_configENS1_25partition_config_selectorILNS1_17partition_subalgoE6EyNS0_10empty_typeEbEEZZNS1_14partition_implILS5_6ELb0ES3_mN6thrust23THRUST_200600_302600_NS6detail15normal_iteratorINSA_10device_ptrIyEEEEPS6_SG_NS0_5tupleIJSF_S6_EEENSH_IJSG_SG_EEES6_PlJ7is_evenIyEEEE10hipError_tPvRmT3_T4_T5_T6_T7_T9_mT8_P12ihipStream_tbDpT10_ENKUlT_T0_E_clISt17integral_constantIbLb1EES16_EEDaS11_S12_EUlS11_E_NS1_11comp_targetILNS1_3genE10ELNS1_11target_archE1200ELNS1_3gpuE4ELNS1_3repE0EEENS1_30default_config_static_selectorELNS0_4arch9wavefront6targetE0EEEvT1_
	.globl	_ZN7rocprim17ROCPRIM_400000_NS6detail17trampoline_kernelINS0_14default_configENS1_25partition_config_selectorILNS1_17partition_subalgoE6EyNS0_10empty_typeEbEEZZNS1_14partition_implILS5_6ELb0ES3_mN6thrust23THRUST_200600_302600_NS6detail15normal_iteratorINSA_10device_ptrIyEEEEPS6_SG_NS0_5tupleIJSF_S6_EEENSH_IJSG_SG_EEES6_PlJ7is_evenIyEEEE10hipError_tPvRmT3_T4_T5_T6_T7_T9_mT8_P12ihipStream_tbDpT10_ENKUlT_T0_E_clISt17integral_constantIbLb1EES16_EEDaS11_S12_EUlS11_E_NS1_11comp_targetILNS1_3genE10ELNS1_11target_archE1200ELNS1_3gpuE4ELNS1_3repE0EEENS1_30default_config_static_selectorELNS0_4arch9wavefront6targetE0EEEvT1_
	.p2align	8
	.type	_ZN7rocprim17ROCPRIM_400000_NS6detail17trampoline_kernelINS0_14default_configENS1_25partition_config_selectorILNS1_17partition_subalgoE6EyNS0_10empty_typeEbEEZZNS1_14partition_implILS5_6ELb0ES3_mN6thrust23THRUST_200600_302600_NS6detail15normal_iteratorINSA_10device_ptrIyEEEEPS6_SG_NS0_5tupleIJSF_S6_EEENSH_IJSG_SG_EEES6_PlJ7is_evenIyEEEE10hipError_tPvRmT3_T4_T5_T6_T7_T9_mT8_P12ihipStream_tbDpT10_ENKUlT_T0_E_clISt17integral_constantIbLb1EES16_EEDaS11_S12_EUlS11_E_NS1_11comp_targetILNS1_3genE10ELNS1_11target_archE1200ELNS1_3gpuE4ELNS1_3repE0EEENS1_30default_config_static_selectorELNS0_4arch9wavefront6targetE0EEEvT1_,@function
_ZN7rocprim17ROCPRIM_400000_NS6detail17trampoline_kernelINS0_14default_configENS1_25partition_config_selectorILNS1_17partition_subalgoE6EyNS0_10empty_typeEbEEZZNS1_14partition_implILS5_6ELb0ES3_mN6thrust23THRUST_200600_302600_NS6detail15normal_iteratorINSA_10device_ptrIyEEEEPS6_SG_NS0_5tupleIJSF_S6_EEENSH_IJSG_SG_EEES6_PlJ7is_evenIyEEEE10hipError_tPvRmT3_T4_T5_T6_T7_T9_mT8_P12ihipStream_tbDpT10_ENKUlT_T0_E_clISt17integral_constantIbLb1EES16_EEDaS11_S12_EUlS11_E_NS1_11comp_targetILNS1_3genE10ELNS1_11target_archE1200ELNS1_3gpuE4ELNS1_3repE0EEENS1_30default_config_static_selectorELNS0_4arch9wavefront6targetE0EEEvT1_: ; @_ZN7rocprim17ROCPRIM_400000_NS6detail17trampoline_kernelINS0_14default_configENS1_25partition_config_selectorILNS1_17partition_subalgoE6EyNS0_10empty_typeEbEEZZNS1_14partition_implILS5_6ELb0ES3_mN6thrust23THRUST_200600_302600_NS6detail15normal_iteratorINSA_10device_ptrIyEEEEPS6_SG_NS0_5tupleIJSF_S6_EEENSH_IJSG_SG_EEES6_PlJ7is_evenIyEEEE10hipError_tPvRmT3_T4_T5_T6_T7_T9_mT8_P12ihipStream_tbDpT10_ENKUlT_T0_E_clISt17integral_constantIbLb1EES16_EEDaS11_S12_EUlS11_E_NS1_11comp_targetILNS1_3genE10ELNS1_11target_archE1200ELNS1_3gpuE4ELNS1_3repE0EEENS1_30default_config_static_selectorELNS0_4arch9wavefront6targetE0EEEvT1_
; %bb.0:
	.section	.rodata,"a",@progbits
	.p2align	6, 0x0
	.amdhsa_kernel _ZN7rocprim17ROCPRIM_400000_NS6detail17trampoline_kernelINS0_14default_configENS1_25partition_config_selectorILNS1_17partition_subalgoE6EyNS0_10empty_typeEbEEZZNS1_14partition_implILS5_6ELb0ES3_mN6thrust23THRUST_200600_302600_NS6detail15normal_iteratorINSA_10device_ptrIyEEEEPS6_SG_NS0_5tupleIJSF_S6_EEENSH_IJSG_SG_EEES6_PlJ7is_evenIyEEEE10hipError_tPvRmT3_T4_T5_T6_T7_T9_mT8_P12ihipStream_tbDpT10_ENKUlT_T0_E_clISt17integral_constantIbLb1EES16_EEDaS11_S12_EUlS11_E_NS1_11comp_targetILNS1_3genE10ELNS1_11target_archE1200ELNS1_3gpuE4ELNS1_3repE0EEENS1_30default_config_static_selectorELNS0_4arch9wavefront6targetE0EEEvT1_
		.amdhsa_group_segment_fixed_size 0
		.amdhsa_private_segment_fixed_size 0
		.amdhsa_kernarg_size 128
		.amdhsa_user_sgpr_count 15
		.amdhsa_user_sgpr_dispatch_ptr 0
		.amdhsa_user_sgpr_queue_ptr 0
		.amdhsa_user_sgpr_kernarg_segment_ptr 1
		.amdhsa_user_sgpr_dispatch_id 0
		.amdhsa_user_sgpr_private_segment_size 0
		.amdhsa_wavefront_size32 1
		.amdhsa_uses_dynamic_stack 0
		.amdhsa_enable_private_segment 0
		.amdhsa_system_sgpr_workgroup_id_x 1
		.amdhsa_system_sgpr_workgroup_id_y 0
		.amdhsa_system_sgpr_workgroup_id_z 0
		.amdhsa_system_sgpr_workgroup_info 0
		.amdhsa_system_vgpr_workitem_id 0
		.amdhsa_next_free_vgpr 1
		.amdhsa_next_free_sgpr 1
		.amdhsa_reserve_vcc 0
		.amdhsa_float_round_mode_32 0
		.amdhsa_float_round_mode_16_64 0
		.amdhsa_float_denorm_mode_32 3
		.amdhsa_float_denorm_mode_16_64 3
		.amdhsa_dx10_clamp 1
		.amdhsa_ieee_mode 1
		.amdhsa_fp16_overflow 0
		.amdhsa_workgroup_processor_mode 1
		.amdhsa_memory_ordered 1
		.amdhsa_forward_progress 0
		.amdhsa_shared_vgpr_count 0
		.amdhsa_exception_fp_ieee_invalid_op 0
		.amdhsa_exception_fp_denorm_src 0
		.amdhsa_exception_fp_ieee_div_zero 0
		.amdhsa_exception_fp_ieee_overflow 0
		.amdhsa_exception_fp_ieee_underflow 0
		.amdhsa_exception_fp_ieee_inexact 0
		.amdhsa_exception_int_div_zero 0
	.end_amdhsa_kernel
	.section	.text._ZN7rocprim17ROCPRIM_400000_NS6detail17trampoline_kernelINS0_14default_configENS1_25partition_config_selectorILNS1_17partition_subalgoE6EyNS0_10empty_typeEbEEZZNS1_14partition_implILS5_6ELb0ES3_mN6thrust23THRUST_200600_302600_NS6detail15normal_iteratorINSA_10device_ptrIyEEEEPS6_SG_NS0_5tupleIJSF_S6_EEENSH_IJSG_SG_EEES6_PlJ7is_evenIyEEEE10hipError_tPvRmT3_T4_T5_T6_T7_T9_mT8_P12ihipStream_tbDpT10_ENKUlT_T0_E_clISt17integral_constantIbLb1EES16_EEDaS11_S12_EUlS11_E_NS1_11comp_targetILNS1_3genE10ELNS1_11target_archE1200ELNS1_3gpuE4ELNS1_3repE0EEENS1_30default_config_static_selectorELNS0_4arch9wavefront6targetE0EEEvT1_,"axG",@progbits,_ZN7rocprim17ROCPRIM_400000_NS6detail17trampoline_kernelINS0_14default_configENS1_25partition_config_selectorILNS1_17partition_subalgoE6EyNS0_10empty_typeEbEEZZNS1_14partition_implILS5_6ELb0ES3_mN6thrust23THRUST_200600_302600_NS6detail15normal_iteratorINSA_10device_ptrIyEEEEPS6_SG_NS0_5tupleIJSF_S6_EEENSH_IJSG_SG_EEES6_PlJ7is_evenIyEEEE10hipError_tPvRmT3_T4_T5_T6_T7_T9_mT8_P12ihipStream_tbDpT10_ENKUlT_T0_E_clISt17integral_constantIbLb1EES16_EEDaS11_S12_EUlS11_E_NS1_11comp_targetILNS1_3genE10ELNS1_11target_archE1200ELNS1_3gpuE4ELNS1_3repE0EEENS1_30default_config_static_selectorELNS0_4arch9wavefront6targetE0EEEvT1_,comdat
.Lfunc_end277:
	.size	_ZN7rocprim17ROCPRIM_400000_NS6detail17trampoline_kernelINS0_14default_configENS1_25partition_config_selectorILNS1_17partition_subalgoE6EyNS0_10empty_typeEbEEZZNS1_14partition_implILS5_6ELb0ES3_mN6thrust23THRUST_200600_302600_NS6detail15normal_iteratorINSA_10device_ptrIyEEEEPS6_SG_NS0_5tupleIJSF_S6_EEENSH_IJSG_SG_EEES6_PlJ7is_evenIyEEEE10hipError_tPvRmT3_T4_T5_T6_T7_T9_mT8_P12ihipStream_tbDpT10_ENKUlT_T0_E_clISt17integral_constantIbLb1EES16_EEDaS11_S12_EUlS11_E_NS1_11comp_targetILNS1_3genE10ELNS1_11target_archE1200ELNS1_3gpuE4ELNS1_3repE0EEENS1_30default_config_static_selectorELNS0_4arch9wavefront6targetE0EEEvT1_, .Lfunc_end277-_ZN7rocprim17ROCPRIM_400000_NS6detail17trampoline_kernelINS0_14default_configENS1_25partition_config_selectorILNS1_17partition_subalgoE6EyNS0_10empty_typeEbEEZZNS1_14partition_implILS5_6ELb0ES3_mN6thrust23THRUST_200600_302600_NS6detail15normal_iteratorINSA_10device_ptrIyEEEEPS6_SG_NS0_5tupleIJSF_S6_EEENSH_IJSG_SG_EEES6_PlJ7is_evenIyEEEE10hipError_tPvRmT3_T4_T5_T6_T7_T9_mT8_P12ihipStream_tbDpT10_ENKUlT_T0_E_clISt17integral_constantIbLb1EES16_EEDaS11_S12_EUlS11_E_NS1_11comp_targetILNS1_3genE10ELNS1_11target_archE1200ELNS1_3gpuE4ELNS1_3repE0EEENS1_30default_config_static_selectorELNS0_4arch9wavefront6targetE0EEEvT1_
                                        ; -- End function
	.section	.AMDGPU.csdata,"",@progbits
; Kernel info:
; codeLenInByte = 0
; NumSgprs: 0
; NumVgprs: 0
; ScratchSize: 0
; MemoryBound: 0
; FloatMode: 240
; IeeeMode: 1
; LDSByteSize: 0 bytes/workgroup (compile time only)
; SGPRBlocks: 0
; VGPRBlocks: 0
; NumSGPRsForWavesPerEU: 1
; NumVGPRsForWavesPerEU: 1
; Occupancy: 16
; WaveLimiterHint : 0
; COMPUTE_PGM_RSRC2:SCRATCH_EN: 0
; COMPUTE_PGM_RSRC2:USER_SGPR: 15
; COMPUTE_PGM_RSRC2:TRAP_HANDLER: 0
; COMPUTE_PGM_RSRC2:TGID_X_EN: 1
; COMPUTE_PGM_RSRC2:TGID_Y_EN: 0
; COMPUTE_PGM_RSRC2:TGID_Z_EN: 0
; COMPUTE_PGM_RSRC2:TIDIG_COMP_CNT: 0
	.section	.text._ZN7rocprim17ROCPRIM_400000_NS6detail17trampoline_kernelINS0_14default_configENS1_25partition_config_selectorILNS1_17partition_subalgoE6EyNS0_10empty_typeEbEEZZNS1_14partition_implILS5_6ELb0ES3_mN6thrust23THRUST_200600_302600_NS6detail15normal_iteratorINSA_10device_ptrIyEEEEPS6_SG_NS0_5tupleIJSF_S6_EEENSH_IJSG_SG_EEES6_PlJ7is_evenIyEEEE10hipError_tPvRmT3_T4_T5_T6_T7_T9_mT8_P12ihipStream_tbDpT10_ENKUlT_T0_E_clISt17integral_constantIbLb1EES16_EEDaS11_S12_EUlS11_E_NS1_11comp_targetILNS1_3genE9ELNS1_11target_archE1100ELNS1_3gpuE3ELNS1_3repE0EEENS1_30default_config_static_selectorELNS0_4arch9wavefront6targetE0EEEvT1_,"axG",@progbits,_ZN7rocprim17ROCPRIM_400000_NS6detail17trampoline_kernelINS0_14default_configENS1_25partition_config_selectorILNS1_17partition_subalgoE6EyNS0_10empty_typeEbEEZZNS1_14partition_implILS5_6ELb0ES3_mN6thrust23THRUST_200600_302600_NS6detail15normal_iteratorINSA_10device_ptrIyEEEEPS6_SG_NS0_5tupleIJSF_S6_EEENSH_IJSG_SG_EEES6_PlJ7is_evenIyEEEE10hipError_tPvRmT3_T4_T5_T6_T7_T9_mT8_P12ihipStream_tbDpT10_ENKUlT_T0_E_clISt17integral_constantIbLb1EES16_EEDaS11_S12_EUlS11_E_NS1_11comp_targetILNS1_3genE9ELNS1_11target_archE1100ELNS1_3gpuE3ELNS1_3repE0EEENS1_30default_config_static_selectorELNS0_4arch9wavefront6targetE0EEEvT1_,comdat
	.protected	_ZN7rocprim17ROCPRIM_400000_NS6detail17trampoline_kernelINS0_14default_configENS1_25partition_config_selectorILNS1_17partition_subalgoE6EyNS0_10empty_typeEbEEZZNS1_14partition_implILS5_6ELb0ES3_mN6thrust23THRUST_200600_302600_NS6detail15normal_iteratorINSA_10device_ptrIyEEEEPS6_SG_NS0_5tupleIJSF_S6_EEENSH_IJSG_SG_EEES6_PlJ7is_evenIyEEEE10hipError_tPvRmT3_T4_T5_T6_T7_T9_mT8_P12ihipStream_tbDpT10_ENKUlT_T0_E_clISt17integral_constantIbLb1EES16_EEDaS11_S12_EUlS11_E_NS1_11comp_targetILNS1_3genE9ELNS1_11target_archE1100ELNS1_3gpuE3ELNS1_3repE0EEENS1_30default_config_static_selectorELNS0_4arch9wavefront6targetE0EEEvT1_ ; -- Begin function _ZN7rocprim17ROCPRIM_400000_NS6detail17trampoline_kernelINS0_14default_configENS1_25partition_config_selectorILNS1_17partition_subalgoE6EyNS0_10empty_typeEbEEZZNS1_14partition_implILS5_6ELb0ES3_mN6thrust23THRUST_200600_302600_NS6detail15normal_iteratorINSA_10device_ptrIyEEEEPS6_SG_NS0_5tupleIJSF_S6_EEENSH_IJSG_SG_EEES6_PlJ7is_evenIyEEEE10hipError_tPvRmT3_T4_T5_T6_T7_T9_mT8_P12ihipStream_tbDpT10_ENKUlT_T0_E_clISt17integral_constantIbLb1EES16_EEDaS11_S12_EUlS11_E_NS1_11comp_targetILNS1_3genE9ELNS1_11target_archE1100ELNS1_3gpuE3ELNS1_3repE0EEENS1_30default_config_static_selectorELNS0_4arch9wavefront6targetE0EEEvT1_
	.globl	_ZN7rocprim17ROCPRIM_400000_NS6detail17trampoline_kernelINS0_14default_configENS1_25partition_config_selectorILNS1_17partition_subalgoE6EyNS0_10empty_typeEbEEZZNS1_14partition_implILS5_6ELb0ES3_mN6thrust23THRUST_200600_302600_NS6detail15normal_iteratorINSA_10device_ptrIyEEEEPS6_SG_NS0_5tupleIJSF_S6_EEENSH_IJSG_SG_EEES6_PlJ7is_evenIyEEEE10hipError_tPvRmT3_T4_T5_T6_T7_T9_mT8_P12ihipStream_tbDpT10_ENKUlT_T0_E_clISt17integral_constantIbLb1EES16_EEDaS11_S12_EUlS11_E_NS1_11comp_targetILNS1_3genE9ELNS1_11target_archE1100ELNS1_3gpuE3ELNS1_3repE0EEENS1_30default_config_static_selectorELNS0_4arch9wavefront6targetE0EEEvT1_
	.p2align	8
	.type	_ZN7rocprim17ROCPRIM_400000_NS6detail17trampoline_kernelINS0_14default_configENS1_25partition_config_selectorILNS1_17partition_subalgoE6EyNS0_10empty_typeEbEEZZNS1_14partition_implILS5_6ELb0ES3_mN6thrust23THRUST_200600_302600_NS6detail15normal_iteratorINSA_10device_ptrIyEEEEPS6_SG_NS0_5tupleIJSF_S6_EEENSH_IJSG_SG_EEES6_PlJ7is_evenIyEEEE10hipError_tPvRmT3_T4_T5_T6_T7_T9_mT8_P12ihipStream_tbDpT10_ENKUlT_T0_E_clISt17integral_constantIbLb1EES16_EEDaS11_S12_EUlS11_E_NS1_11comp_targetILNS1_3genE9ELNS1_11target_archE1100ELNS1_3gpuE3ELNS1_3repE0EEENS1_30default_config_static_selectorELNS0_4arch9wavefront6targetE0EEEvT1_,@function
_ZN7rocprim17ROCPRIM_400000_NS6detail17trampoline_kernelINS0_14default_configENS1_25partition_config_selectorILNS1_17partition_subalgoE6EyNS0_10empty_typeEbEEZZNS1_14partition_implILS5_6ELb0ES3_mN6thrust23THRUST_200600_302600_NS6detail15normal_iteratorINSA_10device_ptrIyEEEEPS6_SG_NS0_5tupleIJSF_S6_EEENSH_IJSG_SG_EEES6_PlJ7is_evenIyEEEE10hipError_tPvRmT3_T4_T5_T6_T7_T9_mT8_P12ihipStream_tbDpT10_ENKUlT_T0_E_clISt17integral_constantIbLb1EES16_EEDaS11_S12_EUlS11_E_NS1_11comp_targetILNS1_3genE9ELNS1_11target_archE1100ELNS1_3gpuE3ELNS1_3repE0EEENS1_30default_config_static_selectorELNS0_4arch9wavefront6targetE0EEEvT1_: ; @_ZN7rocprim17ROCPRIM_400000_NS6detail17trampoline_kernelINS0_14default_configENS1_25partition_config_selectorILNS1_17partition_subalgoE6EyNS0_10empty_typeEbEEZZNS1_14partition_implILS5_6ELb0ES3_mN6thrust23THRUST_200600_302600_NS6detail15normal_iteratorINSA_10device_ptrIyEEEEPS6_SG_NS0_5tupleIJSF_S6_EEENSH_IJSG_SG_EEES6_PlJ7is_evenIyEEEE10hipError_tPvRmT3_T4_T5_T6_T7_T9_mT8_P12ihipStream_tbDpT10_ENKUlT_T0_E_clISt17integral_constantIbLb1EES16_EEDaS11_S12_EUlS11_E_NS1_11comp_targetILNS1_3genE9ELNS1_11target_archE1100ELNS1_3gpuE3ELNS1_3repE0EEENS1_30default_config_static_selectorELNS0_4arch9wavefront6targetE0EEEvT1_
; %bb.0:
	s_clause 0x3
	s_load_b64 s[12:13], s[0:1], 0x28
	s_load_b128 s[8:11], s[0:1], 0x40
	s_load_b64 s[16:17], s[0:1], 0x50
	s_load_b64 s[14:15], s[0:1], 0x60
	v_cmp_eq_u32_e64 s2, 0, v0
	s_delay_alu instid0(VALU_DEP_1)
	s_and_saveexec_b32 s3, s2
	s_cbranch_execz .LBB278_4
; %bb.1:
	s_mov_b32 s5, exec_lo
	s_mov_b32 s4, exec_lo
	v_mbcnt_lo_u32_b32 v1, s5, 0
                                        ; implicit-def: $vgpr2
	s_delay_alu instid0(VALU_DEP_1)
	v_cmpx_eq_u32_e32 0, v1
	s_cbranch_execz .LBB278_3
; %bb.2:
	s_load_b64 s[6:7], s[0:1], 0x70
	s_bcnt1_i32_b32 s5, s5
	s_delay_alu instid0(SALU_CYCLE_1)
	v_dual_mov_b32 v2, 0 :: v_dual_mov_b32 v3, s5
	s_waitcnt lgkmcnt(0)
	global_atomic_add_u32 v2, v2, v3, s[6:7] glc
.LBB278_3:
	s_or_b32 exec_lo, exec_lo, s4
	s_waitcnt vmcnt(0)
	v_readfirstlane_b32 s4, v2
	s_delay_alu instid0(VALU_DEP_1)
	v_dual_mov_b32 v2, 0 :: v_dual_add_nc_u32 v1, s4, v1
	ds_store_b32 v2, v1
.LBB278_4:
	s_or_b32 exec_lo, exec_lo, s3
	v_mov_b32_e32 v2, 0
	s_clause 0x1
	s_load_b128 s[4:7], s[0:1], 0x8
	s_load_b32 s0, s[0:1], 0x68
	s_waitcnt lgkmcnt(0)
	s_barrier
	buffer_gl0_inv
	ds_load_b32 v1, v2
	s_waitcnt lgkmcnt(0)
	s_barrier
	buffer_gl0_inv
	global_load_b64 v[21:22], v2, s[10:11]
	s_lshl_b64 s[10:11], s[6:7], 3
	s_delay_alu instid0(SALU_CYCLE_1)
	s_add_u32 s1, s4, s10
	s_mul_i32 s4, s0, 0x900
	s_addc_u32 s3, s5, s11
	v_readfirstlane_b32 s10, v1
	v_mul_lo_u32 v1, 0x900, v1
	s_add_i32 s5, s4, s6
	s_add_i32 s11, s0, -1
	s_sub_i32 s0, s16, s5
	s_add_u32 s4, s6, s4
	s_addc_u32 s5, s7, 0
	s_cmp_eq_u32 s10, s11
	v_cmp_ge_u64_e64 s4, s[4:5], s[16:17]
	v_lshlrev_b64 v[1:2], 3, v[1:2]
	s_cselect_b32 s5, -1, 0
	s_delay_alu instid0(VALU_DEP_2) | instid1(SALU_CYCLE_1)
	s_and_b32 s4, s4, s5
	s_delay_alu instid0(VALU_DEP_1) | instskip(NEXT) | instid1(VALU_DEP_2)
	v_add_co_u32 v17, vcc_lo, s1, v1
	v_add_co_ci_u32_e32 v18, vcc_lo, s3, v2, vcc_lo
	s_xor_b32 s6, s4, -1
	s_mov_b32 s1, -1
	s_and_b32 vcc_lo, exec_lo, s6
	s_cbranch_vccz .LBB278_6
; %bb.5:
	v_lshlrev_b32_e32 v13, 3, v0
	s_mov_b32 s1, 0
	s_delay_alu instid0(VALU_DEP_1) | instskip(SKIP_1) | instid1(VALU_DEP_2)
	v_add_co_u32 v1, vcc_lo, v17, v13
	v_add_co_ci_u32_e32 v2, vcc_lo, 0, v18, vcc_lo
	v_add_co_u32 v3, vcc_lo, 0x1000, v1
	s_delay_alu instid0(VALU_DEP_2)
	v_add_co_ci_u32_e32 v4, vcc_lo, 0, v2, vcc_lo
	v_add_co_u32 v5, vcc_lo, 0x2000, v1
	v_add_co_ci_u32_e32 v6, vcc_lo, 0, v2, vcc_lo
	v_add_co_u32 v7, vcc_lo, 0x3000, v1
	v_add_co_ci_u32_e32 v8, vcc_lo, 0, v2, vcc_lo
	s_clause 0x5
	flat_load_b64 v[9:10], v[1:2]
	flat_load_b64 v[1:2], v[1:2] offset:3072
	flat_load_b64 v[3:4], v[3:4] offset:2048
	;; [unrolled: 1-line block ×3, first 2 shown]
	flat_load_b64 v[11:12], v[7:8]
	flat_load_b64 v[7:8], v[7:8] offset:3072
	s_waitcnt vmcnt(4) lgkmcnt(4)
	ds_store_2addr_stride64_b64 v13, v[9:10], v[1:2] offset1:6
	s_waitcnt vmcnt(2) lgkmcnt(3)
	ds_store_2addr_stride64_b64 v13, v[3:4], v[5:6] offset0:12 offset1:18
	s_waitcnt vmcnt(0) lgkmcnt(2)
	ds_store_2addr_stride64_b64 v13, v[11:12], v[7:8] offset0:24 offset1:30
	s_waitcnt lgkmcnt(0)
	s_barrier
.LBB278_6:
	s_and_not1_b32 vcc_lo, exec_lo, s1
	s_addk_i32 s0, 0x900
	s_cbranch_vccnz .LBB278_20
; %bb.7:
	s_mov_b32 s1, exec_lo
                                        ; implicit-def: $vgpr1_vgpr2_vgpr3_vgpr4_vgpr5_vgpr6_vgpr7_vgpr8_vgpr9_vgpr10_vgpr11_vgpr12_vgpr13_vgpr14_vgpr15_vgpr16
	v_cmpx_gt_u32_e64 s0, v0
	s_cbranch_execz .LBB278_9
; %bb.8:
	v_lshlrev_b32_e32 v1, 3, v0
	s_delay_alu instid0(VALU_DEP_1)
	v_add_co_u32 v1, vcc_lo, v17, v1
	v_add_co_ci_u32_e32 v2, vcc_lo, 0, v18, vcc_lo
	flat_load_b64 v[1:2], v[1:2]
.LBB278_9:
	s_or_b32 exec_lo, exec_lo, s1
	v_add_nc_u32_e32 v13, 0x180, v0
	s_mov_b32 s1, exec_lo
	s_delay_alu instid0(VALU_DEP_1)
	v_cmpx_gt_u32_e64 s0, v13
	s_cbranch_execz .LBB278_11
; %bb.10:
	v_lshlrev_b32_e32 v3, 3, v0
	s_delay_alu instid0(VALU_DEP_1)
	v_add_co_u32 v3, vcc_lo, v17, v3
	v_add_co_ci_u32_e32 v4, vcc_lo, 0, v18, vcc_lo
	flat_load_b64 v[3:4], v[3:4] offset:3072
.LBB278_11:
	s_or_b32 exec_lo, exec_lo, s1
	v_add_nc_u32_e32 v13, 0x300, v0
	s_mov_b32 s1, exec_lo
	s_delay_alu instid0(VALU_DEP_1)
	v_cmpx_gt_u32_e64 s0, v13
	s_cbranch_execz .LBB278_13
; %bb.12:
	v_lshlrev_b32_e32 v5, 3, v13
	s_delay_alu instid0(VALU_DEP_1)
	v_add_co_u32 v5, vcc_lo, v17, v5
	v_add_co_ci_u32_e32 v6, vcc_lo, 0, v18, vcc_lo
	flat_load_b64 v[5:6], v[5:6]
.LBB278_13:
	s_or_b32 exec_lo, exec_lo, s1
	v_add_nc_u32_e32 v13, 0x480, v0
	s_mov_b32 s1, exec_lo
	s_delay_alu instid0(VALU_DEP_1)
	v_cmpx_gt_u32_e64 s0, v13
	s_cbranch_execz .LBB278_15
; %bb.14:
	v_lshlrev_b32_e32 v7, 3, v13
	s_delay_alu instid0(VALU_DEP_1)
	v_add_co_u32 v7, vcc_lo, v17, v7
	v_add_co_ci_u32_e32 v8, vcc_lo, 0, v18, vcc_lo
	flat_load_b64 v[7:8], v[7:8]
.LBB278_15:
	s_or_b32 exec_lo, exec_lo, s1
	v_or_b32_e32 v13, 0x600, v0
	s_mov_b32 s1, exec_lo
	s_delay_alu instid0(VALU_DEP_1)
	v_cmpx_gt_u32_e64 s0, v13
	s_cbranch_execz .LBB278_17
; %bb.16:
	v_lshlrev_b32_e32 v9, 3, v13
	s_delay_alu instid0(VALU_DEP_1)
	v_add_co_u32 v9, vcc_lo, v17, v9
	v_add_co_ci_u32_e32 v10, vcc_lo, 0, v18, vcc_lo
	flat_load_b64 v[9:10], v[9:10]
.LBB278_17:
	s_or_b32 exec_lo, exec_lo, s1
	v_add_nc_u32_e32 v13, 0x780, v0
	s_mov_b32 s1, exec_lo
	s_delay_alu instid0(VALU_DEP_1)
	v_cmpx_gt_u32_e64 s0, v13
	s_cbranch_execz .LBB278_19
; %bb.18:
	v_lshlrev_b32_e32 v11, 3, v13
	s_delay_alu instid0(VALU_DEP_1)
	v_add_co_u32 v11, vcc_lo, v17, v11
	v_add_co_ci_u32_e32 v12, vcc_lo, 0, v18, vcc_lo
	flat_load_b64 v[11:12], v[11:12]
.LBB278_19:
	s_or_b32 exec_lo, exec_lo, s1
	v_lshlrev_b32_e32 v13, 3, v0
	s_waitcnt vmcnt(0) lgkmcnt(0)
	ds_store_2addr_stride64_b64 v13, v[1:2], v[3:4] offset1:6
	ds_store_2addr_stride64_b64 v13, v[5:6], v[7:8] offset0:12 offset1:18
	ds_store_2addr_stride64_b64 v13, v[9:10], v[11:12] offset0:24 offset1:30
	s_waitcnt lgkmcnt(0)
	s_barrier
.LBB278_20:
	v_mul_u32_u24_e32 v13, 6, v0
	s_waitcnt vmcnt(0)
	buffer_gl0_inv
	s_and_not1_b32 vcc_lo, exec_lo, s6
	v_lshlrev_b32_e32 v37, 3, v13
	ds_load_b128 v[9:12], v37
	ds_load_b128 v[5:8], v37 offset:16
	ds_load_b128 v[1:4], v37 offset:32
	s_waitcnt lgkmcnt(0)
	s_barrier
	buffer_gl0_inv
	v_xor_b32_e32 v16, -1, v9
	v_xor_b32_e32 v18, -1, v11
	;; [unrolled: 1-line block ×6, first 2 shown]
	s_cbranch_vccnz .LBB278_22
; %bb.21:
	v_and_b32_e32 v20, 1, v18
	v_and_b32_e32 v23, 1, v19
	;; [unrolled: 1-line block ×5, first 2 shown]
	v_lshlrev_b16 v20, 8, v20
	v_lshlrev_b16 v23, 8, v23
	v_and_b32_e32 v33, 1, v15
	s_delay_alu instid0(VALU_DEP_3) | instskip(NEXT) | instid1(VALU_DEP_3)
	v_or_b32_e32 v20, v24, v20
	v_or_b32_e32 v23, v25, v23
	s_delay_alu instid0(VALU_DEP_2) | instskip(NEXT) | instid1(VALU_DEP_2)
	v_and_b32_e32 v20, 0xffff, v20
	v_lshlrev_b32_e32 v23, 16, v23
	s_delay_alu instid0(VALU_DEP_1)
	v_or_b32_e32 v36, v20, v23
	s_cbranch_execz .LBB278_23
	s_branch .LBB278_24
.LBB278_22:
                                        ; implicit-def: $vgpr33
                                        ; implicit-def: $vgpr34
                                        ; implicit-def: $vgpr36
.LBB278_23:
	v_or_b32_e32 v20, 1, v13
	v_add_nc_u32_e32 v23, 3, v13
	v_add_nc_u32_e32 v24, 2, v13
	s_delay_alu instid0(VALU_DEP_3) | instskip(SKIP_1) | instid1(VALU_DEP_4)
	v_cmp_gt_u32_e32 vcc_lo, s0, v20
	v_cndmask_b32_e64 v20, 0, 1, vcc_lo
	v_cmp_gt_u32_e32 vcc_lo, s0, v23
	s_delay_alu instid0(VALU_DEP_2)
	v_and_b32_e32 v18, v20, v18
	v_cndmask_b32_e64 v23, 0, 1, vcc_lo
	v_cmp_gt_u32_e32 vcc_lo, s0, v13
	v_add_nc_u32_e32 v20, 4, v13
	v_add_nc_u32_e32 v13, 5, v13
	v_lshlrev_b16 v18, 8, v18
	v_and_b32_e32 v19, v23, v19
	v_cndmask_b32_e64 v25, 0, 1, vcc_lo
	v_cmp_gt_u32_e32 vcc_lo, s0, v24
	s_delay_alu instid0(VALU_DEP_3) | instskip(NEXT) | instid1(VALU_DEP_3)
	v_lshlrev_b16 v19, 8, v19
	v_and_b32_e32 v16, v25, v16
	v_cndmask_b32_e64 v24, 0, 1, vcc_lo
	v_cmp_gt_u32_e32 vcc_lo, s0, v20
	s_delay_alu instid0(VALU_DEP_3) | instskip(NEXT) | instid1(VALU_DEP_3)
	v_or_b32_e32 v16, v16, v18
	v_and_b32_e32 v17, v24, v17
	v_cndmask_b32_e64 v18, 0, 1, vcc_lo
	v_cmp_gt_u32_e32 vcc_lo, s0, v13
	s_delay_alu instid0(VALU_DEP_4) | instskip(NEXT) | instid1(VALU_DEP_4)
	v_and_b32_e32 v16, 0xffff, v16
	v_or_b32_e32 v17, v17, v19
	s_delay_alu instid0(VALU_DEP_4) | instskip(SKIP_1) | instid1(VALU_DEP_3)
	v_and_b32_e32 v34, v18, v14
	v_cndmask_b32_e64 v13, 0, 1, vcc_lo
	v_lshlrev_b32_e32 v17, 16, v17
	s_delay_alu instid0(VALU_DEP_2) | instskip(NEXT) | instid1(VALU_DEP_2)
	v_and_b32_e32 v33, v13, v15
	v_or_b32_e32 v36, v16, v17
.LBB278_24:
	s_delay_alu instid0(VALU_DEP_1)
	v_dual_mov_b32 v14, 0 :: v_dual_and_b32 v41, 0xff, v36
	v_bfe_u32 v40, v36, 8, 8
	v_bfe_u32 v39, v36, 16, 8
	v_lshrrev_b32_e32 v35, 24, v36
	v_and_b32_e32 v38, 0xff, v34
	v_mbcnt_lo_u32_b32 v42, -1, 0
	v_add_co_u32 v13, s0, v40, v41
	s_delay_alu instid0(VALU_DEP_1) | instskip(SKIP_1) | instid1(VALU_DEP_3)
	v_add_co_ci_u32_e64 v15, null, 0, 0, s0
	v_and_b32_e32 v16, 0xff, v33
	v_add_co_u32 v13, vcc_lo, v13, v39
	s_delay_alu instid0(VALU_DEP_3) | instskip(SKIP_1) | instid1(VALU_DEP_3)
	v_add_co_ci_u32_e32 v15, vcc_lo, 0, v15, vcc_lo
	v_and_b32_e32 v43, 15, v42
	v_add_co_u32 v13, vcc_lo, v13, v35
	s_delay_alu instid0(VALU_DEP_3) | instskip(NEXT) | instid1(VALU_DEP_3)
	v_add_co_ci_u32_e32 v15, vcc_lo, 0, v15, vcc_lo
	v_cmp_ne_u32_e64 s0, 0, v43
	s_delay_alu instid0(VALU_DEP_3) | instskip(NEXT) | instid1(VALU_DEP_3)
	v_add_co_u32 v13, vcc_lo, v13, v38
	v_add_co_ci_u32_e32 v15, vcc_lo, 0, v15, vcc_lo
	s_cmp_lg_u32 s10, 0
	s_delay_alu instid0(VALU_DEP_2) | instskip(NEXT) | instid1(VALU_DEP_2)
	v_add_co_u32 v23, vcc_lo, v13, v16
	v_add_co_ci_u32_e32 v24, vcc_lo, 0, v15, vcc_lo
	s_mov_b32 s1, -1
	s_cbranch_scc0 .LBB278_93
; %bb.25:
	s_delay_alu instid0(VALU_DEP_2)
	v_mov_b32_e32 v15, v23
	v_mov_b32_dpp v13, v23 row_shr:1 row_mask:0xf bank_mask:0xf
	v_mov_b32_dpp v18, v14 row_shr:1 row_mask:0xf bank_mask:0xf
	v_dual_mov_b32 v17, v23 :: v_dual_mov_b32 v16, v24
	s_and_saveexec_b32 s1, s0
; %bb.26:
	s_delay_alu instid0(VALU_DEP_3) | instskip(SKIP_1) | instid1(VALU_DEP_2)
	v_add_co_u32 v17, vcc_lo, v23, v13
	v_add_co_ci_u32_e32 v14, vcc_lo, 0, v24, vcc_lo
	v_add_co_u32 v13, vcc_lo, 0, v17
	s_delay_alu instid0(VALU_DEP_2) | instskip(NEXT) | instid1(VALU_DEP_1)
	v_add_co_ci_u32_e32 v14, vcc_lo, v18, v14, vcc_lo
	v_dual_mov_b32 v16, v14 :: v_dual_mov_b32 v15, v13
; %bb.27:
	s_or_b32 exec_lo, exec_lo, s1
	v_mov_b32_dpp v13, v17 row_shr:2 row_mask:0xf bank_mask:0xf
	v_mov_b32_dpp v18, v14 row_shr:2 row_mask:0xf bank_mask:0xf
	v_cmp_lt_u32_e32 vcc_lo, 1, v43
	s_and_saveexec_b32 s3, vcc_lo
; %bb.28:
	s_delay_alu instid0(VALU_DEP_3) | instskip(NEXT) | instid1(VALU_DEP_1)
	v_add_co_u32 v17, s1, v15, v13
	v_add_co_ci_u32_e64 v14, s1, 0, v16, s1
	s_delay_alu instid0(VALU_DEP_2) | instskip(NEXT) | instid1(VALU_DEP_1)
	v_add_co_u32 v13, s1, 0, v17
	v_add_co_ci_u32_e64 v14, s1, v18, v14, s1
	s_delay_alu instid0(VALU_DEP_1)
	v_dual_mov_b32 v16, v14 :: v_dual_mov_b32 v15, v13
; %bb.29:
	s_or_b32 exec_lo, exec_lo, s3
	v_mov_b32_dpp v13, v17 row_shr:4 row_mask:0xf bank_mask:0xf
	v_mov_b32_dpp v18, v14 row_shr:4 row_mask:0xf bank_mask:0xf
	v_cmp_lt_u32_e64 s1, 3, v43
	s_delay_alu instid0(VALU_DEP_1)
	s_and_saveexec_b32 s4, s1
; %bb.30:
	s_delay_alu instid0(VALU_DEP_3) | instskip(NEXT) | instid1(VALU_DEP_1)
	v_add_co_u32 v17, s3, v15, v13
	v_add_co_ci_u32_e64 v14, s3, 0, v16, s3
	s_delay_alu instid0(VALU_DEP_2) | instskip(NEXT) | instid1(VALU_DEP_1)
	v_add_co_u32 v13, s3, 0, v17
	v_add_co_ci_u32_e64 v14, s3, v18, v14, s3
	s_delay_alu instid0(VALU_DEP_1)
	v_dual_mov_b32 v16, v14 :: v_dual_mov_b32 v15, v13
; %bb.31:
	s_or_b32 exec_lo, exec_lo, s4
	v_mov_b32_dpp v18, v17 row_shr:8 row_mask:0xf bank_mask:0xf
	v_mov_b32_dpp v13, v14 row_shr:8 row_mask:0xf bank_mask:0xf
	v_cmp_lt_u32_e64 s3, 7, v43
	s_delay_alu instid0(VALU_DEP_1)
	s_and_saveexec_b32 s7, s3
; %bb.32:
	s_delay_alu instid0(VALU_DEP_3) | instskip(NEXT) | instid1(VALU_DEP_1)
	v_add_co_u32 v17, s4, v15, v18
	v_add_co_ci_u32_e64 v14, s4, 0, v16, s4
	s_delay_alu instid0(VALU_DEP_2) | instskip(NEXT) | instid1(VALU_DEP_1)
	v_add_co_u32 v15, s4, 0, v17
	v_add_co_ci_u32_e64 v16, s4, v13, v14, s4
	s_delay_alu instid0(VALU_DEP_1)
	v_mov_b32_e32 v14, v16
; %bb.33:
	s_or_b32 exec_lo, exec_lo, s7
	ds_swizzle_b32 v13, v17 offset:swizzle(BROADCAST,32,15)
	ds_swizzle_b32 v18, v14 offset:swizzle(BROADCAST,32,15)
	v_and_b32_e32 v19, 16, v42
	s_mov_b32 s7, exec_lo
	s_delay_alu instid0(VALU_DEP_1)
	v_cmpx_ne_u32_e32 0, v19
	s_cbranch_execz .LBB278_35
; %bb.34:
	s_waitcnt lgkmcnt(1)
	v_add_co_u32 v17, s4, v15, v13
	s_delay_alu instid0(VALU_DEP_1) | instskip(NEXT) | instid1(VALU_DEP_2)
	v_add_co_ci_u32_e64 v14, s4, 0, v16, s4
	v_add_co_u32 v13, s4, 0, v17
	s_waitcnt lgkmcnt(0)
	s_delay_alu instid0(VALU_DEP_2) | instskip(NEXT) | instid1(VALU_DEP_1)
	v_add_co_ci_u32_e64 v14, s4, v18, v14, s4
	v_dual_mov_b32 v16, v14 :: v_dual_mov_b32 v15, v13
.LBB278_35:
	s_or_b32 exec_lo, exec_lo, s7
	s_waitcnt lgkmcnt(1)
	v_and_b32_e32 v13, 0x1e0, v0
	s_mov_b32 s7, exec_lo
	s_delay_alu instid0(VALU_DEP_1) | instskip(SKIP_1) | instid1(VALU_DEP_1)
	v_min_u32_e32 v13, 0x160, v13
	s_waitcnt lgkmcnt(0)
	v_or_b32_e32 v18, 31, v13
	v_lshrrev_b32_e32 v13, 5, v0
	s_delay_alu instid0(VALU_DEP_2)
	v_cmpx_eq_u32_e64 v18, v0
	s_cbranch_execz .LBB278_37
; %bb.36:
	s_delay_alu instid0(VALU_DEP_2)
	v_lshlrev_b32_e32 v18, 3, v13
	ds_store_b64 v18, v[15:16]
.LBB278_37:
	s_or_b32 exec_lo, exec_lo, s7
	s_delay_alu instid0(SALU_CYCLE_1)
	s_mov_b32 s7, exec_lo
	s_waitcnt lgkmcnt(0)
	s_barrier
	buffer_gl0_inv
	v_cmpx_gt_u32_e32 12, v0
	s_cbranch_execz .LBB278_47
; %bb.38:
	v_lshlrev_b32_e32 v18, 3, v0
	ds_load_b64 v[15:16], v18
	s_waitcnt lgkmcnt(0)
	v_mov_b32_e32 v19, v15
	v_mov_b32_dpp v25, v15 row_shr:1 row_mask:0xf bank_mask:0xf
	v_mov_b32_dpp v20, v16 row_shr:1 row_mask:0xf bank_mask:0xf
	s_and_saveexec_b32 s11, s0
; %bb.39:
	s_delay_alu instid0(VALU_DEP_2) | instskip(NEXT) | instid1(VALU_DEP_1)
	v_add_co_u32 v19, s4, v15, v25
	v_add_co_ci_u32_e64 v16, s4, 0, v16, s4
	s_delay_alu instid0(VALU_DEP_2) | instskip(NEXT) | instid1(VALU_DEP_1)
	v_add_co_u32 v15, s4, 0, v19
	v_add_co_ci_u32_e64 v16, s4, v20, v16, s4
; %bb.40:
	s_or_b32 exec_lo, exec_lo, s11
	v_mov_b32_dpp v25, v19 row_shr:2 row_mask:0xf bank_mask:0xf
	s_delay_alu instid0(VALU_DEP_2)
	v_mov_b32_dpp v20, v16 row_shr:2 row_mask:0xf bank_mask:0xf
	s_and_saveexec_b32 s4, vcc_lo
; %bb.41:
	s_delay_alu instid0(VALU_DEP_2) | instskip(SKIP_1) | instid1(VALU_DEP_2)
	v_add_co_u32 v19, vcc_lo, v15, v25
	v_add_co_ci_u32_e32 v16, vcc_lo, 0, v16, vcc_lo
	v_add_co_u32 v15, vcc_lo, 0, v19
	s_delay_alu instid0(VALU_DEP_2)
	v_add_co_ci_u32_e32 v16, vcc_lo, v20, v16, vcc_lo
; %bb.42:
	s_or_b32 exec_lo, exec_lo, s4
	v_mov_b32_dpp v25, v19 row_shr:4 row_mask:0xf bank_mask:0xf
	s_delay_alu instid0(VALU_DEP_2)
	v_mov_b32_dpp v20, v16 row_shr:4 row_mask:0xf bank_mask:0xf
	s_and_saveexec_b32 s4, s1
; %bb.43:
	s_delay_alu instid0(VALU_DEP_2) | instskip(SKIP_1) | instid1(VALU_DEP_2)
	v_add_co_u32 v19, vcc_lo, v15, v25
	v_add_co_ci_u32_e32 v16, vcc_lo, 0, v16, vcc_lo
	v_add_co_u32 v15, vcc_lo, 0, v19
	s_delay_alu instid0(VALU_DEP_2)
	v_add_co_ci_u32_e32 v16, vcc_lo, v20, v16, vcc_lo
; %bb.44:
	s_or_b32 exec_lo, exec_lo, s4
	v_mov_b32_dpp v20, v19 row_shr:8 row_mask:0xf bank_mask:0xf
	s_delay_alu instid0(VALU_DEP_2)
	v_mov_b32_dpp v19, v16 row_shr:8 row_mask:0xf bank_mask:0xf
	s_and_saveexec_b32 s1, s3
; %bb.45:
	s_delay_alu instid0(VALU_DEP_2) | instskip(SKIP_1) | instid1(VALU_DEP_2)
	v_add_co_u32 v15, vcc_lo, v15, v20
	v_add_co_ci_u32_e32 v16, vcc_lo, 0, v16, vcc_lo
	v_add_co_u32 v15, vcc_lo, v15, 0
	s_delay_alu instid0(VALU_DEP_2)
	v_add_co_ci_u32_e32 v16, vcc_lo, v16, v19, vcc_lo
; %bb.46:
	s_or_b32 exec_lo, exec_lo, s1
	ds_store_b64 v18, v[15:16]
.LBB278_47:
	s_or_b32 exec_lo, exec_lo, s7
	v_cmp_gt_u32_e32 vcc_lo, 32, v0
	s_mov_b32 s3, exec_lo
	s_waitcnt lgkmcnt(0)
	s_barrier
	buffer_gl0_inv
                                        ; implicit-def: $vgpr25_vgpr26
	v_cmpx_lt_u32_e32 31, v0
	s_cbranch_execz .LBB278_49
; %bb.48:
	v_lshl_add_u32 v13, v13, 3, -8
	ds_load_b64 v[25:26], v13
	s_waitcnt lgkmcnt(0)
	v_add_co_u32 v17, s1, v17, v25
	s_delay_alu instid0(VALU_DEP_1)
	v_add_co_ci_u32_e64 v14, s1, v14, v26, s1
.LBB278_49:
	s_or_b32 exec_lo, exec_lo, s3
	v_add_nc_u32_e32 v13, -1, v42
	s_delay_alu instid0(VALU_DEP_1) | instskip(NEXT) | instid1(VALU_DEP_1)
	v_cmp_gt_i32_e64 s1, 0, v13
	v_cndmask_b32_e64 v13, v13, v42, s1
	v_cmp_eq_u32_e64 s1, 0, v42
	s_delay_alu instid0(VALU_DEP_2)
	v_lshlrev_b32_e32 v13, 2, v13
	ds_bpermute_b32 v31, v13, v17
	ds_bpermute_b32 v32, v13, v14
	s_and_saveexec_b32 s3, vcc_lo
	s_cbranch_execz .LBB278_92
; %bb.50:
	v_mov_b32_e32 v16, 0
	ds_load_b64 v[13:14], v16 offset:88
	s_and_saveexec_b32 s4, s1
	s_cbranch_execz .LBB278_52
; %bb.51:
	s_add_i32 s16, s10, 32
	s_mov_b32 s17, 0
	s_delay_alu instid0(SALU_CYCLE_1) | instskip(NEXT) | instid1(SALU_CYCLE_1)
	s_lshl_b64 s[16:17], s[16:17], 4
	s_add_u32 s16, s14, s16
	s_addc_u32 s17, s15, s17
	s_delay_alu instid0(SALU_CYCLE_1)
	v_dual_mov_b32 v15, 1 :: v_dual_mov_b32 v18, s17
	v_mov_b32_e32 v17, s16
	s_waitcnt lgkmcnt(0)
	;;#ASMSTART
	global_store_dwordx4 v[17:18], v[13:16] off	
s_waitcnt vmcnt(0)
	;;#ASMEND
.LBB278_52:
	s_or_b32 exec_lo, exec_lo, s4
	v_xad_u32 v27, v42, -1, s10
	s_mov_b32 s7, 0
	s_mov_b32 s4, exec_lo
	s_delay_alu instid0(VALU_DEP_1) | instskip(NEXT) | instid1(VALU_DEP_1)
	v_add_nc_u32_e32 v15, 32, v27
	v_lshlrev_b64 v[15:16], 4, v[15:16]
	s_delay_alu instid0(VALU_DEP_1) | instskip(NEXT) | instid1(VALU_DEP_2)
	v_add_co_u32 v15, vcc_lo, s14, v15
	v_add_co_ci_u32_e32 v16, vcc_lo, s15, v16, vcc_lo
	;;#ASMSTART
	global_load_dwordx4 v[17:20], v[15:16] off glc	
s_waitcnt vmcnt(0)
	;;#ASMEND
	v_and_b32_e32 v20, 0xff, v18
	v_and_b32_e32 v28, 0xff00, v18
	v_or3_b32 v17, v17, 0, 0
	v_and_b32_e32 v29, 0xff000000, v18
	v_and_b32_e32 v18, 0xff0000, v18
	s_delay_alu instid0(VALU_DEP_4) | instskip(SKIP_2) | instid1(VALU_DEP_3)
	v_or3_b32 v20, 0, v20, v28
	v_and_b32_e32 v28, 0xff, v19
	v_or3_b32 v17, v17, 0, 0
	v_or3_b32 v18, v20, v18, v29
	s_delay_alu instid0(VALU_DEP_3)
	v_cmpx_eq_u16_e32 0, v28
	s_cbranch_execz .LBB278_58
; %bb.53:
	s_mov_b32 s11, 1
	.p2align	6
.LBB278_54:                             ; =>This Loop Header: Depth=1
                                        ;     Child Loop BB278_55 Depth 2
	s_delay_alu instid0(SALU_CYCLE_1)
	s_max_u32 s16, s11, 1
.LBB278_55:                             ;   Parent Loop BB278_54 Depth=1
                                        ; =>  This Inner Loop Header: Depth=2
	s_delay_alu instid0(SALU_CYCLE_1)
	s_add_i32 s16, s16, -1
	s_sleep 1
	s_cmp_eq_u32 s16, 0
	s_cbranch_scc0 .LBB278_55
; %bb.56:                               ;   in Loop: Header=BB278_54 Depth=1
	;;#ASMSTART
	global_load_dwordx4 v[17:20], v[15:16] off glc	
s_waitcnt vmcnt(0)
	;;#ASMEND
	v_and_b32_e32 v20, 0xff, v19
	s_cmp_lt_u32 s11, 32
	s_cselect_b32 s16, -1, 0
	s_delay_alu instid0(SALU_CYCLE_1) | instskip(NEXT) | instid1(VALU_DEP_1)
	s_cmp_lg_u32 s16, 0
	v_cmp_ne_u16_e32 vcc_lo, 0, v20
	s_addc_u32 s11, s11, 0
	s_or_b32 s7, vcc_lo, s7
	s_delay_alu instid0(SALU_CYCLE_1)
	s_and_not1_b32 exec_lo, exec_lo, s7
	s_cbranch_execnz .LBB278_54
; %bb.57:
	s_or_b32 exec_lo, exec_lo, s7
.LBB278_58:
	s_delay_alu instid0(SALU_CYCLE_1)
	s_or_b32 exec_lo, exec_lo, s4
	v_cmp_ne_u32_e32 vcc_lo, 31, v42
	v_and_b32_e32 v16, 0xff, v19
	v_lshlrev_b32_e64 v45, v42, -1
	s_mov_b32 s4, exec_lo
	v_add_co_ci_u32_e32 v15, vcc_lo, 0, v42, vcc_lo
	s_delay_alu instid0(VALU_DEP_3) | instskip(SKIP_1) | instid1(VALU_DEP_3)
	v_cmp_eq_u16_e32 vcc_lo, 2, v16
	v_mov_b32_e32 v16, v17
	v_lshlrev_b32_e32 v44, 2, v15
	v_and_or_b32 v15, vcc_lo, v45, 0x80000000
	ds_bpermute_b32 v28, v44, v17
	ds_bpermute_b32 v20, v44, v18
	v_ctz_i32_b32_e32 v15, v15
	s_delay_alu instid0(VALU_DEP_1)
	v_cmpx_lt_u32_e64 v42, v15
	s_cbranch_execz .LBB278_60
; %bb.59:
	s_waitcnt lgkmcnt(1)
	v_add_co_u32 v16, vcc_lo, v17, v28
	v_add_co_ci_u32_e32 v18, vcc_lo, 0, v18, vcc_lo
	s_delay_alu instid0(VALU_DEP_2) | instskip(SKIP_1) | instid1(VALU_DEP_2)
	v_add_co_u32 v17, vcc_lo, 0, v16
	s_waitcnt lgkmcnt(0)
	v_add_co_ci_u32_e32 v18, vcc_lo, v20, v18, vcc_lo
.LBB278_60:
	s_or_b32 exec_lo, exec_lo, s4
	v_cmp_gt_u32_e32 vcc_lo, 30, v42
	v_add_nc_u32_e32 v47, 2, v42
	s_mov_b32 s4, exec_lo
	s_waitcnt lgkmcnt(0)
	v_cndmask_b32_e64 v20, 0, 1, vcc_lo
	s_delay_alu instid0(VALU_DEP_1) | instskip(NEXT) | instid1(VALU_DEP_1)
	v_lshlrev_b32_e32 v20, 1, v20
	v_add_lshl_u32 v46, v20, v42, 2
	ds_bpermute_b32 v28, v46, v16
	ds_bpermute_b32 v20, v46, v18
	v_cmpx_le_u32_e64 v47, v15
	s_cbranch_execz .LBB278_62
; %bb.61:
	s_waitcnt lgkmcnt(1)
	v_add_co_u32 v16, vcc_lo, v17, v28
	v_add_co_ci_u32_e32 v18, vcc_lo, 0, v18, vcc_lo
	s_delay_alu instid0(VALU_DEP_2) | instskip(SKIP_1) | instid1(VALU_DEP_2)
	v_add_co_u32 v17, vcc_lo, 0, v16
	s_waitcnt lgkmcnt(0)
	v_add_co_ci_u32_e32 v18, vcc_lo, v20, v18, vcc_lo
.LBB278_62:
	s_or_b32 exec_lo, exec_lo, s4
	v_cmp_gt_u32_e32 vcc_lo, 28, v42
	v_add_nc_u32_e32 v49, 4, v42
	s_mov_b32 s4, exec_lo
	s_waitcnt lgkmcnt(0)
	v_cndmask_b32_e64 v20, 0, 1, vcc_lo
	s_delay_alu instid0(VALU_DEP_1) | instskip(NEXT) | instid1(VALU_DEP_1)
	v_lshlrev_b32_e32 v20, 2, v20
	v_add_lshl_u32 v48, v20, v42, 2
	ds_bpermute_b32 v28, v48, v16
	ds_bpermute_b32 v20, v48, v18
	v_cmpx_le_u32_e64 v49, v15
	;; [unrolled: 22-line block ×4, first 2 shown]
	s_cbranch_execz .LBB278_68
; %bb.67:
	s_waitcnt lgkmcnt(1)
	v_add_co_u32 v15, vcc_lo, v17, v20
	v_add_co_ci_u32_e32 v18, vcc_lo, 0, v18, vcc_lo
	s_delay_alu instid0(VALU_DEP_2) | instskip(SKIP_1) | instid1(VALU_DEP_2)
	v_add_co_u32 v17, vcc_lo, v15, 0
	s_waitcnt lgkmcnt(0)
	v_add_co_ci_u32_e32 v18, vcc_lo, v18, v16, vcc_lo
.LBB278_68:
	s_or_b32 exec_lo, exec_lo, s4
	v_mov_b32_e32 v28, 0
	s_branch .LBB278_70
.LBB278_69:                             ;   in Loop: Header=BB278_70 Depth=1
	s_or_b32 exec_lo, exec_lo, s4
	v_add_co_u32 v17, vcc_lo, v17, v15
	v_subrev_nc_u32_e32 v27, 32, v27
	v_add_co_ci_u32_e32 v18, vcc_lo, v18, v16, vcc_lo
.LBB278_70:                             ; =>This Loop Header: Depth=1
                                        ;     Child Loop BB278_73 Depth 2
                                        ;       Child Loop BB278_74 Depth 3
	v_and_b32_e32 v15, 0xff, v19
	s_delay_alu instid0(VALU_DEP_1) | instskip(SKIP_2) | instid1(VALU_DEP_1)
	v_cmp_ne_u16_e32 vcc_lo, 2, v15
	v_cndmask_b32_e64 v15, 0, 1, vcc_lo
	;;#ASMSTART
	;;#ASMEND
	v_cmp_ne_u32_e32 vcc_lo, 0, v15
	s_waitcnt lgkmcnt(0)
	v_dual_mov_b32 v15, v17 :: v_dual_mov_b32 v16, v18
	s_cmp_lg_u32 vcc_lo, exec_lo
	s_cbranch_scc1 .LBB278_87
; %bb.71:                               ;   in Loop: Header=BB278_70 Depth=1
	v_lshlrev_b64 v[17:18], 4, v[27:28]
	s_mov_b32 s4, exec_lo
	s_delay_alu instid0(VALU_DEP_1) | instskip(NEXT) | instid1(VALU_DEP_2)
	v_add_co_u32 v29, vcc_lo, s14, v17
	v_add_co_ci_u32_e32 v30, vcc_lo, s15, v18, vcc_lo
	;;#ASMSTART
	global_load_dwordx4 v[17:20], v[29:30] off glc	
s_waitcnt vmcnt(0)
	;;#ASMEND
	v_and_b32_e32 v20, 0xff, v18
	v_and_b32_e32 v54, 0xff00, v18
	v_or3_b32 v17, v17, 0, 0
	v_and_b32_e32 v55, 0xff000000, v18
	v_and_b32_e32 v18, 0xff0000, v18
	s_delay_alu instid0(VALU_DEP_4) | instskip(SKIP_2) | instid1(VALU_DEP_3)
	v_or3_b32 v20, 0, v20, v54
	v_and_b32_e32 v54, 0xff, v19
	v_or3_b32 v17, v17, 0, 0
	v_or3_b32 v18, v20, v18, v55
	s_delay_alu instid0(VALU_DEP_3)
	v_cmpx_eq_u16_e32 0, v54
	s_cbranch_execz .LBB278_77
; %bb.72:                               ;   in Loop: Header=BB278_70 Depth=1
	s_mov_b32 s11, 1
	s_mov_b32 s7, 0
	.p2align	6
.LBB278_73:                             ;   Parent Loop BB278_70 Depth=1
                                        ; =>  This Loop Header: Depth=2
                                        ;       Child Loop BB278_74 Depth 3
	s_max_u32 s16, s11, 1
.LBB278_74:                             ;   Parent Loop BB278_70 Depth=1
                                        ;     Parent Loop BB278_73 Depth=2
                                        ; =>    This Inner Loop Header: Depth=3
	s_delay_alu instid0(SALU_CYCLE_1)
	s_add_i32 s16, s16, -1
	s_sleep 1
	s_cmp_eq_u32 s16, 0
	s_cbranch_scc0 .LBB278_74
; %bb.75:                               ;   in Loop: Header=BB278_73 Depth=2
	;;#ASMSTART
	global_load_dwordx4 v[17:20], v[29:30] off glc	
s_waitcnt vmcnt(0)
	;;#ASMEND
	v_and_b32_e32 v20, 0xff, v19
	s_cmp_lt_u32 s11, 32
	s_cselect_b32 s16, -1, 0
	s_delay_alu instid0(SALU_CYCLE_1) | instskip(NEXT) | instid1(VALU_DEP_1)
	s_cmp_lg_u32 s16, 0
	v_cmp_ne_u16_e32 vcc_lo, 0, v20
	s_addc_u32 s11, s11, 0
	s_or_b32 s7, vcc_lo, s7
	s_delay_alu instid0(SALU_CYCLE_1)
	s_and_not1_b32 exec_lo, exec_lo, s7
	s_cbranch_execnz .LBB278_73
; %bb.76:                               ;   in Loop: Header=BB278_70 Depth=1
	s_or_b32 exec_lo, exec_lo, s7
.LBB278_77:                             ;   in Loop: Header=BB278_70 Depth=1
	s_delay_alu instid0(SALU_CYCLE_1)
	s_or_b32 exec_lo, exec_lo, s4
	v_dual_mov_b32 v29, v17 :: v_dual_and_b32 v20, 0xff, v19
	ds_bpermute_b32 v54, v44, v17
	ds_bpermute_b32 v30, v44, v18
	s_mov_b32 s4, exec_lo
	v_cmp_eq_u16_e32 vcc_lo, 2, v20
	v_and_or_b32 v20, vcc_lo, v45, 0x80000000
	s_delay_alu instid0(VALU_DEP_1) | instskip(NEXT) | instid1(VALU_DEP_1)
	v_ctz_i32_b32_e32 v20, v20
	v_cmpx_lt_u32_e64 v42, v20
	s_cbranch_execz .LBB278_79
; %bb.78:                               ;   in Loop: Header=BB278_70 Depth=1
	s_waitcnt lgkmcnt(1)
	v_add_co_u32 v29, vcc_lo, v17, v54
	v_add_co_ci_u32_e32 v18, vcc_lo, 0, v18, vcc_lo
	s_delay_alu instid0(VALU_DEP_2) | instskip(SKIP_1) | instid1(VALU_DEP_2)
	v_add_co_u32 v17, vcc_lo, 0, v29
	s_waitcnt lgkmcnt(0)
	v_add_co_ci_u32_e32 v18, vcc_lo, v30, v18, vcc_lo
.LBB278_79:                             ;   in Loop: Header=BB278_70 Depth=1
	s_or_b32 exec_lo, exec_lo, s4
	s_waitcnt lgkmcnt(1)
	ds_bpermute_b32 v54, v46, v29
	s_waitcnt lgkmcnt(1)
	ds_bpermute_b32 v30, v46, v18
	s_mov_b32 s4, exec_lo
	v_cmpx_le_u32_e64 v47, v20
	s_cbranch_execz .LBB278_81
; %bb.80:                               ;   in Loop: Header=BB278_70 Depth=1
	s_waitcnt lgkmcnt(1)
	v_add_co_u32 v29, vcc_lo, v17, v54
	v_add_co_ci_u32_e32 v18, vcc_lo, 0, v18, vcc_lo
	s_delay_alu instid0(VALU_DEP_2) | instskip(SKIP_1) | instid1(VALU_DEP_2)
	v_add_co_u32 v17, vcc_lo, 0, v29
	s_waitcnt lgkmcnt(0)
	v_add_co_ci_u32_e32 v18, vcc_lo, v30, v18, vcc_lo
.LBB278_81:                             ;   in Loop: Header=BB278_70 Depth=1
	s_or_b32 exec_lo, exec_lo, s4
	s_waitcnt lgkmcnt(1)
	ds_bpermute_b32 v54, v48, v29
	s_waitcnt lgkmcnt(1)
	ds_bpermute_b32 v30, v48, v18
	s_mov_b32 s4, exec_lo
	v_cmpx_le_u32_e64 v49, v20
	;; [unrolled: 17-line block ×3, first 2 shown]
	s_cbranch_execz .LBB278_85
; %bb.84:                               ;   in Loop: Header=BB278_70 Depth=1
	s_waitcnt lgkmcnt(1)
	v_add_co_u32 v29, vcc_lo, v17, v54
	v_add_co_ci_u32_e32 v18, vcc_lo, 0, v18, vcc_lo
	s_delay_alu instid0(VALU_DEP_2) | instskip(SKIP_1) | instid1(VALU_DEP_2)
	v_add_co_u32 v17, vcc_lo, 0, v29
	s_waitcnt lgkmcnt(0)
	v_add_co_ci_u32_e32 v18, vcc_lo, v30, v18, vcc_lo
.LBB278_85:                             ;   in Loop: Header=BB278_70 Depth=1
	s_or_b32 exec_lo, exec_lo, s4
	s_waitcnt lgkmcnt(0)
	ds_bpermute_b32 v30, v52, v29
	ds_bpermute_b32 v29, v52, v18
	s_mov_b32 s4, exec_lo
	v_cmpx_le_u32_e64 v53, v20
	s_cbranch_execz .LBB278_69
; %bb.86:                               ;   in Loop: Header=BB278_70 Depth=1
	s_waitcnt lgkmcnt(1)
	v_add_co_u32 v17, vcc_lo, v17, v30
	v_add_co_ci_u32_e32 v18, vcc_lo, 0, v18, vcc_lo
	s_delay_alu instid0(VALU_DEP_2) | instskip(SKIP_1) | instid1(VALU_DEP_2)
	v_add_co_u32 v17, vcc_lo, v17, 0
	s_waitcnt lgkmcnt(0)
	v_add_co_ci_u32_e32 v18, vcc_lo, v18, v29, vcc_lo
	s_branch .LBB278_69
.LBB278_87:                             ;   in Loop: Header=BB278_70 Depth=1
                                        ; implicit-def: $vgpr17_vgpr18
	s_cbranch_execz .LBB278_70
; %bb.88:
	s_and_saveexec_b32 s4, s1
	s_cbranch_execz .LBB278_90
; %bb.89:
	s_add_i32 s10, s10, 32
	s_mov_b32 s11, 0
	v_add_co_u32 v17, vcc_lo, v15, v13
	s_lshl_b64 s[10:11], s[10:11], 4
	v_dual_mov_b32 v19, 2 :: v_dual_mov_b32 v20, 0
	s_add_u32 s10, s14, s10
	s_addc_u32 s11, s15, s11
	v_add_co_ci_u32_e32 v18, vcc_lo, v16, v14, vcc_lo
	v_dual_mov_b32 v28, s11 :: v_dual_mov_b32 v27, s10
	;;#ASMSTART
	global_store_dwordx4 v[27:28], v[17:20] off	
s_waitcnt vmcnt(0)
	;;#ASMEND
	ds_store_b128 v20, v[13:16] offset:18432
.LBB278_90:
	s_or_b32 exec_lo, exec_lo, s4
	s_delay_alu instid0(SALU_CYCLE_1)
	s_and_b32 exec_lo, exec_lo, s2
	s_cbranch_execz .LBB278_92
; %bb.91:
	v_mov_b32_e32 v13, 0
	ds_store_b64 v13, v[15:16] offset:88
.LBB278_92:
	s_or_b32 exec_lo, exec_lo, s3
	v_mov_b32_e32 v15, 0
	s_waitcnt lgkmcnt(0)
	s_barrier
	buffer_gl0_inv
	v_cndmask_b32_e64 v16, v31, v25, s1
	ds_load_b64 v[13:14], v15 offset:88
	v_cndmask_b32_e64 v17, v32, v26, s1
	s_waitcnt lgkmcnt(0)
	s_barrier
	v_cndmask_b32_e64 v16, v16, 0, s2
	buffer_gl0_inv
	v_cndmask_b32_e64 v17, v17, 0, s2
	v_add_co_u32 v31, vcc_lo, v13, v16
	s_delay_alu instid0(VALU_DEP_2) | instskip(SKIP_3) | instid1(VALU_DEP_2)
	v_add_co_ci_u32_e32 v32, vcc_lo, v14, v17, vcc_lo
	ds_load_b128 v[13:16], v15 offset:18432
	v_add_co_u32 v29, vcc_lo, v31, v41
	v_add_co_ci_u32_e32 v30, vcc_lo, 0, v32, vcc_lo
	v_add_co_u32 v27, vcc_lo, v29, v40
	s_delay_alu instid0(VALU_DEP_2) | instskip(NEXT) | instid1(VALU_DEP_2)
	v_add_co_ci_u32_e32 v28, vcc_lo, 0, v30, vcc_lo
	v_add_co_u32 v25, vcc_lo, v27, v39
	s_delay_alu instid0(VALU_DEP_2) | instskip(NEXT) | instid1(VALU_DEP_2)
	;; [unrolled: 3-line block ×3, first 2 shown]
	v_add_co_ci_u32_e32 v20, vcc_lo, 0, v26, vcc_lo
	v_add_co_u32 v17, vcc_lo, v19, v38
	s_delay_alu instid0(VALU_DEP_2)
	v_add_co_ci_u32_e32 v18, vcc_lo, 0, v20, vcc_lo
	s_branch .LBB278_121
.LBB278_93:
                                        ; implicit-def: $vgpr17_vgpr18
                                        ; implicit-def: $vgpr19_vgpr20
                                        ; implicit-def: $vgpr25_vgpr26
                                        ; implicit-def: $vgpr27_vgpr28
                                        ; implicit-def: $vgpr29_vgpr30
                                        ; implicit-def: $vgpr31_vgpr32
                                        ; implicit-def: $vgpr15_vgpr16
	s_and_b32 vcc_lo, exec_lo, s1
	s_cbranch_vccz .LBB278_121
; %bb.94:
	s_waitcnt lgkmcnt(0)
	v_dual_mov_b32 v14, 0 :: v_dual_mov_b32 v15, v23
	v_mov_b32_dpp v16, v23 row_shr:1 row_mask:0xf bank_mask:0xf
	s_delay_alu instid0(VALU_DEP_2)
	v_mov_b32_dpp v13, v14 row_shr:1 row_mask:0xf bank_mask:0xf
	s_and_saveexec_b32 s1, s0
; %bb.95:
	s_delay_alu instid0(VALU_DEP_2) | instskip(SKIP_1) | instid1(VALU_DEP_2)
	v_add_co_u32 v15, vcc_lo, v23, v16
	v_add_co_ci_u32_e32 v14, vcc_lo, 0, v24, vcc_lo
	v_add_co_u32 v23, vcc_lo, 0, v15
	s_delay_alu instid0(VALU_DEP_2) | instskip(NEXT) | instid1(VALU_DEP_1)
	v_add_co_ci_u32_e32 v24, vcc_lo, v13, v14, vcc_lo
	v_mov_b32_e32 v14, v24
; %bb.96:
	s_or_b32 exec_lo, exec_lo, s1
	v_mov_b32_dpp v13, v15 row_shr:2 row_mask:0xf bank_mask:0xf
	s_delay_alu instid0(VALU_DEP_2)
	v_mov_b32_dpp v16, v14 row_shr:2 row_mask:0xf bank_mask:0xf
	v_cmp_lt_u32_e32 vcc_lo, 1, v43
	s_and_saveexec_b32 s3, vcc_lo
; %bb.97:
	s_delay_alu instid0(VALU_DEP_3) | instskip(NEXT) | instid1(VALU_DEP_1)
	v_add_co_u32 v15, s1, v23, v13
	v_add_co_ci_u32_e64 v14, s1, 0, v24, s1
	s_delay_alu instid0(VALU_DEP_2) | instskip(NEXT) | instid1(VALU_DEP_1)
	v_add_co_u32 v13, s1, 0, v15
	v_add_co_ci_u32_e64 v14, s1, v16, v14, s1
	s_delay_alu instid0(VALU_DEP_1)
	v_dual_mov_b32 v24, v14 :: v_dual_mov_b32 v23, v13
; %bb.98:
	s_or_b32 exec_lo, exec_lo, s3
	v_mov_b32_dpp v13, v15 row_shr:4 row_mask:0xf bank_mask:0xf
	v_mov_b32_dpp v16, v14 row_shr:4 row_mask:0xf bank_mask:0xf
	v_cmp_lt_u32_e64 s1, 3, v43
	s_delay_alu instid0(VALU_DEP_1)
	s_and_saveexec_b32 s4, s1
; %bb.99:
	s_delay_alu instid0(VALU_DEP_3) | instskip(NEXT) | instid1(VALU_DEP_1)
	v_add_co_u32 v15, s3, v23, v13
	v_add_co_ci_u32_e64 v14, s3, 0, v24, s3
	s_delay_alu instid0(VALU_DEP_2) | instskip(NEXT) | instid1(VALU_DEP_1)
	v_add_co_u32 v13, s3, 0, v15
	v_add_co_ci_u32_e64 v14, s3, v16, v14, s3
	s_delay_alu instid0(VALU_DEP_1)
	v_dual_mov_b32 v24, v14 :: v_dual_mov_b32 v23, v13
; %bb.100:
	s_or_b32 exec_lo, exec_lo, s4
	v_mov_b32_dpp v16, v15 row_shr:8 row_mask:0xf bank_mask:0xf
	v_mov_b32_dpp v13, v14 row_shr:8 row_mask:0xf bank_mask:0xf
	v_cmp_lt_u32_e64 s3, 7, v43
	s_delay_alu instid0(VALU_DEP_1)
	s_and_saveexec_b32 s7, s3
; %bb.101:
	s_delay_alu instid0(VALU_DEP_3) | instskip(NEXT) | instid1(VALU_DEP_1)
	v_add_co_u32 v15, s4, v23, v16
	v_add_co_ci_u32_e64 v14, s4, 0, v24, s4
	s_delay_alu instid0(VALU_DEP_2) | instskip(NEXT) | instid1(VALU_DEP_1)
	v_add_co_u32 v23, s4, 0, v15
	v_add_co_ci_u32_e64 v24, s4, v13, v14, s4
	s_delay_alu instid0(VALU_DEP_1)
	v_mov_b32_e32 v14, v24
; %bb.102:
	s_or_b32 exec_lo, exec_lo, s7
	ds_swizzle_b32 v15, v15 offset:swizzle(BROADCAST,32,15)
	ds_swizzle_b32 v13, v14 offset:swizzle(BROADCAST,32,15)
	v_and_b32_e32 v14, 16, v42
	s_mov_b32 s7, exec_lo
	s_delay_alu instid0(VALU_DEP_1)
	v_cmpx_ne_u32_e32 0, v14
	s_cbranch_execz .LBB278_104
; %bb.103:
	s_waitcnt lgkmcnt(1)
	v_add_co_u32 v14, s4, v23, v15
	s_delay_alu instid0(VALU_DEP_1) | instskip(NEXT) | instid1(VALU_DEP_2)
	v_add_co_ci_u32_e64 v15, s4, 0, v24, s4
	v_add_co_u32 v23, s4, v14, 0
	s_waitcnt lgkmcnt(0)
	s_delay_alu instid0(VALU_DEP_2)
	v_add_co_ci_u32_e64 v24, s4, v15, v13, s4
.LBB278_104:
	s_or_b32 exec_lo, exec_lo, s7
	s_waitcnt lgkmcnt(0)
	v_and_b32_e32 v13, 0x1e0, v0
	v_lshrrev_b32_e32 v15, 5, v0
	s_mov_b32 s7, exec_lo
	s_delay_alu instid0(VALU_DEP_2) | instskip(NEXT) | instid1(VALU_DEP_1)
	v_min_u32_e32 v13, 0x160, v13
	v_or_b32_e32 v13, 31, v13
	s_delay_alu instid0(VALU_DEP_1)
	v_cmpx_eq_u32_e64 v13, v0
	s_cbranch_execz .LBB278_106
; %bb.105:
	v_lshlrev_b32_e32 v13, 3, v15
	ds_store_b64 v13, v[23:24]
.LBB278_106:
	s_or_b32 exec_lo, exec_lo, s7
	s_delay_alu instid0(SALU_CYCLE_1)
	s_mov_b32 s7, exec_lo
	s_waitcnt lgkmcnt(0)
	s_barrier
	buffer_gl0_inv
	v_cmpx_gt_u32_e32 12, v0
	s_cbranch_execz .LBB278_116
; %bb.107:
	v_mad_i32_i24 v13, 0xffffffd8, v0, v37
	ds_load_b64 v[13:14], v13
	s_waitcnt lgkmcnt(0)
	v_mov_b32_dpp v18, v13 row_shr:1 row_mask:0xf bank_mask:0xf
	v_mov_b32_dpp v17, v14 row_shr:1 row_mask:0xf bank_mask:0xf
	v_mov_b32_e32 v16, v13
	s_and_saveexec_b32 s4, s0
; %bb.108:
	s_delay_alu instid0(VALU_DEP_3) | instskip(NEXT) | instid1(VALU_DEP_1)
	v_add_co_u32 v16, s0, v13, v18
	v_add_co_ci_u32_e64 v14, s0, 0, v14, s0
	s_delay_alu instid0(VALU_DEP_2) | instskip(NEXT) | instid1(VALU_DEP_1)
	v_add_co_u32 v13, s0, 0, v16
	v_add_co_ci_u32_e64 v14, s0, v17, v14, s0
; %bb.109:
	s_or_b32 exec_lo, exec_lo, s4
	v_mov_b32_dpp v18, v16 row_shr:2 row_mask:0xf bank_mask:0xf
	s_delay_alu instid0(VALU_DEP_2)
	v_mov_b32_dpp v17, v14 row_shr:2 row_mask:0xf bank_mask:0xf
	s_and_saveexec_b32 s0, vcc_lo
; %bb.110:
	s_delay_alu instid0(VALU_DEP_2) | instskip(SKIP_1) | instid1(VALU_DEP_2)
	v_add_co_u32 v16, vcc_lo, v13, v18
	v_add_co_ci_u32_e32 v14, vcc_lo, 0, v14, vcc_lo
	v_add_co_u32 v13, vcc_lo, 0, v16
	s_delay_alu instid0(VALU_DEP_2)
	v_add_co_ci_u32_e32 v14, vcc_lo, v17, v14, vcc_lo
; %bb.111:
	s_or_b32 exec_lo, exec_lo, s0
	v_mov_b32_dpp v18, v16 row_shr:4 row_mask:0xf bank_mask:0xf
	s_delay_alu instid0(VALU_DEP_2)
	v_mov_b32_dpp v17, v14 row_shr:4 row_mask:0xf bank_mask:0xf
	s_and_saveexec_b32 s0, s1
; %bb.112:
	s_delay_alu instid0(VALU_DEP_2) | instskip(SKIP_1) | instid1(VALU_DEP_2)
	v_add_co_u32 v16, vcc_lo, v13, v18
	v_add_co_ci_u32_e32 v14, vcc_lo, 0, v14, vcc_lo
	v_add_co_u32 v13, vcc_lo, 0, v16
	s_delay_alu instid0(VALU_DEP_2)
	v_add_co_ci_u32_e32 v14, vcc_lo, v17, v14, vcc_lo
; %bb.113:
	s_or_b32 exec_lo, exec_lo, s0
	v_mul_i32_i24_e32 v17, 0xffffffd8, v0
	v_mov_b32_dpp v18, v16 row_shr:8 row_mask:0xf bank_mask:0xf
	s_delay_alu instid0(VALU_DEP_3)
	v_mov_b32_dpp v16, v14 row_shr:8 row_mask:0xf bank_mask:0xf
	s_and_saveexec_b32 s0, s3
; %bb.114:
	s_delay_alu instid0(VALU_DEP_2) | instskip(SKIP_1) | instid1(VALU_DEP_2)
	v_add_co_u32 v13, vcc_lo, v13, v18
	v_add_co_ci_u32_e32 v14, vcc_lo, 0, v14, vcc_lo
	v_add_co_u32 v13, vcc_lo, v13, 0
	s_delay_alu instid0(VALU_DEP_2)
	v_add_co_ci_u32_e32 v14, vcc_lo, v14, v16, vcc_lo
; %bb.115:
	s_or_b32 exec_lo, exec_lo, s0
	v_add_nc_u32_e32 v16, v37, v17
	ds_store_b64 v16, v[13:14]
.LBB278_116:
	s_or_b32 exec_lo, exec_lo, s7
	v_mov_b32_e32 v17, 0
	v_mov_b32_e32 v18, 0
	s_mov_b32 s0, exec_lo
	s_waitcnt lgkmcnt(0)
	s_barrier
	buffer_gl0_inv
	v_cmpx_lt_u32_e32 31, v0
	s_cbranch_execz .LBB278_118
; %bb.117:
	v_lshl_add_u32 v13, v15, 3, -8
	ds_load_b64 v[17:18], v13
.LBB278_118:
	s_or_b32 exec_lo, exec_lo, s0
	v_dual_mov_b32 v16, 0 :: v_dual_add_nc_u32 v13, -1, v42
	s_delay_alu instid0(VALU_DEP_1) | instskip(SKIP_4) | instid1(VALU_DEP_3)
	v_cmp_gt_i32_e32 vcc_lo, 0, v13
	v_cndmask_b32_e32 v13, v13, v42, vcc_lo
	s_waitcnt lgkmcnt(0)
	v_add_co_u32 v14, vcc_lo, v17, v23
	v_add_co_ci_u32_e32 v15, vcc_lo, v18, v24, vcc_lo
	v_lshlrev_b32_e32 v13, 2, v13
	ds_bpermute_b32 v19, v13, v14
	ds_bpermute_b32 v20, v13, v15
	ds_load_b64 v[13:14], v16 offset:88
	s_and_saveexec_b32 s0, s2
	s_cbranch_execz .LBB278_120
; %bb.119:
	s_add_u32 s10, s14, 0x200
	s_addc_u32 s11, s15, 0
	s_delay_alu instid0(SALU_CYCLE_1)
	v_dual_mov_b32 v15, 2 :: v_dual_mov_b32 v24, s11
	v_mov_b32_e32 v23, s10
	s_waitcnt lgkmcnt(0)
	;;#ASMSTART
	global_store_dwordx4 v[23:24], v[13:16] off	
s_waitcnt vmcnt(0)
	;;#ASMEND
.LBB278_120:
	s_or_b32 exec_lo, exec_lo, s0
	v_cmp_eq_u32_e32 vcc_lo, 0, v42
	s_waitcnt lgkmcnt(0)
	s_barrier
	buffer_gl0_inv
	v_dual_cndmask_b32 v15, v19, v17 :: v_dual_cndmask_b32 v16, v20, v18
	s_delay_alu instid0(VALU_DEP_1) | instskip(NEXT) | instid1(VALU_DEP_2)
	v_cndmask_b32_e64 v31, v15, 0, s2
	v_cndmask_b32_e64 v32, v16, 0, s2
	v_mov_b32_e32 v15, 0
	v_mov_b32_e32 v16, 0
	s_delay_alu instid0(VALU_DEP_4) | instskip(NEXT) | instid1(VALU_DEP_4)
	v_add_co_u32 v29, vcc_lo, v31, v41
	v_add_co_ci_u32_e32 v30, vcc_lo, 0, v32, vcc_lo
	s_delay_alu instid0(VALU_DEP_2) | instskip(NEXT) | instid1(VALU_DEP_2)
	v_add_co_u32 v27, vcc_lo, v29, v40
	v_add_co_ci_u32_e32 v28, vcc_lo, 0, v30, vcc_lo
	s_delay_alu instid0(VALU_DEP_2) | instskip(NEXT) | instid1(VALU_DEP_2)
	;; [unrolled: 3-line block ×4, first 2 shown]
	v_add_co_u32 v17, vcc_lo, v19, v38
	v_add_co_ci_u32_e32 v18, vcc_lo, 0, v20, vcc_lo
.LBB278_121:
	s_waitcnt lgkmcnt(0)
	v_cmp_gt_u64_e32 vcc_lo, 0x181, v[13:14]
	v_lshrrev_b32_e32 v38, 8, v36
	v_lshrrev_b32_e32 v37, 16, v36
	s_mov_b32 s0, -1
	s_cbranch_vccnz .LBB278_125
; %bb.122:
	s_and_b32 vcc_lo, exec_lo, s0
	s_cbranch_vccnz .LBB278_144
.LBB278_123:
	s_and_b32 s0, s2, s5
	s_delay_alu instid0(SALU_CYCLE_1)
	s_and_saveexec_b32 s1, s0
	s_cbranch_execnz .LBB278_160
.LBB278_124:
	s_nop 0
	s_sendmsg sendmsg(MSG_DEALLOC_VGPRS)
	s_endpgm
.LBB278_125:
	v_add_co_u32 v23, vcc_lo, v15, v13
	v_add_co_ci_u32_e32 v24, vcc_lo, v16, v14, vcc_lo
	v_lshlrev_b64 v[39:40], 3, v[21:22]
	s_delay_alu instid0(VALU_DEP_2) | instskip(NEXT) | instid1(VALU_DEP_2)
	v_cmp_lt_u64_e32 vcc_lo, v[31:32], v[23:24]
	v_add_co_u32 v39, s0, s12, v39
	s_delay_alu instid0(VALU_DEP_1) | instskip(SKIP_1) | instid1(SALU_CYCLE_1)
	v_add_co_ci_u32_e64 v40, s0, s13, v40, s0
	s_or_b32 s1, s6, vcc_lo
	s_and_saveexec_b32 s0, s1
	s_cbranch_execz .LBB278_128
; %bb.126:
	v_and_b32_e32 v41, 1, v36
	s_delay_alu instid0(VALU_DEP_1)
	v_cmp_eq_u32_e32 vcc_lo, 1, v41
	s_and_b32 exec_lo, exec_lo, vcc_lo
	s_cbranch_execz .LBB278_128
; %bb.127:
	v_lshlrev_b64 v[41:42], 3, v[31:32]
	s_delay_alu instid0(VALU_DEP_1) | instskip(NEXT) | instid1(VALU_DEP_2)
	v_add_co_u32 v41, vcc_lo, v39, v41
	v_add_co_ci_u32_e32 v42, vcc_lo, v40, v42, vcc_lo
	global_store_b64 v[41:42], v[9:10], off
.LBB278_128:
	s_or_b32 exec_lo, exec_lo, s0
	v_cmp_lt_u64_e32 vcc_lo, v[29:30], v[23:24]
	s_or_b32 s1, s6, vcc_lo
	s_delay_alu instid0(SALU_CYCLE_1)
	s_and_saveexec_b32 s0, s1
	s_cbranch_execz .LBB278_131
; %bb.129:
	v_and_b32_e32 v32, 1, v38
	s_delay_alu instid0(VALU_DEP_1)
	v_cmp_eq_u32_e32 vcc_lo, 1, v32
	s_and_b32 exec_lo, exec_lo, vcc_lo
	s_cbranch_execz .LBB278_131
; %bb.130:
	v_lshlrev_b64 v[41:42], 3, v[29:30]
	s_delay_alu instid0(VALU_DEP_1) | instskip(NEXT) | instid1(VALU_DEP_2)
	v_add_co_u32 v41, vcc_lo, v39, v41
	v_add_co_ci_u32_e32 v42, vcc_lo, v40, v42, vcc_lo
	global_store_b64 v[41:42], v[11:12], off
.LBB278_131:
	s_or_b32 exec_lo, exec_lo, s0
	v_cmp_lt_u64_e32 vcc_lo, v[27:28], v[23:24]
	s_or_b32 s1, s6, vcc_lo
	s_delay_alu instid0(SALU_CYCLE_1)
	;; [unrolled: 19-line block ×5, first 2 shown]
	s_and_saveexec_b32 s0, s1
	s_cbranch_execz .LBB278_143
; %bb.141:
	v_and_b32_e32 v20, 1, v33
	s_delay_alu instid0(VALU_DEP_1)
	v_cmp_eq_u32_e32 vcc_lo, 1, v20
	s_and_b32 exec_lo, exec_lo, vcc_lo
	s_cbranch_execz .LBB278_143
; %bb.142:
	v_lshlrev_b64 v[23:24], 3, v[17:18]
	s_delay_alu instid0(VALU_DEP_1) | instskip(NEXT) | instid1(VALU_DEP_2)
	v_add_co_u32 v23, vcc_lo, v39, v23
	v_add_co_ci_u32_e32 v24, vcc_lo, v40, v24, vcc_lo
	global_store_b64 v[23:24], v[3:4], off
.LBB278_143:
	s_or_b32 exec_lo, exec_lo, s0
	s_branch .LBB278_123
.LBB278_144:
	v_and_b32_e32 v18, 1, v36
	s_mov_b32 s0, exec_lo
	s_delay_alu instid0(VALU_DEP_1)
	v_cmpx_eq_u32_e32 1, v18
	s_cbranch_execz .LBB278_146
; %bb.145:
	v_sub_nc_u32_e32 v18, v31, v15
	s_delay_alu instid0(VALU_DEP_1)
	v_lshlrev_b32_e32 v18, 3, v18
	ds_store_b64 v18, v[9:10]
.LBB278_146:
	s_or_b32 exec_lo, exec_lo, s0
	v_and_b32_e32 v9, 1, v38
	s_mov_b32 s0, exec_lo
	s_delay_alu instid0(VALU_DEP_1)
	v_cmpx_eq_u32_e32 1, v9
	s_cbranch_execz .LBB278_148
; %bb.147:
	v_sub_nc_u32_e32 v9, v29, v15
	s_delay_alu instid0(VALU_DEP_1)
	v_lshlrev_b32_e32 v9, 3, v9
	ds_store_b64 v9, v[11:12]
.LBB278_148:
	s_or_b32 exec_lo, exec_lo, s0
	;; [unrolled: 12-line block ×6, first 2 shown]
	v_mov_b32_e32 v1, 0
	s_mov_b32 s1, exec_lo
	s_waitcnt lgkmcnt(0)
	s_waitcnt_vscnt null, 0x0
	s_barrier
	buffer_gl0_inv
	v_cmpx_gt_u64_e64 v[13:14], v[0:1]
	s_cbranch_execz .LBB278_159
; %bb.157:
	v_lshlrev_b64 v[2:3], 3, v[15:16]
	v_lshlrev_b64 v[4:5], 3, v[21:22]
	s_mov_b32 s3, 0
	s_delay_alu instid0(VALU_DEP_2) | instskip(NEXT) | instid1(VALU_DEP_3)
	v_add_co_u32 v6, vcc_lo, s12, v2
	v_add_co_ci_u32_e32 v7, vcc_lo, s13, v3, vcc_lo
	v_dual_mov_b32 v3, v1 :: v_dual_mov_b32 v2, v0
	s_delay_alu instid0(VALU_DEP_3) | instskip(NEXT) | instid1(VALU_DEP_3)
	v_add_co_u32 v4, vcc_lo, v6, v4
	v_add_co_ci_u32_e32 v5, vcc_lo, v7, v5, vcc_lo
	v_add_nc_u32_e32 v0, 0x180, v0
	.p2align	6
.LBB278_158:                            ; =>This Inner Loop Header: Depth=1
	s_delay_alu instid0(VALU_DEP_4) | instskip(SKIP_2) | instid1(VALU_DEP_4)
	v_lshlrev_b32_e32 v6, 3, v2
	v_lshlrev_b64 v[8:9], 3, v[2:3]
	v_mov_b32_e32 v3, v1
	v_cmp_le_u64_e32 vcc_lo, v[13:14], v[0:1]
	v_mov_b32_e32 v2, v0
	ds_load_b64 v[6:7], v6
	v_add_nc_u32_e32 v0, 0x180, v0
	v_add_co_u32 v8, s0, v4, v8
	s_delay_alu instid0(VALU_DEP_1)
	v_add_co_ci_u32_e64 v9, s0, v5, v9, s0
	s_or_b32 s3, vcc_lo, s3
	s_waitcnt lgkmcnt(0)
	global_store_b64 v[8:9], v[6:7], off
	s_and_not1_b32 exec_lo, exec_lo, s3
	s_cbranch_execnz .LBB278_158
.LBB278_159:
	s_or_b32 exec_lo, exec_lo, s1
	s_and_b32 s0, s2, s5
	s_delay_alu instid0(SALU_CYCLE_1)
	s_and_saveexec_b32 s1, s0
	s_cbranch_execz .LBB278_124
.LBB278_160:
	v_add_co_u32 v0, vcc_lo, v15, v13
	v_add_co_ci_u32_e32 v1, vcc_lo, v16, v14, vcc_lo
	v_mov_b32_e32 v2, 0
	s_delay_alu instid0(VALU_DEP_3) | instskip(NEXT) | instid1(VALU_DEP_3)
	v_add_co_u32 v0, vcc_lo, v0, v21
	v_add_co_ci_u32_e32 v1, vcc_lo, v1, v22, vcc_lo
	global_store_b64 v2, v[0:1], s[8:9]
	s_nop 0
	s_sendmsg sendmsg(MSG_DEALLOC_VGPRS)
	s_endpgm
	.section	.rodata,"a",@progbits
	.p2align	6, 0x0
	.amdhsa_kernel _ZN7rocprim17ROCPRIM_400000_NS6detail17trampoline_kernelINS0_14default_configENS1_25partition_config_selectorILNS1_17partition_subalgoE6EyNS0_10empty_typeEbEEZZNS1_14partition_implILS5_6ELb0ES3_mN6thrust23THRUST_200600_302600_NS6detail15normal_iteratorINSA_10device_ptrIyEEEEPS6_SG_NS0_5tupleIJSF_S6_EEENSH_IJSG_SG_EEES6_PlJ7is_evenIyEEEE10hipError_tPvRmT3_T4_T5_T6_T7_T9_mT8_P12ihipStream_tbDpT10_ENKUlT_T0_E_clISt17integral_constantIbLb1EES16_EEDaS11_S12_EUlS11_E_NS1_11comp_targetILNS1_3genE9ELNS1_11target_archE1100ELNS1_3gpuE3ELNS1_3repE0EEENS1_30default_config_static_selectorELNS0_4arch9wavefront6targetE0EEEvT1_
		.amdhsa_group_segment_fixed_size 18448
		.amdhsa_private_segment_fixed_size 0
		.amdhsa_kernarg_size 128
		.amdhsa_user_sgpr_count 15
		.amdhsa_user_sgpr_dispatch_ptr 0
		.amdhsa_user_sgpr_queue_ptr 0
		.amdhsa_user_sgpr_kernarg_segment_ptr 1
		.amdhsa_user_sgpr_dispatch_id 0
		.amdhsa_user_sgpr_private_segment_size 0
		.amdhsa_wavefront_size32 1
		.amdhsa_uses_dynamic_stack 0
		.amdhsa_enable_private_segment 0
		.amdhsa_system_sgpr_workgroup_id_x 1
		.amdhsa_system_sgpr_workgroup_id_y 0
		.amdhsa_system_sgpr_workgroup_id_z 0
		.amdhsa_system_sgpr_workgroup_info 0
		.amdhsa_system_vgpr_workitem_id 0
		.amdhsa_next_free_vgpr 56
		.amdhsa_next_free_sgpr 18
		.amdhsa_reserve_vcc 1
		.amdhsa_float_round_mode_32 0
		.amdhsa_float_round_mode_16_64 0
		.amdhsa_float_denorm_mode_32 3
		.amdhsa_float_denorm_mode_16_64 3
		.amdhsa_dx10_clamp 1
		.amdhsa_ieee_mode 1
		.amdhsa_fp16_overflow 0
		.amdhsa_workgroup_processor_mode 1
		.amdhsa_memory_ordered 1
		.amdhsa_forward_progress 0
		.amdhsa_shared_vgpr_count 0
		.amdhsa_exception_fp_ieee_invalid_op 0
		.amdhsa_exception_fp_denorm_src 0
		.amdhsa_exception_fp_ieee_div_zero 0
		.amdhsa_exception_fp_ieee_overflow 0
		.amdhsa_exception_fp_ieee_underflow 0
		.amdhsa_exception_fp_ieee_inexact 0
		.amdhsa_exception_int_div_zero 0
	.end_amdhsa_kernel
	.section	.text._ZN7rocprim17ROCPRIM_400000_NS6detail17trampoline_kernelINS0_14default_configENS1_25partition_config_selectorILNS1_17partition_subalgoE6EyNS0_10empty_typeEbEEZZNS1_14partition_implILS5_6ELb0ES3_mN6thrust23THRUST_200600_302600_NS6detail15normal_iteratorINSA_10device_ptrIyEEEEPS6_SG_NS0_5tupleIJSF_S6_EEENSH_IJSG_SG_EEES6_PlJ7is_evenIyEEEE10hipError_tPvRmT3_T4_T5_T6_T7_T9_mT8_P12ihipStream_tbDpT10_ENKUlT_T0_E_clISt17integral_constantIbLb1EES16_EEDaS11_S12_EUlS11_E_NS1_11comp_targetILNS1_3genE9ELNS1_11target_archE1100ELNS1_3gpuE3ELNS1_3repE0EEENS1_30default_config_static_selectorELNS0_4arch9wavefront6targetE0EEEvT1_,"axG",@progbits,_ZN7rocprim17ROCPRIM_400000_NS6detail17trampoline_kernelINS0_14default_configENS1_25partition_config_selectorILNS1_17partition_subalgoE6EyNS0_10empty_typeEbEEZZNS1_14partition_implILS5_6ELb0ES3_mN6thrust23THRUST_200600_302600_NS6detail15normal_iteratorINSA_10device_ptrIyEEEEPS6_SG_NS0_5tupleIJSF_S6_EEENSH_IJSG_SG_EEES6_PlJ7is_evenIyEEEE10hipError_tPvRmT3_T4_T5_T6_T7_T9_mT8_P12ihipStream_tbDpT10_ENKUlT_T0_E_clISt17integral_constantIbLb1EES16_EEDaS11_S12_EUlS11_E_NS1_11comp_targetILNS1_3genE9ELNS1_11target_archE1100ELNS1_3gpuE3ELNS1_3repE0EEENS1_30default_config_static_selectorELNS0_4arch9wavefront6targetE0EEEvT1_,comdat
.Lfunc_end278:
	.size	_ZN7rocprim17ROCPRIM_400000_NS6detail17trampoline_kernelINS0_14default_configENS1_25partition_config_selectorILNS1_17partition_subalgoE6EyNS0_10empty_typeEbEEZZNS1_14partition_implILS5_6ELb0ES3_mN6thrust23THRUST_200600_302600_NS6detail15normal_iteratorINSA_10device_ptrIyEEEEPS6_SG_NS0_5tupleIJSF_S6_EEENSH_IJSG_SG_EEES6_PlJ7is_evenIyEEEE10hipError_tPvRmT3_T4_T5_T6_T7_T9_mT8_P12ihipStream_tbDpT10_ENKUlT_T0_E_clISt17integral_constantIbLb1EES16_EEDaS11_S12_EUlS11_E_NS1_11comp_targetILNS1_3genE9ELNS1_11target_archE1100ELNS1_3gpuE3ELNS1_3repE0EEENS1_30default_config_static_selectorELNS0_4arch9wavefront6targetE0EEEvT1_, .Lfunc_end278-_ZN7rocprim17ROCPRIM_400000_NS6detail17trampoline_kernelINS0_14default_configENS1_25partition_config_selectorILNS1_17partition_subalgoE6EyNS0_10empty_typeEbEEZZNS1_14partition_implILS5_6ELb0ES3_mN6thrust23THRUST_200600_302600_NS6detail15normal_iteratorINSA_10device_ptrIyEEEEPS6_SG_NS0_5tupleIJSF_S6_EEENSH_IJSG_SG_EEES6_PlJ7is_evenIyEEEE10hipError_tPvRmT3_T4_T5_T6_T7_T9_mT8_P12ihipStream_tbDpT10_ENKUlT_T0_E_clISt17integral_constantIbLb1EES16_EEDaS11_S12_EUlS11_E_NS1_11comp_targetILNS1_3genE9ELNS1_11target_archE1100ELNS1_3gpuE3ELNS1_3repE0EEENS1_30default_config_static_selectorELNS0_4arch9wavefront6targetE0EEEvT1_
                                        ; -- End function
	.section	.AMDGPU.csdata,"",@progbits
; Kernel info:
; codeLenInByte = 6752
; NumSgprs: 20
; NumVgprs: 56
; ScratchSize: 0
; MemoryBound: 0
; FloatMode: 240
; IeeeMode: 1
; LDSByteSize: 18448 bytes/workgroup (compile time only)
; SGPRBlocks: 2
; VGPRBlocks: 6
; NumSGPRsForWavesPerEU: 20
; NumVGPRsForWavesPerEU: 56
; Occupancy: 15
; WaveLimiterHint : 1
; COMPUTE_PGM_RSRC2:SCRATCH_EN: 0
; COMPUTE_PGM_RSRC2:USER_SGPR: 15
; COMPUTE_PGM_RSRC2:TRAP_HANDLER: 0
; COMPUTE_PGM_RSRC2:TGID_X_EN: 1
; COMPUTE_PGM_RSRC2:TGID_Y_EN: 0
; COMPUTE_PGM_RSRC2:TGID_Z_EN: 0
; COMPUTE_PGM_RSRC2:TIDIG_COMP_CNT: 0
	.section	.text._ZN7rocprim17ROCPRIM_400000_NS6detail17trampoline_kernelINS0_14default_configENS1_25partition_config_selectorILNS1_17partition_subalgoE6EyNS0_10empty_typeEbEEZZNS1_14partition_implILS5_6ELb0ES3_mN6thrust23THRUST_200600_302600_NS6detail15normal_iteratorINSA_10device_ptrIyEEEEPS6_SG_NS0_5tupleIJSF_S6_EEENSH_IJSG_SG_EEES6_PlJ7is_evenIyEEEE10hipError_tPvRmT3_T4_T5_T6_T7_T9_mT8_P12ihipStream_tbDpT10_ENKUlT_T0_E_clISt17integral_constantIbLb1EES16_EEDaS11_S12_EUlS11_E_NS1_11comp_targetILNS1_3genE8ELNS1_11target_archE1030ELNS1_3gpuE2ELNS1_3repE0EEENS1_30default_config_static_selectorELNS0_4arch9wavefront6targetE0EEEvT1_,"axG",@progbits,_ZN7rocprim17ROCPRIM_400000_NS6detail17trampoline_kernelINS0_14default_configENS1_25partition_config_selectorILNS1_17partition_subalgoE6EyNS0_10empty_typeEbEEZZNS1_14partition_implILS5_6ELb0ES3_mN6thrust23THRUST_200600_302600_NS6detail15normal_iteratorINSA_10device_ptrIyEEEEPS6_SG_NS0_5tupleIJSF_S6_EEENSH_IJSG_SG_EEES6_PlJ7is_evenIyEEEE10hipError_tPvRmT3_T4_T5_T6_T7_T9_mT8_P12ihipStream_tbDpT10_ENKUlT_T0_E_clISt17integral_constantIbLb1EES16_EEDaS11_S12_EUlS11_E_NS1_11comp_targetILNS1_3genE8ELNS1_11target_archE1030ELNS1_3gpuE2ELNS1_3repE0EEENS1_30default_config_static_selectorELNS0_4arch9wavefront6targetE0EEEvT1_,comdat
	.protected	_ZN7rocprim17ROCPRIM_400000_NS6detail17trampoline_kernelINS0_14default_configENS1_25partition_config_selectorILNS1_17partition_subalgoE6EyNS0_10empty_typeEbEEZZNS1_14partition_implILS5_6ELb0ES3_mN6thrust23THRUST_200600_302600_NS6detail15normal_iteratorINSA_10device_ptrIyEEEEPS6_SG_NS0_5tupleIJSF_S6_EEENSH_IJSG_SG_EEES6_PlJ7is_evenIyEEEE10hipError_tPvRmT3_T4_T5_T6_T7_T9_mT8_P12ihipStream_tbDpT10_ENKUlT_T0_E_clISt17integral_constantIbLb1EES16_EEDaS11_S12_EUlS11_E_NS1_11comp_targetILNS1_3genE8ELNS1_11target_archE1030ELNS1_3gpuE2ELNS1_3repE0EEENS1_30default_config_static_selectorELNS0_4arch9wavefront6targetE0EEEvT1_ ; -- Begin function _ZN7rocprim17ROCPRIM_400000_NS6detail17trampoline_kernelINS0_14default_configENS1_25partition_config_selectorILNS1_17partition_subalgoE6EyNS0_10empty_typeEbEEZZNS1_14partition_implILS5_6ELb0ES3_mN6thrust23THRUST_200600_302600_NS6detail15normal_iteratorINSA_10device_ptrIyEEEEPS6_SG_NS0_5tupleIJSF_S6_EEENSH_IJSG_SG_EEES6_PlJ7is_evenIyEEEE10hipError_tPvRmT3_T4_T5_T6_T7_T9_mT8_P12ihipStream_tbDpT10_ENKUlT_T0_E_clISt17integral_constantIbLb1EES16_EEDaS11_S12_EUlS11_E_NS1_11comp_targetILNS1_3genE8ELNS1_11target_archE1030ELNS1_3gpuE2ELNS1_3repE0EEENS1_30default_config_static_selectorELNS0_4arch9wavefront6targetE0EEEvT1_
	.globl	_ZN7rocprim17ROCPRIM_400000_NS6detail17trampoline_kernelINS0_14default_configENS1_25partition_config_selectorILNS1_17partition_subalgoE6EyNS0_10empty_typeEbEEZZNS1_14partition_implILS5_6ELb0ES3_mN6thrust23THRUST_200600_302600_NS6detail15normal_iteratorINSA_10device_ptrIyEEEEPS6_SG_NS0_5tupleIJSF_S6_EEENSH_IJSG_SG_EEES6_PlJ7is_evenIyEEEE10hipError_tPvRmT3_T4_T5_T6_T7_T9_mT8_P12ihipStream_tbDpT10_ENKUlT_T0_E_clISt17integral_constantIbLb1EES16_EEDaS11_S12_EUlS11_E_NS1_11comp_targetILNS1_3genE8ELNS1_11target_archE1030ELNS1_3gpuE2ELNS1_3repE0EEENS1_30default_config_static_selectorELNS0_4arch9wavefront6targetE0EEEvT1_
	.p2align	8
	.type	_ZN7rocprim17ROCPRIM_400000_NS6detail17trampoline_kernelINS0_14default_configENS1_25partition_config_selectorILNS1_17partition_subalgoE6EyNS0_10empty_typeEbEEZZNS1_14partition_implILS5_6ELb0ES3_mN6thrust23THRUST_200600_302600_NS6detail15normal_iteratorINSA_10device_ptrIyEEEEPS6_SG_NS0_5tupleIJSF_S6_EEENSH_IJSG_SG_EEES6_PlJ7is_evenIyEEEE10hipError_tPvRmT3_T4_T5_T6_T7_T9_mT8_P12ihipStream_tbDpT10_ENKUlT_T0_E_clISt17integral_constantIbLb1EES16_EEDaS11_S12_EUlS11_E_NS1_11comp_targetILNS1_3genE8ELNS1_11target_archE1030ELNS1_3gpuE2ELNS1_3repE0EEENS1_30default_config_static_selectorELNS0_4arch9wavefront6targetE0EEEvT1_,@function
_ZN7rocprim17ROCPRIM_400000_NS6detail17trampoline_kernelINS0_14default_configENS1_25partition_config_selectorILNS1_17partition_subalgoE6EyNS0_10empty_typeEbEEZZNS1_14partition_implILS5_6ELb0ES3_mN6thrust23THRUST_200600_302600_NS6detail15normal_iteratorINSA_10device_ptrIyEEEEPS6_SG_NS0_5tupleIJSF_S6_EEENSH_IJSG_SG_EEES6_PlJ7is_evenIyEEEE10hipError_tPvRmT3_T4_T5_T6_T7_T9_mT8_P12ihipStream_tbDpT10_ENKUlT_T0_E_clISt17integral_constantIbLb1EES16_EEDaS11_S12_EUlS11_E_NS1_11comp_targetILNS1_3genE8ELNS1_11target_archE1030ELNS1_3gpuE2ELNS1_3repE0EEENS1_30default_config_static_selectorELNS0_4arch9wavefront6targetE0EEEvT1_: ; @_ZN7rocprim17ROCPRIM_400000_NS6detail17trampoline_kernelINS0_14default_configENS1_25partition_config_selectorILNS1_17partition_subalgoE6EyNS0_10empty_typeEbEEZZNS1_14partition_implILS5_6ELb0ES3_mN6thrust23THRUST_200600_302600_NS6detail15normal_iteratorINSA_10device_ptrIyEEEEPS6_SG_NS0_5tupleIJSF_S6_EEENSH_IJSG_SG_EEES6_PlJ7is_evenIyEEEE10hipError_tPvRmT3_T4_T5_T6_T7_T9_mT8_P12ihipStream_tbDpT10_ENKUlT_T0_E_clISt17integral_constantIbLb1EES16_EEDaS11_S12_EUlS11_E_NS1_11comp_targetILNS1_3genE8ELNS1_11target_archE1030ELNS1_3gpuE2ELNS1_3repE0EEENS1_30default_config_static_selectorELNS0_4arch9wavefront6targetE0EEEvT1_
; %bb.0:
	.section	.rodata,"a",@progbits
	.p2align	6, 0x0
	.amdhsa_kernel _ZN7rocprim17ROCPRIM_400000_NS6detail17trampoline_kernelINS0_14default_configENS1_25partition_config_selectorILNS1_17partition_subalgoE6EyNS0_10empty_typeEbEEZZNS1_14partition_implILS5_6ELb0ES3_mN6thrust23THRUST_200600_302600_NS6detail15normal_iteratorINSA_10device_ptrIyEEEEPS6_SG_NS0_5tupleIJSF_S6_EEENSH_IJSG_SG_EEES6_PlJ7is_evenIyEEEE10hipError_tPvRmT3_T4_T5_T6_T7_T9_mT8_P12ihipStream_tbDpT10_ENKUlT_T0_E_clISt17integral_constantIbLb1EES16_EEDaS11_S12_EUlS11_E_NS1_11comp_targetILNS1_3genE8ELNS1_11target_archE1030ELNS1_3gpuE2ELNS1_3repE0EEENS1_30default_config_static_selectorELNS0_4arch9wavefront6targetE0EEEvT1_
		.amdhsa_group_segment_fixed_size 0
		.amdhsa_private_segment_fixed_size 0
		.amdhsa_kernarg_size 128
		.amdhsa_user_sgpr_count 15
		.amdhsa_user_sgpr_dispatch_ptr 0
		.amdhsa_user_sgpr_queue_ptr 0
		.amdhsa_user_sgpr_kernarg_segment_ptr 1
		.amdhsa_user_sgpr_dispatch_id 0
		.amdhsa_user_sgpr_private_segment_size 0
		.amdhsa_wavefront_size32 1
		.amdhsa_uses_dynamic_stack 0
		.amdhsa_enable_private_segment 0
		.amdhsa_system_sgpr_workgroup_id_x 1
		.amdhsa_system_sgpr_workgroup_id_y 0
		.amdhsa_system_sgpr_workgroup_id_z 0
		.amdhsa_system_sgpr_workgroup_info 0
		.amdhsa_system_vgpr_workitem_id 0
		.amdhsa_next_free_vgpr 1
		.amdhsa_next_free_sgpr 1
		.amdhsa_reserve_vcc 0
		.amdhsa_float_round_mode_32 0
		.amdhsa_float_round_mode_16_64 0
		.amdhsa_float_denorm_mode_32 3
		.amdhsa_float_denorm_mode_16_64 3
		.amdhsa_dx10_clamp 1
		.amdhsa_ieee_mode 1
		.amdhsa_fp16_overflow 0
		.amdhsa_workgroup_processor_mode 1
		.amdhsa_memory_ordered 1
		.amdhsa_forward_progress 0
		.amdhsa_shared_vgpr_count 0
		.amdhsa_exception_fp_ieee_invalid_op 0
		.amdhsa_exception_fp_denorm_src 0
		.amdhsa_exception_fp_ieee_div_zero 0
		.amdhsa_exception_fp_ieee_overflow 0
		.amdhsa_exception_fp_ieee_underflow 0
		.amdhsa_exception_fp_ieee_inexact 0
		.amdhsa_exception_int_div_zero 0
	.end_amdhsa_kernel
	.section	.text._ZN7rocprim17ROCPRIM_400000_NS6detail17trampoline_kernelINS0_14default_configENS1_25partition_config_selectorILNS1_17partition_subalgoE6EyNS0_10empty_typeEbEEZZNS1_14partition_implILS5_6ELb0ES3_mN6thrust23THRUST_200600_302600_NS6detail15normal_iteratorINSA_10device_ptrIyEEEEPS6_SG_NS0_5tupleIJSF_S6_EEENSH_IJSG_SG_EEES6_PlJ7is_evenIyEEEE10hipError_tPvRmT3_T4_T5_T6_T7_T9_mT8_P12ihipStream_tbDpT10_ENKUlT_T0_E_clISt17integral_constantIbLb1EES16_EEDaS11_S12_EUlS11_E_NS1_11comp_targetILNS1_3genE8ELNS1_11target_archE1030ELNS1_3gpuE2ELNS1_3repE0EEENS1_30default_config_static_selectorELNS0_4arch9wavefront6targetE0EEEvT1_,"axG",@progbits,_ZN7rocprim17ROCPRIM_400000_NS6detail17trampoline_kernelINS0_14default_configENS1_25partition_config_selectorILNS1_17partition_subalgoE6EyNS0_10empty_typeEbEEZZNS1_14partition_implILS5_6ELb0ES3_mN6thrust23THRUST_200600_302600_NS6detail15normal_iteratorINSA_10device_ptrIyEEEEPS6_SG_NS0_5tupleIJSF_S6_EEENSH_IJSG_SG_EEES6_PlJ7is_evenIyEEEE10hipError_tPvRmT3_T4_T5_T6_T7_T9_mT8_P12ihipStream_tbDpT10_ENKUlT_T0_E_clISt17integral_constantIbLb1EES16_EEDaS11_S12_EUlS11_E_NS1_11comp_targetILNS1_3genE8ELNS1_11target_archE1030ELNS1_3gpuE2ELNS1_3repE0EEENS1_30default_config_static_selectorELNS0_4arch9wavefront6targetE0EEEvT1_,comdat
.Lfunc_end279:
	.size	_ZN7rocprim17ROCPRIM_400000_NS6detail17trampoline_kernelINS0_14default_configENS1_25partition_config_selectorILNS1_17partition_subalgoE6EyNS0_10empty_typeEbEEZZNS1_14partition_implILS5_6ELb0ES3_mN6thrust23THRUST_200600_302600_NS6detail15normal_iteratorINSA_10device_ptrIyEEEEPS6_SG_NS0_5tupleIJSF_S6_EEENSH_IJSG_SG_EEES6_PlJ7is_evenIyEEEE10hipError_tPvRmT3_T4_T5_T6_T7_T9_mT8_P12ihipStream_tbDpT10_ENKUlT_T0_E_clISt17integral_constantIbLb1EES16_EEDaS11_S12_EUlS11_E_NS1_11comp_targetILNS1_3genE8ELNS1_11target_archE1030ELNS1_3gpuE2ELNS1_3repE0EEENS1_30default_config_static_selectorELNS0_4arch9wavefront6targetE0EEEvT1_, .Lfunc_end279-_ZN7rocprim17ROCPRIM_400000_NS6detail17trampoline_kernelINS0_14default_configENS1_25partition_config_selectorILNS1_17partition_subalgoE6EyNS0_10empty_typeEbEEZZNS1_14partition_implILS5_6ELb0ES3_mN6thrust23THRUST_200600_302600_NS6detail15normal_iteratorINSA_10device_ptrIyEEEEPS6_SG_NS0_5tupleIJSF_S6_EEENSH_IJSG_SG_EEES6_PlJ7is_evenIyEEEE10hipError_tPvRmT3_T4_T5_T6_T7_T9_mT8_P12ihipStream_tbDpT10_ENKUlT_T0_E_clISt17integral_constantIbLb1EES16_EEDaS11_S12_EUlS11_E_NS1_11comp_targetILNS1_3genE8ELNS1_11target_archE1030ELNS1_3gpuE2ELNS1_3repE0EEENS1_30default_config_static_selectorELNS0_4arch9wavefront6targetE0EEEvT1_
                                        ; -- End function
	.section	.AMDGPU.csdata,"",@progbits
; Kernel info:
; codeLenInByte = 0
; NumSgprs: 0
; NumVgprs: 0
; ScratchSize: 0
; MemoryBound: 0
; FloatMode: 240
; IeeeMode: 1
; LDSByteSize: 0 bytes/workgroup (compile time only)
; SGPRBlocks: 0
; VGPRBlocks: 0
; NumSGPRsForWavesPerEU: 1
; NumVGPRsForWavesPerEU: 1
; Occupancy: 16
; WaveLimiterHint : 0
; COMPUTE_PGM_RSRC2:SCRATCH_EN: 0
; COMPUTE_PGM_RSRC2:USER_SGPR: 15
; COMPUTE_PGM_RSRC2:TRAP_HANDLER: 0
; COMPUTE_PGM_RSRC2:TGID_X_EN: 1
; COMPUTE_PGM_RSRC2:TGID_Y_EN: 0
; COMPUTE_PGM_RSRC2:TGID_Z_EN: 0
; COMPUTE_PGM_RSRC2:TIDIG_COMP_CNT: 0
	.section	.text._ZN7rocprim17ROCPRIM_400000_NS6detail17trampoline_kernelINS0_14default_configENS1_25partition_config_selectorILNS1_17partition_subalgoE6EyNS0_10empty_typeEbEEZZNS1_14partition_implILS5_6ELb0ES3_mN6thrust23THRUST_200600_302600_NS6detail15normal_iteratorINSA_10device_ptrIyEEEEPS6_SG_NS0_5tupleIJSF_S6_EEENSH_IJSG_SG_EEES6_PlJ7is_evenIyEEEE10hipError_tPvRmT3_T4_T5_T6_T7_T9_mT8_P12ihipStream_tbDpT10_ENKUlT_T0_E_clISt17integral_constantIbLb1EES15_IbLb0EEEEDaS11_S12_EUlS11_E_NS1_11comp_targetILNS1_3genE0ELNS1_11target_archE4294967295ELNS1_3gpuE0ELNS1_3repE0EEENS1_30default_config_static_selectorELNS0_4arch9wavefront6targetE0EEEvT1_,"axG",@progbits,_ZN7rocprim17ROCPRIM_400000_NS6detail17trampoline_kernelINS0_14default_configENS1_25partition_config_selectorILNS1_17partition_subalgoE6EyNS0_10empty_typeEbEEZZNS1_14partition_implILS5_6ELb0ES3_mN6thrust23THRUST_200600_302600_NS6detail15normal_iteratorINSA_10device_ptrIyEEEEPS6_SG_NS0_5tupleIJSF_S6_EEENSH_IJSG_SG_EEES6_PlJ7is_evenIyEEEE10hipError_tPvRmT3_T4_T5_T6_T7_T9_mT8_P12ihipStream_tbDpT10_ENKUlT_T0_E_clISt17integral_constantIbLb1EES15_IbLb0EEEEDaS11_S12_EUlS11_E_NS1_11comp_targetILNS1_3genE0ELNS1_11target_archE4294967295ELNS1_3gpuE0ELNS1_3repE0EEENS1_30default_config_static_selectorELNS0_4arch9wavefront6targetE0EEEvT1_,comdat
	.protected	_ZN7rocprim17ROCPRIM_400000_NS6detail17trampoline_kernelINS0_14default_configENS1_25partition_config_selectorILNS1_17partition_subalgoE6EyNS0_10empty_typeEbEEZZNS1_14partition_implILS5_6ELb0ES3_mN6thrust23THRUST_200600_302600_NS6detail15normal_iteratorINSA_10device_ptrIyEEEEPS6_SG_NS0_5tupleIJSF_S6_EEENSH_IJSG_SG_EEES6_PlJ7is_evenIyEEEE10hipError_tPvRmT3_T4_T5_T6_T7_T9_mT8_P12ihipStream_tbDpT10_ENKUlT_T0_E_clISt17integral_constantIbLb1EES15_IbLb0EEEEDaS11_S12_EUlS11_E_NS1_11comp_targetILNS1_3genE0ELNS1_11target_archE4294967295ELNS1_3gpuE0ELNS1_3repE0EEENS1_30default_config_static_selectorELNS0_4arch9wavefront6targetE0EEEvT1_ ; -- Begin function _ZN7rocprim17ROCPRIM_400000_NS6detail17trampoline_kernelINS0_14default_configENS1_25partition_config_selectorILNS1_17partition_subalgoE6EyNS0_10empty_typeEbEEZZNS1_14partition_implILS5_6ELb0ES3_mN6thrust23THRUST_200600_302600_NS6detail15normal_iteratorINSA_10device_ptrIyEEEEPS6_SG_NS0_5tupleIJSF_S6_EEENSH_IJSG_SG_EEES6_PlJ7is_evenIyEEEE10hipError_tPvRmT3_T4_T5_T6_T7_T9_mT8_P12ihipStream_tbDpT10_ENKUlT_T0_E_clISt17integral_constantIbLb1EES15_IbLb0EEEEDaS11_S12_EUlS11_E_NS1_11comp_targetILNS1_3genE0ELNS1_11target_archE4294967295ELNS1_3gpuE0ELNS1_3repE0EEENS1_30default_config_static_selectorELNS0_4arch9wavefront6targetE0EEEvT1_
	.globl	_ZN7rocprim17ROCPRIM_400000_NS6detail17trampoline_kernelINS0_14default_configENS1_25partition_config_selectorILNS1_17partition_subalgoE6EyNS0_10empty_typeEbEEZZNS1_14partition_implILS5_6ELb0ES3_mN6thrust23THRUST_200600_302600_NS6detail15normal_iteratorINSA_10device_ptrIyEEEEPS6_SG_NS0_5tupleIJSF_S6_EEENSH_IJSG_SG_EEES6_PlJ7is_evenIyEEEE10hipError_tPvRmT3_T4_T5_T6_T7_T9_mT8_P12ihipStream_tbDpT10_ENKUlT_T0_E_clISt17integral_constantIbLb1EES15_IbLb0EEEEDaS11_S12_EUlS11_E_NS1_11comp_targetILNS1_3genE0ELNS1_11target_archE4294967295ELNS1_3gpuE0ELNS1_3repE0EEENS1_30default_config_static_selectorELNS0_4arch9wavefront6targetE0EEEvT1_
	.p2align	8
	.type	_ZN7rocprim17ROCPRIM_400000_NS6detail17trampoline_kernelINS0_14default_configENS1_25partition_config_selectorILNS1_17partition_subalgoE6EyNS0_10empty_typeEbEEZZNS1_14partition_implILS5_6ELb0ES3_mN6thrust23THRUST_200600_302600_NS6detail15normal_iteratorINSA_10device_ptrIyEEEEPS6_SG_NS0_5tupleIJSF_S6_EEENSH_IJSG_SG_EEES6_PlJ7is_evenIyEEEE10hipError_tPvRmT3_T4_T5_T6_T7_T9_mT8_P12ihipStream_tbDpT10_ENKUlT_T0_E_clISt17integral_constantIbLb1EES15_IbLb0EEEEDaS11_S12_EUlS11_E_NS1_11comp_targetILNS1_3genE0ELNS1_11target_archE4294967295ELNS1_3gpuE0ELNS1_3repE0EEENS1_30default_config_static_selectorELNS0_4arch9wavefront6targetE0EEEvT1_,@function
_ZN7rocprim17ROCPRIM_400000_NS6detail17trampoline_kernelINS0_14default_configENS1_25partition_config_selectorILNS1_17partition_subalgoE6EyNS0_10empty_typeEbEEZZNS1_14partition_implILS5_6ELb0ES3_mN6thrust23THRUST_200600_302600_NS6detail15normal_iteratorINSA_10device_ptrIyEEEEPS6_SG_NS0_5tupleIJSF_S6_EEENSH_IJSG_SG_EEES6_PlJ7is_evenIyEEEE10hipError_tPvRmT3_T4_T5_T6_T7_T9_mT8_P12ihipStream_tbDpT10_ENKUlT_T0_E_clISt17integral_constantIbLb1EES15_IbLb0EEEEDaS11_S12_EUlS11_E_NS1_11comp_targetILNS1_3genE0ELNS1_11target_archE4294967295ELNS1_3gpuE0ELNS1_3repE0EEENS1_30default_config_static_selectorELNS0_4arch9wavefront6targetE0EEEvT1_: ; @_ZN7rocprim17ROCPRIM_400000_NS6detail17trampoline_kernelINS0_14default_configENS1_25partition_config_selectorILNS1_17partition_subalgoE6EyNS0_10empty_typeEbEEZZNS1_14partition_implILS5_6ELb0ES3_mN6thrust23THRUST_200600_302600_NS6detail15normal_iteratorINSA_10device_ptrIyEEEEPS6_SG_NS0_5tupleIJSF_S6_EEENSH_IJSG_SG_EEES6_PlJ7is_evenIyEEEE10hipError_tPvRmT3_T4_T5_T6_T7_T9_mT8_P12ihipStream_tbDpT10_ENKUlT_T0_E_clISt17integral_constantIbLb1EES15_IbLb0EEEEDaS11_S12_EUlS11_E_NS1_11comp_targetILNS1_3genE0ELNS1_11target_archE4294967295ELNS1_3gpuE0ELNS1_3repE0EEENS1_30default_config_static_selectorELNS0_4arch9wavefront6targetE0EEEvT1_
; %bb.0:
	.section	.rodata,"a",@progbits
	.p2align	6, 0x0
	.amdhsa_kernel _ZN7rocprim17ROCPRIM_400000_NS6detail17trampoline_kernelINS0_14default_configENS1_25partition_config_selectorILNS1_17partition_subalgoE6EyNS0_10empty_typeEbEEZZNS1_14partition_implILS5_6ELb0ES3_mN6thrust23THRUST_200600_302600_NS6detail15normal_iteratorINSA_10device_ptrIyEEEEPS6_SG_NS0_5tupleIJSF_S6_EEENSH_IJSG_SG_EEES6_PlJ7is_evenIyEEEE10hipError_tPvRmT3_T4_T5_T6_T7_T9_mT8_P12ihipStream_tbDpT10_ENKUlT_T0_E_clISt17integral_constantIbLb1EES15_IbLb0EEEEDaS11_S12_EUlS11_E_NS1_11comp_targetILNS1_3genE0ELNS1_11target_archE4294967295ELNS1_3gpuE0ELNS1_3repE0EEENS1_30default_config_static_selectorELNS0_4arch9wavefront6targetE0EEEvT1_
		.amdhsa_group_segment_fixed_size 0
		.amdhsa_private_segment_fixed_size 0
		.amdhsa_kernarg_size 112
		.amdhsa_user_sgpr_count 15
		.amdhsa_user_sgpr_dispatch_ptr 0
		.amdhsa_user_sgpr_queue_ptr 0
		.amdhsa_user_sgpr_kernarg_segment_ptr 1
		.amdhsa_user_sgpr_dispatch_id 0
		.amdhsa_user_sgpr_private_segment_size 0
		.amdhsa_wavefront_size32 1
		.amdhsa_uses_dynamic_stack 0
		.amdhsa_enable_private_segment 0
		.amdhsa_system_sgpr_workgroup_id_x 1
		.amdhsa_system_sgpr_workgroup_id_y 0
		.amdhsa_system_sgpr_workgroup_id_z 0
		.amdhsa_system_sgpr_workgroup_info 0
		.amdhsa_system_vgpr_workitem_id 0
		.amdhsa_next_free_vgpr 1
		.amdhsa_next_free_sgpr 1
		.amdhsa_reserve_vcc 0
		.amdhsa_float_round_mode_32 0
		.amdhsa_float_round_mode_16_64 0
		.amdhsa_float_denorm_mode_32 3
		.amdhsa_float_denorm_mode_16_64 3
		.amdhsa_dx10_clamp 1
		.amdhsa_ieee_mode 1
		.amdhsa_fp16_overflow 0
		.amdhsa_workgroup_processor_mode 1
		.amdhsa_memory_ordered 1
		.amdhsa_forward_progress 0
		.amdhsa_shared_vgpr_count 0
		.amdhsa_exception_fp_ieee_invalid_op 0
		.amdhsa_exception_fp_denorm_src 0
		.amdhsa_exception_fp_ieee_div_zero 0
		.amdhsa_exception_fp_ieee_overflow 0
		.amdhsa_exception_fp_ieee_underflow 0
		.amdhsa_exception_fp_ieee_inexact 0
		.amdhsa_exception_int_div_zero 0
	.end_amdhsa_kernel
	.section	.text._ZN7rocprim17ROCPRIM_400000_NS6detail17trampoline_kernelINS0_14default_configENS1_25partition_config_selectorILNS1_17partition_subalgoE6EyNS0_10empty_typeEbEEZZNS1_14partition_implILS5_6ELb0ES3_mN6thrust23THRUST_200600_302600_NS6detail15normal_iteratorINSA_10device_ptrIyEEEEPS6_SG_NS0_5tupleIJSF_S6_EEENSH_IJSG_SG_EEES6_PlJ7is_evenIyEEEE10hipError_tPvRmT3_T4_T5_T6_T7_T9_mT8_P12ihipStream_tbDpT10_ENKUlT_T0_E_clISt17integral_constantIbLb1EES15_IbLb0EEEEDaS11_S12_EUlS11_E_NS1_11comp_targetILNS1_3genE0ELNS1_11target_archE4294967295ELNS1_3gpuE0ELNS1_3repE0EEENS1_30default_config_static_selectorELNS0_4arch9wavefront6targetE0EEEvT1_,"axG",@progbits,_ZN7rocprim17ROCPRIM_400000_NS6detail17trampoline_kernelINS0_14default_configENS1_25partition_config_selectorILNS1_17partition_subalgoE6EyNS0_10empty_typeEbEEZZNS1_14partition_implILS5_6ELb0ES3_mN6thrust23THRUST_200600_302600_NS6detail15normal_iteratorINSA_10device_ptrIyEEEEPS6_SG_NS0_5tupleIJSF_S6_EEENSH_IJSG_SG_EEES6_PlJ7is_evenIyEEEE10hipError_tPvRmT3_T4_T5_T6_T7_T9_mT8_P12ihipStream_tbDpT10_ENKUlT_T0_E_clISt17integral_constantIbLb1EES15_IbLb0EEEEDaS11_S12_EUlS11_E_NS1_11comp_targetILNS1_3genE0ELNS1_11target_archE4294967295ELNS1_3gpuE0ELNS1_3repE0EEENS1_30default_config_static_selectorELNS0_4arch9wavefront6targetE0EEEvT1_,comdat
.Lfunc_end280:
	.size	_ZN7rocprim17ROCPRIM_400000_NS6detail17trampoline_kernelINS0_14default_configENS1_25partition_config_selectorILNS1_17partition_subalgoE6EyNS0_10empty_typeEbEEZZNS1_14partition_implILS5_6ELb0ES3_mN6thrust23THRUST_200600_302600_NS6detail15normal_iteratorINSA_10device_ptrIyEEEEPS6_SG_NS0_5tupleIJSF_S6_EEENSH_IJSG_SG_EEES6_PlJ7is_evenIyEEEE10hipError_tPvRmT3_T4_T5_T6_T7_T9_mT8_P12ihipStream_tbDpT10_ENKUlT_T0_E_clISt17integral_constantIbLb1EES15_IbLb0EEEEDaS11_S12_EUlS11_E_NS1_11comp_targetILNS1_3genE0ELNS1_11target_archE4294967295ELNS1_3gpuE0ELNS1_3repE0EEENS1_30default_config_static_selectorELNS0_4arch9wavefront6targetE0EEEvT1_, .Lfunc_end280-_ZN7rocprim17ROCPRIM_400000_NS6detail17trampoline_kernelINS0_14default_configENS1_25partition_config_selectorILNS1_17partition_subalgoE6EyNS0_10empty_typeEbEEZZNS1_14partition_implILS5_6ELb0ES3_mN6thrust23THRUST_200600_302600_NS6detail15normal_iteratorINSA_10device_ptrIyEEEEPS6_SG_NS0_5tupleIJSF_S6_EEENSH_IJSG_SG_EEES6_PlJ7is_evenIyEEEE10hipError_tPvRmT3_T4_T5_T6_T7_T9_mT8_P12ihipStream_tbDpT10_ENKUlT_T0_E_clISt17integral_constantIbLb1EES15_IbLb0EEEEDaS11_S12_EUlS11_E_NS1_11comp_targetILNS1_3genE0ELNS1_11target_archE4294967295ELNS1_3gpuE0ELNS1_3repE0EEENS1_30default_config_static_selectorELNS0_4arch9wavefront6targetE0EEEvT1_
                                        ; -- End function
	.section	.AMDGPU.csdata,"",@progbits
; Kernel info:
; codeLenInByte = 0
; NumSgprs: 0
; NumVgprs: 0
; ScratchSize: 0
; MemoryBound: 0
; FloatMode: 240
; IeeeMode: 1
; LDSByteSize: 0 bytes/workgroup (compile time only)
; SGPRBlocks: 0
; VGPRBlocks: 0
; NumSGPRsForWavesPerEU: 1
; NumVGPRsForWavesPerEU: 1
; Occupancy: 16
; WaveLimiterHint : 0
; COMPUTE_PGM_RSRC2:SCRATCH_EN: 0
; COMPUTE_PGM_RSRC2:USER_SGPR: 15
; COMPUTE_PGM_RSRC2:TRAP_HANDLER: 0
; COMPUTE_PGM_RSRC2:TGID_X_EN: 1
; COMPUTE_PGM_RSRC2:TGID_Y_EN: 0
; COMPUTE_PGM_RSRC2:TGID_Z_EN: 0
; COMPUTE_PGM_RSRC2:TIDIG_COMP_CNT: 0
	.section	.text._ZN7rocprim17ROCPRIM_400000_NS6detail17trampoline_kernelINS0_14default_configENS1_25partition_config_selectorILNS1_17partition_subalgoE6EyNS0_10empty_typeEbEEZZNS1_14partition_implILS5_6ELb0ES3_mN6thrust23THRUST_200600_302600_NS6detail15normal_iteratorINSA_10device_ptrIyEEEEPS6_SG_NS0_5tupleIJSF_S6_EEENSH_IJSG_SG_EEES6_PlJ7is_evenIyEEEE10hipError_tPvRmT3_T4_T5_T6_T7_T9_mT8_P12ihipStream_tbDpT10_ENKUlT_T0_E_clISt17integral_constantIbLb1EES15_IbLb0EEEEDaS11_S12_EUlS11_E_NS1_11comp_targetILNS1_3genE5ELNS1_11target_archE942ELNS1_3gpuE9ELNS1_3repE0EEENS1_30default_config_static_selectorELNS0_4arch9wavefront6targetE0EEEvT1_,"axG",@progbits,_ZN7rocprim17ROCPRIM_400000_NS6detail17trampoline_kernelINS0_14default_configENS1_25partition_config_selectorILNS1_17partition_subalgoE6EyNS0_10empty_typeEbEEZZNS1_14partition_implILS5_6ELb0ES3_mN6thrust23THRUST_200600_302600_NS6detail15normal_iteratorINSA_10device_ptrIyEEEEPS6_SG_NS0_5tupleIJSF_S6_EEENSH_IJSG_SG_EEES6_PlJ7is_evenIyEEEE10hipError_tPvRmT3_T4_T5_T6_T7_T9_mT8_P12ihipStream_tbDpT10_ENKUlT_T0_E_clISt17integral_constantIbLb1EES15_IbLb0EEEEDaS11_S12_EUlS11_E_NS1_11comp_targetILNS1_3genE5ELNS1_11target_archE942ELNS1_3gpuE9ELNS1_3repE0EEENS1_30default_config_static_selectorELNS0_4arch9wavefront6targetE0EEEvT1_,comdat
	.protected	_ZN7rocprim17ROCPRIM_400000_NS6detail17trampoline_kernelINS0_14default_configENS1_25partition_config_selectorILNS1_17partition_subalgoE6EyNS0_10empty_typeEbEEZZNS1_14partition_implILS5_6ELb0ES3_mN6thrust23THRUST_200600_302600_NS6detail15normal_iteratorINSA_10device_ptrIyEEEEPS6_SG_NS0_5tupleIJSF_S6_EEENSH_IJSG_SG_EEES6_PlJ7is_evenIyEEEE10hipError_tPvRmT3_T4_T5_T6_T7_T9_mT8_P12ihipStream_tbDpT10_ENKUlT_T0_E_clISt17integral_constantIbLb1EES15_IbLb0EEEEDaS11_S12_EUlS11_E_NS1_11comp_targetILNS1_3genE5ELNS1_11target_archE942ELNS1_3gpuE9ELNS1_3repE0EEENS1_30default_config_static_selectorELNS0_4arch9wavefront6targetE0EEEvT1_ ; -- Begin function _ZN7rocprim17ROCPRIM_400000_NS6detail17trampoline_kernelINS0_14default_configENS1_25partition_config_selectorILNS1_17partition_subalgoE6EyNS0_10empty_typeEbEEZZNS1_14partition_implILS5_6ELb0ES3_mN6thrust23THRUST_200600_302600_NS6detail15normal_iteratorINSA_10device_ptrIyEEEEPS6_SG_NS0_5tupleIJSF_S6_EEENSH_IJSG_SG_EEES6_PlJ7is_evenIyEEEE10hipError_tPvRmT3_T4_T5_T6_T7_T9_mT8_P12ihipStream_tbDpT10_ENKUlT_T0_E_clISt17integral_constantIbLb1EES15_IbLb0EEEEDaS11_S12_EUlS11_E_NS1_11comp_targetILNS1_3genE5ELNS1_11target_archE942ELNS1_3gpuE9ELNS1_3repE0EEENS1_30default_config_static_selectorELNS0_4arch9wavefront6targetE0EEEvT1_
	.globl	_ZN7rocprim17ROCPRIM_400000_NS6detail17trampoline_kernelINS0_14default_configENS1_25partition_config_selectorILNS1_17partition_subalgoE6EyNS0_10empty_typeEbEEZZNS1_14partition_implILS5_6ELb0ES3_mN6thrust23THRUST_200600_302600_NS6detail15normal_iteratorINSA_10device_ptrIyEEEEPS6_SG_NS0_5tupleIJSF_S6_EEENSH_IJSG_SG_EEES6_PlJ7is_evenIyEEEE10hipError_tPvRmT3_T4_T5_T6_T7_T9_mT8_P12ihipStream_tbDpT10_ENKUlT_T0_E_clISt17integral_constantIbLb1EES15_IbLb0EEEEDaS11_S12_EUlS11_E_NS1_11comp_targetILNS1_3genE5ELNS1_11target_archE942ELNS1_3gpuE9ELNS1_3repE0EEENS1_30default_config_static_selectorELNS0_4arch9wavefront6targetE0EEEvT1_
	.p2align	8
	.type	_ZN7rocprim17ROCPRIM_400000_NS6detail17trampoline_kernelINS0_14default_configENS1_25partition_config_selectorILNS1_17partition_subalgoE6EyNS0_10empty_typeEbEEZZNS1_14partition_implILS5_6ELb0ES3_mN6thrust23THRUST_200600_302600_NS6detail15normal_iteratorINSA_10device_ptrIyEEEEPS6_SG_NS0_5tupleIJSF_S6_EEENSH_IJSG_SG_EEES6_PlJ7is_evenIyEEEE10hipError_tPvRmT3_T4_T5_T6_T7_T9_mT8_P12ihipStream_tbDpT10_ENKUlT_T0_E_clISt17integral_constantIbLb1EES15_IbLb0EEEEDaS11_S12_EUlS11_E_NS1_11comp_targetILNS1_3genE5ELNS1_11target_archE942ELNS1_3gpuE9ELNS1_3repE0EEENS1_30default_config_static_selectorELNS0_4arch9wavefront6targetE0EEEvT1_,@function
_ZN7rocprim17ROCPRIM_400000_NS6detail17trampoline_kernelINS0_14default_configENS1_25partition_config_selectorILNS1_17partition_subalgoE6EyNS0_10empty_typeEbEEZZNS1_14partition_implILS5_6ELb0ES3_mN6thrust23THRUST_200600_302600_NS6detail15normal_iteratorINSA_10device_ptrIyEEEEPS6_SG_NS0_5tupleIJSF_S6_EEENSH_IJSG_SG_EEES6_PlJ7is_evenIyEEEE10hipError_tPvRmT3_T4_T5_T6_T7_T9_mT8_P12ihipStream_tbDpT10_ENKUlT_T0_E_clISt17integral_constantIbLb1EES15_IbLb0EEEEDaS11_S12_EUlS11_E_NS1_11comp_targetILNS1_3genE5ELNS1_11target_archE942ELNS1_3gpuE9ELNS1_3repE0EEENS1_30default_config_static_selectorELNS0_4arch9wavefront6targetE0EEEvT1_: ; @_ZN7rocprim17ROCPRIM_400000_NS6detail17trampoline_kernelINS0_14default_configENS1_25partition_config_selectorILNS1_17partition_subalgoE6EyNS0_10empty_typeEbEEZZNS1_14partition_implILS5_6ELb0ES3_mN6thrust23THRUST_200600_302600_NS6detail15normal_iteratorINSA_10device_ptrIyEEEEPS6_SG_NS0_5tupleIJSF_S6_EEENSH_IJSG_SG_EEES6_PlJ7is_evenIyEEEE10hipError_tPvRmT3_T4_T5_T6_T7_T9_mT8_P12ihipStream_tbDpT10_ENKUlT_T0_E_clISt17integral_constantIbLb1EES15_IbLb0EEEEDaS11_S12_EUlS11_E_NS1_11comp_targetILNS1_3genE5ELNS1_11target_archE942ELNS1_3gpuE9ELNS1_3repE0EEENS1_30default_config_static_selectorELNS0_4arch9wavefront6targetE0EEEvT1_
; %bb.0:
	.section	.rodata,"a",@progbits
	.p2align	6, 0x0
	.amdhsa_kernel _ZN7rocprim17ROCPRIM_400000_NS6detail17trampoline_kernelINS0_14default_configENS1_25partition_config_selectorILNS1_17partition_subalgoE6EyNS0_10empty_typeEbEEZZNS1_14partition_implILS5_6ELb0ES3_mN6thrust23THRUST_200600_302600_NS6detail15normal_iteratorINSA_10device_ptrIyEEEEPS6_SG_NS0_5tupleIJSF_S6_EEENSH_IJSG_SG_EEES6_PlJ7is_evenIyEEEE10hipError_tPvRmT3_T4_T5_T6_T7_T9_mT8_P12ihipStream_tbDpT10_ENKUlT_T0_E_clISt17integral_constantIbLb1EES15_IbLb0EEEEDaS11_S12_EUlS11_E_NS1_11comp_targetILNS1_3genE5ELNS1_11target_archE942ELNS1_3gpuE9ELNS1_3repE0EEENS1_30default_config_static_selectorELNS0_4arch9wavefront6targetE0EEEvT1_
		.amdhsa_group_segment_fixed_size 0
		.amdhsa_private_segment_fixed_size 0
		.amdhsa_kernarg_size 112
		.amdhsa_user_sgpr_count 15
		.amdhsa_user_sgpr_dispatch_ptr 0
		.amdhsa_user_sgpr_queue_ptr 0
		.amdhsa_user_sgpr_kernarg_segment_ptr 1
		.amdhsa_user_sgpr_dispatch_id 0
		.amdhsa_user_sgpr_private_segment_size 0
		.amdhsa_wavefront_size32 1
		.amdhsa_uses_dynamic_stack 0
		.amdhsa_enable_private_segment 0
		.amdhsa_system_sgpr_workgroup_id_x 1
		.amdhsa_system_sgpr_workgroup_id_y 0
		.amdhsa_system_sgpr_workgroup_id_z 0
		.amdhsa_system_sgpr_workgroup_info 0
		.amdhsa_system_vgpr_workitem_id 0
		.amdhsa_next_free_vgpr 1
		.amdhsa_next_free_sgpr 1
		.amdhsa_reserve_vcc 0
		.amdhsa_float_round_mode_32 0
		.amdhsa_float_round_mode_16_64 0
		.amdhsa_float_denorm_mode_32 3
		.amdhsa_float_denorm_mode_16_64 3
		.amdhsa_dx10_clamp 1
		.amdhsa_ieee_mode 1
		.amdhsa_fp16_overflow 0
		.amdhsa_workgroup_processor_mode 1
		.amdhsa_memory_ordered 1
		.amdhsa_forward_progress 0
		.amdhsa_shared_vgpr_count 0
		.amdhsa_exception_fp_ieee_invalid_op 0
		.amdhsa_exception_fp_denorm_src 0
		.amdhsa_exception_fp_ieee_div_zero 0
		.amdhsa_exception_fp_ieee_overflow 0
		.amdhsa_exception_fp_ieee_underflow 0
		.amdhsa_exception_fp_ieee_inexact 0
		.amdhsa_exception_int_div_zero 0
	.end_amdhsa_kernel
	.section	.text._ZN7rocprim17ROCPRIM_400000_NS6detail17trampoline_kernelINS0_14default_configENS1_25partition_config_selectorILNS1_17partition_subalgoE6EyNS0_10empty_typeEbEEZZNS1_14partition_implILS5_6ELb0ES3_mN6thrust23THRUST_200600_302600_NS6detail15normal_iteratorINSA_10device_ptrIyEEEEPS6_SG_NS0_5tupleIJSF_S6_EEENSH_IJSG_SG_EEES6_PlJ7is_evenIyEEEE10hipError_tPvRmT3_T4_T5_T6_T7_T9_mT8_P12ihipStream_tbDpT10_ENKUlT_T0_E_clISt17integral_constantIbLb1EES15_IbLb0EEEEDaS11_S12_EUlS11_E_NS1_11comp_targetILNS1_3genE5ELNS1_11target_archE942ELNS1_3gpuE9ELNS1_3repE0EEENS1_30default_config_static_selectorELNS0_4arch9wavefront6targetE0EEEvT1_,"axG",@progbits,_ZN7rocprim17ROCPRIM_400000_NS6detail17trampoline_kernelINS0_14default_configENS1_25partition_config_selectorILNS1_17partition_subalgoE6EyNS0_10empty_typeEbEEZZNS1_14partition_implILS5_6ELb0ES3_mN6thrust23THRUST_200600_302600_NS6detail15normal_iteratorINSA_10device_ptrIyEEEEPS6_SG_NS0_5tupleIJSF_S6_EEENSH_IJSG_SG_EEES6_PlJ7is_evenIyEEEE10hipError_tPvRmT3_T4_T5_T6_T7_T9_mT8_P12ihipStream_tbDpT10_ENKUlT_T0_E_clISt17integral_constantIbLb1EES15_IbLb0EEEEDaS11_S12_EUlS11_E_NS1_11comp_targetILNS1_3genE5ELNS1_11target_archE942ELNS1_3gpuE9ELNS1_3repE0EEENS1_30default_config_static_selectorELNS0_4arch9wavefront6targetE0EEEvT1_,comdat
.Lfunc_end281:
	.size	_ZN7rocprim17ROCPRIM_400000_NS6detail17trampoline_kernelINS0_14default_configENS1_25partition_config_selectorILNS1_17partition_subalgoE6EyNS0_10empty_typeEbEEZZNS1_14partition_implILS5_6ELb0ES3_mN6thrust23THRUST_200600_302600_NS6detail15normal_iteratorINSA_10device_ptrIyEEEEPS6_SG_NS0_5tupleIJSF_S6_EEENSH_IJSG_SG_EEES6_PlJ7is_evenIyEEEE10hipError_tPvRmT3_T4_T5_T6_T7_T9_mT8_P12ihipStream_tbDpT10_ENKUlT_T0_E_clISt17integral_constantIbLb1EES15_IbLb0EEEEDaS11_S12_EUlS11_E_NS1_11comp_targetILNS1_3genE5ELNS1_11target_archE942ELNS1_3gpuE9ELNS1_3repE0EEENS1_30default_config_static_selectorELNS0_4arch9wavefront6targetE0EEEvT1_, .Lfunc_end281-_ZN7rocprim17ROCPRIM_400000_NS6detail17trampoline_kernelINS0_14default_configENS1_25partition_config_selectorILNS1_17partition_subalgoE6EyNS0_10empty_typeEbEEZZNS1_14partition_implILS5_6ELb0ES3_mN6thrust23THRUST_200600_302600_NS6detail15normal_iteratorINSA_10device_ptrIyEEEEPS6_SG_NS0_5tupleIJSF_S6_EEENSH_IJSG_SG_EEES6_PlJ7is_evenIyEEEE10hipError_tPvRmT3_T4_T5_T6_T7_T9_mT8_P12ihipStream_tbDpT10_ENKUlT_T0_E_clISt17integral_constantIbLb1EES15_IbLb0EEEEDaS11_S12_EUlS11_E_NS1_11comp_targetILNS1_3genE5ELNS1_11target_archE942ELNS1_3gpuE9ELNS1_3repE0EEENS1_30default_config_static_selectorELNS0_4arch9wavefront6targetE0EEEvT1_
                                        ; -- End function
	.section	.AMDGPU.csdata,"",@progbits
; Kernel info:
; codeLenInByte = 0
; NumSgprs: 0
; NumVgprs: 0
; ScratchSize: 0
; MemoryBound: 0
; FloatMode: 240
; IeeeMode: 1
; LDSByteSize: 0 bytes/workgroup (compile time only)
; SGPRBlocks: 0
; VGPRBlocks: 0
; NumSGPRsForWavesPerEU: 1
; NumVGPRsForWavesPerEU: 1
; Occupancy: 16
; WaveLimiterHint : 0
; COMPUTE_PGM_RSRC2:SCRATCH_EN: 0
; COMPUTE_PGM_RSRC2:USER_SGPR: 15
; COMPUTE_PGM_RSRC2:TRAP_HANDLER: 0
; COMPUTE_PGM_RSRC2:TGID_X_EN: 1
; COMPUTE_PGM_RSRC2:TGID_Y_EN: 0
; COMPUTE_PGM_RSRC2:TGID_Z_EN: 0
; COMPUTE_PGM_RSRC2:TIDIG_COMP_CNT: 0
	.section	.text._ZN7rocprim17ROCPRIM_400000_NS6detail17trampoline_kernelINS0_14default_configENS1_25partition_config_selectorILNS1_17partition_subalgoE6EyNS0_10empty_typeEbEEZZNS1_14partition_implILS5_6ELb0ES3_mN6thrust23THRUST_200600_302600_NS6detail15normal_iteratorINSA_10device_ptrIyEEEEPS6_SG_NS0_5tupleIJSF_S6_EEENSH_IJSG_SG_EEES6_PlJ7is_evenIyEEEE10hipError_tPvRmT3_T4_T5_T6_T7_T9_mT8_P12ihipStream_tbDpT10_ENKUlT_T0_E_clISt17integral_constantIbLb1EES15_IbLb0EEEEDaS11_S12_EUlS11_E_NS1_11comp_targetILNS1_3genE4ELNS1_11target_archE910ELNS1_3gpuE8ELNS1_3repE0EEENS1_30default_config_static_selectorELNS0_4arch9wavefront6targetE0EEEvT1_,"axG",@progbits,_ZN7rocprim17ROCPRIM_400000_NS6detail17trampoline_kernelINS0_14default_configENS1_25partition_config_selectorILNS1_17partition_subalgoE6EyNS0_10empty_typeEbEEZZNS1_14partition_implILS5_6ELb0ES3_mN6thrust23THRUST_200600_302600_NS6detail15normal_iteratorINSA_10device_ptrIyEEEEPS6_SG_NS0_5tupleIJSF_S6_EEENSH_IJSG_SG_EEES6_PlJ7is_evenIyEEEE10hipError_tPvRmT3_T4_T5_T6_T7_T9_mT8_P12ihipStream_tbDpT10_ENKUlT_T0_E_clISt17integral_constantIbLb1EES15_IbLb0EEEEDaS11_S12_EUlS11_E_NS1_11comp_targetILNS1_3genE4ELNS1_11target_archE910ELNS1_3gpuE8ELNS1_3repE0EEENS1_30default_config_static_selectorELNS0_4arch9wavefront6targetE0EEEvT1_,comdat
	.protected	_ZN7rocprim17ROCPRIM_400000_NS6detail17trampoline_kernelINS0_14default_configENS1_25partition_config_selectorILNS1_17partition_subalgoE6EyNS0_10empty_typeEbEEZZNS1_14partition_implILS5_6ELb0ES3_mN6thrust23THRUST_200600_302600_NS6detail15normal_iteratorINSA_10device_ptrIyEEEEPS6_SG_NS0_5tupleIJSF_S6_EEENSH_IJSG_SG_EEES6_PlJ7is_evenIyEEEE10hipError_tPvRmT3_T4_T5_T6_T7_T9_mT8_P12ihipStream_tbDpT10_ENKUlT_T0_E_clISt17integral_constantIbLb1EES15_IbLb0EEEEDaS11_S12_EUlS11_E_NS1_11comp_targetILNS1_3genE4ELNS1_11target_archE910ELNS1_3gpuE8ELNS1_3repE0EEENS1_30default_config_static_selectorELNS0_4arch9wavefront6targetE0EEEvT1_ ; -- Begin function _ZN7rocprim17ROCPRIM_400000_NS6detail17trampoline_kernelINS0_14default_configENS1_25partition_config_selectorILNS1_17partition_subalgoE6EyNS0_10empty_typeEbEEZZNS1_14partition_implILS5_6ELb0ES3_mN6thrust23THRUST_200600_302600_NS6detail15normal_iteratorINSA_10device_ptrIyEEEEPS6_SG_NS0_5tupleIJSF_S6_EEENSH_IJSG_SG_EEES6_PlJ7is_evenIyEEEE10hipError_tPvRmT3_T4_T5_T6_T7_T9_mT8_P12ihipStream_tbDpT10_ENKUlT_T0_E_clISt17integral_constantIbLb1EES15_IbLb0EEEEDaS11_S12_EUlS11_E_NS1_11comp_targetILNS1_3genE4ELNS1_11target_archE910ELNS1_3gpuE8ELNS1_3repE0EEENS1_30default_config_static_selectorELNS0_4arch9wavefront6targetE0EEEvT1_
	.globl	_ZN7rocprim17ROCPRIM_400000_NS6detail17trampoline_kernelINS0_14default_configENS1_25partition_config_selectorILNS1_17partition_subalgoE6EyNS0_10empty_typeEbEEZZNS1_14partition_implILS5_6ELb0ES3_mN6thrust23THRUST_200600_302600_NS6detail15normal_iteratorINSA_10device_ptrIyEEEEPS6_SG_NS0_5tupleIJSF_S6_EEENSH_IJSG_SG_EEES6_PlJ7is_evenIyEEEE10hipError_tPvRmT3_T4_T5_T6_T7_T9_mT8_P12ihipStream_tbDpT10_ENKUlT_T0_E_clISt17integral_constantIbLb1EES15_IbLb0EEEEDaS11_S12_EUlS11_E_NS1_11comp_targetILNS1_3genE4ELNS1_11target_archE910ELNS1_3gpuE8ELNS1_3repE0EEENS1_30default_config_static_selectorELNS0_4arch9wavefront6targetE0EEEvT1_
	.p2align	8
	.type	_ZN7rocprim17ROCPRIM_400000_NS6detail17trampoline_kernelINS0_14default_configENS1_25partition_config_selectorILNS1_17partition_subalgoE6EyNS0_10empty_typeEbEEZZNS1_14partition_implILS5_6ELb0ES3_mN6thrust23THRUST_200600_302600_NS6detail15normal_iteratorINSA_10device_ptrIyEEEEPS6_SG_NS0_5tupleIJSF_S6_EEENSH_IJSG_SG_EEES6_PlJ7is_evenIyEEEE10hipError_tPvRmT3_T4_T5_T6_T7_T9_mT8_P12ihipStream_tbDpT10_ENKUlT_T0_E_clISt17integral_constantIbLb1EES15_IbLb0EEEEDaS11_S12_EUlS11_E_NS1_11comp_targetILNS1_3genE4ELNS1_11target_archE910ELNS1_3gpuE8ELNS1_3repE0EEENS1_30default_config_static_selectorELNS0_4arch9wavefront6targetE0EEEvT1_,@function
_ZN7rocprim17ROCPRIM_400000_NS6detail17trampoline_kernelINS0_14default_configENS1_25partition_config_selectorILNS1_17partition_subalgoE6EyNS0_10empty_typeEbEEZZNS1_14partition_implILS5_6ELb0ES3_mN6thrust23THRUST_200600_302600_NS6detail15normal_iteratorINSA_10device_ptrIyEEEEPS6_SG_NS0_5tupleIJSF_S6_EEENSH_IJSG_SG_EEES6_PlJ7is_evenIyEEEE10hipError_tPvRmT3_T4_T5_T6_T7_T9_mT8_P12ihipStream_tbDpT10_ENKUlT_T0_E_clISt17integral_constantIbLb1EES15_IbLb0EEEEDaS11_S12_EUlS11_E_NS1_11comp_targetILNS1_3genE4ELNS1_11target_archE910ELNS1_3gpuE8ELNS1_3repE0EEENS1_30default_config_static_selectorELNS0_4arch9wavefront6targetE0EEEvT1_: ; @_ZN7rocprim17ROCPRIM_400000_NS6detail17trampoline_kernelINS0_14default_configENS1_25partition_config_selectorILNS1_17partition_subalgoE6EyNS0_10empty_typeEbEEZZNS1_14partition_implILS5_6ELb0ES3_mN6thrust23THRUST_200600_302600_NS6detail15normal_iteratorINSA_10device_ptrIyEEEEPS6_SG_NS0_5tupleIJSF_S6_EEENSH_IJSG_SG_EEES6_PlJ7is_evenIyEEEE10hipError_tPvRmT3_T4_T5_T6_T7_T9_mT8_P12ihipStream_tbDpT10_ENKUlT_T0_E_clISt17integral_constantIbLb1EES15_IbLb0EEEEDaS11_S12_EUlS11_E_NS1_11comp_targetILNS1_3genE4ELNS1_11target_archE910ELNS1_3gpuE8ELNS1_3repE0EEENS1_30default_config_static_selectorELNS0_4arch9wavefront6targetE0EEEvT1_
; %bb.0:
	.section	.rodata,"a",@progbits
	.p2align	6, 0x0
	.amdhsa_kernel _ZN7rocprim17ROCPRIM_400000_NS6detail17trampoline_kernelINS0_14default_configENS1_25partition_config_selectorILNS1_17partition_subalgoE6EyNS0_10empty_typeEbEEZZNS1_14partition_implILS5_6ELb0ES3_mN6thrust23THRUST_200600_302600_NS6detail15normal_iteratorINSA_10device_ptrIyEEEEPS6_SG_NS0_5tupleIJSF_S6_EEENSH_IJSG_SG_EEES6_PlJ7is_evenIyEEEE10hipError_tPvRmT3_T4_T5_T6_T7_T9_mT8_P12ihipStream_tbDpT10_ENKUlT_T0_E_clISt17integral_constantIbLb1EES15_IbLb0EEEEDaS11_S12_EUlS11_E_NS1_11comp_targetILNS1_3genE4ELNS1_11target_archE910ELNS1_3gpuE8ELNS1_3repE0EEENS1_30default_config_static_selectorELNS0_4arch9wavefront6targetE0EEEvT1_
		.amdhsa_group_segment_fixed_size 0
		.amdhsa_private_segment_fixed_size 0
		.amdhsa_kernarg_size 112
		.amdhsa_user_sgpr_count 15
		.amdhsa_user_sgpr_dispatch_ptr 0
		.amdhsa_user_sgpr_queue_ptr 0
		.amdhsa_user_sgpr_kernarg_segment_ptr 1
		.amdhsa_user_sgpr_dispatch_id 0
		.amdhsa_user_sgpr_private_segment_size 0
		.amdhsa_wavefront_size32 1
		.amdhsa_uses_dynamic_stack 0
		.amdhsa_enable_private_segment 0
		.amdhsa_system_sgpr_workgroup_id_x 1
		.amdhsa_system_sgpr_workgroup_id_y 0
		.amdhsa_system_sgpr_workgroup_id_z 0
		.amdhsa_system_sgpr_workgroup_info 0
		.amdhsa_system_vgpr_workitem_id 0
		.amdhsa_next_free_vgpr 1
		.amdhsa_next_free_sgpr 1
		.amdhsa_reserve_vcc 0
		.amdhsa_float_round_mode_32 0
		.amdhsa_float_round_mode_16_64 0
		.amdhsa_float_denorm_mode_32 3
		.amdhsa_float_denorm_mode_16_64 3
		.amdhsa_dx10_clamp 1
		.amdhsa_ieee_mode 1
		.amdhsa_fp16_overflow 0
		.amdhsa_workgroup_processor_mode 1
		.amdhsa_memory_ordered 1
		.amdhsa_forward_progress 0
		.amdhsa_shared_vgpr_count 0
		.amdhsa_exception_fp_ieee_invalid_op 0
		.amdhsa_exception_fp_denorm_src 0
		.amdhsa_exception_fp_ieee_div_zero 0
		.amdhsa_exception_fp_ieee_overflow 0
		.amdhsa_exception_fp_ieee_underflow 0
		.amdhsa_exception_fp_ieee_inexact 0
		.amdhsa_exception_int_div_zero 0
	.end_amdhsa_kernel
	.section	.text._ZN7rocprim17ROCPRIM_400000_NS6detail17trampoline_kernelINS0_14default_configENS1_25partition_config_selectorILNS1_17partition_subalgoE6EyNS0_10empty_typeEbEEZZNS1_14partition_implILS5_6ELb0ES3_mN6thrust23THRUST_200600_302600_NS6detail15normal_iteratorINSA_10device_ptrIyEEEEPS6_SG_NS0_5tupleIJSF_S6_EEENSH_IJSG_SG_EEES6_PlJ7is_evenIyEEEE10hipError_tPvRmT3_T4_T5_T6_T7_T9_mT8_P12ihipStream_tbDpT10_ENKUlT_T0_E_clISt17integral_constantIbLb1EES15_IbLb0EEEEDaS11_S12_EUlS11_E_NS1_11comp_targetILNS1_3genE4ELNS1_11target_archE910ELNS1_3gpuE8ELNS1_3repE0EEENS1_30default_config_static_selectorELNS0_4arch9wavefront6targetE0EEEvT1_,"axG",@progbits,_ZN7rocprim17ROCPRIM_400000_NS6detail17trampoline_kernelINS0_14default_configENS1_25partition_config_selectorILNS1_17partition_subalgoE6EyNS0_10empty_typeEbEEZZNS1_14partition_implILS5_6ELb0ES3_mN6thrust23THRUST_200600_302600_NS6detail15normal_iteratorINSA_10device_ptrIyEEEEPS6_SG_NS0_5tupleIJSF_S6_EEENSH_IJSG_SG_EEES6_PlJ7is_evenIyEEEE10hipError_tPvRmT3_T4_T5_T6_T7_T9_mT8_P12ihipStream_tbDpT10_ENKUlT_T0_E_clISt17integral_constantIbLb1EES15_IbLb0EEEEDaS11_S12_EUlS11_E_NS1_11comp_targetILNS1_3genE4ELNS1_11target_archE910ELNS1_3gpuE8ELNS1_3repE0EEENS1_30default_config_static_selectorELNS0_4arch9wavefront6targetE0EEEvT1_,comdat
.Lfunc_end282:
	.size	_ZN7rocprim17ROCPRIM_400000_NS6detail17trampoline_kernelINS0_14default_configENS1_25partition_config_selectorILNS1_17partition_subalgoE6EyNS0_10empty_typeEbEEZZNS1_14partition_implILS5_6ELb0ES3_mN6thrust23THRUST_200600_302600_NS6detail15normal_iteratorINSA_10device_ptrIyEEEEPS6_SG_NS0_5tupleIJSF_S6_EEENSH_IJSG_SG_EEES6_PlJ7is_evenIyEEEE10hipError_tPvRmT3_T4_T5_T6_T7_T9_mT8_P12ihipStream_tbDpT10_ENKUlT_T0_E_clISt17integral_constantIbLb1EES15_IbLb0EEEEDaS11_S12_EUlS11_E_NS1_11comp_targetILNS1_3genE4ELNS1_11target_archE910ELNS1_3gpuE8ELNS1_3repE0EEENS1_30default_config_static_selectorELNS0_4arch9wavefront6targetE0EEEvT1_, .Lfunc_end282-_ZN7rocprim17ROCPRIM_400000_NS6detail17trampoline_kernelINS0_14default_configENS1_25partition_config_selectorILNS1_17partition_subalgoE6EyNS0_10empty_typeEbEEZZNS1_14partition_implILS5_6ELb0ES3_mN6thrust23THRUST_200600_302600_NS6detail15normal_iteratorINSA_10device_ptrIyEEEEPS6_SG_NS0_5tupleIJSF_S6_EEENSH_IJSG_SG_EEES6_PlJ7is_evenIyEEEE10hipError_tPvRmT3_T4_T5_T6_T7_T9_mT8_P12ihipStream_tbDpT10_ENKUlT_T0_E_clISt17integral_constantIbLb1EES15_IbLb0EEEEDaS11_S12_EUlS11_E_NS1_11comp_targetILNS1_3genE4ELNS1_11target_archE910ELNS1_3gpuE8ELNS1_3repE0EEENS1_30default_config_static_selectorELNS0_4arch9wavefront6targetE0EEEvT1_
                                        ; -- End function
	.section	.AMDGPU.csdata,"",@progbits
; Kernel info:
; codeLenInByte = 0
; NumSgprs: 0
; NumVgprs: 0
; ScratchSize: 0
; MemoryBound: 0
; FloatMode: 240
; IeeeMode: 1
; LDSByteSize: 0 bytes/workgroup (compile time only)
; SGPRBlocks: 0
; VGPRBlocks: 0
; NumSGPRsForWavesPerEU: 1
; NumVGPRsForWavesPerEU: 1
; Occupancy: 16
; WaveLimiterHint : 0
; COMPUTE_PGM_RSRC2:SCRATCH_EN: 0
; COMPUTE_PGM_RSRC2:USER_SGPR: 15
; COMPUTE_PGM_RSRC2:TRAP_HANDLER: 0
; COMPUTE_PGM_RSRC2:TGID_X_EN: 1
; COMPUTE_PGM_RSRC2:TGID_Y_EN: 0
; COMPUTE_PGM_RSRC2:TGID_Z_EN: 0
; COMPUTE_PGM_RSRC2:TIDIG_COMP_CNT: 0
	.section	.text._ZN7rocprim17ROCPRIM_400000_NS6detail17trampoline_kernelINS0_14default_configENS1_25partition_config_selectorILNS1_17partition_subalgoE6EyNS0_10empty_typeEbEEZZNS1_14partition_implILS5_6ELb0ES3_mN6thrust23THRUST_200600_302600_NS6detail15normal_iteratorINSA_10device_ptrIyEEEEPS6_SG_NS0_5tupleIJSF_S6_EEENSH_IJSG_SG_EEES6_PlJ7is_evenIyEEEE10hipError_tPvRmT3_T4_T5_T6_T7_T9_mT8_P12ihipStream_tbDpT10_ENKUlT_T0_E_clISt17integral_constantIbLb1EES15_IbLb0EEEEDaS11_S12_EUlS11_E_NS1_11comp_targetILNS1_3genE3ELNS1_11target_archE908ELNS1_3gpuE7ELNS1_3repE0EEENS1_30default_config_static_selectorELNS0_4arch9wavefront6targetE0EEEvT1_,"axG",@progbits,_ZN7rocprim17ROCPRIM_400000_NS6detail17trampoline_kernelINS0_14default_configENS1_25partition_config_selectorILNS1_17partition_subalgoE6EyNS0_10empty_typeEbEEZZNS1_14partition_implILS5_6ELb0ES3_mN6thrust23THRUST_200600_302600_NS6detail15normal_iteratorINSA_10device_ptrIyEEEEPS6_SG_NS0_5tupleIJSF_S6_EEENSH_IJSG_SG_EEES6_PlJ7is_evenIyEEEE10hipError_tPvRmT3_T4_T5_T6_T7_T9_mT8_P12ihipStream_tbDpT10_ENKUlT_T0_E_clISt17integral_constantIbLb1EES15_IbLb0EEEEDaS11_S12_EUlS11_E_NS1_11comp_targetILNS1_3genE3ELNS1_11target_archE908ELNS1_3gpuE7ELNS1_3repE0EEENS1_30default_config_static_selectorELNS0_4arch9wavefront6targetE0EEEvT1_,comdat
	.protected	_ZN7rocprim17ROCPRIM_400000_NS6detail17trampoline_kernelINS0_14default_configENS1_25partition_config_selectorILNS1_17partition_subalgoE6EyNS0_10empty_typeEbEEZZNS1_14partition_implILS5_6ELb0ES3_mN6thrust23THRUST_200600_302600_NS6detail15normal_iteratorINSA_10device_ptrIyEEEEPS6_SG_NS0_5tupleIJSF_S6_EEENSH_IJSG_SG_EEES6_PlJ7is_evenIyEEEE10hipError_tPvRmT3_T4_T5_T6_T7_T9_mT8_P12ihipStream_tbDpT10_ENKUlT_T0_E_clISt17integral_constantIbLb1EES15_IbLb0EEEEDaS11_S12_EUlS11_E_NS1_11comp_targetILNS1_3genE3ELNS1_11target_archE908ELNS1_3gpuE7ELNS1_3repE0EEENS1_30default_config_static_selectorELNS0_4arch9wavefront6targetE0EEEvT1_ ; -- Begin function _ZN7rocprim17ROCPRIM_400000_NS6detail17trampoline_kernelINS0_14default_configENS1_25partition_config_selectorILNS1_17partition_subalgoE6EyNS0_10empty_typeEbEEZZNS1_14partition_implILS5_6ELb0ES3_mN6thrust23THRUST_200600_302600_NS6detail15normal_iteratorINSA_10device_ptrIyEEEEPS6_SG_NS0_5tupleIJSF_S6_EEENSH_IJSG_SG_EEES6_PlJ7is_evenIyEEEE10hipError_tPvRmT3_T4_T5_T6_T7_T9_mT8_P12ihipStream_tbDpT10_ENKUlT_T0_E_clISt17integral_constantIbLb1EES15_IbLb0EEEEDaS11_S12_EUlS11_E_NS1_11comp_targetILNS1_3genE3ELNS1_11target_archE908ELNS1_3gpuE7ELNS1_3repE0EEENS1_30default_config_static_selectorELNS0_4arch9wavefront6targetE0EEEvT1_
	.globl	_ZN7rocprim17ROCPRIM_400000_NS6detail17trampoline_kernelINS0_14default_configENS1_25partition_config_selectorILNS1_17partition_subalgoE6EyNS0_10empty_typeEbEEZZNS1_14partition_implILS5_6ELb0ES3_mN6thrust23THRUST_200600_302600_NS6detail15normal_iteratorINSA_10device_ptrIyEEEEPS6_SG_NS0_5tupleIJSF_S6_EEENSH_IJSG_SG_EEES6_PlJ7is_evenIyEEEE10hipError_tPvRmT3_T4_T5_T6_T7_T9_mT8_P12ihipStream_tbDpT10_ENKUlT_T0_E_clISt17integral_constantIbLb1EES15_IbLb0EEEEDaS11_S12_EUlS11_E_NS1_11comp_targetILNS1_3genE3ELNS1_11target_archE908ELNS1_3gpuE7ELNS1_3repE0EEENS1_30default_config_static_selectorELNS0_4arch9wavefront6targetE0EEEvT1_
	.p2align	8
	.type	_ZN7rocprim17ROCPRIM_400000_NS6detail17trampoline_kernelINS0_14default_configENS1_25partition_config_selectorILNS1_17partition_subalgoE6EyNS0_10empty_typeEbEEZZNS1_14partition_implILS5_6ELb0ES3_mN6thrust23THRUST_200600_302600_NS6detail15normal_iteratorINSA_10device_ptrIyEEEEPS6_SG_NS0_5tupleIJSF_S6_EEENSH_IJSG_SG_EEES6_PlJ7is_evenIyEEEE10hipError_tPvRmT3_T4_T5_T6_T7_T9_mT8_P12ihipStream_tbDpT10_ENKUlT_T0_E_clISt17integral_constantIbLb1EES15_IbLb0EEEEDaS11_S12_EUlS11_E_NS1_11comp_targetILNS1_3genE3ELNS1_11target_archE908ELNS1_3gpuE7ELNS1_3repE0EEENS1_30default_config_static_selectorELNS0_4arch9wavefront6targetE0EEEvT1_,@function
_ZN7rocprim17ROCPRIM_400000_NS6detail17trampoline_kernelINS0_14default_configENS1_25partition_config_selectorILNS1_17partition_subalgoE6EyNS0_10empty_typeEbEEZZNS1_14partition_implILS5_6ELb0ES3_mN6thrust23THRUST_200600_302600_NS6detail15normal_iteratorINSA_10device_ptrIyEEEEPS6_SG_NS0_5tupleIJSF_S6_EEENSH_IJSG_SG_EEES6_PlJ7is_evenIyEEEE10hipError_tPvRmT3_T4_T5_T6_T7_T9_mT8_P12ihipStream_tbDpT10_ENKUlT_T0_E_clISt17integral_constantIbLb1EES15_IbLb0EEEEDaS11_S12_EUlS11_E_NS1_11comp_targetILNS1_3genE3ELNS1_11target_archE908ELNS1_3gpuE7ELNS1_3repE0EEENS1_30default_config_static_selectorELNS0_4arch9wavefront6targetE0EEEvT1_: ; @_ZN7rocprim17ROCPRIM_400000_NS6detail17trampoline_kernelINS0_14default_configENS1_25partition_config_selectorILNS1_17partition_subalgoE6EyNS0_10empty_typeEbEEZZNS1_14partition_implILS5_6ELb0ES3_mN6thrust23THRUST_200600_302600_NS6detail15normal_iteratorINSA_10device_ptrIyEEEEPS6_SG_NS0_5tupleIJSF_S6_EEENSH_IJSG_SG_EEES6_PlJ7is_evenIyEEEE10hipError_tPvRmT3_T4_T5_T6_T7_T9_mT8_P12ihipStream_tbDpT10_ENKUlT_T0_E_clISt17integral_constantIbLb1EES15_IbLb0EEEEDaS11_S12_EUlS11_E_NS1_11comp_targetILNS1_3genE3ELNS1_11target_archE908ELNS1_3gpuE7ELNS1_3repE0EEENS1_30default_config_static_selectorELNS0_4arch9wavefront6targetE0EEEvT1_
; %bb.0:
	.section	.rodata,"a",@progbits
	.p2align	6, 0x0
	.amdhsa_kernel _ZN7rocprim17ROCPRIM_400000_NS6detail17trampoline_kernelINS0_14default_configENS1_25partition_config_selectorILNS1_17partition_subalgoE6EyNS0_10empty_typeEbEEZZNS1_14partition_implILS5_6ELb0ES3_mN6thrust23THRUST_200600_302600_NS6detail15normal_iteratorINSA_10device_ptrIyEEEEPS6_SG_NS0_5tupleIJSF_S6_EEENSH_IJSG_SG_EEES6_PlJ7is_evenIyEEEE10hipError_tPvRmT3_T4_T5_T6_T7_T9_mT8_P12ihipStream_tbDpT10_ENKUlT_T0_E_clISt17integral_constantIbLb1EES15_IbLb0EEEEDaS11_S12_EUlS11_E_NS1_11comp_targetILNS1_3genE3ELNS1_11target_archE908ELNS1_3gpuE7ELNS1_3repE0EEENS1_30default_config_static_selectorELNS0_4arch9wavefront6targetE0EEEvT1_
		.amdhsa_group_segment_fixed_size 0
		.amdhsa_private_segment_fixed_size 0
		.amdhsa_kernarg_size 112
		.amdhsa_user_sgpr_count 15
		.amdhsa_user_sgpr_dispatch_ptr 0
		.amdhsa_user_sgpr_queue_ptr 0
		.amdhsa_user_sgpr_kernarg_segment_ptr 1
		.amdhsa_user_sgpr_dispatch_id 0
		.amdhsa_user_sgpr_private_segment_size 0
		.amdhsa_wavefront_size32 1
		.amdhsa_uses_dynamic_stack 0
		.amdhsa_enable_private_segment 0
		.amdhsa_system_sgpr_workgroup_id_x 1
		.amdhsa_system_sgpr_workgroup_id_y 0
		.amdhsa_system_sgpr_workgroup_id_z 0
		.amdhsa_system_sgpr_workgroup_info 0
		.amdhsa_system_vgpr_workitem_id 0
		.amdhsa_next_free_vgpr 1
		.amdhsa_next_free_sgpr 1
		.amdhsa_reserve_vcc 0
		.amdhsa_float_round_mode_32 0
		.amdhsa_float_round_mode_16_64 0
		.amdhsa_float_denorm_mode_32 3
		.amdhsa_float_denorm_mode_16_64 3
		.amdhsa_dx10_clamp 1
		.amdhsa_ieee_mode 1
		.amdhsa_fp16_overflow 0
		.amdhsa_workgroup_processor_mode 1
		.amdhsa_memory_ordered 1
		.amdhsa_forward_progress 0
		.amdhsa_shared_vgpr_count 0
		.amdhsa_exception_fp_ieee_invalid_op 0
		.amdhsa_exception_fp_denorm_src 0
		.amdhsa_exception_fp_ieee_div_zero 0
		.amdhsa_exception_fp_ieee_overflow 0
		.amdhsa_exception_fp_ieee_underflow 0
		.amdhsa_exception_fp_ieee_inexact 0
		.amdhsa_exception_int_div_zero 0
	.end_amdhsa_kernel
	.section	.text._ZN7rocprim17ROCPRIM_400000_NS6detail17trampoline_kernelINS0_14default_configENS1_25partition_config_selectorILNS1_17partition_subalgoE6EyNS0_10empty_typeEbEEZZNS1_14partition_implILS5_6ELb0ES3_mN6thrust23THRUST_200600_302600_NS6detail15normal_iteratorINSA_10device_ptrIyEEEEPS6_SG_NS0_5tupleIJSF_S6_EEENSH_IJSG_SG_EEES6_PlJ7is_evenIyEEEE10hipError_tPvRmT3_T4_T5_T6_T7_T9_mT8_P12ihipStream_tbDpT10_ENKUlT_T0_E_clISt17integral_constantIbLb1EES15_IbLb0EEEEDaS11_S12_EUlS11_E_NS1_11comp_targetILNS1_3genE3ELNS1_11target_archE908ELNS1_3gpuE7ELNS1_3repE0EEENS1_30default_config_static_selectorELNS0_4arch9wavefront6targetE0EEEvT1_,"axG",@progbits,_ZN7rocprim17ROCPRIM_400000_NS6detail17trampoline_kernelINS0_14default_configENS1_25partition_config_selectorILNS1_17partition_subalgoE6EyNS0_10empty_typeEbEEZZNS1_14partition_implILS5_6ELb0ES3_mN6thrust23THRUST_200600_302600_NS6detail15normal_iteratorINSA_10device_ptrIyEEEEPS6_SG_NS0_5tupleIJSF_S6_EEENSH_IJSG_SG_EEES6_PlJ7is_evenIyEEEE10hipError_tPvRmT3_T4_T5_T6_T7_T9_mT8_P12ihipStream_tbDpT10_ENKUlT_T0_E_clISt17integral_constantIbLb1EES15_IbLb0EEEEDaS11_S12_EUlS11_E_NS1_11comp_targetILNS1_3genE3ELNS1_11target_archE908ELNS1_3gpuE7ELNS1_3repE0EEENS1_30default_config_static_selectorELNS0_4arch9wavefront6targetE0EEEvT1_,comdat
.Lfunc_end283:
	.size	_ZN7rocprim17ROCPRIM_400000_NS6detail17trampoline_kernelINS0_14default_configENS1_25partition_config_selectorILNS1_17partition_subalgoE6EyNS0_10empty_typeEbEEZZNS1_14partition_implILS5_6ELb0ES3_mN6thrust23THRUST_200600_302600_NS6detail15normal_iteratorINSA_10device_ptrIyEEEEPS6_SG_NS0_5tupleIJSF_S6_EEENSH_IJSG_SG_EEES6_PlJ7is_evenIyEEEE10hipError_tPvRmT3_T4_T5_T6_T7_T9_mT8_P12ihipStream_tbDpT10_ENKUlT_T0_E_clISt17integral_constantIbLb1EES15_IbLb0EEEEDaS11_S12_EUlS11_E_NS1_11comp_targetILNS1_3genE3ELNS1_11target_archE908ELNS1_3gpuE7ELNS1_3repE0EEENS1_30default_config_static_selectorELNS0_4arch9wavefront6targetE0EEEvT1_, .Lfunc_end283-_ZN7rocprim17ROCPRIM_400000_NS6detail17trampoline_kernelINS0_14default_configENS1_25partition_config_selectorILNS1_17partition_subalgoE6EyNS0_10empty_typeEbEEZZNS1_14partition_implILS5_6ELb0ES3_mN6thrust23THRUST_200600_302600_NS6detail15normal_iteratorINSA_10device_ptrIyEEEEPS6_SG_NS0_5tupleIJSF_S6_EEENSH_IJSG_SG_EEES6_PlJ7is_evenIyEEEE10hipError_tPvRmT3_T4_T5_T6_T7_T9_mT8_P12ihipStream_tbDpT10_ENKUlT_T0_E_clISt17integral_constantIbLb1EES15_IbLb0EEEEDaS11_S12_EUlS11_E_NS1_11comp_targetILNS1_3genE3ELNS1_11target_archE908ELNS1_3gpuE7ELNS1_3repE0EEENS1_30default_config_static_selectorELNS0_4arch9wavefront6targetE0EEEvT1_
                                        ; -- End function
	.section	.AMDGPU.csdata,"",@progbits
; Kernel info:
; codeLenInByte = 0
; NumSgprs: 0
; NumVgprs: 0
; ScratchSize: 0
; MemoryBound: 0
; FloatMode: 240
; IeeeMode: 1
; LDSByteSize: 0 bytes/workgroup (compile time only)
; SGPRBlocks: 0
; VGPRBlocks: 0
; NumSGPRsForWavesPerEU: 1
; NumVGPRsForWavesPerEU: 1
; Occupancy: 16
; WaveLimiterHint : 0
; COMPUTE_PGM_RSRC2:SCRATCH_EN: 0
; COMPUTE_PGM_RSRC2:USER_SGPR: 15
; COMPUTE_PGM_RSRC2:TRAP_HANDLER: 0
; COMPUTE_PGM_RSRC2:TGID_X_EN: 1
; COMPUTE_PGM_RSRC2:TGID_Y_EN: 0
; COMPUTE_PGM_RSRC2:TGID_Z_EN: 0
; COMPUTE_PGM_RSRC2:TIDIG_COMP_CNT: 0
	.section	.text._ZN7rocprim17ROCPRIM_400000_NS6detail17trampoline_kernelINS0_14default_configENS1_25partition_config_selectorILNS1_17partition_subalgoE6EyNS0_10empty_typeEbEEZZNS1_14partition_implILS5_6ELb0ES3_mN6thrust23THRUST_200600_302600_NS6detail15normal_iteratorINSA_10device_ptrIyEEEEPS6_SG_NS0_5tupleIJSF_S6_EEENSH_IJSG_SG_EEES6_PlJ7is_evenIyEEEE10hipError_tPvRmT3_T4_T5_T6_T7_T9_mT8_P12ihipStream_tbDpT10_ENKUlT_T0_E_clISt17integral_constantIbLb1EES15_IbLb0EEEEDaS11_S12_EUlS11_E_NS1_11comp_targetILNS1_3genE2ELNS1_11target_archE906ELNS1_3gpuE6ELNS1_3repE0EEENS1_30default_config_static_selectorELNS0_4arch9wavefront6targetE0EEEvT1_,"axG",@progbits,_ZN7rocprim17ROCPRIM_400000_NS6detail17trampoline_kernelINS0_14default_configENS1_25partition_config_selectorILNS1_17partition_subalgoE6EyNS0_10empty_typeEbEEZZNS1_14partition_implILS5_6ELb0ES3_mN6thrust23THRUST_200600_302600_NS6detail15normal_iteratorINSA_10device_ptrIyEEEEPS6_SG_NS0_5tupleIJSF_S6_EEENSH_IJSG_SG_EEES6_PlJ7is_evenIyEEEE10hipError_tPvRmT3_T4_T5_T6_T7_T9_mT8_P12ihipStream_tbDpT10_ENKUlT_T0_E_clISt17integral_constantIbLb1EES15_IbLb0EEEEDaS11_S12_EUlS11_E_NS1_11comp_targetILNS1_3genE2ELNS1_11target_archE906ELNS1_3gpuE6ELNS1_3repE0EEENS1_30default_config_static_selectorELNS0_4arch9wavefront6targetE0EEEvT1_,comdat
	.protected	_ZN7rocprim17ROCPRIM_400000_NS6detail17trampoline_kernelINS0_14default_configENS1_25partition_config_selectorILNS1_17partition_subalgoE6EyNS0_10empty_typeEbEEZZNS1_14partition_implILS5_6ELb0ES3_mN6thrust23THRUST_200600_302600_NS6detail15normal_iteratorINSA_10device_ptrIyEEEEPS6_SG_NS0_5tupleIJSF_S6_EEENSH_IJSG_SG_EEES6_PlJ7is_evenIyEEEE10hipError_tPvRmT3_T4_T5_T6_T7_T9_mT8_P12ihipStream_tbDpT10_ENKUlT_T0_E_clISt17integral_constantIbLb1EES15_IbLb0EEEEDaS11_S12_EUlS11_E_NS1_11comp_targetILNS1_3genE2ELNS1_11target_archE906ELNS1_3gpuE6ELNS1_3repE0EEENS1_30default_config_static_selectorELNS0_4arch9wavefront6targetE0EEEvT1_ ; -- Begin function _ZN7rocprim17ROCPRIM_400000_NS6detail17trampoline_kernelINS0_14default_configENS1_25partition_config_selectorILNS1_17partition_subalgoE6EyNS0_10empty_typeEbEEZZNS1_14partition_implILS5_6ELb0ES3_mN6thrust23THRUST_200600_302600_NS6detail15normal_iteratorINSA_10device_ptrIyEEEEPS6_SG_NS0_5tupleIJSF_S6_EEENSH_IJSG_SG_EEES6_PlJ7is_evenIyEEEE10hipError_tPvRmT3_T4_T5_T6_T7_T9_mT8_P12ihipStream_tbDpT10_ENKUlT_T0_E_clISt17integral_constantIbLb1EES15_IbLb0EEEEDaS11_S12_EUlS11_E_NS1_11comp_targetILNS1_3genE2ELNS1_11target_archE906ELNS1_3gpuE6ELNS1_3repE0EEENS1_30default_config_static_selectorELNS0_4arch9wavefront6targetE0EEEvT1_
	.globl	_ZN7rocprim17ROCPRIM_400000_NS6detail17trampoline_kernelINS0_14default_configENS1_25partition_config_selectorILNS1_17partition_subalgoE6EyNS0_10empty_typeEbEEZZNS1_14partition_implILS5_6ELb0ES3_mN6thrust23THRUST_200600_302600_NS6detail15normal_iteratorINSA_10device_ptrIyEEEEPS6_SG_NS0_5tupleIJSF_S6_EEENSH_IJSG_SG_EEES6_PlJ7is_evenIyEEEE10hipError_tPvRmT3_T4_T5_T6_T7_T9_mT8_P12ihipStream_tbDpT10_ENKUlT_T0_E_clISt17integral_constantIbLb1EES15_IbLb0EEEEDaS11_S12_EUlS11_E_NS1_11comp_targetILNS1_3genE2ELNS1_11target_archE906ELNS1_3gpuE6ELNS1_3repE0EEENS1_30default_config_static_selectorELNS0_4arch9wavefront6targetE0EEEvT1_
	.p2align	8
	.type	_ZN7rocprim17ROCPRIM_400000_NS6detail17trampoline_kernelINS0_14default_configENS1_25partition_config_selectorILNS1_17partition_subalgoE6EyNS0_10empty_typeEbEEZZNS1_14partition_implILS5_6ELb0ES3_mN6thrust23THRUST_200600_302600_NS6detail15normal_iteratorINSA_10device_ptrIyEEEEPS6_SG_NS0_5tupleIJSF_S6_EEENSH_IJSG_SG_EEES6_PlJ7is_evenIyEEEE10hipError_tPvRmT3_T4_T5_T6_T7_T9_mT8_P12ihipStream_tbDpT10_ENKUlT_T0_E_clISt17integral_constantIbLb1EES15_IbLb0EEEEDaS11_S12_EUlS11_E_NS1_11comp_targetILNS1_3genE2ELNS1_11target_archE906ELNS1_3gpuE6ELNS1_3repE0EEENS1_30default_config_static_selectorELNS0_4arch9wavefront6targetE0EEEvT1_,@function
_ZN7rocprim17ROCPRIM_400000_NS6detail17trampoline_kernelINS0_14default_configENS1_25partition_config_selectorILNS1_17partition_subalgoE6EyNS0_10empty_typeEbEEZZNS1_14partition_implILS5_6ELb0ES3_mN6thrust23THRUST_200600_302600_NS6detail15normal_iteratorINSA_10device_ptrIyEEEEPS6_SG_NS0_5tupleIJSF_S6_EEENSH_IJSG_SG_EEES6_PlJ7is_evenIyEEEE10hipError_tPvRmT3_T4_T5_T6_T7_T9_mT8_P12ihipStream_tbDpT10_ENKUlT_T0_E_clISt17integral_constantIbLb1EES15_IbLb0EEEEDaS11_S12_EUlS11_E_NS1_11comp_targetILNS1_3genE2ELNS1_11target_archE906ELNS1_3gpuE6ELNS1_3repE0EEENS1_30default_config_static_selectorELNS0_4arch9wavefront6targetE0EEEvT1_: ; @_ZN7rocprim17ROCPRIM_400000_NS6detail17trampoline_kernelINS0_14default_configENS1_25partition_config_selectorILNS1_17partition_subalgoE6EyNS0_10empty_typeEbEEZZNS1_14partition_implILS5_6ELb0ES3_mN6thrust23THRUST_200600_302600_NS6detail15normal_iteratorINSA_10device_ptrIyEEEEPS6_SG_NS0_5tupleIJSF_S6_EEENSH_IJSG_SG_EEES6_PlJ7is_evenIyEEEE10hipError_tPvRmT3_T4_T5_T6_T7_T9_mT8_P12ihipStream_tbDpT10_ENKUlT_T0_E_clISt17integral_constantIbLb1EES15_IbLb0EEEEDaS11_S12_EUlS11_E_NS1_11comp_targetILNS1_3genE2ELNS1_11target_archE906ELNS1_3gpuE6ELNS1_3repE0EEENS1_30default_config_static_selectorELNS0_4arch9wavefront6targetE0EEEvT1_
; %bb.0:
	.section	.rodata,"a",@progbits
	.p2align	6, 0x0
	.amdhsa_kernel _ZN7rocprim17ROCPRIM_400000_NS6detail17trampoline_kernelINS0_14default_configENS1_25partition_config_selectorILNS1_17partition_subalgoE6EyNS0_10empty_typeEbEEZZNS1_14partition_implILS5_6ELb0ES3_mN6thrust23THRUST_200600_302600_NS6detail15normal_iteratorINSA_10device_ptrIyEEEEPS6_SG_NS0_5tupleIJSF_S6_EEENSH_IJSG_SG_EEES6_PlJ7is_evenIyEEEE10hipError_tPvRmT3_T4_T5_T6_T7_T9_mT8_P12ihipStream_tbDpT10_ENKUlT_T0_E_clISt17integral_constantIbLb1EES15_IbLb0EEEEDaS11_S12_EUlS11_E_NS1_11comp_targetILNS1_3genE2ELNS1_11target_archE906ELNS1_3gpuE6ELNS1_3repE0EEENS1_30default_config_static_selectorELNS0_4arch9wavefront6targetE0EEEvT1_
		.amdhsa_group_segment_fixed_size 0
		.amdhsa_private_segment_fixed_size 0
		.amdhsa_kernarg_size 112
		.amdhsa_user_sgpr_count 15
		.amdhsa_user_sgpr_dispatch_ptr 0
		.amdhsa_user_sgpr_queue_ptr 0
		.amdhsa_user_sgpr_kernarg_segment_ptr 1
		.amdhsa_user_sgpr_dispatch_id 0
		.amdhsa_user_sgpr_private_segment_size 0
		.amdhsa_wavefront_size32 1
		.amdhsa_uses_dynamic_stack 0
		.amdhsa_enable_private_segment 0
		.amdhsa_system_sgpr_workgroup_id_x 1
		.amdhsa_system_sgpr_workgroup_id_y 0
		.amdhsa_system_sgpr_workgroup_id_z 0
		.amdhsa_system_sgpr_workgroup_info 0
		.amdhsa_system_vgpr_workitem_id 0
		.amdhsa_next_free_vgpr 1
		.amdhsa_next_free_sgpr 1
		.amdhsa_reserve_vcc 0
		.amdhsa_float_round_mode_32 0
		.amdhsa_float_round_mode_16_64 0
		.amdhsa_float_denorm_mode_32 3
		.amdhsa_float_denorm_mode_16_64 3
		.amdhsa_dx10_clamp 1
		.amdhsa_ieee_mode 1
		.amdhsa_fp16_overflow 0
		.amdhsa_workgroup_processor_mode 1
		.amdhsa_memory_ordered 1
		.amdhsa_forward_progress 0
		.amdhsa_shared_vgpr_count 0
		.amdhsa_exception_fp_ieee_invalid_op 0
		.amdhsa_exception_fp_denorm_src 0
		.amdhsa_exception_fp_ieee_div_zero 0
		.amdhsa_exception_fp_ieee_overflow 0
		.amdhsa_exception_fp_ieee_underflow 0
		.amdhsa_exception_fp_ieee_inexact 0
		.amdhsa_exception_int_div_zero 0
	.end_amdhsa_kernel
	.section	.text._ZN7rocprim17ROCPRIM_400000_NS6detail17trampoline_kernelINS0_14default_configENS1_25partition_config_selectorILNS1_17partition_subalgoE6EyNS0_10empty_typeEbEEZZNS1_14partition_implILS5_6ELb0ES3_mN6thrust23THRUST_200600_302600_NS6detail15normal_iteratorINSA_10device_ptrIyEEEEPS6_SG_NS0_5tupleIJSF_S6_EEENSH_IJSG_SG_EEES6_PlJ7is_evenIyEEEE10hipError_tPvRmT3_T4_T5_T6_T7_T9_mT8_P12ihipStream_tbDpT10_ENKUlT_T0_E_clISt17integral_constantIbLb1EES15_IbLb0EEEEDaS11_S12_EUlS11_E_NS1_11comp_targetILNS1_3genE2ELNS1_11target_archE906ELNS1_3gpuE6ELNS1_3repE0EEENS1_30default_config_static_selectorELNS0_4arch9wavefront6targetE0EEEvT1_,"axG",@progbits,_ZN7rocprim17ROCPRIM_400000_NS6detail17trampoline_kernelINS0_14default_configENS1_25partition_config_selectorILNS1_17partition_subalgoE6EyNS0_10empty_typeEbEEZZNS1_14partition_implILS5_6ELb0ES3_mN6thrust23THRUST_200600_302600_NS6detail15normal_iteratorINSA_10device_ptrIyEEEEPS6_SG_NS0_5tupleIJSF_S6_EEENSH_IJSG_SG_EEES6_PlJ7is_evenIyEEEE10hipError_tPvRmT3_T4_T5_T6_T7_T9_mT8_P12ihipStream_tbDpT10_ENKUlT_T0_E_clISt17integral_constantIbLb1EES15_IbLb0EEEEDaS11_S12_EUlS11_E_NS1_11comp_targetILNS1_3genE2ELNS1_11target_archE906ELNS1_3gpuE6ELNS1_3repE0EEENS1_30default_config_static_selectorELNS0_4arch9wavefront6targetE0EEEvT1_,comdat
.Lfunc_end284:
	.size	_ZN7rocprim17ROCPRIM_400000_NS6detail17trampoline_kernelINS0_14default_configENS1_25partition_config_selectorILNS1_17partition_subalgoE6EyNS0_10empty_typeEbEEZZNS1_14partition_implILS5_6ELb0ES3_mN6thrust23THRUST_200600_302600_NS6detail15normal_iteratorINSA_10device_ptrIyEEEEPS6_SG_NS0_5tupleIJSF_S6_EEENSH_IJSG_SG_EEES6_PlJ7is_evenIyEEEE10hipError_tPvRmT3_T4_T5_T6_T7_T9_mT8_P12ihipStream_tbDpT10_ENKUlT_T0_E_clISt17integral_constantIbLb1EES15_IbLb0EEEEDaS11_S12_EUlS11_E_NS1_11comp_targetILNS1_3genE2ELNS1_11target_archE906ELNS1_3gpuE6ELNS1_3repE0EEENS1_30default_config_static_selectorELNS0_4arch9wavefront6targetE0EEEvT1_, .Lfunc_end284-_ZN7rocprim17ROCPRIM_400000_NS6detail17trampoline_kernelINS0_14default_configENS1_25partition_config_selectorILNS1_17partition_subalgoE6EyNS0_10empty_typeEbEEZZNS1_14partition_implILS5_6ELb0ES3_mN6thrust23THRUST_200600_302600_NS6detail15normal_iteratorINSA_10device_ptrIyEEEEPS6_SG_NS0_5tupleIJSF_S6_EEENSH_IJSG_SG_EEES6_PlJ7is_evenIyEEEE10hipError_tPvRmT3_T4_T5_T6_T7_T9_mT8_P12ihipStream_tbDpT10_ENKUlT_T0_E_clISt17integral_constantIbLb1EES15_IbLb0EEEEDaS11_S12_EUlS11_E_NS1_11comp_targetILNS1_3genE2ELNS1_11target_archE906ELNS1_3gpuE6ELNS1_3repE0EEENS1_30default_config_static_selectorELNS0_4arch9wavefront6targetE0EEEvT1_
                                        ; -- End function
	.section	.AMDGPU.csdata,"",@progbits
; Kernel info:
; codeLenInByte = 0
; NumSgprs: 0
; NumVgprs: 0
; ScratchSize: 0
; MemoryBound: 0
; FloatMode: 240
; IeeeMode: 1
; LDSByteSize: 0 bytes/workgroup (compile time only)
; SGPRBlocks: 0
; VGPRBlocks: 0
; NumSGPRsForWavesPerEU: 1
; NumVGPRsForWavesPerEU: 1
; Occupancy: 16
; WaveLimiterHint : 0
; COMPUTE_PGM_RSRC2:SCRATCH_EN: 0
; COMPUTE_PGM_RSRC2:USER_SGPR: 15
; COMPUTE_PGM_RSRC2:TRAP_HANDLER: 0
; COMPUTE_PGM_RSRC2:TGID_X_EN: 1
; COMPUTE_PGM_RSRC2:TGID_Y_EN: 0
; COMPUTE_PGM_RSRC2:TGID_Z_EN: 0
; COMPUTE_PGM_RSRC2:TIDIG_COMP_CNT: 0
	.section	.text._ZN7rocprim17ROCPRIM_400000_NS6detail17trampoline_kernelINS0_14default_configENS1_25partition_config_selectorILNS1_17partition_subalgoE6EyNS0_10empty_typeEbEEZZNS1_14partition_implILS5_6ELb0ES3_mN6thrust23THRUST_200600_302600_NS6detail15normal_iteratorINSA_10device_ptrIyEEEEPS6_SG_NS0_5tupleIJSF_S6_EEENSH_IJSG_SG_EEES6_PlJ7is_evenIyEEEE10hipError_tPvRmT3_T4_T5_T6_T7_T9_mT8_P12ihipStream_tbDpT10_ENKUlT_T0_E_clISt17integral_constantIbLb1EES15_IbLb0EEEEDaS11_S12_EUlS11_E_NS1_11comp_targetILNS1_3genE10ELNS1_11target_archE1200ELNS1_3gpuE4ELNS1_3repE0EEENS1_30default_config_static_selectorELNS0_4arch9wavefront6targetE0EEEvT1_,"axG",@progbits,_ZN7rocprim17ROCPRIM_400000_NS6detail17trampoline_kernelINS0_14default_configENS1_25partition_config_selectorILNS1_17partition_subalgoE6EyNS0_10empty_typeEbEEZZNS1_14partition_implILS5_6ELb0ES3_mN6thrust23THRUST_200600_302600_NS6detail15normal_iteratorINSA_10device_ptrIyEEEEPS6_SG_NS0_5tupleIJSF_S6_EEENSH_IJSG_SG_EEES6_PlJ7is_evenIyEEEE10hipError_tPvRmT3_T4_T5_T6_T7_T9_mT8_P12ihipStream_tbDpT10_ENKUlT_T0_E_clISt17integral_constantIbLb1EES15_IbLb0EEEEDaS11_S12_EUlS11_E_NS1_11comp_targetILNS1_3genE10ELNS1_11target_archE1200ELNS1_3gpuE4ELNS1_3repE0EEENS1_30default_config_static_selectorELNS0_4arch9wavefront6targetE0EEEvT1_,comdat
	.protected	_ZN7rocprim17ROCPRIM_400000_NS6detail17trampoline_kernelINS0_14default_configENS1_25partition_config_selectorILNS1_17partition_subalgoE6EyNS0_10empty_typeEbEEZZNS1_14partition_implILS5_6ELb0ES3_mN6thrust23THRUST_200600_302600_NS6detail15normal_iteratorINSA_10device_ptrIyEEEEPS6_SG_NS0_5tupleIJSF_S6_EEENSH_IJSG_SG_EEES6_PlJ7is_evenIyEEEE10hipError_tPvRmT3_T4_T5_T6_T7_T9_mT8_P12ihipStream_tbDpT10_ENKUlT_T0_E_clISt17integral_constantIbLb1EES15_IbLb0EEEEDaS11_S12_EUlS11_E_NS1_11comp_targetILNS1_3genE10ELNS1_11target_archE1200ELNS1_3gpuE4ELNS1_3repE0EEENS1_30default_config_static_selectorELNS0_4arch9wavefront6targetE0EEEvT1_ ; -- Begin function _ZN7rocprim17ROCPRIM_400000_NS6detail17trampoline_kernelINS0_14default_configENS1_25partition_config_selectorILNS1_17partition_subalgoE6EyNS0_10empty_typeEbEEZZNS1_14partition_implILS5_6ELb0ES3_mN6thrust23THRUST_200600_302600_NS6detail15normal_iteratorINSA_10device_ptrIyEEEEPS6_SG_NS0_5tupleIJSF_S6_EEENSH_IJSG_SG_EEES6_PlJ7is_evenIyEEEE10hipError_tPvRmT3_T4_T5_T6_T7_T9_mT8_P12ihipStream_tbDpT10_ENKUlT_T0_E_clISt17integral_constantIbLb1EES15_IbLb0EEEEDaS11_S12_EUlS11_E_NS1_11comp_targetILNS1_3genE10ELNS1_11target_archE1200ELNS1_3gpuE4ELNS1_3repE0EEENS1_30default_config_static_selectorELNS0_4arch9wavefront6targetE0EEEvT1_
	.globl	_ZN7rocprim17ROCPRIM_400000_NS6detail17trampoline_kernelINS0_14default_configENS1_25partition_config_selectorILNS1_17partition_subalgoE6EyNS0_10empty_typeEbEEZZNS1_14partition_implILS5_6ELb0ES3_mN6thrust23THRUST_200600_302600_NS6detail15normal_iteratorINSA_10device_ptrIyEEEEPS6_SG_NS0_5tupleIJSF_S6_EEENSH_IJSG_SG_EEES6_PlJ7is_evenIyEEEE10hipError_tPvRmT3_T4_T5_T6_T7_T9_mT8_P12ihipStream_tbDpT10_ENKUlT_T0_E_clISt17integral_constantIbLb1EES15_IbLb0EEEEDaS11_S12_EUlS11_E_NS1_11comp_targetILNS1_3genE10ELNS1_11target_archE1200ELNS1_3gpuE4ELNS1_3repE0EEENS1_30default_config_static_selectorELNS0_4arch9wavefront6targetE0EEEvT1_
	.p2align	8
	.type	_ZN7rocprim17ROCPRIM_400000_NS6detail17trampoline_kernelINS0_14default_configENS1_25partition_config_selectorILNS1_17partition_subalgoE6EyNS0_10empty_typeEbEEZZNS1_14partition_implILS5_6ELb0ES3_mN6thrust23THRUST_200600_302600_NS6detail15normal_iteratorINSA_10device_ptrIyEEEEPS6_SG_NS0_5tupleIJSF_S6_EEENSH_IJSG_SG_EEES6_PlJ7is_evenIyEEEE10hipError_tPvRmT3_T4_T5_T6_T7_T9_mT8_P12ihipStream_tbDpT10_ENKUlT_T0_E_clISt17integral_constantIbLb1EES15_IbLb0EEEEDaS11_S12_EUlS11_E_NS1_11comp_targetILNS1_3genE10ELNS1_11target_archE1200ELNS1_3gpuE4ELNS1_3repE0EEENS1_30default_config_static_selectorELNS0_4arch9wavefront6targetE0EEEvT1_,@function
_ZN7rocprim17ROCPRIM_400000_NS6detail17trampoline_kernelINS0_14default_configENS1_25partition_config_selectorILNS1_17partition_subalgoE6EyNS0_10empty_typeEbEEZZNS1_14partition_implILS5_6ELb0ES3_mN6thrust23THRUST_200600_302600_NS6detail15normal_iteratorINSA_10device_ptrIyEEEEPS6_SG_NS0_5tupleIJSF_S6_EEENSH_IJSG_SG_EEES6_PlJ7is_evenIyEEEE10hipError_tPvRmT3_T4_T5_T6_T7_T9_mT8_P12ihipStream_tbDpT10_ENKUlT_T0_E_clISt17integral_constantIbLb1EES15_IbLb0EEEEDaS11_S12_EUlS11_E_NS1_11comp_targetILNS1_3genE10ELNS1_11target_archE1200ELNS1_3gpuE4ELNS1_3repE0EEENS1_30default_config_static_selectorELNS0_4arch9wavefront6targetE0EEEvT1_: ; @_ZN7rocprim17ROCPRIM_400000_NS6detail17trampoline_kernelINS0_14default_configENS1_25partition_config_selectorILNS1_17partition_subalgoE6EyNS0_10empty_typeEbEEZZNS1_14partition_implILS5_6ELb0ES3_mN6thrust23THRUST_200600_302600_NS6detail15normal_iteratorINSA_10device_ptrIyEEEEPS6_SG_NS0_5tupleIJSF_S6_EEENSH_IJSG_SG_EEES6_PlJ7is_evenIyEEEE10hipError_tPvRmT3_T4_T5_T6_T7_T9_mT8_P12ihipStream_tbDpT10_ENKUlT_T0_E_clISt17integral_constantIbLb1EES15_IbLb0EEEEDaS11_S12_EUlS11_E_NS1_11comp_targetILNS1_3genE10ELNS1_11target_archE1200ELNS1_3gpuE4ELNS1_3repE0EEENS1_30default_config_static_selectorELNS0_4arch9wavefront6targetE0EEEvT1_
; %bb.0:
	.section	.rodata,"a",@progbits
	.p2align	6, 0x0
	.amdhsa_kernel _ZN7rocprim17ROCPRIM_400000_NS6detail17trampoline_kernelINS0_14default_configENS1_25partition_config_selectorILNS1_17partition_subalgoE6EyNS0_10empty_typeEbEEZZNS1_14partition_implILS5_6ELb0ES3_mN6thrust23THRUST_200600_302600_NS6detail15normal_iteratorINSA_10device_ptrIyEEEEPS6_SG_NS0_5tupleIJSF_S6_EEENSH_IJSG_SG_EEES6_PlJ7is_evenIyEEEE10hipError_tPvRmT3_T4_T5_T6_T7_T9_mT8_P12ihipStream_tbDpT10_ENKUlT_T0_E_clISt17integral_constantIbLb1EES15_IbLb0EEEEDaS11_S12_EUlS11_E_NS1_11comp_targetILNS1_3genE10ELNS1_11target_archE1200ELNS1_3gpuE4ELNS1_3repE0EEENS1_30default_config_static_selectorELNS0_4arch9wavefront6targetE0EEEvT1_
		.amdhsa_group_segment_fixed_size 0
		.amdhsa_private_segment_fixed_size 0
		.amdhsa_kernarg_size 112
		.amdhsa_user_sgpr_count 15
		.amdhsa_user_sgpr_dispatch_ptr 0
		.amdhsa_user_sgpr_queue_ptr 0
		.amdhsa_user_sgpr_kernarg_segment_ptr 1
		.amdhsa_user_sgpr_dispatch_id 0
		.amdhsa_user_sgpr_private_segment_size 0
		.amdhsa_wavefront_size32 1
		.amdhsa_uses_dynamic_stack 0
		.amdhsa_enable_private_segment 0
		.amdhsa_system_sgpr_workgroup_id_x 1
		.amdhsa_system_sgpr_workgroup_id_y 0
		.amdhsa_system_sgpr_workgroup_id_z 0
		.amdhsa_system_sgpr_workgroup_info 0
		.amdhsa_system_vgpr_workitem_id 0
		.amdhsa_next_free_vgpr 1
		.amdhsa_next_free_sgpr 1
		.amdhsa_reserve_vcc 0
		.amdhsa_float_round_mode_32 0
		.amdhsa_float_round_mode_16_64 0
		.amdhsa_float_denorm_mode_32 3
		.amdhsa_float_denorm_mode_16_64 3
		.amdhsa_dx10_clamp 1
		.amdhsa_ieee_mode 1
		.amdhsa_fp16_overflow 0
		.amdhsa_workgroup_processor_mode 1
		.amdhsa_memory_ordered 1
		.amdhsa_forward_progress 0
		.amdhsa_shared_vgpr_count 0
		.amdhsa_exception_fp_ieee_invalid_op 0
		.amdhsa_exception_fp_denorm_src 0
		.amdhsa_exception_fp_ieee_div_zero 0
		.amdhsa_exception_fp_ieee_overflow 0
		.amdhsa_exception_fp_ieee_underflow 0
		.amdhsa_exception_fp_ieee_inexact 0
		.amdhsa_exception_int_div_zero 0
	.end_amdhsa_kernel
	.section	.text._ZN7rocprim17ROCPRIM_400000_NS6detail17trampoline_kernelINS0_14default_configENS1_25partition_config_selectorILNS1_17partition_subalgoE6EyNS0_10empty_typeEbEEZZNS1_14partition_implILS5_6ELb0ES3_mN6thrust23THRUST_200600_302600_NS6detail15normal_iteratorINSA_10device_ptrIyEEEEPS6_SG_NS0_5tupleIJSF_S6_EEENSH_IJSG_SG_EEES6_PlJ7is_evenIyEEEE10hipError_tPvRmT3_T4_T5_T6_T7_T9_mT8_P12ihipStream_tbDpT10_ENKUlT_T0_E_clISt17integral_constantIbLb1EES15_IbLb0EEEEDaS11_S12_EUlS11_E_NS1_11comp_targetILNS1_3genE10ELNS1_11target_archE1200ELNS1_3gpuE4ELNS1_3repE0EEENS1_30default_config_static_selectorELNS0_4arch9wavefront6targetE0EEEvT1_,"axG",@progbits,_ZN7rocprim17ROCPRIM_400000_NS6detail17trampoline_kernelINS0_14default_configENS1_25partition_config_selectorILNS1_17partition_subalgoE6EyNS0_10empty_typeEbEEZZNS1_14partition_implILS5_6ELb0ES3_mN6thrust23THRUST_200600_302600_NS6detail15normal_iteratorINSA_10device_ptrIyEEEEPS6_SG_NS0_5tupleIJSF_S6_EEENSH_IJSG_SG_EEES6_PlJ7is_evenIyEEEE10hipError_tPvRmT3_T4_T5_T6_T7_T9_mT8_P12ihipStream_tbDpT10_ENKUlT_T0_E_clISt17integral_constantIbLb1EES15_IbLb0EEEEDaS11_S12_EUlS11_E_NS1_11comp_targetILNS1_3genE10ELNS1_11target_archE1200ELNS1_3gpuE4ELNS1_3repE0EEENS1_30default_config_static_selectorELNS0_4arch9wavefront6targetE0EEEvT1_,comdat
.Lfunc_end285:
	.size	_ZN7rocprim17ROCPRIM_400000_NS6detail17trampoline_kernelINS0_14default_configENS1_25partition_config_selectorILNS1_17partition_subalgoE6EyNS0_10empty_typeEbEEZZNS1_14partition_implILS5_6ELb0ES3_mN6thrust23THRUST_200600_302600_NS6detail15normal_iteratorINSA_10device_ptrIyEEEEPS6_SG_NS0_5tupleIJSF_S6_EEENSH_IJSG_SG_EEES6_PlJ7is_evenIyEEEE10hipError_tPvRmT3_T4_T5_T6_T7_T9_mT8_P12ihipStream_tbDpT10_ENKUlT_T0_E_clISt17integral_constantIbLb1EES15_IbLb0EEEEDaS11_S12_EUlS11_E_NS1_11comp_targetILNS1_3genE10ELNS1_11target_archE1200ELNS1_3gpuE4ELNS1_3repE0EEENS1_30default_config_static_selectorELNS0_4arch9wavefront6targetE0EEEvT1_, .Lfunc_end285-_ZN7rocprim17ROCPRIM_400000_NS6detail17trampoline_kernelINS0_14default_configENS1_25partition_config_selectorILNS1_17partition_subalgoE6EyNS0_10empty_typeEbEEZZNS1_14partition_implILS5_6ELb0ES3_mN6thrust23THRUST_200600_302600_NS6detail15normal_iteratorINSA_10device_ptrIyEEEEPS6_SG_NS0_5tupleIJSF_S6_EEENSH_IJSG_SG_EEES6_PlJ7is_evenIyEEEE10hipError_tPvRmT3_T4_T5_T6_T7_T9_mT8_P12ihipStream_tbDpT10_ENKUlT_T0_E_clISt17integral_constantIbLb1EES15_IbLb0EEEEDaS11_S12_EUlS11_E_NS1_11comp_targetILNS1_3genE10ELNS1_11target_archE1200ELNS1_3gpuE4ELNS1_3repE0EEENS1_30default_config_static_selectorELNS0_4arch9wavefront6targetE0EEEvT1_
                                        ; -- End function
	.section	.AMDGPU.csdata,"",@progbits
; Kernel info:
; codeLenInByte = 0
; NumSgprs: 0
; NumVgprs: 0
; ScratchSize: 0
; MemoryBound: 0
; FloatMode: 240
; IeeeMode: 1
; LDSByteSize: 0 bytes/workgroup (compile time only)
; SGPRBlocks: 0
; VGPRBlocks: 0
; NumSGPRsForWavesPerEU: 1
; NumVGPRsForWavesPerEU: 1
; Occupancy: 16
; WaveLimiterHint : 0
; COMPUTE_PGM_RSRC2:SCRATCH_EN: 0
; COMPUTE_PGM_RSRC2:USER_SGPR: 15
; COMPUTE_PGM_RSRC2:TRAP_HANDLER: 0
; COMPUTE_PGM_RSRC2:TGID_X_EN: 1
; COMPUTE_PGM_RSRC2:TGID_Y_EN: 0
; COMPUTE_PGM_RSRC2:TGID_Z_EN: 0
; COMPUTE_PGM_RSRC2:TIDIG_COMP_CNT: 0
	.section	.text._ZN7rocprim17ROCPRIM_400000_NS6detail17trampoline_kernelINS0_14default_configENS1_25partition_config_selectorILNS1_17partition_subalgoE6EyNS0_10empty_typeEbEEZZNS1_14partition_implILS5_6ELb0ES3_mN6thrust23THRUST_200600_302600_NS6detail15normal_iteratorINSA_10device_ptrIyEEEEPS6_SG_NS0_5tupleIJSF_S6_EEENSH_IJSG_SG_EEES6_PlJ7is_evenIyEEEE10hipError_tPvRmT3_T4_T5_T6_T7_T9_mT8_P12ihipStream_tbDpT10_ENKUlT_T0_E_clISt17integral_constantIbLb1EES15_IbLb0EEEEDaS11_S12_EUlS11_E_NS1_11comp_targetILNS1_3genE9ELNS1_11target_archE1100ELNS1_3gpuE3ELNS1_3repE0EEENS1_30default_config_static_selectorELNS0_4arch9wavefront6targetE0EEEvT1_,"axG",@progbits,_ZN7rocprim17ROCPRIM_400000_NS6detail17trampoline_kernelINS0_14default_configENS1_25partition_config_selectorILNS1_17partition_subalgoE6EyNS0_10empty_typeEbEEZZNS1_14partition_implILS5_6ELb0ES3_mN6thrust23THRUST_200600_302600_NS6detail15normal_iteratorINSA_10device_ptrIyEEEEPS6_SG_NS0_5tupleIJSF_S6_EEENSH_IJSG_SG_EEES6_PlJ7is_evenIyEEEE10hipError_tPvRmT3_T4_T5_T6_T7_T9_mT8_P12ihipStream_tbDpT10_ENKUlT_T0_E_clISt17integral_constantIbLb1EES15_IbLb0EEEEDaS11_S12_EUlS11_E_NS1_11comp_targetILNS1_3genE9ELNS1_11target_archE1100ELNS1_3gpuE3ELNS1_3repE0EEENS1_30default_config_static_selectorELNS0_4arch9wavefront6targetE0EEEvT1_,comdat
	.protected	_ZN7rocprim17ROCPRIM_400000_NS6detail17trampoline_kernelINS0_14default_configENS1_25partition_config_selectorILNS1_17partition_subalgoE6EyNS0_10empty_typeEbEEZZNS1_14partition_implILS5_6ELb0ES3_mN6thrust23THRUST_200600_302600_NS6detail15normal_iteratorINSA_10device_ptrIyEEEEPS6_SG_NS0_5tupleIJSF_S6_EEENSH_IJSG_SG_EEES6_PlJ7is_evenIyEEEE10hipError_tPvRmT3_T4_T5_T6_T7_T9_mT8_P12ihipStream_tbDpT10_ENKUlT_T0_E_clISt17integral_constantIbLb1EES15_IbLb0EEEEDaS11_S12_EUlS11_E_NS1_11comp_targetILNS1_3genE9ELNS1_11target_archE1100ELNS1_3gpuE3ELNS1_3repE0EEENS1_30default_config_static_selectorELNS0_4arch9wavefront6targetE0EEEvT1_ ; -- Begin function _ZN7rocprim17ROCPRIM_400000_NS6detail17trampoline_kernelINS0_14default_configENS1_25partition_config_selectorILNS1_17partition_subalgoE6EyNS0_10empty_typeEbEEZZNS1_14partition_implILS5_6ELb0ES3_mN6thrust23THRUST_200600_302600_NS6detail15normal_iteratorINSA_10device_ptrIyEEEEPS6_SG_NS0_5tupleIJSF_S6_EEENSH_IJSG_SG_EEES6_PlJ7is_evenIyEEEE10hipError_tPvRmT3_T4_T5_T6_T7_T9_mT8_P12ihipStream_tbDpT10_ENKUlT_T0_E_clISt17integral_constantIbLb1EES15_IbLb0EEEEDaS11_S12_EUlS11_E_NS1_11comp_targetILNS1_3genE9ELNS1_11target_archE1100ELNS1_3gpuE3ELNS1_3repE0EEENS1_30default_config_static_selectorELNS0_4arch9wavefront6targetE0EEEvT1_
	.globl	_ZN7rocprim17ROCPRIM_400000_NS6detail17trampoline_kernelINS0_14default_configENS1_25partition_config_selectorILNS1_17partition_subalgoE6EyNS0_10empty_typeEbEEZZNS1_14partition_implILS5_6ELb0ES3_mN6thrust23THRUST_200600_302600_NS6detail15normal_iteratorINSA_10device_ptrIyEEEEPS6_SG_NS0_5tupleIJSF_S6_EEENSH_IJSG_SG_EEES6_PlJ7is_evenIyEEEE10hipError_tPvRmT3_T4_T5_T6_T7_T9_mT8_P12ihipStream_tbDpT10_ENKUlT_T0_E_clISt17integral_constantIbLb1EES15_IbLb0EEEEDaS11_S12_EUlS11_E_NS1_11comp_targetILNS1_3genE9ELNS1_11target_archE1100ELNS1_3gpuE3ELNS1_3repE0EEENS1_30default_config_static_selectorELNS0_4arch9wavefront6targetE0EEEvT1_
	.p2align	8
	.type	_ZN7rocprim17ROCPRIM_400000_NS6detail17trampoline_kernelINS0_14default_configENS1_25partition_config_selectorILNS1_17partition_subalgoE6EyNS0_10empty_typeEbEEZZNS1_14partition_implILS5_6ELb0ES3_mN6thrust23THRUST_200600_302600_NS6detail15normal_iteratorINSA_10device_ptrIyEEEEPS6_SG_NS0_5tupleIJSF_S6_EEENSH_IJSG_SG_EEES6_PlJ7is_evenIyEEEE10hipError_tPvRmT3_T4_T5_T6_T7_T9_mT8_P12ihipStream_tbDpT10_ENKUlT_T0_E_clISt17integral_constantIbLb1EES15_IbLb0EEEEDaS11_S12_EUlS11_E_NS1_11comp_targetILNS1_3genE9ELNS1_11target_archE1100ELNS1_3gpuE3ELNS1_3repE0EEENS1_30default_config_static_selectorELNS0_4arch9wavefront6targetE0EEEvT1_,@function
_ZN7rocprim17ROCPRIM_400000_NS6detail17trampoline_kernelINS0_14default_configENS1_25partition_config_selectorILNS1_17partition_subalgoE6EyNS0_10empty_typeEbEEZZNS1_14partition_implILS5_6ELb0ES3_mN6thrust23THRUST_200600_302600_NS6detail15normal_iteratorINSA_10device_ptrIyEEEEPS6_SG_NS0_5tupleIJSF_S6_EEENSH_IJSG_SG_EEES6_PlJ7is_evenIyEEEE10hipError_tPvRmT3_T4_T5_T6_T7_T9_mT8_P12ihipStream_tbDpT10_ENKUlT_T0_E_clISt17integral_constantIbLb1EES15_IbLb0EEEEDaS11_S12_EUlS11_E_NS1_11comp_targetILNS1_3genE9ELNS1_11target_archE1100ELNS1_3gpuE3ELNS1_3repE0EEENS1_30default_config_static_selectorELNS0_4arch9wavefront6targetE0EEEvT1_: ; @_ZN7rocprim17ROCPRIM_400000_NS6detail17trampoline_kernelINS0_14default_configENS1_25partition_config_selectorILNS1_17partition_subalgoE6EyNS0_10empty_typeEbEEZZNS1_14partition_implILS5_6ELb0ES3_mN6thrust23THRUST_200600_302600_NS6detail15normal_iteratorINSA_10device_ptrIyEEEEPS6_SG_NS0_5tupleIJSF_S6_EEENSH_IJSG_SG_EEES6_PlJ7is_evenIyEEEE10hipError_tPvRmT3_T4_T5_T6_T7_T9_mT8_P12ihipStream_tbDpT10_ENKUlT_T0_E_clISt17integral_constantIbLb1EES15_IbLb0EEEEDaS11_S12_EUlS11_E_NS1_11comp_targetILNS1_3genE9ELNS1_11target_archE1100ELNS1_3gpuE3ELNS1_3repE0EEENS1_30default_config_static_selectorELNS0_4arch9wavefront6targetE0EEEvT1_
; %bb.0:
	s_clause 0x3
	s_load_b128 s[16:19], s[0:1], 0x8
	s_load_b128 s[8:11], s[0:1], 0x40
	s_load_b32 s12, s[0:1], 0x68
	s_load_b64 s[4:5], s[0:1], 0x50
	s_waitcnt lgkmcnt(0)
	s_lshl_b64 s[2:3], s[18:19], 3
	s_load_b64 s[6:7], s[10:11], 0x0
	s_mul_i32 s10, s12, 0x900
	s_add_u32 s14, s16, s2
	s_addc_u32 s16, s17, s3
	s_add_i32 s2, s10, s18
	s_add_i32 s12, s12, -1
	s_sub_i32 s2, s4, s2
	s_add_u32 s10, s18, s10
	s_addc_u32 s11, s19, 0
	s_cmp_eq_u32 s15, s12
	v_cmp_ge_u64_e64 s3, s[10:11], s[4:5]
	s_cselect_b32 s12, -1, 0
	s_mov_b32 s5, 0
	s_mul_i32 s4, s15, 0x900
	s_delay_alu instid0(SALU_CYCLE_1) | instskip(NEXT) | instid1(VALU_DEP_1)
	s_lshl_b64 s[4:5], s[4:5], 3
	s_and_b32 s3, s12, s3
	s_delay_alu instid0(SALU_CYCLE_1)
	s_xor_b32 s13, s3, -1
	s_add_u32 s3, s14, s4
	s_addc_u32 s4, s16, s5
	s_and_b32 vcc_lo, exec_lo, s13
	s_mov_b32 s5, -1
	s_cbranch_vccz .LBB286_2
; %bb.1:
	v_lshlrev_b32_e32 v13, 3, v0
	s_delay_alu instid0(VALU_DEP_1) | instskip(NEXT) | instid1(VALU_DEP_1)
	v_add_co_u32 v1, s5, s3, v13
	v_add_co_ci_u32_e64 v2, null, s4, 0, s5
	s_mov_b32 s5, 0
	s_delay_alu instid0(VALU_DEP_2) | instskip(NEXT) | instid1(VALU_DEP_2)
	v_add_co_u32 v3, vcc_lo, 0x1000, v1
	v_add_co_ci_u32_e32 v4, vcc_lo, 0, v2, vcc_lo
	v_add_co_u32 v5, vcc_lo, 0x2000, v1
	v_add_co_ci_u32_e32 v6, vcc_lo, 0, v2, vcc_lo
	;; [unrolled: 2-line block ×3, first 2 shown]
	s_clause 0x5
	flat_load_b64 v[9:10], v[1:2]
	flat_load_b64 v[1:2], v[1:2] offset:3072
	flat_load_b64 v[3:4], v[3:4] offset:2048
	;; [unrolled: 1-line block ×3, first 2 shown]
	flat_load_b64 v[11:12], v[7:8]
	flat_load_b64 v[7:8], v[7:8] offset:3072
	s_waitcnt vmcnt(4) lgkmcnt(0)
	ds_store_2addr_stride64_b64 v13, v[9:10], v[1:2] offset1:6
	s_waitcnt vmcnt(2)
	ds_store_2addr_stride64_b64 v13, v[3:4], v[5:6] offset0:12 offset1:18
	s_waitcnt vmcnt(0)
	ds_store_2addr_stride64_b64 v13, v[11:12], v[7:8] offset0:24 offset1:30
	s_waitcnt lgkmcnt(0)
	s_barrier
.LBB286_2:
	s_and_not1_b32 vcc_lo, exec_lo, s5
	s_addk_i32 s2, 0x900
	s_cbranch_vccnz .LBB286_16
; %bb.3:
	s_mov_b32 s5, exec_lo
                                        ; implicit-def: $vgpr1_vgpr2_vgpr3_vgpr4_vgpr5_vgpr6_vgpr7_vgpr8_vgpr9_vgpr10_vgpr11_vgpr12_vgpr13_vgpr14_vgpr15_vgpr16
	v_cmpx_gt_u32_e64 s2, v0
	s_cbranch_execz .LBB286_5
; %bb.4:
	v_lshlrev_b32_e32 v1, 3, v0
	s_delay_alu instid0(VALU_DEP_1) | instskip(NEXT) | instid1(VALU_DEP_1)
	v_add_co_u32 v1, s10, s3, v1
	v_add_co_ci_u32_e64 v2, null, s4, 0, s10
	flat_load_b64 v[1:2], v[1:2]
.LBB286_5:
	s_or_b32 exec_lo, exec_lo, s5
	v_add_nc_u32_e32 v13, 0x180, v0
	s_mov_b32 s5, exec_lo
	s_delay_alu instid0(VALU_DEP_1)
	v_cmpx_gt_u32_e64 s2, v13
	s_cbranch_execz .LBB286_7
; %bb.6:
	v_lshlrev_b32_e32 v3, 3, v0
	s_delay_alu instid0(VALU_DEP_1) | instskip(NEXT) | instid1(VALU_DEP_1)
	v_add_co_u32 v3, s10, s3, v3
	v_add_co_ci_u32_e64 v4, null, s4, 0, s10
	flat_load_b64 v[3:4], v[3:4] offset:3072
.LBB286_7:
	s_or_b32 exec_lo, exec_lo, s5
	v_add_nc_u32_e32 v13, 0x300, v0
	s_mov_b32 s5, exec_lo
	s_delay_alu instid0(VALU_DEP_1)
	v_cmpx_gt_u32_e64 s2, v13
	s_cbranch_execz .LBB286_9
; %bb.8:
	v_lshlrev_b32_e32 v5, 3, v13
	s_delay_alu instid0(VALU_DEP_1) | instskip(NEXT) | instid1(VALU_DEP_1)
	v_add_co_u32 v5, s10, s3, v5
	v_add_co_ci_u32_e64 v6, null, s4, 0, s10
	flat_load_b64 v[5:6], v[5:6]
.LBB286_9:
	s_or_b32 exec_lo, exec_lo, s5
	v_add_nc_u32_e32 v13, 0x480, v0
	s_mov_b32 s5, exec_lo
	s_delay_alu instid0(VALU_DEP_1)
	v_cmpx_gt_u32_e64 s2, v13
	s_cbranch_execz .LBB286_11
; %bb.10:
	v_lshlrev_b32_e32 v7, 3, v13
	s_delay_alu instid0(VALU_DEP_1) | instskip(NEXT) | instid1(VALU_DEP_1)
	v_add_co_u32 v7, s10, s3, v7
	v_add_co_ci_u32_e64 v8, null, s4, 0, s10
	flat_load_b64 v[7:8], v[7:8]
.LBB286_11:
	s_or_b32 exec_lo, exec_lo, s5
	v_or_b32_e32 v13, 0x600, v0
	s_mov_b32 s5, exec_lo
	s_delay_alu instid0(VALU_DEP_1)
	v_cmpx_gt_u32_e64 s2, v13
	s_cbranch_execz .LBB286_13
; %bb.12:
	v_lshlrev_b32_e32 v9, 3, v13
	s_delay_alu instid0(VALU_DEP_1) | instskip(NEXT) | instid1(VALU_DEP_1)
	v_add_co_u32 v9, s10, s3, v9
	v_add_co_ci_u32_e64 v10, null, s4, 0, s10
	flat_load_b64 v[9:10], v[9:10]
.LBB286_13:
	s_or_b32 exec_lo, exec_lo, s5
	v_add_nc_u32_e32 v13, 0x780, v0
	s_mov_b32 s5, exec_lo
	s_delay_alu instid0(VALU_DEP_1)
	v_cmpx_gt_u32_e64 s2, v13
	s_cbranch_execz .LBB286_15
; %bb.14:
	v_lshlrev_b32_e32 v11, 3, v13
	s_delay_alu instid0(VALU_DEP_1) | instskip(NEXT) | instid1(VALU_DEP_1)
	v_add_co_u32 v11, s3, s3, v11
	v_add_co_ci_u32_e64 v12, null, s4, 0, s3
	flat_load_b64 v[11:12], v[11:12]
.LBB286_15:
	s_or_b32 exec_lo, exec_lo, s5
	v_lshlrev_b32_e32 v13, 3, v0
	s_waitcnt vmcnt(0) lgkmcnt(0)
	ds_store_2addr_stride64_b64 v13, v[1:2], v[3:4] offset1:6
	ds_store_2addr_stride64_b64 v13, v[5:6], v[7:8] offset0:12 offset1:18
	ds_store_2addr_stride64_b64 v13, v[9:10], v[11:12] offset0:24 offset1:30
	s_waitcnt lgkmcnt(0)
	s_barrier
.LBB286_16:
	v_mul_u32_u24_e32 v13, 6, v0
	s_waitcnt lgkmcnt(0)
	buffer_gl0_inv
	s_and_not1_b32 vcc_lo, exec_lo, s13
	v_lshlrev_b32_e32 v35, 3, v13
	ds_load_b128 v[9:12], v35
	ds_load_b128 v[5:8], v35 offset:16
	ds_load_b128 v[1:4], v35 offset:32
	s_waitcnt lgkmcnt(0)
	s_barrier
	buffer_gl0_inv
	v_xor_b32_e32 v16, -1, v9
	v_xor_b32_e32 v18, -1, v11
	;; [unrolled: 1-line block ×6, first 2 shown]
	s_cbranch_vccnz .LBB286_18
; %bb.17:
	v_and_b32_e32 v20, 1, v18
	v_and_b32_e32 v21, 1, v19
	;; [unrolled: 1-line block ×5, first 2 shown]
	v_lshlrev_b16 v20, 8, v20
	v_lshlrev_b16 v21, 8, v21
	v_and_b32_e32 v31, 1, v15
	s_delay_alu instid0(VALU_DEP_3) | instskip(NEXT) | instid1(VALU_DEP_3)
	v_or_b32_e32 v20, v22, v20
	v_or_b32_e32 v21, v23, v21
	s_delay_alu instid0(VALU_DEP_2) | instskip(NEXT) | instid1(VALU_DEP_2)
	v_and_b32_e32 v20, 0xffff, v20
	v_lshlrev_b32_e32 v21, 16, v21
	s_delay_alu instid0(VALU_DEP_1)
	v_or_b32_e32 v34, v20, v21
	s_load_b64 s[10:11], s[0:1], 0x60
	s_cbranch_execz .LBB286_19
	s_branch .LBB286_20
.LBB286_18:
                                        ; implicit-def: $vgpr31
                                        ; implicit-def: $vgpr32
                                        ; implicit-def: $vgpr34
	s_load_b64 s[10:11], s[0:1], 0x60
.LBB286_19:
	v_or_b32_e32 v20, 1, v13
	v_add_nc_u32_e32 v21, 3, v13
	v_add_nc_u32_e32 v22, 2, v13
	s_delay_alu instid0(VALU_DEP_3) | instskip(SKIP_1) | instid1(VALU_DEP_4)
	v_cmp_gt_u32_e32 vcc_lo, s2, v20
	v_cndmask_b32_e64 v20, 0, 1, vcc_lo
	v_cmp_gt_u32_e32 vcc_lo, s2, v21
	s_delay_alu instid0(VALU_DEP_2)
	v_and_b32_e32 v18, v20, v18
	v_cndmask_b32_e64 v21, 0, 1, vcc_lo
	v_cmp_gt_u32_e32 vcc_lo, s2, v13
	v_add_nc_u32_e32 v20, 4, v13
	v_add_nc_u32_e32 v13, 5, v13
	v_lshlrev_b16 v18, 8, v18
	v_and_b32_e32 v19, v21, v19
	v_cndmask_b32_e64 v23, 0, 1, vcc_lo
	v_cmp_gt_u32_e32 vcc_lo, s2, v22
	s_delay_alu instid0(VALU_DEP_3) | instskip(NEXT) | instid1(VALU_DEP_3)
	v_lshlrev_b16 v19, 8, v19
	v_and_b32_e32 v16, v23, v16
	v_cndmask_b32_e64 v22, 0, 1, vcc_lo
	v_cmp_gt_u32_e32 vcc_lo, s2, v20
	s_delay_alu instid0(VALU_DEP_3) | instskip(NEXT) | instid1(VALU_DEP_3)
	v_or_b32_e32 v16, v16, v18
	v_and_b32_e32 v17, v22, v17
	v_cndmask_b32_e64 v18, 0, 1, vcc_lo
	v_cmp_gt_u32_e32 vcc_lo, s2, v13
	s_delay_alu instid0(VALU_DEP_4) | instskip(NEXT) | instid1(VALU_DEP_4)
	v_and_b32_e32 v16, 0xffff, v16
	v_or_b32_e32 v17, v17, v19
	s_delay_alu instid0(VALU_DEP_4) | instskip(SKIP_1) | instid1(VALU_DEP_3)
	v_and_b32_e32 v32, v18, v14
	v_cndmask_b32_e64 v13, 0, 1, vcc_lo
	v_lshlrev_b32_e32 v17, 16, v17
	s_delay_alu instid0(VALU_DEP_2) | instskip(NEXT) | instid1(VALU_DEP_2)
	v_and_b32_e32 v31, v13, v15
	v_or_b32_e32 v34, v16, v17
.LBB286_20:
	s_delay_alu instid0(VALU_DEP_1)
	v_dual_mov_b32 v14, 0 :: v_dual_and_b32 v39, 0xff, v34
	v_bfe_u32 v38, v34, 8, 8
	v_bfe_u32 v37, v34, 16, 8
	v_lshrrev_b32_e32 v33, 24, v34
	v_and_b32_e32 v36, 0xff, v32
	v_mbcnt_lo_u32_b32 v40, -1, 0
	v_add_co_u32 v13, s2, v38, v39
	s_delay_alu instid0(VALU_DEP_1) | instskip(SKIP_1) | instid1(VALU_DEP_3)
	v_add_co_ci_u32_e64 v15, null, 0, 0, s2
	v_and_b32_e32 v16, 0xff, v31
	v_add_co_u32 v13, vcc_lo, v13, v37
	s_delay_alu instid0(VALU_DEP_3) | instskip(SKIP_1) | instid1(VALU_DEP_3)
	v_add_co_ci_u32_e32 v15, vcc_lo, 0, v15, vcc_lo
	v_and_b32_e32 v41, 15, v40
	v_add_co_u32 v13, vcc_lo, v13, v33
	s_delay_alu instid0(VALU_DEP_3) | instskip(NEXT) | instid1(VALU_DEP_3)
	v_add_co_ci_u32_e32 v15, vcc_lo, 0, v15, vcc_lo
	v_cmp_ne_u32_e64 s2, 0, v41
	s_delay_alu instid0(VALU_DEP_3) | instskip(NEXT) | instid1(VALU_DEP_3)
	v_add_co_u32 v13, vcc_lo, v13, v36
	v_add_co_ci_u32_e32 v15, vcc_lo, 0, v15, vcc_lo
	s_cmp_lg_u32 s15, 0
	s_delay_alu instid0(VALU_DEP_2) | instskip(NEXT) | instid1(VALU_DEP_2)
	v_add_co_u32 v21, vcc_lo, v13, v16
	v_add_co_ci_u32_e32 v22, vcc_lo, 0, v15, vcc_lo
	s_mov_b32 s3, -1
	s_cbranch_scc0 .LBB286_89
; %bb.21:
	s_delay_alu instid0(VALU_DEP_2)
	v_mov_b32_e32 v15, v21
	v_mov_b32_dpp v13, v21 row_shr:1 row_mask:0xf bank_mask:0xf
	v_mov_b32_dpp v18, v14 row_shr:1 row_mask:0xf bank_mask:0xf
	v_dual_mov_b32 v17, v21 :: v_dual_mov_b32 v16, v22
	s_and_saveexec_b32 s3, s2
; %bb.22:
	s_delay_alu instid0(VALU_DEP_3) | instskip(SKIP_1) | instid1(VALU_DEP_2)
	v_add_co_u32 v17, vcc_lo, v21, v13
	v_add_co_ci_u32_e32 v14, vcc_lo, 0, v22, vcc_lo
	v_add_co_u32 v13, vcc_lo, 0, v17
	s_delay_alu instid0(VALU_DEP_2) | instskip(NEXT) | instid1(VALU_DEP_1)
	v_add_co_ci_u32_e32 v14, vcc_lo, v18, v14, vcc_lo
	v_dual_mov_b32 v16, v14 :: v_dual_mov_b32 v15, v13
; %bb.23:
	s_or_b32 exec_lo, exec_lo, s3
	v_mov_b32_dpp v13, v17 row_shr:2 row_mask:0xf bank_mask:0xf
	v_mov_b32_dpp v18, v14 row_shr:2 row_mask:0xf bank_mask:0xf
	v_cmp_lt_u32_e32 vcc_lo, 1, v41
	s_and_saveexec_b32 s4, vcc_lo
; %bb.24:
	s_delay_alu instid0(VALU_DEP_3) | instskip(NEXT) | instid1(VALU_DEP_1)
	v_add_co_u32 v17, s3, v15, v13
	v_add_co_ci_u32_e64 v14, s3, 0, v16, s3
	s_delay_alu instid0(VALU_DEP_2) | instskip(NEXT) | instid1(VALU_DEP_1)
	v_add_co_u32 v13, s3, 0, v17
	v_add_co_ci_u32_e64 v14, s3, v18, v14, s3
	s_delay_alu instid0(VALU_DEP_1)
	v_dual_mov_b32 v16, v14 :: v_dual_mov_b32 v15, v13
; %bb.25:
	s_or_b32 exec_lo, exec_lo, s4
	v_mov_b32_dpp v13, v17 row_shr:4 row_mask:0xf bank_mask:0xf
	v_mov_b32_dpp v18, v14 row_shr:4 row_mask:0xf bank_mask:0xf
	v_cmp_lt_u32_e64 s3, 3, v41
	s_delay_alu instid0(VALU_DEP_1)
	s_and_saveexec_b32 s5, s3
; %bb.26:
	s_delay_alu instid0(VALU_DEP_3) | instskip(NEXT) | instid1(VALU_DEP_1)
	v_add_co_u32 v17, s4, v15, v13
	v_add_co_ci_u32_e64 v14, s4, 0, v16, s4
	s_delay_alu instid0(VALU_DEP_2) | instskip(NEXT) | instid1(VALU_DEP_1)
	v_add_co_u32 v13, s4, 0, v17
	v_add_co_ci_u32_e64 v14, s4, v18, v14, s4
	s_delay_alu instid0(VALU_DEP_1)
	v_dual_mov_b32 v16, v14 :: v_dual_mov_b32 v15, v13
; %bb.27:
	s_or_b32 exec_lo, exec_lo, s5
	v_mov_b32_dpp v18, v17 row_shr:8 row_mask:0xf bank_mask:0xf
	v_mov_b32_dpp v13, v14 row_shr:8 row_mask:0xf bank_mask:0xf
	v_cmp_lt_u32_e64 s4, 7, v41
	s_delay_alu instid0(VALU_DEP_1)
	s_and_saveexec_b32 s14, s4
; %bb.28:
	s_delay_alu instid0(VALU_DEP_3) | instskip(NEXT) | instid1(VALU_DEP_1)
	v_add_co_u32 v17, s5, v15, v18
	v_add_co_ci_u32_e64 v14, s5, 0, v16, s5
	s_delay_alu instid0(VALU_DEP_2) | instskip(NEXT) | instid1(VALU_DEP_1)
	v_add_co_u32 v15, s5, 0, v17
	v_add_co_ci_u32_e64 v16, s5, v13, v14, s5
	s_delay_alu instid0(VALU_DEP_1)
	v_mov_b32_e32 v14, v16
; %bb.29:
	s_or_b32 exec_lo, exec_lo, s14
	ds_swizzle_b32 v13, v17 offset:swizzle(BROADCAST,32,15)
	ds_swizzle_b32 v18, v14 offset:swizzle(BROADCAST,32,15)
	v_and_b32_e32 v19, 16, v40
	s_mov_b32 s14, exec_lo
	s_delay_alu instid0(VALU_DEP_1)
	v_cmpx_ne_u32_e32 0, v19
	s_cbranch_execz .LBB286_31
; %bb.30:
	s_waitcnt lgkmcnt(0)
	v_add_co_u32 v17, s5, v15, v13
	s_delay_alu instid0(VALU_DEP_1) | instskip(NEXT) | instid1(VALU_DEP_2)
	v_add_co_ci_u32_e64 v14, s5, 0, v16, s5
	v_add_co_u32 v13, s5, 0, v17
	s_delay_alu instid0(VALU_DEP_1) | instskip(NEXT) | instid1(VALU_DEP_1)
	v_add_co_ci_u32_e64 v14, s5, v18, v14, s5
	v_dual_mov_b32 v16, v14 :: v_dual_mov_b32 v15, v13
.LBB286_31:
	s_or_b32 exec_lo, exec_lo, s14
	s_waitcnt lgkmcnt(0)
	v_and_b32_e32 v13, 0x1e0, v0
	s_mov_b32 s14, exec_lo
	s_delay_alu instid0(VALU_DEP_1) | instskip(NEXT) | instid1(VALU_DEP_1)
	v_min_u32_e32 v13, 0x160, v13
	v_or_b32_e32 v18, 31, v13
	v_lshrrev_b32_e32 v13, 5, v0
	s_delay_alu instid0(VALU_DEP_2)
	v_cmpx_eq_u32_e64 v18, v0
	s_cbranch_execz .LBB286_33
; %bb.32:
	s_delay_alu instid0(VALU_DEP_2)
	v_lshlrev_b32_e32 v18, 3, v13
	ds_store_b64 v18, v[15:16]
.LBB286_33:
	s_or_b32 exec_lo, exec_lo, s14
	s_delay_alu instid0(SALU_CYCLE_1)
	s_mov_b32 s14, exec_lo
	s_waitcnt lgkmcnt(0)
	s_barrier
	buffer_gl0_inv
	v_cmpx_gt_u32_e32 12, v0
	s_cbranch_execz .LBB286_43
; %bb.34:
	v_lshlrev_b32_e32 v18, 3, v0
	ds_load_b64 v[15:16], v18
	s_waitcnt lgkmcnt(0)
	v_mov_b32_e32 v19, v15
	v_mov_b32_dpp v23, v15 row_shr:1 row_mask:0xf bank_mask:0xf
	v_mov_b32_dpp v20, v16 row_shr:1 row_mask:0xf bank_mask:0xf
	s_and_saveexec_b32 s16, s2
; %bb.35:
	s_delay_alu instid0(VALU_DEP_2) | instskip(NEXT) | instid1(VALU_DEP_1)
	v_add_co_u32 v19, s5, v15, v23
	v_add_co_ci_u32_e64 v16, s5, 0, v16, s5
	s_delay_alu instid0(VALU_DEP_2) | instskip(NEXT) | instid1(VALU_DEP_1)
	v_add_co_u32 v15, s5, 0, v19
	v_add_co_ci_u32_e64 v16, s5, v20, v16, s5
; %bb.36:
	s_or_b32 exec_lo, exec_lo, s16
	v_mov_b32_dpp v23, v19 row_shr:2 row_mask:0xf bank_mask:0xf
	s_delay_alu instid0(VALU_DEP_2)
	v_mov_b32_dpp v20, v16 row_shr:2 row_mask:0xf bank_mask:0xf
	s_and_saveexec_b32 s5, vcc_lo
; %bb.37:
	s_delay_alu instid0(VALU_DEP_2) | instskip(SKIP_1) | instid1(VALU_DEP_2)
	v_add_co_u32 v19, vcc_lo, v15, v23
	v_add_co_ci_u32_e32 v16, vcc_lo, 0, v16, vcc_lo
	v_add_co_u32 v15, vcc_lo, 0, v19
	s_delay_alu instid0(VALU_DEP_2)
	v_add_co_ci_u32_e32 v16, vcc_lo, v20, v16, vcc_lo
; %bb.38:
	s_or_b32 exec_lo, exec_lo, s5
	v_mov_b32_dpp v23, v19 row_shr:4 row_mask:0xf bank_mask:0xf
	s_delay_alu instid0(VALU_DEP_2)
	v_mov_b32_dpp v20, v16 row_shr:4 row_mask:0xf bank_mask:0xf
	s_and_saveexec_b32 s5, s3
; %bb.39:
	s_delay_alu instid0(VALU_DEP_2) | instskip(SKIP_1) | instid1(VALU_DEP_2)
	v_add_co_u32 v19, vcc_lo, v15, v23
	v_add_co_ci_u32_e32 v16, vcc_lo, 0, v16, vcc_lo
	v_add_co_u32 v15, vcc_lo, 0, v19
	s_delay_alu instid0(VALU_DEP_2)
	v_add_co_ci_u32_e32 v16, vcc_lo, v20, v16, vcc_lo
; %bb.40:
	s_or_b32 exec_lo, exec_lo, s5
	v_mov_b32_dpp v20, v19 row_shr:8 row_mask:0xf bank_mask:0xf
	s_delay_alu instid0(VALU_DEP_2)
	v_mov_b32_dpp v19, v16 row_shr:8 row_mask:0xf bank_mask:0xf
	s_and_saveexec_b32 s3, s4
; %bb.41:
	s_delay_alu instid0(VALU_DEP_2) | instskip(SKIP_1) | instid1(VALU_DEP_2)
	v_add_co_u32 v15, vcc_lo, v15, v20
	v_add_co_ci_u32_e32 v16, vcc_lo, 0, v16, vcc_lo
	v_add_co_u32 v15, vcc_lo, v15, 0
	s_delay_alu instid0(VALU_DEP_2)
	v_add_co_ci_u32_e32 v16, vcc_lo, v16, v19, vcc_lo
; %bb.42:
	s_or_b32 exec_lo, exec_lo, s3
	ds_store_b64 v18, v[15:16]
.LBB286_43:
	s_or_b32 exec_lo, exec_lo, s14
	v_cmp_gt_u32_e32 vcc_lo, 32, v0
	s_mov_b32 s4, exec_lo
	s_waitcnt lgkmcnt(0)
	s_barrier
	buffer_gl0_inv
                                        ; implicit-def: $vgpr23_vgpr24
	v_cmpx_lt_u32_e32 31, v0
	s_cbranch_execz .LBB286_45
; %bb.44:
	v_lshl_add_u32 v13, v13, 3, -8
	ds_load_b64 v[23:24], v13
	s_waitcnt lgkmcnt(0)
	v_add_co_u32 v17, s3, v17, v23
	s_delay_alu instid0(VALU_DEP_1)
	v_add_co_ci_u32_e64 v14, s3, v14, v24, s3
.LBB286_45:
	s_or_b32 exec_lo, exec_lo, s4
	v_add_nc_u32_e32 v13, -1, v40
	s_delay_alu instid0(VALU_DEP_1) | instskip(NEXT) | instid1(VALU_DEP_1)
	v_cmp_gt_i32_e64 s3, 0, v13
	v_cndmask_b32_e64 v13, v13, v40, s3
	v_cmp_eq_u32_e64 s3, 0, v40
	s_delay_alu instid0(VALU_DEP_2)
	v_lshlrev_b32_e32 v13, 2, v13
	ds_bpermute_b32 v29, v13, v17
	ds_bpermute_b32 v30, v13, v14
	s_and_saveexec_b32 s4, vcc_lo
	s_cbranch_execz .LBB286_88
; %bb.46:
	v_mov_b32_e32 v16, 0
	ds_load_b64 v[13:14], v16 offset:88
	s_and_saveexec_b32 s5, s3
	s_cbranch_execz .LBB286_48
; %bb.47:
	s_add_i32 s16, s15, 32
	s_mov_b32 s17, 0
	s_delay_alu instid0(SALU_CYCLE_1) | instskip(NEXT) | instid1(SALU_CYCLE_1)
	s_lshl_b64 s[16:17], s[16:17], 4
	s_add_u32 s16, s10, s16
	s_addc_u32 s17, s11, s17
	s_delay_alu instid0(SALU_CYCLE_1)
	v_dual_mov_b32 v15, 1 :: v_dual_mov_b32 v18, s17
	v_mov_b32_e32 v17, s16
	s_waitcnt lgkmcnt(0)
	;;#ASMSTART
	global_store_dwordx4 v[17:18], v[13:16] off	
s_waitcnt vmcnt(0)
	;;#ASMEND
.LBB286_48:
	s_or_b32 exec_lo, exec_lo, s5
	v_xad_u32 v25, v40, -1, s15
	s_mov_b32 s14, 0
	s_mov_b32 s5, exec_lo
	s_delay_alu instid0(VALU_DEP_1) | instskip(NEXT) | instid1(VALU_DEP_1)
	v_add_nc_u32_e32 v15, 32, v25
	v_lshlrev_b64 v[15:16], 4, v[15:16]
	s_delay_alu instid0(VALU_DEP_1) | instskip(NEXT) | instid1(VALU_DEP_2)
	v_add_co_u32 v15, vcc_lo, s10, v15
	v_add_co_ci_u32_e32 v16, vcc_lo, s11, v16, vcc_lo
	;;#ASMSTART
	global_load_dwordx4 v[17:20], v[15:16] off glc	
s_waitcnt vmcnt(0)
	;;#ASMEND
	v_and_b32_e32 v20, 0xff, v18
	v_and_b32_e32 v26, 0xff00, v18
	v_or3_b32 v17, v17, 0, 0
	v_and_b32_e32 v27, 0xff000000, v18
	v_and_b32_e32 v18, 0xff0000, v18
	s_delay_alu instid0(VALU_DEP_4) | instskip(SKIP_2) | instid1(VALU_DEP_3)
	v_or3_b32 v20, 0, v20, v26
	v_and_b32_e32 v26, 0xff, v19
	v_or3_b32 v17, v17, 0, 0
	v_or3_b32 v18, v20, v18, v27
	s_delay_alu instid0(VALU_DEP_3)
	v_cmpx_eq_u16_e32 0, v26
	s_cbranch_execz .LBB286_54
; %bb.49:
	s_mov_b32 s16, 1
	.p2align	6
.LBB286_50:                             ; =>This Loop Header: Depth=1
                                        ;     Child Loop BB286_51 Depth 2
	s_delay_alu instid0(SALU_CYCLE_1)
	s_max_u32 s17, s16, 1
.LBB286_51:                             ;   Parent Loop BB286_50 Depth=1
                                        ; =>  This Inner Loop Header: Depth=2
	s_delay_alu instid0(SALU_CYCLE_1)
	s_add_i32 s17, s17, -1
	s_sleep 1
	s_cmp_eq_u32 s17, 0
	s_cbranch_scc0 .LBB286_51
; %bb.52:                               ;   in Loop: Header=BB286_50 Depth=1
	;;#ASMSTART
	global_load_dwordx4 v[17:20], v[15:16] off glc	
s_waitcnt vmcnt(0)
	;;#ASMEND
	v_and_b32_e32 v20, 0xff, v19
	s_cmp_lt_u32 s16, 32
	s_cselect_b32 s17, -1, 0
	s_delay_alu instid0(SALU_CYCLE_1) | instskip(NEXT) | instid1(VALU_DEP_1)
	s_cmp_lg_u32 s17, 0
	v_cmp_ne_u16_e32 vcc_lo, 0, v20
	s_addc_u32 s16, s16, 0
	s_or_b32 s14, vcc_lo, s14
	s_delay_alu instid0(SALU_CYCLE_1)
	s_and_not1_b32 exec_lo, exec_lo, s14
	s_cbranch_execnz .LBB286_50
; %bb.53:
	s_or_b32 exec_lo, exec_lo, s14
.LBB286_54:
	s_delay_alu instid0(SALU_CYCLE_1)
	s_or_b32 exec_lo, exec_lo, s5
	v_cmp_ne_u32_e32 vcc_lo, 31, v40
	v_and_b32_e32 v16, 0xff, v19
	v_lshlrev_b32_e64 v43, v40, -1
	s_mov_b32 s5, exec_lo
	v_add_co_ci_u32_e32 v15, vcc_lo, 0, v40, vcc_lo
	s_delay_alu instid0(VALU_DEP_3) | instskip(SKIP_1) | instid1(VALU_DEP_3)
	v_cmp_eq_u16_e32 vcc_lo, 2, v16
	v_mov_b32_e32 v16, v17
	v_lshlrev_b32_e32 v42, 2, v15
	v_and_or_b32 v15, vcc_lo, v43, 0x80000000
	ds_bpermute_b32 v26, v42, v17
	ds_bpermute_b32 v20, v42, v18
	v_ctz_i32_b32_e32 v15, v15
	s_delay_alu instid0(VALU_DEP_1)
	v_cmpx_lt_u32_e64 v40, v15
	s_cbranch_execz .LBB286_56
; %bb.55:
	s_waitcnt lgkmcnt(1)
	v_add_co_u32 v16, vcc_lo, v17, v26
	v_add_co_ci_u32_e32 v18, vcc_lo, 0, v18, vcc_lo
	s_delay_alu instid0(VALU_DEP_2) | instskip(SKIP_1) | instid1(VALU_DEP_2)
	v_add_co_u32 v17, vcc_lo, 0, v16
	s_waitcnt lgkmcnt(0)
	v_add_co_ci_u32_e32 v18, vcc_lo, v20, v18, vcc_lo
.LBB286_56:
	s_or_b32 exec_lo, exec_lo, s5
	v_cmp_gt_u32_e32 vcc_lo, 30, v40
	v_add_nc_u32_e32 v45, 2, v40
	s_mov_b32 s5, exec_lo
	s_waitcnt lgkmcnt(0)
	v_cndmask_b32_e64 v20, 0, 1, vcc_lo
	s_delay_alu instid0(VALU_DEP_1) | instskip(NEXT) | instid1(VALU_DEP_1)
	v_lshlrev_b32_e32 v20, 1, v20
	v_add_lshl_u32 v44, v20, v40, 2
	ds_bpermute_b32 v26, v44, v16
	ds_bpermute_b32 v20, v44, v18
	v_cmpx_le_u32_e64 v45, v15
	s_cbranch_execz .LBB286_58
; %bb.57:
	s_waitcnt lgkmcnt(1)
	v_add_co_u32 v16, vcc_lo, v17, v26
	v_add_co_ci_u32_e32 v18, vcc_lo, 0, v18, vcc_lo
	s_delay_alu instid0(VALU_DEP_2) | instskip(SKIP_1) | instid1(VALU_DEP_2)
	v_add_co_u32 v17, vcc_lo, 0, v16
	s_waitcnt lgkmcnt(0)
	v_add_co_ci_u32_e32 v18, vcc_lo, v20, v18, vcc_lo
.LBB286_58:
	s_or_b32 exec_lo, exec_lo, s5
	v_cmp_gt_u32_e32 vcc_lo, 28, v40
	v_add_nc_u32_e32 v47, 4, v40
	s_mov_b32 s5, exec_lo
	s_waitcnt lgkmcnt(0)
	v_cndmask_b32_e64 v20, 0, 1, vcc_lo
	s_delay_alu instid0(VALU_DEP_1) | instskip(NEXT) | instid1(VALU_DEP_1)
	v_lshlrev_b32_e32 v20, 2, v20
	v_add_lshl_u32 v46, v20, v40, 2
	ds_bpermute_b32 v26, v46, v16
	ds_bpermute_b32 v20, v46, v18
	v_cmpx_le_u32_e64 v47, v15
	;; [unrolled: 22-line block ×4, first 2 shown]
	s_cbranch_execz .LBB286_64
; %bb.63:
	s_waitcnt lgkmcnt(1)
	v_add_co_u32 v15, vcc_lo, v17, v20
	v_add_co_ci_u32_e32 v18, vcc_lo, 0, v18, vcc_lo
	s_delay_alu instid0(VALU_DEP_2) | instskip(SKIP_1) | instid1(VALU_DEP_2)
	v_add_co_u32 v17, vcc_lo, v15, 0
	s_waitcnt lgkmcnt(0)
	v_add_co_ci_u32_e32 v18, vcc_lo, v18, v16, vcc_lo
.LBB286_64:
	s_or_b32 exec_lo, exec_lo, s5
	v_mov_b32_e32 v26, 0
	s_branch .LBB286_66
.LBB286_65:                             ;   in Loop: Header=BB286_66 Depth=1
	s_or_b32 exec_lo, exec_lo, s5
	v_add_co_u32 v17, vcc_lo, v17, v15
	v_subrev_nc_u32_e32 v25, 32, v25
	v_add_co_ci_u32_e32 v18, vcc_lo, v18, v16, vcc_lo
.LBB286_66:                             ; =>This Loop Header: Depth=1
                                        ;     Child Loop BB286_69 Depth 2
                                        ;       Child Loop BB286_70 Depth 3
	v_and_b32_e32 v15, 0xff, v19
	s_delay_alu instid0(VALU_DEP_1) | instskip(SKIP_2) | instid1(VALU_DEP_1)
	v_cmp_ne_u16_e32 vcc_lo, 2, v15
	v_cndmask_b32_e64 v15, 0, 1, vcc_lo
	;;#ASMSTART
	;;#ASMEND
	v_cmp_ne_u32_e32 vcc_lo, 0, v15
	s_waitcnt lgkmcnt(0)
	v_dual_mov_b32 v15, v17 :: v_dual_mov_b32 v16, v18
	s_cmp_lg_u32 vcc_lo, exec_lo
	s_cbranch_scc1 .LBB286_83
; %bb.67:                               ;   in Loop: Header=BB286_66 Depth=1
	v_lshlrev_b64 v[17:18], 4, v[25:26]
	s_mov_b32 s5, exec_lo
	s_delay_alu instid0(VALU_DEP_1) | instskip(NEXT) | instid1(VALU_DEP_2)
	v_add_co_u32 v27, vcc_lo, s10, v17
	v_add_co_ci_u32_e32 v28, vcc_lo, s11, v18, vcc_lo
	;;#ASMSTART
	global_load_dwordx4 v[17:20], v[27:28] off glc	
s_waitcnt vmcnt(0)
	;;#ASMEND
	v_and_b32_e32 v20, 0xff, v18
	v_and_b32_e32 v52, 0xff00, v18
	v_or3_b32 v17, v17, 0, 0
	v_and_b32_e32 v53, 0xff000000, v18
	v_and_b32_e32 v18, 0xff0000, v18
	s_delay_alu instid0(VALU_DEP_4) | instskip(SKIP_2) | instid1(VALU_DEP_3)
	v_or3_b32 v20, 0, v20, v52
	v_and_b32_e32 v52, 0xff, v19
	v_or3_b32 v17, v17, 0, 0
	v_or3_b32 v18, v20, v18, v53
	s_delay_alu instid0(VALU_DEP_3)
	v_cmpx_eq_u16_e32 0, v52
	s_cbranch_execz .LBB286_73
; %bb.68:                               ;   in Loop: Header=BB286_66 Depth=1
	s_mov_b32 s16, 1
	s_mov_b32 s14, 0
	.p2align	6
.LBB286_69:                             ;   Parent Loop BB286_66 Depth=1
                                        ; =>  This Loop Header: Depth=2
                                        ;       Child Loop BB286_70 Depth 3
	s_max_u32 s17, s16, 1
.LBB286_70:                             ;   Parent Loop BB286_66 Depth=1
                                        ;     Parent Loop BB286_69 Depth=2
                                        ; =>    This Inner Loop Header: Depth=3
	s_delay_alu instid0(SALU_CYCLE_1)
	s_add_i32 s17, s17, -1
	s_sleep 1
	s_cmp_eq_u32 s17, 0
	s_cbranch_scc0 .LBB286_70
; %bb.71:                               ;   in Loop: Header=BB286_69 Depth=2
	;;#ASMSTART
	global_load_dwordx4 v[17:20], v[27:28] off glc	
s_waitcnt vmcnt(0)
	;;#ASMEND
	v_and_b32_e32 v20, 0xff, v19
	s_cmp_lt_u32 s16, 32
	s_cselect_b32 s17, -1, 0
	s_delay_alu instid0(SALU_CYCLE_1) | instskip(NEXT) | instid1(VALU_DEP_1)
	s_cmp_lg_u32 s17, 0
	v_cmp_ne_u16_e32 vcc_lo, 0, v20
	s_addc_u32 s16, s16, 0
	s_or_b32 s14, vcc_lo, s14
	s_delay_alu instid0(SALU_CYCLE_1)
	s_and_not1_b32 exec_lo, exec_lo, s14
	s_cbranch_execnz .LBB286_69
; %bb.72:                               ;   in Loop: Header=BB286_66 Depth=1
	s_or_b32 exec_lo, exec_lo, s14
.LBB286_73:                             ;   in Loop: Header=BB286_66 Depth=1
	s_delay_alu instid0(SALU_CYCLE_1)
	s_or_b32 exec_lo, exec_lo, s5
	v_dual_mov_b32 v27, v17 :: v_dual_and_b32 v20, 0xff, v19
	ds_bpermute_b32 v52, v42, v17
	ds_bpermute_b32 v28, v42, v18
	s_mov_b32 s5, exec_lo
	v_cmp_eq_u16_e32 vcc_lo, 2, v20
	v_and_or_b32 v20, vcc_lo, v43, 0x80000000
	s_delay_alu instid0(VALU_DEP_1) | instskip(NEXT) | instid1(VALU_DEP_1)
	v_ctz_i32_b32_e32 v20, v20
	v_cmpx_lt_u32_e64 v40, v20
	s_cbranch_execz .LBB286_75
; %bb.74:                               ;   in Loop: Header=BB286_66 Depth=1
	s_waitcnt lgkmcnt(1)
	v_add_co_u32 v27, vcc_lo, v17, v52
	v_add_co_ci_u32_e32 v18, vcc_lo, 0, v18, vcc_lo
	s_delay_alu instid0(VALU_DEP_2) | instskip(SKIP_1) | instid1(VALU_DEP_2)
	v_add_co_u32 v17, vcc_lo, 0, v27
	s_waitcnt lgkmcnt(0)
	v_add_co_ci_u32_e32 v18, vcc_lo, v28, v18, vcc_lo
.LBB286_75:                             ;   in Loop: Header=BB286_66 Depth=1
	s_or_b32 exec_lo, exec_lo, s5
	s_waitcnt lgkmcnt(1)
	ds_bpermute_b32 v52, v44, v27
	s_waitcnt lgkmcnt(1)
	ds_bpermute_b32 v28, v44, v18
	s_mov_b32 s5, exec_lo
	v_cmpx_le_u32_e64 v45, v20
	s_cbranch_execz .LBB286_77
; %bb.76:                               ;   in Loop: Header=BB286_66 Depth=1
	s_waitcnt lgkmcnt(1)
	v_add_co_u32 v27, vcc_lo, v17, v52
	v_add_co_ci_u32_e32 v18, vcc_lo, 0, v18, vcc_lo
	s_delay_alu instid0(VALU_DEP_2) | instskip(SKIP_1) | instid1(VALU_DEP_2)
	v_add_co_u32 v17, vcc_lo, 0, v27
	s_waitcnt lgkmcnt(0)
	v_add_co_ci_u32_e32 v18, vcc_lo, v28, v18, vcc_lo
.LBB286_77:                             ;   in Loop: Header=BB286_66 Depth=1
	s_or_b32 exec_lo, exec_lo, s5
	s_waitcnt lgkmcnt(1)
	ds_bpermute_b32 v52, v46, v27
	s_waitcnt lgkmcnt(1)
	ds_bpermute_b32 v28, v46, v18
	s_mov_b32 s5, exec_lo
	v_cmpx_le_u32_e64 v47, v20
	;; [unrolled: 17-line block ×3, first 2 shown]
	s_cbranch_execz .LBB286_81
; %bb.80:                               ;   in Loop: Header=BB286_66 Depth=1
	s_waitcnt lgkmcnt(1)
	v_add_co_u32 v27, vcc_lo, v17, v52
	v_add_co_ci_u32_e32 v18, vcc_lo, 0, v18, vcc_lo
	s_delay_alu instid0(VALU_DEP_2) | instskip(SKIP_1) | instid1(VALU_DEP_2)
	v_add_co_u32 v17, vcc_lo, 0, v27
	s_waitcnt lgkmcnt(0)
	v_add_co_ci_u32_e32 v18, vcc_lo, v28, v18, vcc_lo
.LBB286_81:                             ;   in Loop: Header=BB286_66 Depth=1
	s_or_b32 exec_lo, exec_lo, s5
	s_waitcnt lgkmcnt(0)
	ds_bpermute_b32 v28, v50, v27
	ds_bpermute_b32 v27, v50, v18
	s_mov_b32 s5, exec_lo
	v_cmpx_le_u32_e64 v51, v20
	s_cbranch_execz .LBB286_65
; %bb.82:                               ;   in Loop: Header=BB286_66 Depth=1
	s_waitcnt lgkmcnt(1)
	v_add_co_u32 v17, vcc_lo, v17, v28
	v_add_co_ci_u32_e32 v18, vcc_lo, 0, v18, vcc_lo
	s_delay_alu instid0(VALU_DEP_2) | instskip(SKIP_1) | instid1(VALU_DEP_2)
	v_add_co_u32 v17, vcc_lo, v17, 0
	s_waitcnt lgkmcnt(0)
	v_add_co_ci_u32_e32 v18, vcc_lo, v18, v27, vcc_lo
	s_branch .LBB286_65
.LBB286_83:                             ;   in Loop: Header=BB286_66 Depth=1
                                        ; implicit-def: $vgpr17_vgpr18
	s_cbranch_execz .LBB286_66
; %bb.84:
	s_and_saveexec_b32 s5, s3
	s_cbranch_execz .LBB286_86
; %bb.85:
	s_add_i32 s14, s15, 32
	s_mov_b32 s15, 0
	v_add_co_u32 v17, vcc_lo, v15, v13
	s_lshl_b64 s[14:15], s[14:15], 4
	v_dual_mov_b32 v19, 2 :: v_dual_mov_b32 v20, 0
	s_add_u32 s14, s10, s14
	s_addc_u32 s15, s11, s15
	v_add_co_ci_u32_e32 v18, vcc_lo, v16, v14, vcc_lo
	v_dual_mov_b32 v26, s15 :: v_dual_mov_b32 v25, s14
	;;#ASMSTART
	global_store_dwordx4 v[25:26], v[17:20] off	
s_waitcnt vmcnt(0)
	;;#ASMEND
	ds_store_b128 v20, v[13:16] offset:18432
.LBB286_86:
	s_or_b32 exec_lo, exec_lo, s5
	v_cmp_eq_u32_e32 vcc_lo, 0, v0
	s_and_b32 exec_lo, exec_lo, vcc_lo
	s_cbranch_execz .LBB286_88
; %bb.87:
	v_mov_b32_e32 v13, 0
	ds_store_b64 v13, v[15:16] offset:88
.LBB286_88:
	s_or_b32 exec_lo, exec_lo, s4
	s_waitcnt lgkmcnt(1)
	v_cndmask_b32_e64 v16, v29, v23, s3
	v_cmp_ne_u32_e32 vcc_lo, 0, v0
	v_mov_b32_e32 v15, 0
	s_waitcnt lgkmcnt(0)
	s_barrier
	buffer_gl0_inv
	v_cndmask_b32_e32 v16, 0, v16, vcc_lo
	ds_load_b64 v[13:14], v15 offset:88
	v_cndmask_b32_e64 v17, v30, v24, s3
	s_waitcnt lgkmcnt(0)
	s_barrier
	buffer_gl0_inv
	v_cndmask_b32_e32 v17, 0, v17, vcc_lo
	v_add_co_u32 v29, vcc_lo, v13, v16
	s_delay_alu instid0(VALU_DEP_2) | instskip(SKIP_3) | instid1(VALU_DEP_2)
	v_add_co_ci_u32_e32 v30, vcc_lo, v14, v17, vcc_lo
	ds_load_b128 v[13:16], v15 offset:18432
	v_add_co_u32 v27, vcc_lo, v29, v39
	v_add_co_ci_u32_e32 v28, vcc_lo, 0, v30, vcc_lo
	v_add_co_u32 v25, vcc_lo, v27, v38
	s_delay_alu instid0(VALU_DEP_2) | instskip(NEXT) | instid1(VALU_DEP_2)
	v_add_co_ci_u32_e32 v26, vcc_lo, 0, v28, vcc_lo
	v_add_co_u32 v23, vcc_lo, v25, v37
	s_delay_alu instid0(VALU_DEP_2) | instskip(NEXT) | instid1(VALU_DEP_2)
	;; [unrolled: 3-line block ×3, first 2 shown]
	v_add_co_ci_u32_e32 v20, vcc_lo, 0, v24, vcc_lo
	v_add_co_u32 v17, vcc_lo, v19, v36
	s_delay_alu instid0(VALU_DEP_2)
	v_add_co_ci_u32_e32 v18, vcc_lo, 0, v20, vcc_lo
	s_load_b64 s[4:5], s[0:1], 0x28
	s_branch .LBB286_117
.LBB286_89:
                                        ; implicit-def: $vgpr17_vgpr18
                                        ; implicit-def: $vgpr19_vgpr20
                                        ; implicit-def: $vgpr23_vgpr24
                                        ; implicit-def: $vgpr25_vgpr26
                                        ; implicit-def: $vgpr27_vgpr28
                                        ; implicit-def: $vgpr29_vgpr30
                                        ; implicit-def: $vgpr15_vgpr16
	s_load_b64 s[4:5], s[0:1], 0x28
	s_and_b32 vcc_lo, exec_lo, s3
	s_cbranch_vccz .LBB286_117
; %bb.90:
	s_waitcnt lgkmcnt(0)
	v_dual_mov_b32 v14, 0 :: v_dual_mov_b32 v15, v21
	v_mov_b32_dpp v16, v21 row_shr:1 row_mask:0xf bank_mask:0xf
	s_delay_alu instid0(VALU_DEP_2)
	v_mov_b32_dpp v13, v14 row_shr:1 row_mask:0xf bank_mask:0xf
	s_and_saveexec_b32 s0, s2
; %bb.91:
	s_delay_alu instid0(VALU_DEP_2) | instskip(SKIP_1) | instid1(VALU_DEP_2)
	v_add_co_u32 v15, vcc_lo, v21, v16
	v_add_co_ci_u32_e32 v14, vcc_lo, 0, v22, vcc_lo
	v_add_co_u32 v21, vcc_lo, 0, v15
	s_delay_alu instid0(VALU_DEP_2) | instskip(NEXT) | instid1(VALU_DEP_1)
	v_add_co_ci_u32_e32 v22, vcc_lo, v13, v14, vcc_lo
	v_mov_b32_e32 v14, v22
; %bb.92:
	s_or_b32 exec_lo, exec_lo, s0
	v_mov_b32_dpp v13, v15 row_shr:2 row_mask:0xf bank_mask:0xf
	s_delay_alu instid0(VALU_DEP_2)
	v_mov_b32_dpp v16, v14 row_shr:2 row_mask:0xf bank_mask:0xf
	v_cmp_lt_u32_e32 vcc_lo, 1, v41
	s_and_saveexec_b32 s1, vcc_lo
; %bb.93:
	s_delay_alu instid0(VALU_DEP_3) | instskip(NEXT) | instid1(VALU_DEP_1)
	v_add_co_u32 v15, s0, v21, v13
	v_add_co_ci_u32_e64 v14, s0, 0, v22, s0
	s_delay_alu instid0(VALU_DEP_2) | instskip(NEXT) | instid1(VALU_DEP_1)
	v_add_co_u32 v13, s0, 0, v15
	v_add_co_ci_u32_e64 v14, s0, v16, v14, s0
	s_delay_alu instid0(VALU_DEP_1)
	v_dual_mov_b32 v22, v14 :: v_dual_mov_b32 v21, v13
; %bb.94:
	s_or_b32 exec_lo, exec_lo, s1
	v_mov_b32_dpp v13, v15 row_shr:4 row_mask:0xf bank_mask:0xf
	v_mov_b32_dpp v16, v14 row_shr:4 row_mask:0xf bank_mask:0xf
	v_cmp_lt_u32_e64 s0, 3, v41
	s_delay_alu instid0(VALU_DEP_1)
	s_and_saveexec_b32 s3, s0
; %bb.95:
	s_delay_alu instid0(VALU_DEP_3) | instskip(NEXT) | instid1(VALU_DEP_1)
	v_add_co_u32 v15, s1, v21, v13
	v_add_co_ci_u32_e64 v14, s1, 0, v22, s1
	s_delay_alu instid0(VALU_DEP_2) | instskip(NEXT) | instid1(VALU_DEP_1)
	v_add_co_u32 v13, s1, 0, v15
	v_add_co_ci_u32_e64 v14, s1, v16, v14, s1
	s_delay_alu instid0(VALU_DEP_1)
	v_dual_mov_b32 v22, v14 :: v_dual_mov_b32 v21, v13
; %bb.96:
	s_or_b32 exec_lo, exec_lo, s3
	v_mov_b32_dpp v16, v15 row_shr:8 row_mask:0xf bank_mask:0xf
	v_mov_b32_dpp v13, v14 row_shr:8 row_mask:0xf bank_mask:0xf
	v_cmp_lt_u32_e64 s1, 7, v41
	s_delay_alu instid0(VALU_DEP_1)
	s_and_saveexec_b32 s14, s1
; %bb.97:
	s_delay_alu instid0(VALU_DEP_3) | instskip(NEXT) | instid1(VALU_DEP_1)
	v_add_co_u32 v15, s3, v21, v16
	v_add_co_ci_u32_e64 v14, s3, 0, v22, s3
	s_delay_alu instid0(VALU_DEP_2) | instskip(NEXT) | instid1(VALU_DEP_1)
	v_add_co_u32 v21, s3, 0, v15
	v_add_co_ci_u32_e64 v22, s3, v13, v14, s3
	s_delay_alu instid0(VALU_DEP_1)
	v_mov_b32_e32 v14, v22
; %bb.98:
	s_or_b32 exec_lo, exec_lo, s14
	ds_swizzle_b32 v15, v15 offset:swizzle(BROADCAST,32,15)
	ds_swizzle_b32 v13, v14 offset:swizzle(BROADCAST,32,15)
	v_and_b32_e32 v14, 16, v40
	s_mov_b32 s14, exec_lo
	s_delay_alu instid0(VALU_DEP_1)
	v_cmpx_ne_u32_e32 0, v14
	s_cbranch_execz .LBB286_100
; %bb.99:
	s_waitcnt lgkmcnt(1)
	v_add_co_u32 v14, s3, v21, v15
	s_delay_alu instid0(VALU_DEP_1) | instskip(NEXT) | instid1(VALU_DEP_2)
	v_add_co_ci_u32_e64 v15, s3, 0, v22, s3
	v_add_co_u32 v21, s3, v14, 0
	s_waitcnt lgkmcnt(0)
	s_delay_alu instid0(VALU_DEP_2)
	v_add_co_ci_u32_e64 v22, s3, v15, v13, s3
.LBB286_100:
	s_or_b32 exec_lo, exec_lo, s14
	s_waitcnt lgkmcnt(0)
	v_and_b32_e32 v13, 0x1e0, v0
	v_lshrrev_b32_e32 v15, 5, v0
	s_mov_b32 s14, exec_lo
	s_delay_alu instid0(VALU_DEP_2) | instskip(NEXT) | instid1(VALU_DEP_1)
	v_min_u32_e32 v13, 0x160, v13
	v_or_b32_e32 v13, 31, v13
	s_delay_alu instid0(VALU_DEP_1)
	v_cmpx_eq_u32_e64 v13, v0
	s_cbranch_execz .LBB286_102
; %bb.101:
	v_lshlrev_b32_e32 v13, 3, v15
	ds_store_b64 v13, v[21:22]
.LBB286_102:
	s_or_b32 exec_lo, exec_lo, s14
	s_delay_alu instid0(SALU_CYCLE_1)
	s_mov_b32 s14, exec_lo
	s_waitcnt lgkmcnt(0)
	s_barrier
	buffer_gl0_inv
	v_cmpx_gt_u32_e32 12, v0
	s_cbranch_execz .LBB286_112
; %bb.103:
	v_mad_i32_i24 v13, 0xffffffd8, v0, v35
	ds_load_b64 v[13:14], v13
	s_waitcnt lgkmcnt(0)
	v_mov_b32_dpp v18, v13 row_shr:1 row_mask:0xf bank_mask:0xf
	v_mov_b32_dpp v17, v14 row_shr:1 row_mask:0xf bank_mask:0xf
	v_mov_b32_e32 v16, v13
	s_and_saveexec_b32 s3, s2
; %bb.104:
	s_delay_alu instid0(VALU_DEP_3) | instskip(NEXT) | instid1(VALU_DEP_1)
	v_add_co_u32 v16, s2, v13, v18
	v_add_co_ci_u32_e64 v14, s2, 0, v14, s2
	s_delay_alu instid0(VALU_DEP_2) | instskip(NEXT) | instid1(VALU_DEP_1)
	v_add_co_u32 v13, s2, 0, v16
	v_add_co_ci_u32_e64 v14, s2, v17, v14, s2
; %bb.105:
	s_or_b32 exec_lo, exec_lo, s3
	v_mov_b32_dpp v18, v16 row_shr:2 row_mask:0xf bank_mask:0xf
	s_delay_alu instid0(VALU_DEP_2)
	v_mov_b32_dpp v17, v14 row_shr:2 row_mask:0xf bank_mask:0xf
	s_and_saveexec_b32 s2, vcc_lo
; %bb.106:
	s_delay_alu instid0(VALU_DEP_2) | instskip(SKIP_1) | instid1(VALU_DEP_2)
	v_add_co_u32 v16, vcc_lo, v13, v18
	v_add_co_ci_u32_e32 v14, vcc_lo, 0, v14, vcc_lo
	v_add_co_u32 v13, vcc_lo, 0, v16
	s_delay_alu instid0(VALU_DEP_2)
	v_add_co_ci_u32_e32 v14, vcc_lo, v17, v14, vcc_lo
; %bb.107:
	s_or_b32 exec_lo, exec_lo, s2
	v_mov_b32_dpp v18, v16 row_shr:4 row_mask:0xf bank_mask:0xf
	s_delay_alu instid0(VALU_DEP_2)
	v_mov_b32_dpp v17, v14 row_shr:4 row_mask:0xf bank_mask:0xf
	s_and_saveexec_b32 s2, s0
; %bb.108:
	s_delay_alu instid0(VALU_DEP_2) | instskip(SKIP_1) | instid1(VALU_DEP_2)
	v_add_co_u32 v16, vcc_lo, v13, v18
	v_add_co_ci_u32_e32 v14, vcc_lo, 0, v14, vcc_lo
	v_add_co_u32 v13, vcc_lo, 0, v16
	s_delay_alu instid0(VALU_DEP_2)
	v_add_co_ci_u32_e32 v14, vcc_lo, v17, v14, vcc_lo
; %bb.109:
	s_or_b32 exec_lo, exec_lo, s2
	v_mul_i32_i24_e32 v17, 0xffffffd8, v0
	v_mov_b32_dpp v18, v16 row_shr:8 row_mask:0xf bank_mask:0xf
	s_delay_alu instid0(VALU_DEP_3)
	v_mov_b32_dpp v16, v14 row_shr:8 row_mask:0xf bank_mask:0xf
	s_and_saveexec_b32 s0, s1
; %bb.110:
	s_delay_alu instid0(VALU_DEP_2) | instskip(SKIP_1) | instid1(VALU_DEP_2)
	v_add_co_u32 v13, vcc_lo, v13, v18
	v_add_co_ci_u32_e32 v14, vcc_lo, 0, v14, vcc_lo
	v_add_co_u32 v13, vcc_lo, v13, 0
	s_delay_alu instid0(VALU_DEP_2)
	v_add_co_ci_u32_e32 v14, vcc_lo, v14, v16, vcc_lo
; %bb.111:
	s_or_b32 exec_lo, exec_lo, s0
	v_add_nc_u32_e32 v16, v35, v17
	ds_store_b64 v16, v[13:14]
.LBB286_112:
	s_or_b32 exec_lo, exec_lo, s14
	v_mov_b32_e32 v17, 0
	v_mov_b32_e32 v18, 0
	s_mov_b32 s0, exec_lo
	s_waitcnt lgkmcnt(0)
	s_barrier
	buffer_gl0_inv
	v_cmpx_lt_u32_e32 31, v0
	s_cbranch_execz .LBB286_114
; %bb.113:
	v_lshl_add_u32 v13, v15, 3, -8
	ds_load_b64 v[17:18], v13
.LBB286_114:
	s_or_b32 exec_lo, exec_lo, s0
	v_dual_mov_b32 v16, 0 :: v_dual_add_nc_u32 v13, -1, v40
	s_delay_alu instid0(VALU_DEP_1) | instskip(SKIP_4) | instid1(VALU_DEP_3)
	v_cmp_gt_i32_e32 vcc_lo, 0, v13
	v_cndmask_b32_e32 v13, v13, v40, vcc_lo
	s_waitcnt lgkmcnt(0)
	v_add_co_u32 v14, vcc_lo, v17, v21
	v_add_co_ci_u32_e32 v15, vcc_lo, v18, v22, vcc_lo
	v_lshlrev_b32_e32 v13, 2, v13
	v_cmp_eq_u32_e32 vcc_lo, 0, v0
	ds_bpermute_b32 v19, v13, v14
	ds_bpermute_b32 v20, v13, v15
	ds_load_b64 v[13:14], v16 offset:88
	s_and_saveexec_b32 s0, vcc_lo
	s_cbranch_execz .LBB286_116
; %bb.115:
	s_add_u32 s2, s10, 0x200
	s_addc_u32 s3, s11, 0
	s_delay_alu instid0(SALU_CYCLE_1)
	v_dual_mov_b32 v15, 2 :: v_dual_mov_b32 v22, s3
	v_mov_b32_e32 v21, s2
	s_waitcnt lgkmcnt(0)
	;;#ASMSTART
	global_store_dwordx4 v[21:22], v[13:16] off	
s_waitcnt vmcnt(0)
	;;#ASMEND
.LBB286_116:
	s_or_b32 exec_lo, exec_lo, s0
	v_cmp_eq_u32_e64 s0, 0, v40
	s_waitcnt lgkmcnt(0)
	s_barrier
	buffer_gl0_inv
	v_cndmask_b32_e64 v15, v19, v17, s0
	v_cndmask_b32_e64 v16, v20, v18, s0
	s_delay_alu instid0(VALU_DEP_2) | instskip(NEXT) | instid1(VALU_DEP_2)
	v_cndmask_b32_e64 v29, v15, 0, vcc_lo
	v_cndmask_b32_e64 v30, v16, 0, vcc_lo
	v_mov_b32_e32 v15, 0
	v_mov_b32_e32 v16, 0
	s_delay_alu instid0(VALU_DEP_4) | instskip(NEXT) | instid1(VALU_DEP_4)
	v_add_co_u32 v27, vcc_lo, v29, v39
	v_add_co_ci_u32_e32 v28, vcc_lo, 0, v30, vcc_lo
	s_delay_alu instid0(VALU_DEP_2) | instskip(NEXT) | instid1(VALU_DEP_2)
	v_add_co_u32 v25, vcc_lo, v27, v38
	v_add_co_ci_u32_e32 v26, vcc_lo, 0, v28, vcc_lo
	s_delay_alu instid0(VALU_DEP_2) | instskip(NEXT) | instid1(VALU_DEP_2)
	v_add_co_u32 v23, vcc_lo, v25, v37
	v_add_co_ci_u32_e32 v24, vcc_lo, 0, v26, vcc_lo
	s_delay_alu instid0(VALU_DEP_2) | instskip(NEXT) | instid1(VALU_DEP_2)
	v_add_co_u32 v19, vcc_lo, v23, v33
	v_add_co_ci_u32_e32 v20, vcc_lo, 0, v24, vcc_lo
	s_delay_alu instid0(VALU_DEP_2) | instskip(NEXT) | instid1(VALU_DEP_2)
	v_add_co_u32 v17, vcc_lo, v19, v36
	v_add_co_ci_u32_e32 v18, vcc_lo, 0, v20, vcc_lo
.LBB286_117:
	s_waitcnt lgkmcnt(0)
	v_cmp_gt_u64_e32 vcc_lo, 0x181, v[13:14]
	v_lshrrev_b32_e32 v36, 8, v34
	v_lshrrev_b32_e32 v35, 16, v34
	s_mov_b32 s0, -1
	s_cbranch_vccnz .LBB286_121
; %bb.118:
	s_and_b32 vcc_lo, exec_lo, s0
	s_cbranch_vccnz .LBB286_140
.LBB286_119:
	v_cmp_eq_u32_e32 vcc_lo, 0, v0
	s_and_b32 s0, vcc_lo, s12
	s_delay_alu instid0(SALU_CYCLE_1)
	s_and_saveexec_b32 s1, s0
	s_cbranch_execnz .LBB286_156
.LBB286_120:
	s_nop 0
	s_sendmsg sendmsg(MSG_DEALLOC_VGPRS)
	s_endpgm
.LBB286_121:
	v_add_co_u32 v21, vcc_lo, v15, v13
	v_add_co_ci_u32_e32 v22, vcc_lo, v16, v14, vcc_lo
	s_lshl_b64 s[0:1], s[6:7], 3
	s_delay_alu instid0(SALU_CYCLE_1) | instskip(NEXT) | instid1(VALU_DEP_1)
	s_add_u32 s0, s4, s0
	v_cmp_lt_u64_e32 vcc_lo, v[29:30], v[21:22]
	s_addc_u32 s1, s5, s1
	s_or_b32 s3, s13, vcc_lo
	s_delay_alu instid0(SALU_CYCLE_1)
	s_and_saveexec_b32 s2, s3
	s_cbranch_execz .LBB286_124
; %bb.122:
	v_and_b32_e32 v37, 1, v34
	s_delay_alu instid0(VALU_DEP_1)
	v_cmp_eq_u32_e32 vcc_lo, 1, v37
	s_and_b32 exec_lo, exec_lo, vcc_lo
	s_cbranch_execz .LBB286_124
; %bb.123:
	v_lshlrev_b64 v[37:38], 3, v[29:30]
	s_delay_alu instid0(VALU_DEP_1) | instskip(NEXT) | instid1(VALU_DEP_2)
	v_add_co_u32 v37, vcc_lo, s0, v37
	v_add_co_ci_u32_e32 v38, vcc_lo, s1, v38, vcc_lo
	global_store_b64 v[37:38], v[9:10], off
.LBB286_124:
	s_or_b32 exec_lo, exec_lo, s2
	v_cmp_lt_u64_e32 vcc_lo, v[27:28], v[21:22]
	s_or_b32 s3, s13, vcc_lo
	s_delay_alu instid0(SALU_CYCLE_1)
	s_and_saveexec_b32 s2, s3
	s_cbranch_execz .LBB286_127
; %bb.125:
	v_and_b32_e32 v30, 1, v36
	s_delay_alu instid0(VALU_DEP_1)
	v_cmp_eq_u32_e32 vcc_lo, 1, v30
	s_and_b32 exec_lo, exec_lo, vcc_lo
	s_cbranch_execz .LBB286_127
; %bb.126:
	v_lshlrev_b64 v[37:38], 3, v[27:28]
	s_delay_alu instid0(VALU_DEP_1) | instskip(NEXT) | instid1(VALU_DEP_2)
	v_add_co_u32 v37, vcc_lo, s0, v37
	v_add_co_ci_u32_e32 v38, vcc_lo, s1, v38, vcc_lo
	global_store_b64 v[37:38], v[11:12], off
.LBB286_127:
	s_or_b32 exec_lo, exec_lo, s2
	v_cmp_lt_u64_e32 vcc_lo, v[25:26], v[21:22]
	;; [unrolled: 19-line block ×5, first 2 shown]
	s_or_b32 s3, s13, vcc_lo
	s_delay_alu instid0(SALU_CYCLE_1)
	s_and_saveexec_b32 s2, s3
	s_cbranch_execz .LBB286_139
; %bb.137:
	v_and_b32_e32 v20, 1, v31
	s_delay_alu instid0(VALU_DEP_1)
	v_cmp_eq_u32_e32 vcc_lo, 1, v20
	s_and_b32 exec_lo, exec_lo, vcc_lo
	s_cbranch_execz .LBB286_139
; %bb.138:
	v_lshlrev_b64 v[20:21], 3, v[17:18]
	s_delay_alu instid0(VALU_DEP_1) | instskip(NEXT) | instid1(VALU_DEP_2)
	v_add_co_u32 v20, vcc_lo, s0, v20
	v_add_co_ci_u32_e32 v21, vcc_lo, s1, v21, vcc_lo
	global_store_b64 v[20:21], v[3:4], off
.LBB286_139:
	s_or_b32 exec_lo, exec_lo, s2
	s_branch .LBB286_119
.LBB286_140:
	v_and_b32_e32 v18, 1, v34
	s_mov_b32 s0, exec_lo
	s_delay_alu instid0(VALU_DEP_1)
	v_cmpx_eq_u32_e32 1, v18
	s_cbranch_execz .LBB286_142
; %bb.141:
	v_sub_nc_u32_e32 v18, v29, v15
	s_delay_alu instid0(VALU_DEP_1)
	v_lshlrev_b32_e32 v18, 3, v18
	ds_store_b64 v18, v[9:10]
.LBB286_142:
	s_or_b32 exec_lo, exec_lo, s0
	v_and_b32_e32 v9, 1, v36
	s_mov_b32 s0, exec_lo
	s_delay_alu instid0(VALU_DEP_1)
	v_cmpx_eq_u32_e32 1, v9
	s_cbranch_execz .LBB286_144
; %bb.143:
	v_sub_nc_u32_e32 v9, v27, v15
	s_delay_alu instid0(VALU_DEP_1)
	v_lshlrev_b32_e32 v9, 3, v9
	ds_store_b64 v9, v[11:12]
.LBB286_144:
	s_or_b32 exec_lo, exec_lo, s0
	;; [unrolled: 12-line block ×6, first 2 shown]
	v_mov_b32_e32 v3, 0
	s_mov_b32 s1, exec_lo
	s_waitcnt lgkmcnt(0)
	s_waitcnt_vscnt null, 0x0
	s_barrier
	buffer_gl0_inv
	v_mov_b32_e32 v1, v3
	s_delay_alu instid0(VALU_DEP_1)
	v_cmpx_gt_u64_e64 v[13:14], v[0:1]
	s_cbranch_execz .LBB286_155
; %bb.153:
	v_lshlrev_b64 v[4:5], 3, v[15:16]
	s_lshl_b64 s[2:3], s[6:7], 3
	v_add_nc_u32_e32 v2, 0x180, v0
	s_delay_alu instid0(VALU_DEP_2) | instskip(NEXT) | instid1(VALU_DEP_3)
	v_add_co_u32 v4, vcc_lo, s4, v4
	v_add_co_ci_u32_e32 v5, vcc_lo, s5, v5, vcc_lo
	s_delay_alu instid0(VALU_DEP_2) | instskip(NEXT) | instid1(VALU_DEP_2)
	v_add_co_u32 v6, vcc_lo, v4, s2
	v_add_co_ci_u32_e32 v7, vcc_lo, s3, v5, vcc_lo
	v_dual_mov_b32 v5, v1 :: v_dual_mov_b32 v4, v0
	s_mov_b32 s2, 0
	.p2align	6
.LBB286_154:                            ; =>This Inner Loop Header: Depth=1
	s_delay_alu instid0(VALU_DEP_1) | instskip(NEXT) | instid1(VALU_DEP_2)
	v_lshlrev_b32_e32 v1, 3, v4
	v_lshlrev_b64 v[10:11], 3, v[4:5]
	v_dual_mov_b32 v5, v3 :: v_dual_mov_b32 v4, v2
	v_cmp_le_u64_e32 vcc_lo, v[13:14], v[2:3]
	v_add_nc_u32_e32 v2, 0x180, v2
	ds_load_b64 v[8:9], v1
	v_add_co_u32 v10, s0, v6, v10
	s_delay_alu instid0(VALU_DEP_1)
	v_add_co_ci_u32_e64 v11, s0, v7, v11, s0
	s_or_b32 s2, vcc_lo, s2
	s_waitcnt lgkmcnt(0)
	global_store_b64 v[10:11], v[8:9], off
	s_and_not1_b32 exec_lo, exec_lo, s2
	s_cbranch_execnz .LBB286_154
.LBB286_155:
	s_or_b32 exec_lo, exec_lo, s1
	v_cmp_eq_u32_e32 vcc_lo, 0, v0
	s_and_b32 s0, vcc_lo, s12
	s_delay_alu instid0(SALU_CYCLE_1)
	s_and_saveexec_b32 s1, s0
	s_cbranch_execz .LBB286_120
.LBB286_156:
	v_add_co_u32 v0, vcc_lo, v15, v13
	v_add_co_ci_u32_e32 v1, vcc_lo, v16, v14, vcc_lo
	v_mov_b32_e32 v2, 0
	s_delay_alu instid0(VALU_DEP_3) | instskip(NEXT) | instid1(VALU_DEP_3)
	v_add_co_u32 v0, vcc_lo, v0, s6
	v_add_co_ci_u32_e32 v1, vcc_lo, s7, v1, vcc_lo
	global_store_b64 v2, v[0:1], s[8:9]
	s_nop 0
	s_sendmsg sendmsg(MSG_DEALLOC_VGPRS)
	s_endpgm
	.section	.rodata,"a",@progbits
	.p2align	6, 0x0
	.amdhsa_kernel _ZN7rocprim17ROCPRIM_400000_NS6detail17trampoline_kernelINS0_14default_configENS1_25partition_config_selectorILNS1_17partition_subalgoE6EyNS0_10empty_typeEbEEZZNS1_14partition_implILS5_6ELb0ES3_mN6thrust23THRUST_200600_302600_NS6detail15normal_iteratorINSA_10device_ptrIyEEEEPS6_SG_NS0_5tupleIJSF_S6_EEENSH_IJSG_SG_EEES6_PlJ7is_evenIyEEEE10hipError_tPvRmT3_T4_T5_T6_T7_T9_mT8_P12ihipStream_tbDpT10_ENKUlT_T0_E_clISt17integral_constantIbLb1EES15_IbLb0EEEEDaS11_S12_EUlS11_E_NS1_11comp_targetILNS1_3genE9ELNS1_11target_archE1100ELNS1_3gpuE3ELNS1_3repE0EEENS1_30default_config_static_selectorELNS0_4arch9wavefront6targetE0EEEvT1_
		.amdhsa_group_segment_fixed_size 18448
		.amdhsa_private_segment_fixed_size 0
		.amdhsa_kernarg_size 112
		.amdhsa_user_sgpr_count 15
		.amdhsa_user_sgpr_dispatch_ptr 0
		.amdhsa_user_sgpr_queue_ptr 0
		.amdhsa_user_sgpr_kernarg_segment_ptr 1
		.amdhsa_user_sgpr_dispatch_id 0
		.amdhsa_user_sgpr_private_segment_size 0
		.amdhsa_wavefront_size32 1
		.amdhsa_uses_dynamic_stack 0
		.amdhsa_enable_private_segment 0
		.amdhsa_system_sgpr_workgroup_id_x 1
		.amdhsa_system_sgpr_workgroup_id_y 0
		.amdhsa_system_sgpr_workgroup_id_z 0
		.amdhsa_system_sgpr_workgroup_info 0
		.amdhsa_system_vgpr_workitem_id 0
		.amdhsa_next_free_vgpr 54
		.amdhsa_next_free_sgpr 20
		.amdhsa_reserve_vcc 1
		.amdhsa_float_round_mode_32 0
		.amdhsa_float_round_mode_16_64 0
		.amdhsa_float_denorm_mode_32 3
		.amdhsa_float_denorm_mode_16_64 3
		.amdhsa_dx10_clamp 1
		.amdhsa_ieee_mode 1
		.amdhsa_fp16_overflow 0
		.amdhsa_workgroup_processor_mode 1
		.amdhsa_memory_ordered 1
		.amdhsa_forward_progress 0
		.amdhsa_shared_vgpr_count 0
		.amdhsa_exception_fp_ieee_invalid_op 0
		.amdhsa_exception_fp_denorm_src 0
		.amdhsa_exception_fp_ieee_div_zero 0
		.amdhsa_exception_fp_ieee_overflow 0
		.amdhsa_exception_fp_ieee_underflow 0
		.amdhsa_exception_fp_ieee_inexact 0
		.amdhsa_exception_int_div_zero 0
	.end_amdhsa_kernel
	.section	.text._ZN7rocprim17ROCPRIM_400000_NS6detail17trampoline_kernelINS0_14default_configENS1_25partition_config_selectorILNS1_17partition_subalgoE6EyNS0_10empty_typeEbEEZZNS1_14partition_implILS5_6ELb0ES3_mN6thrust23THRUST_200600_302600_NS6detail15normal_iteratorINSA_10device_ptrIyEEEEPS6_SG_NS0_5tupleIJSF_S6_EEENSH_IJSG_SG_EEES6_PlJ7is_evenIyEEEE10hipError_tPvRmT3_T4_T5_T6_T7_T9_mT8_P12ihipStream_tbDpT10_ENKUlT_T0_E_clISt17integral_constantIbLb1EES15_IbLb0EEEEDaS11_S12_EUlS11_E_NS1_11comp_targetILNS1_3genE9ELNS1_11target_archE1100ELNS1_3gpuE3ELNS1_3repE0EEENS1_30default_config_static_selectorELNS0_4arch9wavefront6targetE0EEEvT1_,"axG",@progbits,_ZN7rocprim17ROCPRIM_400000_NS6detail17trampoline_kernelINS0_14default_configENS1_25partition_config_selectorILNS1_17partition_subalgoE6EyNS0_10empty_typeEbEEZZNS1_14partition_implILS5_6ELb0ES3_mN6thrust23THRUST_200600_302600_NS6detail15normal_iteratorINSA_10device_ptrIyEEEEPS6_SG_NS0_5tupleIJSF_S6_EEENSH_IJSG_SG_EEES6_PlJ7is_evenIyEEEE10hipError_tPvRmT3_T4_T5_T6_T7_T9_mT8_P12ihipStream_tbDpT10_ENKUlT_T0_E_clISt17integral_constantIbLb1EES15_IbLb0EEEEDaS11_S12_EUlS11_E_NS1_11comp_targetILNS1_3genE9ELNS1_11target_archE1100ELNS1_3gpuE3ELNS1_3repE0EEENS1_30default_config_static_selectorELNS0_4arch9wavefront6targetE0EEEvT1_,comdat
.Lfunc_end286:
	.size	_ZN7rocprim17ROCPRIM_400000_NS6detail17trampoline_kernelINS0_14default_configENS1_25partition_config_selectorILNS1_17partition_subalgoE6EyNS0_10empty_typeEbEEZZNS1_14partition_implILS5_6ELb0ES3_mN6thrust23THRUST_200600_302600_NS6detail15normal_iteratorINSA_10device_ptrIyEEEEPS6_SG_NS0_5tupleIJSF_S6_EEENSH_IJSG_SG_EEES6_PlJ7is_evenIyEEEE10hipError_tPvRmT3_T4_T5_T6_T7_T9_mT8_P12ihipStream_tbDpT10_ENKUlT_T0_E_clISt17integral_constantIbLb1EES15_IbLb0EEEEDaS11_S12_EUlS11_E_NS1_11comp_targetILNS1_3genE9ELNS1_11target_archE1100ELNS1_3gpuE3ELNS1_3repE0EEENS1_30default_config_static_selectorELNS0_4arch9wavefront6targetE0EEEvT1_, .Lfunc_end286-_ZN7rocprim17ROCPRIM_400000_NS6detail17trampoline_kernelINS0_14default_configENS1_25partition_config_selectorILNS1_17partition_subalgoE6EyNS0_10empty_typeEbEEZZNS1_14partition_implILS5_6ELb0ES3_mN6thrust23THRUST_200600_302600_NS6detail15normal_iteratorINSA_10device_ptrIyEEEEPS6_SG_NS0_5tupleIJSF_S6_EEENSH_IJSG_SG_EEES6_PlJ7is_evenIyEEEE10hipError_tPvRmT3_T4_T5_T6_T7_T9_mT8_P12ihipStream_tbDpT10_ENKUlT_T0_E_clISt17integral_constantIbLb1EES15_IbLb0EEEEDaS11_S12_EUlS11_E_NS1_11comp_targetILNS1_3genE9ELNS1_11target_archE1100ELNS1_3gpuE3ELNS1_3repE0EEENS1_30default_config_static_selectorELNS0_4arch9wavefront6targetE0EEEvT1_
                                        ; -- End function
	.section	.AMDGPU.csdata,"",@progbits
; Kernel info:
; codeLenInByte = 6624
; NumSgprs: 22
; NumVgprs: 54
; ScratchSize: 0
; MemoryBound: 0
; FloatMode: 240
; IeeeMode: 1
; LDSByteSize: 18448 bytes/workgroup (compile time only)
; SGPRBlocks: 2
; VGPRBlocks: 6
; NumSGPRsForWavesPerEU: 22
; NumVGPRsForWavesPerEU: 54
; Occupancy: 15
; WaveLimiterHint : 1
; COMPUTE_PGM_RSRC2:SCRATCH_EN: 0
; COMPUTE_PGM_RSRC2:USER_SGPR: 15
; COMPUTE_PGM_RSRC2:TRAP_HANDLER: 0
; COMPUTE_PGM_RSRC2:TGID_X_EN: 1
; COMPUTE_PGM_RSRC2:TGID_Y_EN: 0
; COMPUTE_PGM_RSRC2:TGID_Z_EN: 0
; COMPUTE_PGM_RSRC2:TIDIG_COMP_CNT: 0
	.section	.text._ZN7rocprim17ROCPRIM_400000_NS6detail17trampoline_kernelINS0_14default_configENS1_25partition_config_selectorILNS1_17partition_subalgoE6EyNS0_10empty_typeEbEEZZNS1_14partition_implILS5_6ELb0ES3_mN6thrust23THRUST_200600_302600_NS6detail15normal_iteratorINSA_10device_ptrIyEEEEPS6_SG_NS0_5tupleIJSF_S6_EEENSH_IJSG_SG_EEES6_PlJ7is_evenIyEEEE10hipError_tPvRmT3_T4_T5_T6_T7_T9_mT8_P12ihipStream_tbDpT10_ENKUlT_T0_E_clISt17integral_constantIbLb1EES15_IbLb0EEEEDaS11_S12_EUlS11_E_NS1_11comp_targetILNS1_3genE8ELNS1_11target_archE1030ELNS1_3gpuE2ELNS1_3repE0EEENS1_30default_config_static_selectorELNS0_4arch9wavefront6targetE0EEEvT1_,"axG",@progbits,_ZN7rocprim17ROCPRIM_400000_NS6detail17trampoline_kernelINS0_14default_configENS1_25partition_config_selectorILNS1_17partition_subalgoE6EyNS0_10empty_typeEbEEZZNS1_14partition_implILS5_6ELb0ES3_mN6thrust23THRUST_200600_302600_NS6detail15normal_iteratorINSA_10device_ptrIyEEEEPS6_SG_NS0_5tupleIJSF_S6_EEENSH_IJSG_SG_EEES6_PlJ7is_evenIyEEEE10hipError_tPvRmT3_T4_T5_T6_T7_T9_mT8_P12ihipStream_tbDpT10_ENKUlT_T0_E_clISt17integral_constantIbLb1EES15_IbLb0EEEEDaS11_S12_EUlS11_E_NS1_11comp_targetILNS1_3genE8ELNS1_11target_archE1030ELNS1_3gpuE2ELNS1_3repE0EEENS1_30default_config_static_selectorELNS0_4arch9wavefront6targetE0EEEvT1_,comdat
	.protected	_ZN7rocprim17ROCPRIM_400000_NS6detail17trampoline_kernelINS0_14default_configENS1_25partition_config_selectorILNS1_17partition_subalgoE6EyNS0_10empty_typeEbEEZZNS1_14partition_implILS5_6ELb0ES3_mN6thrust23THRUST_200600_302600_NS6detail15normal_iteratorINSA_10device_ptrIyEEEEPS6_SG_NS0_5tupleIJSF_S6_EEENSH_IJSG_SG_EEES6_PlJ7is_evenIyEEEE10hipError_tPvRmT3_T4_T5_T6_T7_T9_mT8_P12ihipStream_tbDpT10_ENKUlT_T0_E_clISt17integral_constantIbLb1EES15_IbLb0EEEEDaS11_S12_EUlS11_E_NS1_11comp_targetILNS1_3genE8ELNS1_11target_archE1030ELNS1_3gpuE2ELNS1_3repE0EEENS1_30default_config_static_selectorELNS0_4arch9wavefront6targetE0EEEvT1_ ; -- Begin function _ZN7rocprim17ROCPRIM_400000_NS6detail17trampoline_kernelINS0_14default_configENS1_25partition_config_selectorILNS1_17partition_subalgoE6EyNS0_10empty_typeEbEEZZNS1_14partition_implILS5_6ELb0ES3_mN6thrust23THRUST_200600_302600_NS6detail15normal_iteratorINSA_10device_ptrIyEEEEPS6_SG_NS0_5tupleIJSF_S6_EEENSH_IJSG_SG_EEES6_PlJ7is_evenIyEEEE10hipError_tPvRmT3_T4_T5_T6_T7_T9_mT8_P12ihipStream_tbDpT10_ENKUlT_T0_E_clISt17integral_constantIbLb1EES15_IbLb0EEEEDaS11_S12_EUlS11_E_NS1_11comp_targetILNS1_3genE8ELNS1_11target_archE1030ELNS1_3gpuE2ELNS1_3repE0EEENS1_30default_config_static_selectorELNS0_4arch9wavefront6targetE0EEEvT1_
	.globl	_ZN7rocprim17ROCPRIM_400000_NS6detail17trampoline_kernelINS0_14default_configENS1_25partition_config_selectorILNS1_17partition_subalgoE6EyNS0_10empty_typeEbEEZZNS1_14partition_implILS5_6ELb0ES3_mN6thrust23THRUST_200600_302600_NS6detail15normal_iteratorINSA_10device_ptrIyEEEEPS6_SG_NS0_5tupleIJSF_S6_EEENSH_IJSG_SG_EEES6_PlJ7is_evenIyEEEE10hipError_tPvRmT3_T4_T5_T6_T7_T9_mT8_P12ihipStream_tbDpT10_ENKUlT_T0_E_clISt17integral_constantIbLb1EES15_IbLb0EEEEDaS11_S12_EUlS11_E_NS1_11comp_targetILNS1_3genE8ELNS1_11target_archE1030ELNS1_3gpuE2ELNS1_3repE0EEENS1_30default_config_static_selectorELNS0_4arch9wavefront6targetE0EEEvT1_
	.p2align	8
	.type	_ZN7rocprim17ROCPRIM_400000_NS6detail17trampoline_kernelINS0_14default_configENS1_25partition_config_selectorILNS1_17partition_subalgoE6EyNS0_10empty_typeEbEEZZNS1_14partition_implILS5_6ELb0ES3_mN6thrust23THRUST_200600_302600_NS6detail15normal_iteratorINSA_10device_ptrIyEEEEPS6_SG_NS0_5tupleIJSF_S6_EEENSH_IJSG_SG_EEES6_PlJ7is_evenIyEEEE10hipError_tPvRmT3_T4_T5_T6_T7_T9_mT8_P12ihipStream_tbDpT10_ENKUlT_T0_E_clISt17integral_constantIbLb1EES15_IbLb0EEEEDaS11_S12_EUlS11_E_NS1_11comp_targetILNS1_3genE8ELNS1_11target_archE1030ELNS1_3gpuE2ELNS1_3repE0EEENS1_30default_config_static_selectorELNS0_4arch9wavefront6targetE0EEEvT1_,@function
_ZN7rocprim17ROCPRIM_400000_NS6detail17trampoline_kernelINS0_14default_configENS1_25partition_config_selectorILNS1_17partition_subalgoE6EyNS0_10empty_typeEbEEZZNS1_14partition_implILS5_6ELb0ES3_mN6thrust23THRUST_200600_302600_NS6detail15normal_iteratorINSA_10device_ptrIyEEEEPS6_SG_NS0_5tupleIJSF_S6_EEENSH_IJSG_SG_EEES6_PlJ7is_evenIyEEEE10hipError_tPvRmT3_T4_T5_T6_T7_T9_mT8_P12ihipStream_tbDpT10_ENKUlT_T0_E_clISt17integral_constantIbLb1EES15_IbLb0EEEEDaS11_S12_EUlS11_E_NS1_11comp_targetILNS1_3genE8ELNS1_11target_archE1030ELNS1_3gpuE2ELNS1_3repE0EEENS1_30default_config_static_selectorELNS0_4arch9wavefront6targetE0EEEvT1_: ; @_ZN7rocprim17ROCPRIM_400000_NS6detail17trampoline_kernelINS0_14default_configENS1_25partition_config_selectorILNS1_17partition_subalgoE6EyNS0_10empty_typeEbEEZZNS1_14partition_implILS5_6ELb0ES3_mN6thrust23THRUST_200600_302600_NS6detail15normal_iteratorINSA_10device_ptrIyEEEEPS6_SG_NS0_5tupleIJSF_S6_EEENSH_IJSG_SG_EEES6_PlJ7is_evenIyEEEE10hipError_tPvRmT3_T4_T5_T6_T7_T9_mT8_P12ihipStream_tbDpT10_ENKUlT_T0_E_clISt17integral_constantIbLb1EES15_IbLb0EEEEDaS11_S12_EUlS11_E_NS1_11comp_targetILNS1_3genE8ELNS1_11target_archE1030ELNS1_3gpuE2ELNS1_3repE0EEENS1_30default_config_static_selectorELNS0_4arch9wavefront6targetE0EEEvT1_
; %bb.0:
	.section	.rodata,"a",@progbits
	.p2align	6, 0x0
	.amdhsa_kernel _ZN7rocprim17ROCPRIM_400000_NS6detail17trampoline_kernelINS0_14default_configENS1_25partition_config_selectorILNS1_17partition_subalgoE6EyNS0_10empty_typeEbEEZZNS1_14partition_implILS5_6ELb0ES3_mN6thrust23THRUST_200600_302600_NS6detail15normal_iteratorINSA_10device_ptrIyEEEEPS6_SG_NS0_5tupleIJSF_S6_EEENSH_IJSG_SG_EEES6_PlJ7is_evenIyEEEE10hipError_tPvRmT3_T4_T5_T6_T7_T9_mT8_P12ihipStream_tbDpT10_ENKUlT_T0_E_clISt17integral_constantIbLb1EES15_IbLb0EEEEDaS11_S12_EUlS11_E_NS1_11comp_targetILNS1_3genE8ELNS1_11target_archE1030ELNS1_3gpuE2ELNS1_3repE0EEENS1_30default_config_static_selectorELNS0_4arch9wavefront6targetE0EEEvT1_
		.amdhsa_group_segment_fixed_size 0
		.amdhsa_private_segment_fixed_size 0
		.amdhsa_kernarg_size 112
		.amdhsa_user_sgpr_count 15
		.amdhsa_user_sgpr_dispatch_ptr 0
		.amdhsa_user_sgpr_queue_ptr 0
		.amdhsa_user_sgpr_kernarg_segment_ptr 1
		.amdhsa_user_sgpr_dispatch_id 0
		.amdhsa_user_sgpr_private_segment_size 0
		.amdhsa_wavefront_size32 1
		.amdhsa_uses_dynamic_stack 0
		.amdhsa_enable_private_segment 0
		.amdhsa_system_sgpr_workgroup_id_x 1
		.amdhsa_system_sgpr_workgroup_id_y 0
		.amdhsa_system_sgpr_workgroup_id_z 0
		.amdhsa_system_sgpr_workgroup_info 0
		.amdhsa_system_vgpr_workitem_id 0
		.amdhsa_next_free_vgpr 1
		.amdhsa_next_free_sgpr 1
		.amdhsa_reserve_vcc 0
		.amdhsa_float_round_mode_32 0
		.amdhsa_float_round_mode_16_64 0
		.amdhsa_float_denorm_mode_32 3
		.amdhsa_float_denorm_mode_16_64 3
		.amdhsa_dx10_clamp 1
		.amdhsa_ieee_mode 1
		.amdhsa_fp16_overflow 0
		.amdhsa_workgroup_processor_mode 1
		.amdhsa_memory_ordered 1
		.amdhsa_forward_progress 0
		.amdhsa_shared_vgpr_count 0
		.amdhsa_exception_fp_ieee_invalid_op 0
		.amdhsa_exception_fp_denorm_src 0
		.amdhsa_exception_fp_ieee_div_zero 0
		.amdhsa_exception_fp_ieee_overflow 0
		.amdhsa_exception_fp_ieee_underflow 0
		.amdhsa_exception_fp_ieee_inexact 0
		.amdhsa_exception_int_div_zero 0
	.end_amdhsa_kernel
	.section	.text._ZN7rocprim17ROCPRIM_400000_NS6detail17trampoline_kernelINS0_14default_configENS1_25partition_config_selectorILNS1_17partition_subalgoE6EyNS0_10empty_typeEbEEZZNS1_14partition_implILS5_6ELb0ES3_mN6thrust23THRUST_200600_302600_NS6detail15normal_iteratorINSA_10device_ptrIyEEEEPS6_SG_NS0_5tupleIJSF_S6_EEENSH_IJSG_SG_EEES6_PlJ7is_evenIyEEEE10hipError_tPvRmT3_T4_T5_T6_T7_T9_mT8_P12ihipStream_tbDpT10_ENKUlT_T0_E_clISt17integral_constantIbLb1EES15_IbLb0EEEEDaS11_S12_EUlS11_E_NS1_11comp_targetILNS1_3genE8ELNS1_11target_archE1030ELNS1_3gpuE2ELNS1_3repE0EEENS1_30default_config_static_selectorELNS0_4arch9wavefront6targetE0EEEvT1_,"axG",@progbits,_ZN7rocprim17ROCPRIM_400000_NS6detail17trampoline_kernelINS0_14default_configENS1_25partition_config_selectorILNS1_17partition_subalgoE6EyNS0_10empty_typeEbEEZZNS1_14partition_implILS5_6ELb0ES3_mN6thrust23THRUST_200600_302600_NS6detail15normal_iteratorINSA_10device_ptrIyEEEEPS6_SG_NS0_5tupleIJSF_S6_EEENSH_IJSG_SG_EEES6_PlJ7is_evenIyEEEE10hipError_tPvRmT3_T4_T5_T6_T7_T9_mT8_P12ihipStream_tbDpT10_ENKUlT_T0_E_clISt17integral_constantIbLb1EES15_IbLb0EEEEDaS11_S12_EUlS11_E_NS1_11comp_targetILNS1_3genE8ELNS1_11target_archE1030ELNS1_3gpuE2ELNS1_3repE0EEENS1_30default_config_static_selectorELNS0_4arch9wavefront6targetE0EEEvT1_,comdat
.Lfunc_end287:
	.size	_ZN7rocprim17ROCPRIM_400000_NS6detail17trampoline_kernelINS0_14default_configENS1_25partition_config_selectorILNS1_17partition_subalgoE6EyNS0_10empty_typeEbEEZZNS1_14partition_implILS5_6ELb0ES3_mN6thrust23THRUST_200600_302600_NS6detail15normal_iteratorINSA_10device_ptrIyEEEEPS6_SG_NS0_5tupleIJSF_S6_EEENSH_IJSG_SG_EEES6_PlJ7is_evenIyEEEE10hipError_tPvRmT3_T4_T5_T6_T7_T9_mT8_P12ihipStream_tbDpT10_ENKUlT_T0_E_clISt17integral_constantIbLb1EES15_IbLb0EEEEDaS11_S12_EUlS11_E_NS1_11comp_targetILNS1_3genE8ELNS1_11target_archE1030ELNS1_3gpuE2ELNS1_3repE0EEENS1_30default_config_static_selectorELNS0_4arch9wavefront6targetE0EEEvT1_, .Lfunc_end287-_ZN7rocprim17ROCPRIM_400000_NS6detail17trampoline_kernelINS0_14default_configENS1_25partition_config_selectorILNS1_17partition_subalgoE6EyNS0_10empty_typeEbEEZZNS1_14partition_implILS5_6ELb0ES3_mN6thrust23THRUST_200600_302600_NS6detail15normal_iteratorINSA_10device_ptrIyEEEEPS6_SG_NS0_5tupleIJSF_S6_EEENSH_IJSG_SG_EEES6_PlJ7is_evenIyEEEE10hipError_tPvRmT3_T4_T5_T6_T7_T9_mT8_P12ihipStream_tbDpT10_ENKUlT_T0_E_clISt17integral_constantIbLb1EES15_IbLb0EEEEDaS11_S12_EUlS11_E_NS1_11comp_targetILNS1_3genE8ELNS1_11target_archE1030ELNS1_3gpuE2ELNS1_3repE0EEENS1_30default_config_static_selectorELNS0_4arch9wavefront6targetE0EEEvT1_
                                        ; -- End function
	.section	.AMDGPU.csdata,"",@progbits
; Kernel info:
; codeLenInByte = 0
; NumSgprs: 0
; NumVgprs: 0
; ScratchSize: 0
; MemoryBound: 0
; FloatMode: 240
; IeeeMode: 1
; LDSByteSize: 0 bytes/workgroup (compile time only)
; SGPRBlocks: 0
; VGPRBlocks: 0
; NumSGPRsForWavesPerEU: 1
; NumVGPRsForWavesPerEU: 1
; Occupancy: 16
; WaveLimiterHint : 0
; COMPUTE_PGM_RSRC2:SCRATCH_EN: 0
; COMPUTE_PGM_RSRC2:USER_SGPR: 15
; COMPUTE_PGM_RSRC2:TRAP_HANDLER: 0
; COMPUTE_PGM_RSRC2:TGID_X_EN: 1
; COMPUTE_PGM_RSRC2:TGID_Y_EN: 0
; COMPUTE_PGM_RSRC2:TGID_Z_EN: 0
; COMPUTE_PGM_RSRC2:TIDIG_COMP_CNT: 0
	.section	.text._ZN7rocprim17ROCPRIM_400000_NS6detail17trampoline_kernelINS0_14default_configENS1_25partition_config_selectorILNS1_17partition_subalgoE6EyNS0_10empty_typeEbEEZZNS1_14partition_implILS5_6ELb0ES3_mN6thrust23THRUST_200600_302600_NS6detail15normal_iteratorINSA_10device_ptrIyEEEEPS6_SG_NS0_5tupleIJSF_S6_EEENSH_IJSG_SG_EEES6_PlJ7is_evenIyEEEE10hipError_tPvRmT3_T4_T5_T6_T7_T9_mT8_P12ihipStream_tbDpT10_ENKUlT_T0_E_clISt17integral_constantIbLb0EES15_IbLb1EEEEDaS11_S12_EUlS11_E_NS1_11comp_targetILNS1_3genE0ELNS1_11target_archE4294967295ELNS1_3gpuE0ELNS1_3repE0EEENS1_30default_config_static_selectorELNS0_4arch9wavefront6targetE0EEEvT1_,"axG",@progbits,_ZN7rocprim17ROCPRIM_400000_NS6detail17trampoline_kernelINS0_14default_configENS1_25partition_config_selectorILNS1_17partition_subalgoE6EyNS0_10empty_typeEbEEZZNS1_14partition_implILS5_6ELb0ES3_mN6thrust23THRUST_200600_302600_NS6detail15normal_iteratorINSA_10device_ptrIyEEEEPS6_SG_NS0_5tupleIJSF_S6_EEENSH_IJSG_SG_EEES6_PlJ7is_evenIyEEEE10hipError_tPvRmT3_T4_T5_T6_T7_T9_mT8_P12ihipStream_tbDpT10_ENKUlT_T0_E_clISt17integral_constantIbLb0EES15_IbLb1EEEEDaS11_S12_EUlS11_E_NS1_11comp_targetILNS1_3genE0ELNS1_11target_archE4294967295ELNS1_3gpuE0ELNS1_3repE0EEENS1_30default_config_static_selectorELNS0_4arch9wavefront6targetE0EEEvT1_,comdat
	.protected	_ZN7rocprim17ROCPRIM_400000_NS6detail17trampoline_kernelINS0_14default_configENS1_25partition_config_selectorILNS1_17partition_subalgoE6EyNS0_10empty_typeEbEEZZNS1_14partition_implILS5_6ELb0ES3_mN6thrust23THRUST_200600_302600_NS6detail15normal_iteratorINSA_10device_ptrIyEEEEPS6_SG_NS0_5tupleIJSF_S6_EEENSH_IJSG_SG_EEES6_PlJ7is_evenIyEEEE10hipError_tPvRmT3_T4_T5_T6_T7_T9_mT8_P12ihipStream_tbDpT10_ENKUlT_T0_E_clISt17integral_constantIbLb0EES15_IbLb1EEEEDaS11_S12_EUlS11_E_NS1_11comp_targetILNS1_3genE0ELNS1_11target_archE4294967295ELNS1_3gpuE0ELNS1_3repE0EEENS1_30default_config_static_selectorELNS0_4arch9wavefront6targetE0EEEvT1_ ; -- Begin function _ZN7rocprim17ROCPRIM_400000_NS6detail17trampoline_kernelINS0_14default_configENS1_25partition_config_selectorILNS1_17partition_subalgoE6EyNS0_10empty_typeEbEEZZNS1_14partition_implILS5_6ELb0ES3_mN6thrust23THRUST_200600_302600_NS6detail15normal_iteratorINSA_10device_ptrIyEEEEPS6_SG_NS0_5tupleIJSF_S6_EEENSH_IJSG_SG_EEES6_PlJ7is_evenIyEEEE10hipError_tPvRmT3_T4_T5_T6_T7_T9_mT8_P12ihipStream_tbDpT10_ENKUlT_T0_E_clISt17integral_constantIbLb0EES15_IbLb1EEEEDaS11_S12_EUlS11_E_NS1_11comp_targetILNS1_3genE0ELNS1_11target_archE4294967295ELNS1_3gpuE0ELNS1_3repE0EEENS1_30default_config_static_selectorELNS0_4arch9wavefront6targetE0EEEvT1_
	.globl	_ZN7rocprim17ROCPRIM_400000_NS6detail17trampoline_kernelINS0_14default_configENS1_25partition_config_selectorILNS1_17partition_subalgoE6EyNS0_10empty_typeEbEEZZNS1_14partition_implILS5_6ELb0ES3_mN6thrust23THRUST_200600_302600_NS6detail15normal_iteratorINSA_10device_ptrIyEEEEPS6_SG_NS0_5tupleIJSF_S6_EEENSH_IJSG_SG_EEES6_PlJ7is_evenIyEEEE10hipError_tPvRmT3_T4_T5_T6_T7_T9_mT8_P12ihipStream_tbDpT10_ENKUlT_T0_E_clISt17integral_constantIbLb0EES15_IbLb1EEEEDaS11_S12_EUlS11_E_NS1_11comp_targetILNS1_3genE0ELNS1_11target_archE4294967295ELNS1_3gpuE0ELNS1_3repE0EEENS1_30default_config_static_selectorELNS0_4arch9wavefront6targetE0EEEvT1_
	.p2align	8
	.type	_ZN7rocprim17ROCPRIM_400000_NS6detail17trampoline_kernelINS0_14default_configENS1_25partition_config_selectorILNS1_17partition_subalgoE6EyNS0_10empty_typeEbEEZZNS1_14partition_implILS5_6ELb0ES3_mN6thrust23THRUST_200600_302600_NS6detail15normal_iteratorINSA_10device_ptrIyEEEEPS6_SG_NS0_5tupleIJSF_S6_EEENSH_IJSG_SG_EEES6_PlJ7is_evenIyEEEE10hipError_tPvRmT3_T4_T5_T6_T7_T9_mT8_P12ihipStream_tbDpT10_ENKUlT_T0_E_clISt17integral_constantIbLb0EES15_IbLb1EEEEDaS11_S12_EUlS11_E_NS1_11comp_targetILNS1_3genE0ELNS1_11target_archE4294967295ELNS1_3gpuE0ELNS1_3repE0EEENS1_30default_config_static_selectorELNS0_4arch9wavefront6targetE0EEEvT1_,@function
_ZN7rocprim17ROCPRIM_400000_NS6detail17trampoline_kernelINS0_14default_configENS1_25partition_config_selectorILNS1_17partition_subalgoE6EyNS0_10empty_typeEbEEZZNS1_14partition_implILS5_6ELb0ES3_mN6thrust23THRUST_200600_302600_NS6detail15normal_iteratorINSA_10device_ptrIyEEEEPS6_SG_NS0_5tupleIJSF_S6_EEENSH_IJSG_SG_EEES6_PlJ7is_evenIyEEEE10hipError_tPvRmT3_T4_T5_T6_T7_T9_mT8_P12ihipStream_tbDpT10_ENKUlT_T0_E_clISt17integral_constantIbLb0EES15_IbLb1EEEEDaS11_S12_EUlS11_E_NS1_11comp_targetILNS1_3genE0ELNS1_11target_archE4294967295ELNS1_3gpuE0ELNS1_3repE0EEENS1_30default_config_static_selectorELNS0_4arch9wavefront6targetE0EEEvT1_: ; @_ZN7rocprim17ROCPRIM_400000_NS6detail17trampoline_kernelINS0_14default_configENS1_25partition_config_selectorILNS1_17partition_subalgoE6EyNS0_10empty_typeEbEEZZNS1_14partition_implILS5_6ELb0ES3_mN6thrust23THRUST_200600_302600_NS6detail15normal_iteratorINSA_10device_ptrIyEEEEPS6_SG_NS0_5tupleIJSF_S6_EEENSH_IJSG_SG_EEES6_PlJ7is_evenIyEEEE10hipError_tPvRmT3_T4_T5_T6_T7_T9_mT8_P12ihipStream_tbDpT10_ENKUlT_T0_E_clISt17integral_constantIbLb0EES15_IbLb1EEEEDaS11_S12_EUlS11_E_NS1_11comp_targetILNS1_3genE0ELNS1_11target_archE4294967295ELNS1_3gpuE0ELNS1_3repE0EEENS1_30default_config_static_selectorELNS0_4arch9wavefront6targetE0EEEvT1_
; %bb.0:
	.section	.rodata,"a",@progbits
	.p2align	6, 0x0
	.amdhsa_kernel _ZN7rocprim17ROCPRIM_400000_NS6detail17trampoline_kernelINS0_14default_configENS1_25partition_config_selectorILNS1_17partition_subalgoE6EyNS0_10empty_typeEbEEZZNS1_14partition_implILS5_6ELb0ES3_mN6thrust23THRUST_200600_302600_NS6detail15normal_iteratorINSA_10device_ptrIyEEEEPS6_SG_NS0_5tupleIJSF_S6_EEENSH_IJSG_SG_EEES6_PlJ7is_evenIyEEEE10hipError_tPvRmT3_T4_T5_T6_T7_T9_mT8_P12ihipStream_tbDpT10_ENKUlT_T0_E_clISt17integral_constantIbLb0EES15_IbLb1EEEEDaS11_S12_EUlS11_E_NS1_11comp_targetILNS1_3genE0ELNS1_11target_archE4294967295ELNS1_3gpuE0ELNS1_3repE0EEENS1_30default_config_static_selectorELNS0_4arch9wavefront6targetE0EEEvT1_
		.amdhsa_group_segment_fixed_size 0
		.amdhsa_private_segment_fixed_size 0
		.amdhsa_kernarg_size 128
		.amdhsa_user_sgpr_count 15
		.amdhsa_user_sgpr_dispatch_ptr 0
		.amdhsa_user_sgpr_queue_ptr 0
		.amdhsa_user_sgpr_kernarg_segment_ptr 1
		.amdhsa_user_sgpr_dispatch_id 0
		.amdhsa_user_sgpr_private_segment_size 0
		.amdhsa_wavefront_size32 1
		.amdhsa_uses_dynamic_stack 0
		.amdhsa_enable_private_segment 0
		.amdhsa_system_sgpr_workgroup_id_x 1
		.amdhsa_system_sgpr_workgroup_id_y 0
		.amdhsa_system_sgpr_workgroup_id_z 0
		.amdhsa_system_sgpr_workgroup_info 0
		.amdhsa_system_vgpr_workitem_id 0
		.amdhsa_next_free_vgpr 1
		.amdhsa_next_free_sgpr 1
		.amdhsa_reserve_vcc 0
		.amdhsa_float_round_mode_32 0
		.amdhsa_float_round_mode_16_64 0
		.amdhsa_float_denorm_mode_32 3
		.amdhsa_float_denorm_mode_16_64 3
		.amdhsa_dx10_clamp 1
		.amdhsa_ieee_mode 1
		.amdhsa_fp16_overflow 0
		.amdhsa_workgroup_processor_mode 1
		.amdhsa_memory_ordered 1
		.amdhsa_forward_progress 0
		.amdhsa_shared_vgpr_count 0
		.amdhsa_exception_fp_ieee_invalid_op 0
		.amdhsa_exception_fp_denorm_src 0
		.amdhsa_exception_fp_ieee_div_zero 0
		.amdhsa_exception_fp_ieee_overflow 0
		.amdhsa_exception_fp_ieee_underflow 0
		.amdhsa_exception_fp_ieee_inexact 0
		.amdhsa_exception_int_div_zero 0
	.end_amdhsa_kernel
	.section	.text._ZN7rocprim17ROCPRIM_400000_NS6detail17trampoline_kernelINS0_14default_configENS1_25partition_config_selectorILNS1_17partition_subalgoE6EyNS0_10empty_typeEbEEZZNS1_14partition_implILS5_6ELb0ES3_mN6thrust23THRUST_200600_302600_NS6detail15normal_iteratorINSA_10device_ptrIyEEEEPS6_SG_NS0_5tupleIJSF_S6_EEENSH_IJSG_SG_EEES6_PlJ7is_evenIyEEEE10hipError_tPvRmT3_T4_T5_T6_T7_T9_mT8_P12ihipStream_tbDpT10_ENKUlT_T0_E_clISt17integral_constantIbLb0EES15_IbLb1EEEEDaS11_S12_EUlS11_E_NS1_11comp_targetILNS1_3genE0ELNS1_11target_archE4294967295ELNS1_3gpuE0ELNS1_3repE0EEENS1_30default_config_static_selectorELNS0_4arch9wavefront6targetE0EEEvT1_,"axG",@progbits,_ZN7rocprim17ROCPRIM_400000_NS6detail17trampoline_kernelINS0_14default_configENS1_25partition_config_selectorILNS1_17partition_subalgoE6EyNS0_10empty_typeEbEEZZNS1_14partition_implILS5_6ELb0ES3_mN6thrust23THRUST_200600_302600_NS6detail15normal_iteratorINSA_10device_ptrIyEEEEPS6_SG_NS0_5tupleIJSF_S6_EEENSH_IJSG_SG_EEES6_PlJ7is_evenIyEEEE10hipError_tPvRmT3_T4_T5_T6_T7_T9_mT8_P12ihipStream_tbDpT10_ENKUlT_T0_E_clISt17integral_constantIbLb0EES15_IbLb1EEEEDaS11_S12_EUlS11_E_NS1_11comp_targetILNS1_3genE0ELNS1_11target_archE4294967295ELNS1_3gpuE0ELNS1_3repE0EEENS1_30default_config_static_selectorELNS0_4arch9wavefront6targetE0EEEvT1_,comdat
.Lfunc_end288:
	.size	_ZN7rocprim17ROCPRIM_400000_NS6detail17trampoline_kernelINS0_14default_configENS1_25partition_config_selectorILNS1_17partition_subalgoE6EyNS0_10empty_typeEbEEZZNS1_14partition_implILS5_6ELb0ES3_mN6thrust23THRUST_200600_302600_NS6detail15normal_iteratorINSA_10device_ptrIyEEEEPS6_SG_NS0_5tupleIJSF_S6_EEENSH_IJSG_SG_EEES6_PlJ7is_evenIyEEEE10hipError_tPvRmT3_T4_T5_T6_T7_T9_mT8_P12ihipStream_tbDpT10_ENKUlT_T0_E_clISt17integral_constantIbLb0EES15_IbLb1EEEEDaS11_S12_EUlS11_E_NS1_11comp_targetILNS1_3genE0ELNS1_11target_archE4294967295ELNS1_3gpuE0ELNS1_3repE0EEENS1_30default_config_static_selectorELNS0_4arch9wavefront6targetE0EEEvT1_, .Lfunc_end288-_ZN7rocprim17ROCPRIM_400000_NS6detail17trampoline_kernelINS0_14default_configENS1_25partition_config_selectorILNS1_17partition_subalgoE6EyNS0_10empty_typeEbEEZZNS1_14partition_implILS5_6ELb0ES3_mN6thrust23THRUST_200600_302600_NS6detail15normal_iteratorINSA_10device_ptrIyEEEEPS6_SG_NS0_5tupleIJSF_S6_EEENSH_IJSG_SG_EEES6_PlJ7is_evenIyEEEE10hipError_tPvRmT3_T4_T5_T6_T7_T9_mT8_P12ihipStream_tbDpT10_ENKUlT_T0_E_clISt17integral_constantIbLb0EES15_IbLb1EEEEDaS11_S12_EUlS11_E_NS1_11comp_targetILNS1_3genE0ELNS1_11target_archE4294967295ELNS1_3gpuE0ELNS1_3repE0EEENS1_30default_config_static_selectorELNS0_4arch9wavefront6targetE0EEEvT1_
                                        ; -- End function
	.section	.AMDGPU.csdata,"",@progbits
; Kernel info:
; codeLenInByte = 0
; NumSgprs: 0
; NumVgprs: 0
; ScratchSize: 0
; MemoryBound: 0
; FloatMode: 240
; IeeeMode: 1
; LDSByteSize: 0 bytes/workgroup (compile time only)
; SGPRBlocks: 0
; VGPRBlocks: 0
; NumSGPRsForWavesPerEU: 1
; NumVGPRsForWavesPerEU: 1
; Occupancy: 16
; WaveLimiterHint : 0
; COMPUTE_PGM_RSRC2:SCRATCH_EN: 0
; COMPUTE_PGM_RSRC2:USER_SGPR: 15
; COMPUTE_PGM_RSRC2:TRAP_HANDLER: 0
; COMPUTE_PGM_RSRC2:TGID_X_EN: 1
; COMPUTE_PGM_RSRC2:TGID_Y_EN: 0
; COMPUTE_PGM_RSRC2:TGID_Z_EN: 0
; COMPUTE_PGM_RSRC2:TIDIG_COMP_CNT: 0
	.section	.text._ZN7rocprim17ROCPRIM_400000_NS6detail17trampoline_kernelINS0_14default_configENS1_25partition_config_selectorILNS1_17partition_subalgoE6EyNS0_10empty_typeEbEEZZNS1_14partition_implILS5_6ELb0ES3_mN6thrust23THRUST_200600_302600_NS6detail15normal_iteratorINSA_10device_ptrIyEEEEPS6_SG_NS0_5tupleIJSF_S6_EEENSH_IJSG_SG_EEES6_PlJ7is_evenIyEEEE10hipError_tPvRmT3_T4_T5_T6_T7_T9_mT8_P12ihipStream_tbDpT10_ENKUlT_T0_E_clISt17integral_constantIbLb0EES15_IbLb1EEEEDaS11_S12_EUlS11_E_NS1_11comp_targetILNS1_3genE5ELNS1_11target_archE942ELNS1_3gpuE9ELNS1_3repE0EEENS1_30default_config_static_selectorELNS0_4arch9wavefront6targetE0EEEvT1_,"axG",@progbits,_ZN7rocprim17ROCPRIM_400000_NS6detail17trampoline_kernelINS0_14default_configENS1_25partition_config_selectorILNS1_17partition_subalgoE6EyNS0_10empty_typeEbEEZZNS1_14partition_implILS5_6ELb0ES3_mN6thrust23THRUST_200600_302600_NS6detail15normal_iteratorINSA_10device_ptrIyEEEEPS6_SG_NS0_5tupleIJSF_S6_EEENSH_IJSG_SG_EEES6_PlJ7is_evenIyEEEE10hipError_tPvRmT3_T4_T5_T6_T7_T9_mT8_P12ihipStream_tbDpT10_ENKUlT_T0_E_clISt17integral_constantIbLb0EES15_IbLb1EEEEDaS11_S12_EUlS11_E_NS1_11comp_targetILNS1_3genE5ELNS1_11target_archE942ELNS1_3gpuE9ELNS1_3repE0EEENS1_30default_config_static_selectorELNS0_4arch9wavefront6targetE0EEEvT1_,comdat
	.protected	_ZN7rocprim17ROCPRIM_400000_NS6detail17trampoline_kernelINS0_14default_configENS1_25partition_config_selectorILNS1_17partition_subalgoE6EyNS0_10empty_typeEbEEZZNS1_14partition_implILS5_6ELb0ES3_mN6thrust23THRUST_200600_302600_NS6detail15normal_iteratorINSA_10device_ptrIyEEEEPS6_SG_NS0_5tupleIJSF_S6_EEENSH_IJSG_SG_EEES6_PlJ7is_evenIyEEEE10hipError_tPvRmT3_T4_T5_T6_T7_T9_mT8_P12ihipStream_tbDpT10_ENKUlT_T0_E_clISt17integral_constantIbLb0EES15_IbLb1EEEEDaS11_S12_EUlS11_E_NS1_11comp_targetILNS1_3genE5ELNS1_11target_archE942ELNS1_3gpuE9ELNS1_3repE0EEENS1_30default_config_static_selectorELNS0_4arch9wavefront6targetE0EEEvT1_ ; -- Begin function _ZN7rocprim17ROCPRIM_400000_NS6detail17trampoline_kernelINS0_14default_configENS1_25partition_config_selectorILNS1_17partition_subalgoE6EyNS0_10empty_typeEbEEZZNS1_14partition_implILS5_6ELb0ES3_mN6thrust23THRUST_200600_302600_NS6detail15normal_iteratorINSA_10device_ptrIyEEEEPS6_SG_NS0_5tupleIJSF_S6_EEENSH_IJSG_SG_EEES6_PlJ7is_evenIyEEEE10hipError_tPvRmT3_T4_T5_T6_T7_T9_mT8_P12ihipStream_tbDpT10_ENKUlT_T0_E_clISt17integral_constantIbLb0EES15_IbLb1EEEEDaS11_S12_EUlS11_E_NS1_11comp_targetILNS1_3genE5ELNS1_11target_archE942ELNS1_3gpuE9ELNS1_3repE0EEENS1_30default_config_static_selectorELNS0_4arch9wavefront6targetE0EEEvT1_
	.globl	_ZN7rocprim17ROCPRIM_400000_NS6detail17trampoline_kernelINS0_14default_configENS1_25partition_config_selectorILNS1_17partition_subalgoE6EyNS0_10empty_typeEbEEZZNS1_14partition_implILS5_6ELb0ES3_mN6thrust23THRUST_200600_302600_NS6detail15normal_iteratorINSA_10device_ptrIyEEEEPS6_SG_NS0_5tupleIJSF_S6_EEENSH_IJSG_SG_EEES6_PlJ7is_evenIyEEEE10hipError_tPvRmT3_T4_T5_T6_T7_T9_mT8_P12ihipStream_tbDpT10_ENKUlT_T0_E_clISt17integral_constantIbLb0EES15_IbLb1EEEEDaS11_S12_EUlS11_E_NS1_11comp_targetILNS1_3genE5ELNS1_11target_archE942ELNS1_3gpuE9ELNS1_3repE0EEENS1_30default_config_static_selectorELNS0_4arch9wavefront6targetE0EEEvT1_
	.p2align	8
	.type	_ZN7rocprim17ROCPRIM_400000_NS6detail17trampoline_kernelINS0_14default_configENS1_25partition_config_selectorILNS1_17partition_subalgoE6EyNS0_10empty_typeEbEEZZNS1_14partition_implILS5_6ELb0ES3_mN6thrust23THRUST_200600_302600_NS6detail15normal_iteratorINSA_10device_ptrIyEEEEPS6_SG_NS0_5tupleIJSF_S6_EEENSH_IJSG_SG_EEES6_PlJ7is_evenIyEEEE10hipError_tPvRmT3_T4_T5_T6_T7_T9_mT8_P12ihipStream_tbDpT10_ENKUlT_T0_E_clISt17integral_constantIbLb0EES15_IbLb1EEEEDaS11_S12_EUlS11_E_NS1_11comp_targetILNS1_3genE5ELNS1_11target_archE942ELNS1_3gpuE9ELNS1_3repE0EEENS1_30default_config_static_selectorELNS0_4arch9wavefront6targetE0EEEvT1_,@function
_ZN7rocprim17ROCPRIM_400000_NS6detail17trampoline_kernelINS0_14default_configENS1_25partition_config_selectorILNS1_17partition_subalgoE6EyNS0_10empty_typeEbEEZZNS1_14partition_implILS5_6ELb0ES3_mN6thrust23THRUST_200600_302600_NS6detail15normal_iteratorINSA_10device_ptrIyEEEEPS6_SG_NS0_5tupleIJSF_S6_EEENSH_IJSG_SG_EEES6_PlJ7is_evenIyEEEE10hipError_tPvRmT3_T4_T5_T6_T7_T9_mT8_P12ihipStream_tbDpT10_ENKUlT_T0_E_clISt17integral_constantIbLb0EES15_IbLb1EEEEDaS11_S12_EUlS11_E_NS1_11comp_targetILNS1_3genE5ELNS1_11target_archE942ELNS1_3gpuE9ELNS1_3repE0EEENS1_30default_config_static_selectorELNS0_4arch9wavefront6targetE0EEEvT1_: ; @_ZN7rocprim17ROCPRIM_400000_NS6detail17trampoline_kernelINS0_14default_configENS1_25partition_config_selectorILNS1_17partition_subalgoE6EyNS0_10empty_typeEbEEZZNS1_14partition_implILS5_6ELb0ES3_mN6thrust23THRUST_200600_302600_NS6detail15normal_iteratorINSA_10device_ptrIyEEEEPS6_SG_NS0_5tupleIJSF_S6_EEENSH_IJSG_SG_EEES6_PlJ7is_evenIyEEEE10hipError_tPvRmT3_T4_T5_T6_T7_T9_mT8_P12ihipStream_tbDpT10_ENKUlT_T0_E_clISt17integral_constantIbLb0EES15_IbLb1EEEEDaS11_S12_EUlS11_E_NS1_11comp_targetILNS1_3genE5ELNS1_11target_archE942ELNS1_3gpuE9ELNS1_3repE0EEENS1_30default_config_static_selectorELNS0_4arch9wavefront6targetE0EEEvT1_
; %bb.0:
	.section	.rodata,"a",@progbits
	.p2align	6, 0x0
	.amdhsa_kernel _ZN7rocprim17ROCPRIM_400000_NS6detail17trampoline_kernelINS0_14default_configENS1_25partition_config_selectorILNS1_17partition_subalgoE6EyNS0_10empty_typeEbEEZZNS1_14partition_implILS5_6ELb0ES3_mN6thrust23THRUST_200600_302600_NS6detail15normal_iteratorINSA_10device_ptrIyEEEEPS6_SG_NS0_5tupleIJSF_S6_EEENSH_IJSG_SG_EEES6_PlJ7is_evenIyEEEE10hipError_tPvRmT3_T4_T5_T6_T7_T9_mT8_P12ihipStream_tbDpT10_ENKUlT_T0_E_clISt17integral_constantIbLb0EES15_IbLb1EEEEDaS11_S12_EUlS11_E_NS1_11comp_targetILNS1_3genE5ELNS1_11target_archE942ELNS1_3gpuE9ELNS1_3repE0EEENS1_30default_config_static_selectorELNS0_4arch9wavefront6targetE0EEEvT1_
		.amdhsa_group_segment_fixed_size 0
		.amdhsa_private_segment_fixed_size 0
		.amdhsa_kernarg_size 128
		.amdhsa_user_sgpr_count 15
		.amdhsa_user_sgpr_dispatch_ptr 0
		.amdhsa_user_sgpr_queue_ptr 0
		.amdhsa_user_sgpr_kernarg_segment_ptr 1
		.amdhsa_user_sgpr_dispatch_id 0
		.amdhsa_user_sgpr_private_segment_size 0
		.amdhsa_wavefront_size32 1
		.amdhsa_uses_dynamic_stack 0
		.amdhsa_enable_private_segment 0
		.amdhsa_system_sgpr_workgroup_id_x 1
		.amdhsa_system_sgpr_workgroup_id_y 0
		.amdhsa_system_sgpr_workgroup_id_z 0
		.amdhsa_system_sgpr_workgroup_info 0
		.amdhsa_system_vgpr_workitem_id 0
		.amdhsa_next_free_vgpr 1
		.amdhsa_next_free_sgpr 1
		.amdhsa_reserve_vcc 0
		.amdhsa_float_round_mode_32 0
		.amdhsa_float_round_mode_16_64 0
		.amdhsa_float_denorm_mode_32 3
		.amdhsa_float_denorm_mode_16_64 3
		.amdhsa_dx10_clamp 1
		.amdhsa_ieee_mode 1
		.amdhsa_fp16_overflow 0
		.amdhsa_workgroup_processor_mode 1
		.amdhsa_memory_ordered 1
		.amdhsa_forward_progress 0
		.amdhsa_shared_vgpr_count 0
		.amdhsa_exception_fp_ieee_invalid_op 0
		.amdhsa_exception_fp_denorm_src 0
		.amdhsa_exception_fp_ieee_div_zero 0
		.amdhsa_exception_fp_ieee_overflow 0
		.amdhsa_exception_fp_ieee_underflow 0
		.amdhsa_exception_fp_ieee_inexact 0
		.amdhsa_exception_int_div_zero 0
	.end_amdhsa_kernel
	.section	.text._ZN7rocprim17ROCPRIM_400000_NS6detail17trampoline_kernelINS0_14default_configENS1_25partition_config_selectorILNS1_17partition_subalgoE6EyNS0_10empty_typeEbEEZZNS1_14partition_implILS5_6ELb0ES3_mN6thrust23THRUST_200600_302600_NS6detail15normal_iteratorINSA_10device_ptrIyEEEEPS6_SG_NS0_5tupleIJSF_S6_EEENSH_IJSG_SG_EEES6_PlJ7is_evenIyEEEE10hipError_tPvRmT3_T4_T5_T6_T7_T9_mT8_P12ihipStream_tbDpT10_ENKUlT_T0_E_clISt17integral_constantIbLb0EES15_IbLb1EEEEDaS11_S12_EUlS11_E_NS1_11comp_targetILNS1_3genE5ELNS1_11target_archE942ELNS1_3gpuE9ELNS1_3repE0EEENS1_30default_config_static_selectorELNS0_4arch9wavefront6targetE0EEEvT1_,"axG",@progbits,_ZN7rocprim17ROCPRIM_400000_NS6detail17trampoline_kernelINS0_14default_configENS1_25partition_config_selectorILNS1_17partition_subalgoE6EyNS0_10empty_typeEbEEZZNS1_14partition_implILS5_6ELb0ES3_mN6thrust23THRUST_200600_302600_NS6detail15normal_iteratorINSA_10device_ptrIyEEEEPS6_SG_NS0_5tupleIJSF_S6_EEENSH_IJSG_SG_EEES6_PlJ7is_evenIyEEEE10hipError_tPvRmT3_T4_T5_T6_T7_T9_mT8_P12ihipStream_tbDpT10_ENKUlT_T0_E_clISt17integral_constantIbLb0EES15_IbLb1EEEEDaS11_S12_EUlS11_E_NS1_11comp_targetILNS1_3genE5ELNS1_11target_archE942ELNS1_3gpuE9ELNS1_3repE0EEENS1_30default_config_static_selectorELNS0_4arch9wavefront6targetE0EEEvT1_,comdat
.Lfunc_end289:
	.size	_ZN7rocprim17ROCPRIM_400000_NS6detail17trampoline_kernelINS0_14default_configENS1_25partition_config_selectorILNS1_17partition_subalgoE6EyNS0_10empty_typeEbEEZZNS1_14partition_implILS5_6ELb0ES3_mN6thrust23THRUST_200600_302600_NS6detail15normal_iteratorINSA_10device_ptrIyEEEEPS6_SG_NS0_5tupleIJSF_S6_EEENSH_IJSG_SG_EEES6_PlJ7is_evenIyEEEE10hipError_tPvRmT3_T4_T5_T6_T7_T9_mT8_P12ihipStream_tbDpT10_ENKUlT_T0_E_clISt17integral_constantIbLb0EES15_IbLb1EEEEDaS11_S12_EUlS11_E_NS1_11comp_targetILNS1_3genE5ELNS1_11target_archE942ELNS1_3gpuE9ELNS1_3repE0EEENS1_30default_config_static_selectorELNS0_4arch9wavefront6targetE0EEEvT1_, .Lfunc_end289-_ZN7rocprim17ROCPRIM_400000_NS6detail17trampoline_kernelINS0_14default_configENS1_25partition_config_selectorILNS1_17partition_subalgoE6EyNS0_10empty_typeEbEEZZNS1_14partition_implILS5_6ELb0ES3_mN6thrust23THRUST_200600_302600_NS6detail15normal_iteratorINSA_10device_ptrIyEEEEPS6_SG_NS0_5tupleIJSF_S6_EEENSH_IJSG_SG_EEES6_PlJ7is_evenIyEEEE10hipError_tPvRmT3_T4_T5_T6_T7_T9_mT8_P12ihipStream_tbDpT10_ENKUlT_T0_E_clISt17integral_constantIbLb0EES15_IbLb1EEEEDaS11_S12_EUlS11_E_NS1_11comp_targetILNS1_3genE5ELNS1_11target_archE942ELNS1_3gpuE9ELNS1_3repE0EEENS1_30default_config_static_selectorELNS0_4arch9wavefront6targetE0EEEvT1_
                                        ; -- End function
	.section	.AMDGPU.csdata,"",@progbits
; Kernel info:
; codeLenInByte = 0
; NumSgprs: 0
; NumVgprs: 0
; ScratchSize: 0
; MemoryBound: 0
; FloatMode: 240
; IeeeMode: 1
; LDSByteSize: 0 bytes/workgroup (compile time only)
; SGPRBlocks: 0
; VGPRBlocks: 0
; NumSGPRsForWavesPerEU: 1
; NumVGPRsForWavesPerEU: 1
; Occupancy: 16
; WaveLimiterHint : 0
; COMPUTE_PGM_RSRC2:SCRATCH_EN: 0
; COMPUTE_PGM_RSRC2:USER_SGPR: 15
; COMPUTE_PGM_RSRC2:TRAP_HANDLER: 0
; COMPUTE_PGM_RSRC2:TGID_X_EN: 1
; COMPUTE_PGM_RSRC2:TGID_Y_EN: 0
; COMPUTE_PGM_RSRC2:TGID_Z_EN: 0
; COMPUTE_PGM_RSRC2:TIDIG_COMP_CNT: 0
	.section	.text._ZN7rocprim17ROCPRIM_400000_NS6detail17trampoline_kernelINS0_14default_configENS1_25partition_config_selectorILNS1_17partition_subalgoE6EyNS0_10empty_typeEbEEZZNS1_14partition_implILS5_6ELb0ES3_mN6thrust23THRUST_200600_302600_NS6detail15normal_iteratorINSA_10device_ptrIyEEEEPS6_SG_NS0_5tupleIJSF_S6_EEENSH_IJSG_SG_EEES6_PlJ7is_evenIyEEEE10hipError_tPvRmT3_T4_T5_T6_T7_T9_mT8_P12ihipStream_tbDpT10_ENKUlT_T0_E_clISt17integral_constantIbLb0EES15_IbLb1EEEEDaS11_S12_EUlS11_E_NS1_11comp_targetILNS1_3genE4ELNS1_11target_archE910ELNS1_3gpuE8ELNS1_3repE0EEENS1_30default_config_static_selectorELNS0_4arch9wavefront6targetE0EEEvT1_,"axG",@progbits,_ZN7rocprim17ROCPRIM_400000_NS6detail17trampoline_kernelINS0_14default_configENS1_25partition_config_selectorILNS1_17partition_subalgoE6EyNS0_10empty_typeEbEEZZNS1_14partition_implILS5_6ELb0ES3_mN6thrust23THRUST_200600_302600_NS6detail15normal_iteratorINSA_10device_ptrIyEEEEPS6_SG_NS0_5tupleIJSF_S6_EEENSH_IJSG_SG_EEES6_PlJ7is_evenIyEEEE10hipError_tPvRmT3_T4_T5_T6_T7_T9_mT8_P12ihipStream_tbDpT10_ENKUlT_T0_E_clISt17integral_constantIbLb0EES15_IbLb1EEEEDaS11_S12_EUlS11_E_NS1_11comp_targetILNS1_3genE4ELNS1_11target_archE910ELNS1_3gpuE8ELNS1_3repE0EEENS1_30default_config_static_selectorELNS0_4arch9wavefront6targetE0EEEvT1_,comdat
	.protected	_ZN7rocprim17ROCPRIM_400000_NS6detail17trampoline_kernelINS0_14default_configENS1_25partition_config_selectorILNS1_17partition_subalgoE6EyNS0_10empty_typeEbEEZZNS1_14partition_implILS5_6ELb0ES3_mN6thrust23THRUST_200600_302600_NS6detail15normal_iteratorINSA_10device_ptrIyEEEEPS6_SG_NS0_5tupleIJSF_S6_EEENSH_IJSG_SG_EEES6_PlJ7is_evenIyEEEE10hipError_tPvRmT3_T4_T5_T6_T7_T9_mT8_P12ihipStream_tbDpT10_ENKUlT_T0_E_clISt17integral_constantIbLb0EES15_IbLb1EEEEDaS11_S12_EUlS11_E_NS1_11comp_targetILNS1_3genE4ELNS1_11target_archE910ELNS1_3gpuE8ELNS1_3repE0EEENS1_30default_config_static_selectorELNS0_4arch9wavefront6targetE0EEEvT1_ ; -- Begin function _ZN7rocprim17ROCPRIM_400000_NS6detail17trampoline_kernelINS0_14default_configENS1_25partition_config_selectorILNS1_17partition_subalgoE6EyNS0_10empty_typeEbEEZZNS1_14partition_implILS5_6ELb0ES3_mN6thrust23THRUST_200600_302600_NS6detail15normal_iteratorINSA_10device_ptrIyEEEEPS6_SG_NS0_5tupleIJSF_S6_EEENSH_IJSG_SG_EEES6_PlJ7is_evenIyEEEE10hipError_tPvRmT3_T4_T5_T6_T7_T9_mT8_P12ihipStream_tbDpT10_ENKUlT_T0_E_clISt17integral_constantIbLb0EES15_IbLb1EEEEDaS11_S12_EUlS11_E_NS1_11comp_targetILNS1_3genE4ELNS1_11target_archE910ELNS1_3gpuE8ELNS1_3repE0EEENS1_30default_config_static_selectorELNS0_4arch9wavefront6targetE0EEEvT1_
	.globl	_ZN7rocprim17ROCPRIM_400000_NS6detail17trampoline_kernelINS0_14default_configENS1_25partition_config_selectorILNS1_17partition_subalgoE6EyNS0_10empty_typeEbEEZZNS1_14partition_implILS5_6ELb0ES3_mN6thrust23THRUST_200600_302600_NS6detail15normal_iteratorINSA_10device_ptrIyEEEEPS6_SG_NS0_5tupleIJSF_S6_EEENSH_IJSG_SG_EEES6_PlJ7is_evenIyEEEE10hipError_tPvRmT3_T4_T5_T6_T7_T9_mT8_P12ihipStream_tbDpT10_ENKUlT_T0_E_clISt17integral_constantIbLb0EES15_IbLb1EEEEDaS11_S12_EUlS11_E_NS1_11comp_targetILNS1_3genE4ELNS1_11target_archE910ELNS1_3gpuE8ELNS1_3repE0EEENS1_30default_config_static_selectorELNS0_4arch9wavefront6targetE0EEEvT1_
	.p2align	8
	.type	_ZN7rocprim17ROCPRIM_400000_NS6detail17trampoline_kernelINS0_14default_configENS1_25partition_config_selectorILNS1_17partition_subalgoE6EyNS0_10empty_typeEbEEZZNS1_14partition_implILS5_6ELb0ES3_mN6thrust23THRUST_200600_302600_NS6detail15normal_iteratorINSA_10device_ptrIyEEEEPS6_SG_NS0_5tupleIJSF_S6_EEENSH_IJSG_SG_EEES6_PlJ7is_evenIyEEEE10hipError_tPvRmT3_T4_T5_T6_T7_T9_mT8_P12ihipStream_tbDpT10_ENKUlT_T0_E_clISt17integral_constantIbLb0EES15_IbLb1EEEEDaS11_S12_EUlS11_E_NS1_11comp_targetILNS1_3genE4ELNS1_11target_archE910ELNS1_3gpuE8ELNS1_3repE0EEENS1_30default_config_static_selectorELNS0_4arch9wavefront6targetE0EEEvT1_,@function
_ZN7rocprim17ROCPRIM_400000_NS6detail17trampoline_kernelINS0_14default_configENS1_25partition_config_selectorILNS1_17partition_subalgoE6EyNS0_10empty_typeEbEEZZNS1_14partition_implILS5_6ELb0ES3_mN6thrust23THRUST_200600_302600_NS6detail15normal_iteratorINSA_10device_ptrIyEEEEPS6_SG_NS0_5tupleIJSF_S6_EEENSH_IJSG_SG_EEES6_PlJ7is_evenIyEEEE10hipError_tPvRmT3_T4_T5_T6_T7_T9_mT8_P12ihipStream_tbDpT10_ENKUlT_T0_E_clISt17integral_constantIbLb0EES15_IbLb1EEEEDaS11_S12_EUlS11_E_NS1_11comp_targetILNS1_3genE4ELNS1_11target_archE910ELNS1_3gpuE8ELNS1_3repE0EEENS1_30default_config_static_selectorELNS0_4arch9wavefront6targetE0EEEvT1_: ; @_ZN7rocprim17ROCPRIM_400000_NS6detail17trampoline_kernelINS0_14default_configENS1_25partition_config_selectorILNS1_17partition_subalgoE6EyNS0_10empty_typeEbEEZZNS1_14partition_implILS5_6ELb0ES3_mN6thrust23THRUST_200600_302600_NS6detail15normal_iteratorINSA_10device_ptrIyEEEEPS6_SG_NS0_5tupleIJSF_S6_EEENSH_IJSG_SG_EEES6_PlJ7is_evenIyEEEE10hipError_tPvRmT3_T4_T5_T6_T7_T9_mT8_P12ihipStream_tbDpT10_ENKUlT_T0_E_clISt17integral_constantIbLb0EES15_IbLb1EEEEDaS11_S12_EUlS11_E_NS1_11comp_targetILNS1_3genE4ELNS1_11target_archE910ELNS1_3gpuE8ELNS1_3repE0EEENS1_30default_config_static_selectorELNS0_4arch9wavefront6targetE0EEEvT1_
; %bb.0:
	.section	.rodata,"a",@progbits
	.p2align	6, 0x0
	.amdhsa_kernel _ZN7rocprim17ROCPRIM_400000_NS6detail17trampoline_kernelINS0_14default_configENS1_25partition_config_selectorILNS1_17partition_subalgoE6EyNS0_10empty_typeEbEEZZNS1_14partition_implILS5_6ELb0ES3_mN6thrust23THRUST_200600_302600_NS6detail15normal_iteratorINSA_10device_ptrIyEEEEPS6_SG_NS0_5tupleIJSF_S6_EEENSH_IJSG_SG_EEES6_PlJ7is_evenIyEEEE10hipError_tPvRmT3_T4_T5_T6_T7_T9_mT8_P12ihipStream_tbDpT10_ENKUlT_T0_E_clISt17integral_constantIbLb0EES15_IbLb1EEEEDaS11_S12_EUlS11_E_NS1_11comp_targetILNS1_3genE4ELNS1_11target_archE910ELNS1_3gpuE8ELNS1_3repE0EEENS1_30default_config_static_selectorELNS0_4arch9wavefront6targetE0EEEvT1_
		.amdhsa_group_segment_fixed_size 0
		.amdhsa_private_segment_fixed_size 0
		.amdhsa_kernarg_size 128
		.amdhsa_user_sgpr_count 15
		.amdhsa_user_sgpr_dispatch_ptr 0
		.amdhsa_user_sgpr_queue_ptr 0
		.amdhsa_user_sgpr_kernarg_segment_ptr 1
		.amdhsa_user_sgpr_dispatch_id 0
		.amdhsa_user_sgpr_private_segment_size 0
		.amdhsa_wavefront_size32 1
		.amdhsa_uses_dynamic_stack 0
		.amdhsa_enable_private_segment 0
		.amdhsa_system_sgpr_workgroup_id_x 1
		.amdhsa_system_sgpr_workgroup_id_y 0
		.amdhsa_system_sgpr_workgroup_id_z 0
		.amdhsa_system_sgpr_workgroup_info 0
		.amdhsa_system_vgpr_workitem_id 0
		.amdhsa_next_free_vgpr 1
		.amdhsa_next_free_sgpr 1
		.amdhsa_reserve_vcc 0
		.amdhsa_float_round_mode_32 0
		.amdhsa_float_round_mode_16_64 0
		.amdhsa_float_denorm_mode_32 3
		.amdhsa_float_denorm_mode_16_64 3
		.amdhsa_dx10_clamp 1
		.amdhsa_ieee_mode 1
		.amdhsa_fp16_overflow 0
		.amdhsa_workgroup_processor_mode 1
		.amdhsa_memory_ordered 1
		.amdhsa_forward_progress 0
		.amdhsa_shared_vgpr_count 0
		.amdhsa_exception_fp_ieee_invalid_op 0
		.amdhsa_exception_fp_denorm_src 0
		.amdhsa_exception_fp_ieee_div_zero 0
		.amdhsa_exception_fp_ieee_overflow 0
		.amdhsa_exception_fp_ieee_underflow 0
		.amdhsa_exception_fp_ieee_inexact 0
		.amdhsa_exception_int_div_zero 0
	.end_amdhsa_kernel
	.section	.text._ZN7rocprim17ROCPRIM_400000_NS6detail17trampoline_kernelINS0_14default_configENS1_25partition_config_selectorILNS1_17partition_subalgoE6EyNS0_10empty_typeEbEEZZNS1_14partition_implILS5_6ELb0ES3_mN6thrust23THRUST_200600_302600_NS6detail15normal_iteratorINSA_10device_ptrIyEEEEPS6_SG_NS0_5tupleIJSF_S6_EEENSH_IJSG_SG_EEES6_PlJ7is_evenIyEEEE10hipError_tPvRmT3_T4_T5_T6_T7_T9_mT8_P12ihipStream_tbDpT10_ENKUlT_T0_E_clISt17integral_constantIbLb0EES15_IbLb1EEEEDaS11_S12_EUlS11_E_NS1_11comp_targetILNS1_3genE4ELNS1_11target_archE910ELNS1_3gpuE8ELNS1_3repE0EEENS1_30default_config_static_selectorELNS0_4arch9wavefront6targetE0EEEvT1_,"axG",@progbits,_ZN7rocprim17ROCPRIM_400000_NS6detail17trampoline_kernelINS0_14default_configENS1_25partition_config_selectorILNS1_17partition_subalgoE6EyNS0_10empty_typeEbEEZZNS1_14partition_implILS5_6ELb0ES3_mN6thrust23THRUST_200600_302600_NS6detail15normal_iteratorINSA_10device_ptrIyEEEEPS6_SG_NS0_5tupleIJSF_S6_EEENSH_IJSG_SG_EEES6_PlJ7is_evenIyEEEE10hipError_tPvRmT3_T4_T5_T6_T7_T9_mT8_P12ihipStream_tbDpT10_ENKUlT_T0_E_clISt17integral_constantIbLb0EES15_IbLb1EEEEDaS11_S12_EUlS11_E_NS1_11comp_targetILNS1_3genE4ELNS1_11target_archE910ELNS1_3gpuE8ELNS1_3repE0EEENS1_30default_config_static_selectorELNS0_4arch9wavefront6targetE0EEEvT1_,comdat
.Lfunc_end290:
	.size	_ZN7rocprim17ROCPRIM_400000_NS6detail17trampoline_kernelINS0_14default_configENS1_25partition_config_selectorILNS1_17partition_subalgoE6EyNS0_10empty_typeEbEEZZNS1_14partition_implILS5_6ELb0ES3_mN6thrust23THRUST_200600_302600_NS6detail15normal_iteratorINSA_10device_ptrIyEEEEPS6_SG_NS0_5tupleIJSF_S6_EEENSH_IJSG_SG_EEES6_PlJ7is_evenIyEEEE10hipError_tPvRmT3_T4_T5_T6_T7_T9_mT8_P12ihipStream_tbDpT10_ENKUlT_T0_E_clISt17integral_constantIbLb0EES15_IbLb1EEEEDaS11_S12_EUlS11_E_NS1_11comp_targetILNS1_3genE4ELNS1_11target_archE910ELNS1_3gpuE8ELNS1_3repE0EEENS1_30default_config_static_selectorELNS0_4arch9wavefront6targetE0EEEvT1_, .Lfunc_end290-_ZN7rocprim17ROCPRIM_400000_NS6detail17trampoline_kernelINS0_14default_configENS1_25partition_config_selectorILNS1_17partition_subalgoE6EyNS0_10empty_typeEbEEZZNS1_14partition_implILS5_6ELb0ES3_mN6thrust23THRUST_200600_302600_NS6detail15normal_iteratorINSA_10device_ptrIyEEEEPS6_SG_NS0_5tupleIJSF_S6_EEENSH_IJSG_SG_EEES6_PlJ7is_evenIyEEEE10hipError_tPvRmT3_T4_T5_T6_T7_T9_mT8_P12ihipStream_tbDpT10_ENKUlT_T0_E_clISt17integral_constantIbLb0EES15_IbLb1EEEEDaS11_S12_EUlS11_E_NS1_11comp_targetILNS1_3genE4ELNS1_11target_archE910ELNS1_3gpuE8ELNS1_3repE0EEENS1_30default_config_static_selectorELNS0_4arch9wavefront6targetE0EEEvT1_
                                        ; -- End function
	.section	.AMDGPU.csdata,"",@progbits
; Kernel info:
; codeLenInByte = 0
; NumSgprs: 0
; NumVgprs: 0
; ScratchSize: 0
; MemoryBound: 0
; FloatMode: 240
; IeeeMode: 1
; LDSByteSize: 0 bytes/workgroup (compile time only)
; SGPRBlocks: 0
; VGPRBlocks: 0
; NumSGPRsForWavesPerEU: 1
; NumVGPRsForWavesPerEU: 1
; Occupancy: 16
; WaveLimiterHint : 0
; COMPUTE_PGM_RSRC2:SCRATCH_EN: 0
; COMPUTE_PGM_RSRC2:USER_SGPR: 15
; COMPUTE_PGM_RSRC2:TRAP_HANDLER: 0
; COMPUTE_PGM_RSRC2:TGID_X_EN: 1
; COMPUTE_PGM_RSRC2:TGID_Y_EN: 0
; COMPUTE_PGM_RSRC2:TGID_Z_EN: 0
; COMPUTE_PGM_RSRC2:TIDIG_COMP_CNT: 0
	.section	.text._ZN7rocprim17ROCPRIM_400000_NS6detail17trampoline_kernelINS0_14default_configENS1_25partition_config_selectorILNS1_17partition_subalgoE6EyNS0_10empty_typeEbEEZZNS1_14partition_implILS5_6ELb0ES3_mN6thrust23THRUST_200600_302600_NS6detail15normal_iteratorINSA_10device_ptrIyEEEEPS6_SG_NS0_5tupleIJSF_S6_EEENSH_IJSG_SG_EEES6_PlJ7is_evenIyEEEE10hipError_tPvRmT3_T4_T5_T6_T7_T9_mT8_P12ihipStream_tbDpT10_ENKUlT_T0_E_clISt17integral_constantIbLb0EES15_IbLb1EEEEDaS11_S12_EUlS11_E_NS1_11comp_targetILNS1_3genE3ELNS1_11target_archE908ELNS1_3gpuE7ELNS1_3repE0EEENS1_30default_config_static_selectorELNS0_4arch9wavefront6targetE0EEEvT1_,"axG",@progbits,_ZN7rocprim17ROCPRIM_400000_NS6detail17trampoline_kernelINS0_14default_configENS1_25partition_config_selectorILNS1_17partition_subalgoE6EyNS0_10empty_typeEbEEZZNS1_14partition_implILS5_6ELb0ES3_mN6thrust23THRUST_200600_302600_NS6detail15normal_iteratorINSA_10device_ptrIyEEEEPS6_SG_NS0_5tupleIJSF_S6_EEENSH_IJSG_SG_EEES6_PlJ7is_evenIyEEEE10hipError_tPvRmT3_T4_T5_T6_T7_T9_mT8_P12ihipStream_tbDpT10_ENKUlT_T0_E_clISt17integral_constantIbLb0EES15_IbLb1EEEEDaS11_S12_EUlS11_E_NS1_11comp_targetILNS1_3genE3ELNS1_11target_archE908ELNS1_3gpuE7ELNS1_3repE0EEENS1_30default_config_static_selectorELNS0_4arch9wavefront6targetE0EEEvT1_,comdat
	.protected	_ZN7rocprim17ROCPRIM_400000_NS6detail17trampoline_kernelINS0_14default_configENS1_25partition_config_selectorILNS1_17partition_subalgoE6EyNS0_10empty_typeEbEEZZNS1_14partition_implILS5_6ELb0ES3_mN6thrust23THRUST_200600_302600_NS6detail15normal_iteratorINSA_10device_ptrIyEEEEPS6_SG_NS0_5tupleIJSF_S6_EEENSH_IJSG_SG_EEES6_PlJ7is_evenIyEEEE10hipError_tPvRmT3_T4_T5_T6_T7_T9_mT8_P12ihipStream_tbDpT10_ENKUlT_T0_E_clISt17integral_constantIbLb0EES15_IbLb1EEEEDaS11_S12_EUlS11_E_NS1_11comp_targetILNS1_3genE3ELNS1_11target_archE908ELNS1_3gpuE7ELNS1_3repE0EEENS1_30default_config_static_selectorELNS0_4arch9wavefront6targetE0EEEvT1_ ; -- Begin function _ZN7rocprim17ROCPRIM_400000_NS6detail17trampoline_kernelINS0_14default_configENS1_25partition_config_selectorILNS1_17partition_subalgoE6EyNS0_10empty_typeEbEEZZNS1_14partition_implILS5_6ELb0ES3_mN6thrust23THRUST_200600_302600_NS6detail15normal_iteratorINSA_10device_ptrIyEEEEPS6_SG_NS0_5tupleIJSF_S6_EEENSH_IJSG_SG_EEES6_PlJ7is_evenIyEEEE10hipError_tPvRmT3_T4_T5_T6_T7_T9_mT8_P12ihipStream_tbDpT10_ENKUlT_T0_E_clISt17integral_constantIbLb0EES15_IbLb1EEEEDaS11_S12_EUlS11_E_NS1_11comp_targetILNS1_3genE3ELNS1_11target_archE908ELNS1_3gpuE7ELNS1_3repE0EEENS1_30default_config_static_selectorELNS0_4arch9wavefront6targetE0EEEvT1_
	.globl	_ZN7rocprim17ROCPRIM_400000_NS6detail17trampoline_kernelINS0_14default_configENS1_25partition_config_selectorILNS1_17partition_subalgoE6EyNS0_10empty_typeEbEEZZNS1_14partition_implILS5_6ELb0ES3_mN6thrust23THRUST_200600_302600_NS6detail15normal_iteratorINSA_10device_ptrIyEEEEPS6_SG_NS0_5tupleIJSF_S6_EEENSH_IJSG_SG_EEES6_PlJ7is_evenIyEEEE10hipError_tPvRmT3_T4_T5_T6_T7_T9_mT8_P12ihipStream_tbDpT10_ENKUlT_T0_E_clISt17integral_constantIbLb0EES15_IbLb1EEEEDaS11_S12_EUlS11_E_NS1_11comp_targetILNS1_3genE3ELNS1_11target_archE908ELNS1_3gpuE7ELNS1_3repE0EEENS1_30default_config_static_selectorELNS0_4arch9wavefront6targetE0EEEvT1_
	.p2align	8
	.type	_ZN7rocprim17ROCPRIM_400000_NS6detail17trampoline_kernelINS0_14default_configENS1_25partition_config_selectorILNS1_17partition_subalgoE6EyNS0_10empty_typeEbEEZZNS1_14partition_implILS5_6ELb0ES3_mN6thrust23THRUST_200600_302600_NS6detail15normal_iteratorINSA_10device_ptrIyEEEEPS6_SG_NS0_5tupleIJSF_S6_EEENSH_IJSG_SG_EEES6_PlJ7is_evenIyEEEE10hipError_tPvRmT3_T4_T5_T6_T7_T9_mT8_P12ihipStream_tbDpT10_ENKUlT_T0_E_clISt17integral_constantIbLb0EES15_IbLb1EEEEDaS11_S12_EUlS11_E_NS1_11comp_targetILNS1_3genE3ELNS1_11target_archE908ELNS1_3gpuE7ELNS1_3repE0EEENS1_30default_config_static_selectorELNS0_4arch9wavefront6targetE0EEEvT1_,@function
_ZN7rocprim17ROCPRIM_400000_NS6detail17trampoline_kernelINS0_14default_configENS1_25partition_config_selectorILNS1_17partition_subalgoE6EyNS0_10empty_typeEbEEZZNS1_14partition_implILS5_6ELb0ES3_mN6thrust23THRUST_200600_302600_NS6detail15normal_iteratorINSA_10device_ptrIyEEEEPS6_SG_NS0_5tupleIJSF_S6_EEENSH_IJSG_SG_EEES6_PlJ7is_evenIyEEEE10hipError_tPvRmT3_T4_T5_T6_T7_T9_mT8_P12ihipStream_tbDpT10_ENKUlT_T0_E_clISt17integral_constantIbLb0EES15_IbLb1EEEEDaS11_S12_EUlS11_E_NS1_11comp_targetILNS1_3genE3ELNS1_11target_archE908ELNS1_3gpuE7ELNS1_3repE0EEENS1_30default_config_static_selectorELNS0_4arch9wavefront6targetE0EEEvT1_: ; @_ZN7rocprim17ROCPRIM_400000_NS6detail17trampoline_kernelINS0_14default_configENS1_25partition_config_selectorILNS1_17partition_subalgoE6EyNS0_10empty_typeEbEEZZNS1_14partition_implILS5_6ELb0ES3_mN6thrust23THRUST_200600_302600_NS6detail15normal_iteratorINSA_10device_ptrIyEEEEPS6_SG_NS0_5tupleIJSF_S6_EEENSH_IJSG_SG_EEES6_PlJ7is_evenIyEEEE10hipError_tPvRmT3_T4_T5_T6_T7_T9_mT8_P12ihipStream_tbDpT10_ENKUlT_T0_E_clISt17integral_constantIbLb0EES15_IbLb1EEEEDaS11_S12_EUlS11_E_NS1_11comp_targetILNS1_3genE3ELNS1_11target_archE908ELNS1_3gpuE7ELNS1_3repE0EEENS1_30default_config_static_selectorELNS0_4arch9wavefront6targetE0EEEvT1_
; %bb.0:
	.section	.rodata,"a",@progbits
	.p2align	6, 0x0
	.amdhsa_kernel _ZN7rocprim17ROCPRIM_400000_NS6detail17trampoline_kernelINS0_14default_configENS1_25partition_config_selectorILNS1_17partition_subalgoE6EyNS0_10empty_typeEbEEZZNS1_14partition_implILS5_6ELb0ES3_mN6thrust23THRUST_200600_302600_NS6detail15normal_iteratorINSA_10device_ptrIyEEEEPS6_SG_NS0_5tupleIJSF_S6_EEENSH_IJSG_SG_EEES6_PlJ7is_evenIyEEEE10hipError_tPvRmT3_T4_T5_T6_T7_T9_mT8_P12ihipStream_tbDpT10_ENKUlT_T0_E_clISt17integral_constantIbLb0EES15_IbLb1EEEEDaS11_S12_EUlS11_E_NS1_11comp_targetILNS1_3genE3ELNS1_11target_archE908ELNS1_3gpuE7ELNS1_3repE0EEENS1_30default_config_static_selectorELNS0_4arch9wavefront6targetE0EEEvT1_
		.amdhsa_group_segment_fixed_size 0
		.amdhsa_private_segment_fixed_size 0
		.amdhsa_kernarg_size 128
		.amdhsa_user_sgpr_count 15
		.amdhsa_user_sgpr_dispatch_ptr 0
		.amdhsa_user_sgpr_queue_ptr 0
		.amdhsa_user_sgpr_kernarg_segment_ptr 1
		.amdhsa_user_sgpr_dispatch_id 0
		.amdhsa_user_sgpr_private_segment_size 0
		.amdhsa_wavefront_size32 1
		.amdhsa_uses_dynamic_stack 0
		.amdhsa_enable_private_segment 0
		.amdhsa_system_sgpr_workgroup_id_x 1
		.amdhsa_system_sgpr_workgroup_id_y 0
		.amdhsa_system_sgpr_workgroup_id_z 0
		.amdhsa_system_sgpr_workgroup_info 0
		.amdhsa_system_vgpr_workitem_id 0
		.amdhsa_next_free_vgpr 1
		.amdhsa_next_free_sgpr 1
		.amdhsa_reserve_vcc 0
		.amdhsa_float_round_mode_32 0
		.amdhsa_float_round_mode_16_64 0
		.amdhsa_float_denorm_mode_32 3
		.amdhsa_float_denorm_mode_16_64 3
		.amdhsa_dx10_clamp 1
		.amdhsa_ieee_mode 1
		.amdhsa_fp16_overflow 0
		.amdhsa_workgroup_processor_mode 1
		.amdhsa_memory_ordered 1
		.amdhsa_forward_progress 0
		.amdhsa_shared_vgpr_count 0
		.amdhsa_exception_fp_ieee_invalid_op 0
		.amdhsa_exception_fp_denorm_src 0
		.amdhsa_exception_fp_ieee_div_zero 0
		.amdhsa_exception_fp_ieee_overflow 0
		.amdhsa_exception_fp_ieee_underflow 0
		.amdhsa_exception_fp_ieee_inexact 0
		.amdhsa_exception_int_div_zero 0
	.end_amdhsa_kernel
	.section	.text._ZN7rocprim17ROCPRIM_400000_NS6detail17trampoline_kernelINS0_14default_configENS1_25partition_config_selectorILNS1_17partition_subalgoE6EyNS0_10empty_typeEbEEZZNS1_14partition_implILS5_6ELb0ES3_mN6thrust23THRUST_200600_302600_NS6detail15normal_iteratorINSA_10device_ptrIyEEEEPS6_SG_NS0_5tupleIJSF_S6_EEENSH_IJSG_SG_EEES6_PlJ7is_evenIyEEEE10hipError_tPvRmT3_T4_T5_T6_T7_T9_mT8_P12ihipStream_tbDpT10_ENKUlT_T0_E_clISt17integral_constantIbLb0EES15_IbLb1EEEEDaS11_S12_EUlS11_E_NS1_11comp_targetILNS1_3genE3ELNS1_11target_archE908ELNS1_3gpuE7ELNS1_3repE0EEENS1_30default_config_static_selectorELNS0_4arch9wavefront6targetE0EEEvT1_,"axG",@progbits,_ZN7rocprim17ROCPRIM_400000_NS6detail17trampoline_kernelINS0_14default_configENS1_25partition_config_selectorILNS1_17partition_subalgoE6EyNS0_10empty_typeEbEEZZNS1_14partition_implILS5_6ELb0ES3_mN6thrust23THRUST_200600_302600_NS6detail15normal_iteratorINSA_10device_ptrIyEEEEPS6_SG_NS0_5tupleIJSF_S6_EEENSH_IJSG_SG_EEES6_PlJ7is_evenIyEEEE10hipError_tPvRmT3_T4_T5_T6_T7_T9_mT8_P12ihipStream_tbDpT10_ENKUlT_T0_E_clISt17integral_constantIbLb0EES15_IbLb1EEEEDaS11_S12_EUlS11_E_NS1_11comp_targetILNS1_3genE3ELNS1_11target_archE908ELNS1_3gpuE7ELNS1_3repE0EEENS1_30default_config_static_selectorELNS0_4arch9wavefront6targetE0EEEvT1_,comdat
.Lfunc_end291:
	.size	_ZN7rocprim17ROCPRIM_400000_NS6detail17trampoline_kernelINS0_14default_configENS1_25partition_config_selectorILNS1_17partition_subalgoE6EyNS0_10empty_typeEbEEZZNS1_14partition_implILS5_6ELb0ES3_mN6thrust23THRUST_200600_302600_NS6detail15normal_iteratorINSA_10device_ptrIyEEEEPS6_SG_NS0_5tupleIJSF_S6_EEENSH_IJSG_SG_EEES6_PlJ7is_evenIyEEEE10hipError_tPvRmT3_T4_T5_T6_T7_T9_mT8_P12ihipStream_tbDpT10_ENKUlT_T0_E_clISt17integral_constantIbLb0EES15_IbLb1EEEEDaS11_S12_EUlS11_E_NS1_11comp_targetILNS1_3genE3ELNS1_11target_archE908ELNS1_3gpuE7ELNS1_3repE0EEENS1_30default_config_static_selectorELNS0_4arch9wavefront6targetE0EEEvT1_, .Lfunc_end291-_ZN7rocprim17ROCPRIM_400000_NS6detail17trampoline_kernelINS0_14default_configENS1_25partition_config_selectorILNS1_17partition_subalgoE6EyNS0_10empty_typeEbEEZZNS1_14partition_implILS5_6ELb0ES3_mN6thrust23THRUST_200600_302600_NS6detail15normal_iteratorINSA_10device_ptrIyEEEEPS6_SG_NS0_5tupleIJSF_S6_EEENSH_IJSG_SG_EEES6_PlJ7is_evenIyEEEE10hipError_tPvRmT3_T4_T5_T6_T7_T9_mT8_P12ihipStream_tbDpT10_ENKUlT_T0_E_clISt17integral_constantIbLb0EES15_IbLb1EEEEDaS11_S12_EUlS11_E_NS1_11comp_targetILNS1_3genE3ELNS1_11target_archE908ELNS1_3gpuE7ELNS1_3repE0EEENS1_30default_config_static_selectorELNS0_4arch9wavefront6targetE0EEEvT1_
                                        ; -- End function
	.section	.AMDGPU.csdata,"",@progbits
; Kernel info:
; codeLenInByte = 0
; NumSgprs: 0
; NumVgprs: 0
; ScratchSize: 0
; MemoryBound: 0
; FloatMode: 240
; IeeeMode: 1
; LDSByteSize: 0 bytes/workgroup (compile time only)
; SGPRBlocks: 0
; VGPRBlocks: 0
; NumSGPRsForWavesPerEU: 1
; NumVGPRsForWavesPerEU: 1
; Occupancy: 16
; WaveLimiterHint : 0
; COMPUTE_PGM_RSRC2:SCRATCH_EN: 0
; COMPUTE_PGM_RSRC2:USER_SGPR: 15
; COMPUTE_PGM_RSRC2:TRAP_HANDLER: 0
; COMPUTE_PGM_RSRC2:TGID_X_EN: 1
; COMPUTE_PGM_RSRC2:TGID_Y_EN: 0
; COMPUTE_PGM_RSRC2:TGID_Z_EN: 0
; COMPUTE_PGM_RSRC2:TIDIG_COMP_CNT: 0
	.section	.text._ZN7rocprim17ROCPRIM_400000_NS6detail17trampoline_kernelINS0_14default_configENS1_25partition_config_selectorILNS1_17partition_subalgoE6EyNS0_10empty_typeEbEEZZNS1_14partition_implILS5_6ELb0ES3_mN6thrust23THRUST_200600_302600_NS6detail15normal_iteratorINSA_10device_ptrIyEEEEPS6_SG_NS0_5tupleIJSF_S6_EEENSH_IJSG_SG_EEES6_PlJ7is_evenIyEEEE10hipError_tPvRmT3_T4_T5_T6_T7_T9_mT8_P12ihipStream_tbDpT10_ENKUlT_T0_E_clISt17integral_constantIbLb0EES15_IbLb1EEEEDaS11_S12_EUlS11_E_NS1_11comp_targetILNS1_3genE2ELNS1_11target_archE906ELNS1_3gpuE6ELNS1_3repE0EEENS1_30default_config_static_selectorELNS0_4arch9wavefront6targetE0EEEvT1_,"axG",@progbits,_ZN7rocprim17ROCPRIM_400000_NS6detail17trampoline_kernelINS0_14default_configENS1_25partition_config_selectorILNS1_17partition_subalgoE6EyNS0_10empty_typeEbEEZZNS1_14partition_implILS5_6ELb0ES3_mN6thrust23THRUST_200600_302600_NS6detail15normal_iteratorINSA_10device_ptrIyEEEEPS6_SG_NS0_5tupleIJSF_S6_EEENSH_IJSG_SG_EEES6_PlJ7is_evenIyEEEE10hipError_tPvRmT3_T4_T5_T6_T7_T9_mT8_P12ihipStream_tbDpT10_ENKUlT_T0_E_clISt17integral_constantIbLb0EES15_IbLb1EEEEDaS11_S12_EUlS11_E_NS1_11comp_targetILNS1_3genE2ELNS1_11target_archE906ELNS1_3gpuE6ELNS1_3repE0EEENS1_30default_config_static_selectorELNS0_4arch9wavefront6targetE0EEEvT1_,comdat
	.protected	_ZN7rocprim17ROCPRIM_400000_NS6detail17trampoline_kernelINS0_14default_configENS1_25partition_config_selectorILNS1_17partition_subalgoE6EyNS0_10empty_typeEbEEZZNS1_14partition_implILS5_6ELb0ES3_mN6thrust23THRUST_200600_302600_NS6detail15normal_iteratorINSA_10device_ptrIyEEEEPS6_SG_NS0_5tupleIJSF_S6_EEENSH_IJSG_SG_EEES6_PlJ7is_evenIyEEEE10hipError_tPvRmT3_T4_T5_T6_T7_T9_mT8_P12ihipStream_tbDpT10_ENKUlT_T0_E_clISt17integral_constantIbLb0EES15_IbLb1EEEEDaS11_S12_EUlS11_E_NS1_11comp_targetILNS1_3genE2ELNS1_11target_archE906ELNS1_3gpuE6ELNS1_3repE0EEENS1_30default_config_static_selectorELNS0_4arch9wavefront6targetE0EEEvT1_ ; -- Begin function _ZN7rocprim17ROCPRIM_400000_NS6detail17trampoline_kernelINS0_14default_configENS1_25partition_config_selectorILNS1_17partition_subalgoE6EyNS0_10empty_typeEbEEZZNS1_14partition_implILS5_6ELb0ES3_mN6thrust23THRUST_200600_302600_NS6detail15normal_iteratorINSA_10device_ptrIyEEEEPS6_SG_NS0_5tupleIJSF_S6_EEENSH_IJSG_SG_EEES6_PlJ7is_evenIyEEEE10hipError_tPvRmT3_T4_T5_T6_T7_T9_mT8_P12ihipStream_tbDpT10_ENKUlT_T0_E_clISt17integral_constantIbLb0EES15_IbLb1EEEEDaS11_S12_EUlS11_E_NS1_11comp_targetILNS1_3genE2ELNS1_11target_archE906ELNS1_3gpuE6ELNS1_3repE0EEENS1_30default_config_static_selectorELNS0_4arch9wavefront6targetE0EEEvT1_
	.globl	_ZN7rocprim17ROCPRIM_400000_NS6detail17trampoline_kernelINS0_14default_configENS1_25partition_config_selectorILNS1_17partition_subalgoE6EyNS0_10empty_typeEbEEZZNS1_14partition_implILS5_6ELb0ES3_mN6thrust23THRUST_200600_302600_NS6detail15normal_iteratorINSA_10device_ptrIyEEEEPS6_SG_NS0_5tupleIJSF_S6_EEENSH_IJSG_SG_EEES6_PlJ7is_evenIyEEEE10hipError_tPvRmT3_T4_T5_T6_T7_T9_mT8_P12ihipStream_tbDpT10_ENKUlT_T0_E_clISt17integral_constantIbLb0EES15_IbLb1EEEEDaS11_S12_EUlS11_E_NS1_11comp_targetILNS1_3genE2ELNS1_11target_archE906ELNS1_3gpuE6ELNS1_3repE0EEENS1_30default_config_static_selectorELNS0_4arch9wavefront6targetE0EEEvT1_
	.p2align	8
	.type	_ZN7rocprim17ROCPRIM_400000_NS6detail17trampoline_kernelINS0_14default_configENS1_25partition_config_selectorILNS1_17partition_subalgoE6EyNS0_10empty_typeEbEEZZNS1_14partition_implILS5_6ELb0ES3_mN6thrust23THRUST_200600_302600_NS6detail15normal_iteratorINSA_10device_ptrIyEEEEPS6_SG_NS0_5tupleIJSF_S6_EEENSH_IJSG_SG_EEES6_PlJ7is_evenIyEEEE10hipError_tPvRmT3_T4_T5_T6_T7_T9_mT8_P12ihipStream_tbDpT10_ENKUlT_T0_E_clISt17integral_constantIbLb0EES15_IbLb1EEEEDaS11_S12_EUlS11_E_NS1_11comp_targetILNS1_3genE2ELNS1_11target_archE906ELNS1_3gpuE6ELNS1_3repE0EEENS1_30default_config_static_selectorELNS0_4arch9wavefront6targetE0EEEvT1_,@function
_ZN7rocprim17ROCPRIM_400000_NS6detail17trampoline_kernelINS0_14default_configENS1_25partition_config_selectorILNS1_17partition_subalgoE6EyNS0_10empty_typeEbEEZZNS1_14partition_implILS5_6ELb0ES3_mN6thrust23THRUST_200600_302600_NS6detail15normal_iteratorINSA_10device_ptrIyEEEEPS6_SG_NS0_5tupleIJSF_S6_EEENSH_IJSG_SG_EEES6_PlJ7is_evenIyEEEE10hipError_tPvRmT3_T4_T5_T6_T7_T9_mT8_P12ihipStream_tbDpT10_ENKUlT_T0_E_clISt17integral_constantIbLb0EES15_IbLb1EEEEDaS11_S12_EUlS11_E_NS1_11comp_targetILNS1_3genE2ELNS1_11target_archE906ELNS1_3gpuE6ELNS1_3repE0EEENS1_30default_config_static_selectorELNS0_4arch9wavefront6targetE0EEEvT1_: ; @_ZN7rocprim17ROCPRIM_400000_NS6detail17trampoline_kernelINS0_14default_configENS1_25partition_config_selectorILNS1_17partition_subalgoE6EyNS0_10empty_typeEbEEZZNS1_14partition_implILS5_6ELb0ES3_mN6thrust23THRUST_200600_302600_NS6detail15normal_iteratorINSA_10device_ptrIyEEEEPS6_SG_NS0_5tupleIJSF_S6_EEENSH_IJSG_SG_EEES6_PlJ7is_evenIyEEEE10hipError_tPvRmT3_T4_T5_T6_T7_T9_mT8_P12ihipStream_tbDpT10_ENKUlT_T0_E_clISt17integral_constantIbLb0EES15_IbLb1EEEEDaS11_S12_EUlS11_E_NS1_11comp_targetILNS1_3genE2ELNS1_11target_archE906ELNS1_3gpuE6ELNS1_3repE0EEENS1_30default_config_static_selectorELNS0_4arch9wavefront6targetE0EEEvT1_
; %bb.0:
	.section	.rodata,"a",@progbits
	.p2align	6, 0x0
	.amdhsa_kernel _ZN7rocprim17ROCPRIM_400000_NS6detail17trampoline_kernelINS0_14default_configENS1_25partition_config_selectorILNS1_17partition_subalgoE6EyNS0_10empty_typeEbEEZZNS1_14partition_implILS5_6ELb0ES3_mN6thrust23THRUST_200600_302600_NS6detail15normal_iteratorINSA_10device_ptrIyEEEEPS6_SG_NS0_5tupleIJSF_S6_EEENSH_IJSG_SG_EEES6_PlJ7is_evenIyEEEE10hipError_tPvRmT3_T4_T5_T6_T7_T9_mT8_P12ihipStream_tbDpT10_ENKUlT_T0_E_clISt17integral_constantIbLb0EES15_IbLb1EEEEDaS11_S12_EUlS11_E_NS1_11comp_targetILNS1_3genE2ELNS1_11target_archE906ELNS1_3gpuE6ELNS1_3repE0EEENS1_30default_config_static_selectorELNS0_4arch9wavefront6targetE0EEEvT1_
		.amdhsa_group_segment_fixed_size 0
		.amdhsa_private_segment_fixed_size 0
		.amdhsa_kernarg_size 128
		.amdhsa_user_sgpr_count 15
		.amdhsa_user_sgpr_dispatch_ptr 0
		.amdhsa_user_sgpr_queue_ptr 0
		.amdhsa_user_sgpr_kernarg_segment_ptr 1
		.amdhsa_user_sgpr_dispatch_id 0
		.amdhsa_user_sgpr_private_segment_size 0
		.amdhsa_wavefront_size32 1
		.amdhsa_uses_dynamic_stack 0
		.amdhsa_enable_private_segment 0
		.amdhsa_system_sgpr_workgroup_id_x 1
		.amdhsa_system_sgpr_workgroup_id_y 0
		.amdhsa_system_sgpr_workgroup_id_z 0
		.amdhsa_system_sgpr_workgroup_info 0
		.amdhsa_system_vgpr_workitem_id 0
		.amdhsa_next_free_vgpr 1
		.amdhsa_next_free_sgpr 1
		.amdhsa_reserve_vcc 0
		.amdhsa_float_round_mode_32 0
		.amdhsa_float_round_mode_16_64 0
		.amdhsa_float_denorm_mode_32 3
		.amdhsa_float_denorm_mode_16_64 3
		.amdhsa_dx10_clamp 1
		.amdhsa_ieee_mode 1
		.amdhsa_fp16_overflow 0
		.amdhsa_workgroup_processor_mode 1
		.amdhsa_memory_ordered 1
		.amdhsa_forward_progress 0
		.amdhsa_shared_vgpr_count 0
		.amdhsa_exception_fp_ieee_invalid_op 0
		.amdhsa_exception_fp_denorm_src 0
		.amdhsa_exception_fp_ieee_div_zero 0
		.amdhsa_exception_fp_ieee_overflow 0
		.amdhsa_exception_fp_ieee_underflow 0
		.amdhsa_exception_fp_ieee_inexact 0
		.amdhsa_exception_int_div_zero 0
	.end_amdhsa_kernel
	.section	.text._ZN7rocprim17ROCPRIM_400000_NS6detail17trampoline_kernelINS0_14default_configENS1_25partition_config_selectorILNS1_17partition_subalgoE6EyNS0_10empty_typeEbEEZZNS1_14partition_implILS5_6ELb0ES3_mN6thrust23THRUST_200600_302600_NS6detail15normal_iteratorINSA_10device_ptrIyEEEEPS6_SG_NS0_5tupleIJSF_S6_EEENSH_IJSG_SG_EEES6_PlJ7is_evenIyEEEE10hipError_tPvRmT3_T4_T5_T6_T7_T9_mT8_P12ihipStream_tbDpT10_ENKUlT_T0_E_clISt17integral_constantIbLb0EES15_IbLb1EEEEDaS11_S12_EUlS11_E_NS1_11comp_targetILNS1_3genE2ELNS1_11target_archE906ELNS1_3gpuE6ELNS1_3repE0EEENS1_30default_config_static_selectorELNS0_4arch9wavefront6targetE0EEEvT1_,"axG",@progbits,_ZN7rocprim17ROCPRIM_400000_NS6detail17trampoline_kernelINS0_14default_configENS1_25partition_config_selectorILNS1_17partition_subalgoE6EyNS0_10empty_typeEbEEZZNS1_14partition_implILS5_6ELb0ES3_mN6thrust23THRUST_200600_302600_NS6detail15normal_iteratorINSA_10device_ptrIyEEEEPS6_SG_NS0_5tupleIJSF_S6_EEENSH_IJSG_SG_EEES6_PlJ7is_evenIyEEEE10hipError_tPvRmT3_T4_T5_T6_T7_T9_mT8_P12ihipStream_tbDpT10_ENKUlT_T0_E_clISt17integral_constantIbLb0EES15_IbLb1EEEEDaS11_S12_EUlS11_E_NS1_11comp_targetILNS1_3genE2ELNS1_11target_archE906ELNS1_3gpuE6ELNS1_3repE0EEENS1_30default_config_static_selectorELNS0_4arch9wavefront6targetE0EEEvT1_,comdat
.Lfunc_end292:
	.size	_ZN7rocprim17ROCPRIM_400000_NS6detail17trampoline_kernelINS0_14default_configENS1_25partition_config_selectorILNS1_17partition_subalgoE6EyNS0_10empty_typeEbEEZZNS1_14partition_implILS5_6ELb0ES3_mN6thrust23THRUST_200600_302600_NS6detail15normal_iteratorINSA_10device_ptrIyEEEEPS6_SG_NS0_5tupleIJSF_S6_EEENSH_IJSG_SG_EEES6_PlJ7is_evenIyEEEE10hipError_tPvRmT3_T4_T5_T6_T7_T9_mT8_P12ihipStream_tbDpT10_ENKUlT_T0_E_clISt17integral_constantIbLb0EES15_IbLb1EEEEDaS11_S12_EUlS11_E_NS1_11comp_targetILNS1_3genE2ELNS1_11target_archE906ELNS1_3gpuE6ELNS1_3repE0EEENS1_30default_config_static_selectorELNS0_4arch9wavefront6targetE0EEEvT1_, .Lfunc_end292-_ZN7rocprim17ROCPRIM_400000_NS6detail17trampoline_kernelINS0_14default_configENS1_25partition_config_selectorILNS1_17partition_subalgoE6EyNS0_10empty_typeEbEEZZNS1_14partition_implILS5_6ELb0ES3_mN6thrust23THRUST_200600_302600_NS6detail15normal_iteratorINSA_10device_ptrIyEEEEPS6_SG_NS0_5tupleIJSF_S6_EEENSH_IJSG_SG_EEES6_PlJ7is_evenIyEEEE10hipError_tPvRmT3_T4_T5_T6_T7_T9_mT8_P12ihipStream_tbDpT10_ENKUlT_T0_E_clISt17integral_constantIbLb0EES15_IbLb1EEEEDaS11_S12_EUlS11_E_NS1_11comp_targetILNS1_3genE2ELNS1_11target_archE906ELNS1_3gpuE6ELNS1_3repE0EEENS1_30default_config_static_selectorELNS0_4arch9wavefront6targetE0EEEvT1_
                                        ; -- End function
	.section	.AMDGPU.csdata,"",@progbits
; Kernel info:
; codeLenInByte = 0
; NumSgprs: 0
; NumVgprs: 0
; ScratchSize: 0
; MemoryBound: 0
; FloatMode: 240
; IeeeMode: 1
; LDSByteSize: 0 bytes/workgroup (compile time only)
; SGPRBlocks: 0
; VGPRBlocks: 0
; NumSGPRsForWavesPerEU: 1
; NumVGPRsForWavesPerEU: 1
; Occupancy: 16
; WaveLimiterHint : 0
; COMPUTE_PGM_RSRC2:SCRATCH_EN: 0
; COMPUTE_PGM_RSRC2:USER_SGPR: 15
; COMPUTE_PGM_RSRC2:TRAP_HANDLER: 0
; COMPUTE_PGM_RSRC2:TGID_X_EN: 1
; COMPUTE_PGM_RSRC2:TGID_Y_EN: 0
; COMPUTE_PGM_RSRC2:TGID_Z_EN: 0
; COMPUTE_PGM_RSRC2:TIDIG_COMP_CNT: 0
	.section	.text._ZN7rocprim17ROCPRIM_400000_NS6detail17trampoline_kernelINS0_14default_configENS1_25partition_config_selectorILNS1_17partition_subalgoE6EyNS0_10empty_typeEbEEZZNS1_14partition_implILS5_6ELb0ES3_mN6thrust23THRUST_200600_302600_NS6detail15normal_iteratorINSA_10device_ptrIyEEEEPS6_SG_NS0_5tupleIJSF_S6_EEENSH_IJSG_SG_EEES6_PlJ7is_evenIyEEEE10hipError_tPvRmT3_T4_T5_T6_T7_T9_mT8_P12ihipStream_tbDpT10_ENKUlT_T0_E_clISt17integral_constantIbLb0EES15_IbLb1EEEEDaS11_S12_EUlS11_E_NS1_11comp_targetILNS1_3genE10ELNS1_11target_archE1200ELNS1_3gpuE4ELNS1_3repE0EEENS1_30default_config_static_selectorELNS0_4arch9wavefront6targetE0EEEvT1_,"axG",@progbits,_ZN7rocprim17ROCPRIM_400000_NS6detail17trampoline_kernelINS0_14default_configENS1_25partition_config_selectorILNS1_17partition_subalgoE6EyNS0_10empty_typeEbEEZZNS1_14partition_implILS5_6ELb0ES3_mN6thrust23THRUST_200600_302600_NS6detail15normal_iteratorINSA_10device_ptrIyEEEEPS6_SG_NS0_5tupleIJSF_S6_EEENSH_IJSG_SG_EEES6_PlJ7is_evenIyEEEE10hipError_tPvRmT3_T4_T5_T6_T7_T9_mT8_P12ihipStream_tbDpT10_ENKUlT_T0_E_clISt17integral_constantIbLb0EES15_IbLb1EEEEDaS11_S12_EUlS11_E_NS1_11comp_targetILNS1_3genE10ELNS1_11target_archE1200ELNS1_3gpuE4ELNS1_3repE0EEENS1_30default_config_static_selectorELNS0_4arch9wavefront6targetE0EEEvT1_,comdat
	.protected	_ZN7rocprim17ROCPRIM_400000_NS6detail17trampoline_kernelINS0_14default_configENS1_25partition_config_selectorILNS1_17partition_subalgoE6EyNS0_10empty_typeEbEEZZNS1_14partition_implILS5_6ELb0ES3_mN6thrust23THRUST_200600_302600_NS6detail15normal_iteratorINSA_10device_ptrIyEEEEPS6_SG_NS0_5tupleIJSF_S6_EEENSH_IJSG_SG_EEES6_PlJ7is_evenIyEEEE10hipError_tPvRmT3_T4_T5_T6_T7_T9_mT8_P12ihipStream_tbDpT10_ENKUlT_T0_E_clISt17integral_constantIbLb0EES15_IbLb1EEEEDaS11_S12_EUlS11_E_NS1_11comp_targetILNS1_3genE10ELNS1_11target_archE1200ELNS1_3gpuE4ELNS1_3repE0EEENS1_30default_config_static_selectorELNS0_4arch9wavefront6targetE0EEEvT1_ ; -- Begin function _ZN7rocprim17ROCPRIM_400000_NS6detail17trampoline_kernelINS0_14default_configENS1_25partition_config_selectorILNS1_17partition_subalgoE6EyNS0_10empty_typeEbEEZZNS1_14partition_implILS5_6ELb0ES3_mN6thrust23THRUST_200600_302600_NS6detail15normal_iteratorINSA_10device_ptrIyEEEEPS6_SG_NS0_5tupleIJSF_S6_EEENSH_IJSG_SG_EEES6_PlJ7is_evenIyEEEE10hipError_tPvRmT3_T4_T5_T6_T7_T9_mT8_P12ihipStream_tbDpT10_ENKUlT_T0_E_clISt17integral_constantIbLb0EES15_IbLb1EEEEDaS11_S12_EUlS11_E_NS1_11comp_targetILNS1_3genE10ELNS1_11target_archE1200ELNS1_3gpuE4ELNS1_3repE0EEENS1_30default_config_static_selectorELNS0_4arch9wavefront6targetE0EEEvT1_
	.globl	_ZN7rocprim17ROCPRIM_400000_NS6detail17trampoline_kernelINS0_14default_configENS1_25partition_config_selectorILNS1_17partition_subalgoE6EyNS0_10empty_typeEbEEZZNS1_14partition_implILS5_6ELb0ES3_mN6thrust23THRUST_200600_302600_NS6detail15normal_iteratorINSA_10device_ptrIyEEEEPS6_SG_NS0_5tupleIJSF_S6_EEENSH_IJSG_SG_EEES6_PlJ7is_evenIyEEEE10hipError_tPvRmT3_T4_T5_T6_T7_T9_mT8_P12ihipStream_tbDpT10_ENKUlT_T0_E_clISt17integral_constantIbLb0EES15_IbLb1EEEEDaS11_S12_EUlS11_E_NS1_11comp_targetILNS1_3genE10ELNS1_11target_archE1200ELNS1_3gpuE4ELNS1_3repE0EEENS1_30default_config_static_selectorELNS0_4arch9wavefront6targetE0EEEvT1_
	.p2align	8
	.type	_ZN7rocprim17ROCPRIM_400000_NS6detail17trampoline_kernelINS0_14default_configENS1_25partition_config_selectorILNS1_17partition_subalgoE6EyNS0_10empty_typeEbEEZZNS1_14partition_implILS5_6ELb0ES3_mN6thrust23THRUST_200600_302600_NS6detail15normal_iteratorINSA_10device_ptrIyEEEEPS6_SG_NS0_5tupleIJSF_S6_EEENSH_IJSG_SG_EEES6_PlJ7is_evenIyEEEE10hipError_tPvRmT3_T4_T5_T6_T7_T9_mT8_P12ihipStream_tbDpT10_ENKUlT_T0_E_clISt17integral_constantIbLb0EES15_IbLb1EEEEDaS11_S12_EUlS11_E_NS1_11comp_targetILNS1_3genE10ELNS1_11target_archE1200ELNS1_3gpuE4ELNS1_3repE0EEENS1_30default_config_static_selectorELNS0_4arch9wavefront6targetE0EEEvT1_,@function
_ZN7rocprim17ROCPRIM_400000_NS6detail17trampoline_kernelINS0_14default_configENS1_25partition_config_selectorILNS1_17partition_subalgoE6EyNS0_10empty_typeEbEEZZNS1_14partition_implILS5_6ELb0ES3_mN6thrust23THRUST_200600_302600_NS6detail15normal_iteratorINSA_10device_ptrIyEEEEPS6_SG_NS0_5tupleIJSF_S6_EEENSH_IJSG_SG_EEES6_PlJ7is_evenIyEEEE10hipError_tPvRmT3_T4_T5_T6_T7_T9_mT8_P12ihipStream_tbDpT10_ENKUlT_T0_E_clISt17integral_constantIbLb0EES15_IbLb1EEEEDaS11_S12_EUlS11_E_NS1_11comp_targetILNS1_3genE10ELNS1_11target_archE1200ELNS1_3gpuE4ELNS1_3repE0EEENS1_30default_config_static_selectorELNS0_4arch9wavefront6targetE0EEEvT1_: ; @_ZN7rocprim17ROCPRIM_400000_NS6detail17trampoline_kernelINS0_14default_configENS1_25partition_config_selectorILNS1_17partition_subalgoE6EyNS0_10empty_typeEbEEZZNS1_14partition_implILS5_6ELb0ES3_mN6thrust23THRUST_200600_302600_NS6detail15normal_iteratorINSA_10device_ptrIyEEEEPS6_SG_NS0_5tupleIJSF_S6_EEENSH_IJSG_SG_EEES6_PlJ7is_evenIyEEEE10hipError_tPvRmT3_T4_T5_T6_T7_T9_mT8_P12ihipStream_tbDpT10_ENKUlT_T0_E_clISt17integral_constantIbLb0EES15_IbLb1EEEEDaS11_S12_EUlS11_E_NS1_11comp_targetILNS1_3genE10ELNS1_11target_archE1200ELNS1_3gpuE4ELNS1_3repE0EEENS1_30default_config_static_selectorELNS0_4arch9wavefront6targetE0EEEvT1_
; %bb.0:
	.section	.rodata,"a",@progbits
	.p2align	6, 0x0
	.amdhsa_kernel _ZN7rocprim17ROCPRIM_400000_NS6detail17trampoline_kernelINS0_14default_configENS1_25partition_config_selectorILNS1_17partition_subalgoE6EyNS0_10empty_typeEbEEZZNS1_14partition_implILS5_6ELb0ES3_mN6thrust23THRUST_200600_302600_NS6detail15normal_iteratorINSA_10device_ptrIyEEEEPS6_SG_NS0_5tupleIJSF_S6_EEENSH_IJSG_SG_EEES6_PlJ7is_evenIyEEEE10hipError_tPvRmT3_T4_T5_T6_T7_T9_mT8_P12ihipStream_tbDpT10_ENKUlT_T0_E_clISt17integral_constantIbLb0EES15_IbLb1EEEEDaS11_S12_EUlS11_E_NS1_11comp_targetILNS1_3genE10ELNS1_11target_archE1200ELNS1_3gpuE4ELNS1_3repE0EEENS1_30default_config_static_selectorELNS0_4arch9wavefront6targetE0EEEvT1_
		.amdhsa_group_segment_fixed_size 0
		.amdhsa_private_segment_fixed_size 0
		.amdhsa_kernarg_size 128
		.amdhsa_user_sgpr_count 15
		.amdhsa_user_sgpr_dispatch_ptr 0
		.amdhsa_user_sgpr_queue_ptr 0
		.amdhsa_user_sgpr_kernarg_segment_ptr 1
		.amdhsa_user_sgpr_dispatch_id 0
		.amdhsa_user_sgpr_private_segment_size 0
		.amdhsa_wavefront_size32 1
		.amdhsa_uses_dynamic_stack 0
		.amdhsa_enable_private_segment 0
		.amdhsa_system_sgpr_workgroup_id_x 1
		.amdhsa_system_sgpr_workgroup_id_y 0
		.amdhsa_system_sgpr_workgroup_id_z 0
		.amdhsa_system_sgpr_workgroup_info 0
		.amdhsa_system_vgpr_workitem_id 0
		.amdhsa_next_free_vgpr 1
		.amdhsa_next_free_sgpr 1
		.amdhsa_reserve_vcc 0
		.amdhsa_float_round_mode_32 0
		.amdhsa_float_round_mode_16_64 0
		.amdhsa_float_denorm_mode_32 3
		.amdhsa_float_denorm_mode_16_64 3
		.amdhsa_dx10_clamp 1
		.amdhsa_ieee_mode 1
		.amdhsa_fp16_overflow 0
		.amdhsa_workgroup_processor_mode 1
		.amdhsa_memory_ordered 1
		.amdhsa_forward_progress 0
		.amdhsa_shared_vgpr_count 0
		.amdhsa_exception_fp_ieee_invalid_op 0
		.amdhsa_exception_fp_denorm_src 0
		.amdhsa_exception_fp_ieee_div_zero 0
		.amdhsa_exception_fp_ieee_overflow 0
		.amdhsa_exception_fp_ieee_underflow 0
		.amdhsa_exception_fp_ieee_inexact 0
		.amdhsa_exception_int_div_zero 0
	.end_amdhsa_kernel
	.section	.text._ZN7rocprim17ROCPRIM_400000_NS6detail17trampoline_kernelINS0_14default_configENS1_25partition_config_selectorILNS1_17partition_subalgoE6EyNS0_10empty_typeEbEEZZNS1_14partition_implILS5_6ELb0ES3_mN6thrust23THRUST_200600_302600_NS6detail15normal_iteratorINSA_10device_ptrIyEEEEPS6_SG_NS0_5tupleIJSF_S6_EEENSH_IJSG_SG_EEES6_PlJ7is_evenIyEEEE10hipError_tPvRmT3_T4_T5_T6_T7_T9_mT8_P12ihipStream_tbDpT10_ENKUlT_T0_E_clISt17integral_constantIbLb0EES15_IbLb1EEEEDaS11_S12_EUlS11_E_NS1_11comp_targetILNS1_3genE10ELNS1_11target_archE1200ELNS1_3gpuE4ELNS1_3repE0EEENS1_30default_config_static_selectorELNS0_4arch9wavefront6targetE0EEEvT1_,"axG",@progbits,_ZN7rocprim17ROCPRIM_400000_NS6detail17trampoline_kernelINS0_14default_configENS1_25partition_config_selectorILNS1_17partition_subalgoE6EyNS0_10empty_typeEbEEZZNS1_14partition_implILS5_6ELb0ES3_mN6thrust23THRUST_200600_302600_NS6detail15normal_iteratorINSA_10device_ptrIyEEEEPS6_SG_NS0_5tupleIJSF_S6_EEENSH_IJSG_SG_EEES6_PlJ7is_evenIyEEEE10hipError_tPvRmT3_T4_T5_T6_T7_T9_mT8_P12ihipStream_tbDpT10_ENKUlT_T0_E_clISt17integral_constantIbLb0EES15_IbLb1EEEEDaS11_S12_EUlS11_E_NS1_11comp_targetILNS1_3genE10ELNS1_11target_archE1200ELNS1_3gpuE4ELNS1_3repE0EEENS1_30default_config_static_selectorELNS0_4arch9wavefront6targetE0EEEvT1_,comdat
.Lfunc_end293:
	.size	_ZN7rocprim17ROCPRIM_400000_NS6detail17trampoline_kernelINS0_14default_configENS1_25partition_config_selectorILNS1_17partition_subalgoE6EyNS0_10empty_typeEbEEZZNS1_14partition_implILS5_6ELb0ES3_mN6thrust23THRUST_200600_302600_NS6detail15normal_iteratorINSA_10device_ptrIyEEEEPS6_SG_NS0_5tupleIJSF_S6_EEENSH_IJSG_SG_EEES6_PlJ7is_evenIyEEEE10hipError_tPvRmT3_T4_T5_T6_T7_T9_mT8_P12ihipStream_tbDpT10_ENKUlT_T0_E_clISt17integral_constantIbLb0EES15_IbLb1EEEEDaS11_S12_EUlS11_E_NS1_11comp_targetILNS1_3genE10ELNS1_11target_archE1200ELNS1_3gpuE4ELNS1_3repE0EEENS1_30default_config_static_selectorELNS0_4arch9wavefront6targetE0EEEvT1_, .Lfunc_end293-_ZN7rocprim17ROCPRIM_400000_NS6detail17trampoline_kernelINS0_14default_configENS1_25partition_config_selectorILNS1_17partition_subalgoE6EyNS0_10empty_typeEbEEZZNS1_14partition_implILS5_6ELb0ES3_mN6thrust23THRUST_200600_302600_NS6detail15normal_iteratorINSA_10device_ptrIyEEEEPS6_SG_NS0_5tupleIJSF_S6_EEENSH_IJSG_SG_EEES6_PlJ7is_evenIyEEEE10hipError_tPvRmT3_T4_T5_T6_T7_T9_mT8_P12ihipStream_tbDpT10_ENKUlT_T0_E_clISt17integral_constantIbLb0EES15_IbLb1EEEEDaS11_S12_EUlS11_E_NS1_11comp_targetILNS1_3genE10ELNS1_11target_archE1200ELNS1_3gpuE4ELNS1_3repE0EEENS1_30default_config_static_selectorELNS0_4arch9wavefront6targetE0EEEvT1_
                                        ; -- End function
	.section	.AMDGPU.csdata,"",@progbits
; Kernel info:
; codeLenInByte = 0
; NumSgprs: 0
; NumVgprs: 0
; ScratchSize: 0
; MemoryBound: 0
; FloatMode: 240
; IeeeMode: 1
; LDSByteSize: 0 bytes/workgroup (compile time only)
; SGPRBlocks: 0
; VGPRBlocks: 0
; NumSGPRsForWavesPerEU: 1
; NumVGPRsForWavesPerEU: 1
; Occupancy: 16
; WaveLimiterHint : 0
; COMPUTE_PGM_RSRC2:SCRATCH_EN: 0
; COMPUTE_PGM_RSRC2:USER_SGPR: 15
; COMPUTE_PGM_RSRC2:TRAP_HANDLER: 0
; COMPUTE_PGM_RSRC2:TGID_X_EN: 1
; COMPUTE_PGM_RSRC2:TGID_Y_EN: 0
; COMPUTE_PGM_RSRC2:TGID_Z_EN: 0
; COMPUTE_PGM_RSRC2:TIDIG_COMP_CNT: 0
	.section	.text._ZN7rocprim17ROCPRIM_400000_NS6detail17trampoline_kernelINS0_14default_configENS1_25partition_config_selectorILNS1_17partition_subalgoE6EyNS0_10empty_typeEbEEZZNS1_14partition_implILS5_6ELb0ES3_mN6thrust23THRUST_200600_302600_NS6detail15normal_iteratorINSA_10device_ptrIyEEEEPS6_SG_NS0_5tupleIJSF_S6_EEENSH_IJSG_SG_EEES6_PlJ7is_evenIyEEEE10hipError_tPvRmT3_T4_T5_T6_T7_T9_mT8_P12ihipStream_tbDpT10_ENKUlT_T0_E_clISt17integral_constantIbLb0EES15_IbLb1EEEEDaS11_S12_EUlS11_E_NS1_11comp_targetILNS1_3genE9ELNS1_11target_archE1100ELNS1_3gpuE3ELNS1_3repE0EEENS1_30default_config_static_selectorELNS0_4arch9wavefront6targetE0EEEvT1_,"axG",@progbits,_ZN7rocprim17ROCPRIM_400000_NS6detail17trampoline_kernelINS0_14default_configENS1_25partition_config_selectorILNS1_17partition_subalgoE6EyNS0_10empty_typeEbEEZZNS1_14partition_implILS5_6ELb0ES3_mN6thrust23THRUST_200600_302600_NS6detail15normal_iteratorINSA_10device_ptrIyEEEEPS6_SG_NS0_5tupleIJSF_S6_EEENSH_IJSG_SG_EEES6_PlJ7is_evenIyEEEE10hipError_tPvRmT3_T4_T5_T6_T7_T9_mT8_P12ihipStream_tbDpT10_ENKUlT_T0_E_clISt17integral_constantIbLb0EES15_IbLb1EEEEDaS11_S12_EUlS11_E_NS1_11comp_targetILNS1_3genE9ELNS1_11target_archE1100ELNS1_3gpuE3ELNS1_3repE0EEENS1_30default_config_static_selectorELNS0_4arch9wavefront6targetE0EEEvT1_,comdat
	.protected	_ZN7rocprim17ROCPRIM_400000_NS6detail17trampoline_kernelINS0_14default_configENS1_25partition_config_selectorILNS1_17partition_subalgoE6EyNS0_10empty_typeEbEEZZNS1_14partition_implILS5_6ELb0ES3_mN6thrust23THRUST_200600_302600_NS6detail15normal_iteratorINSA_10device_ptrIyEEEEPS6_SG_NS0_5tupleIJSF_S6_EEENSH_IJSG_SG_EEES6_PlJ7is_evenIyEEEE10hipError_tPvRmT3_T4_T5_T6_T7_T9_mT8_P12ihipStream_tbDpT10_ENKUlT_T0_E_clISt17integral_constantIbLb0EES15_IbLb1EEEEDaS11_S12_EUlS11_E_NS1_11comp_targetILNS1_3genE9ELNS1_11target_archE1100ELNS1_3gpuE3ELNS1_3repE0EEENS1_30default_config_static_selectorELNS0_4arch9wavefront6targetE0EEEvT1_ ; -- Begin function _ZN7rocprim17ROCPRIM_400000_NS6detail17trampoline_kernelINS0_14default_configENS1_25partition_config_selectorILNS1_17partition_subalgoE6EyNS0_10empty_typeEbEEZZNS1_14partition_implILS5_6ELb0ES3_mN6thrust23THRUST_200600_302600_NS6detail15normal_iteratorINSA_10device_ptrIyEEEEPS6_SG_NS0_5tupleIJSF_S6_EEENSH_IJSG_SG_EEES6_PlJ7is_evenIyEEEE10hipError_tPvRmT3_T4_T5_T6_T7_T9_mT8_P12ihipStream_tbDpT10_ENKUlT_T0_E_clISt17integral_constantIbLb0EES15_IbLb1EEEEDaS11_S12_EUlS11_E_NS1_11comp_targetILNS1_3genE9ELNS1_11target_archE1100ELNS1_3gpuE3ELNS1_3repE0EEENS1_30default_config_static_selectorELNS0_4arch9wavefront6targetE0EEEvT1_
	.globl	_ZN7rocprim17ROCPRIM_400000_NS6detail17trampoline_kernelINS0_14default_configENS1_25partition_config_selectorILNS1_17partition_subalgoE6EyNS0_10empty_typeEbEEZZNS1_14partition_implILS5_6ELb0ES3_mN6thrust23THRUST_200600_302600_NS6detail15normal_iteratorINSA_10device_ptrIyEEEEPS6_SG_NS0_5tupleIJSF_S6_EEENSH_IJSG_SG_EEES6_PlJ7is_evenIyEEEE10hipError_tPvRmT3_T4_T5_T6_T7_T9_mT8_P12ihipStream_tbDpT10_ENKUlT_T0_E_clISt17integral_constantIbLb0EES15_IbLb1EEEEDaS11_S12_EUlS11_E_NS1_11comp_targetILNS1_3genE9ELNS1_11target_archE1100ELNS1_3gpuE3ELNS1_3repE0EEENS1_30default_config_static_selectorELNS0_4arch9wavefront6targetE0EEEvT1_
	.p2align	8
	.type	_ZN7rocprim17ROCPRIM_400000_NS6detail17trampoline_kernelINS0_14default_configENS1_25partition_config_selectorILNS1_17partition_subalgoE6EyNS0_10empty_typeEbEEZZNS1_14partition_implILS5_6ELb0ES3_mN6thrust23THRUST_200600_302600_NS6detail15normal_iteratorINSA_10device_ptrIyEEEEPS6_SG_NS0_5tupleIJSF_S6_EEENSH_IJSG_SG_EEES6_PlJ7is_evenIyEEEE10hipError_tPvRmT3_T4_T5_T6_T7_T9_mT8_P12ihipStream_tbDpT10_ENKUlT_T0_E_clISt17integral_constantIbLb0EES15_IbLb1EEEEDaS11_S12_EUlS11_E_NS1_11comp_targetILNS1_3genE9ELNS1_11target_archE1100ELNS1_3gpuE3ELNS1_3repE0EEENS1_30default_config_static_selectorELNS0_4arch9wavefront6targetE0EEEvT1_,@function
_ZN7rocprim17ROCPRIM_400000_NS6detail17trampoline_kernelINS0_14default_configENS1_25partition_config_selectorILNS1_17partition_subalgoE6EyNS0_10empty_typeEbEEZZNS1_14partition_implILS5_6ELb0ES3_mN6thrust23THRUST_200600_302600_NS6detail15normal_iteratorINSA_10device_ptrIyEEEEPS6_SG_NS0_5tupleIJSF_S6_EEENSH_IJSG_SG_EEES6_PlJ7is_evenIyEEEE10hipError_tPvRmT3_T4_T5_T6_T7_T9_mT8_P12ihipStream_tbDpT10_ENKUlT_T0_E_clISt17integral_constantIbLb0EES15_IbLb1EEEEDaS11_S12_EUlS11_E_NS1_11comp_targetILNS1_3genE9ELNS1_11target_archE1100ELNS1_3gpuE3ELNS1_3repE0EEENS1_30default_config_static_selectorELNS0_4arch9wavefront6targetE0EEEvT1_: ; @_ZN7rocprim17ROCPRIM_400000_NS6detail17trampoline_kernelINS0_14default_configENS1_25partition_config_selectorILNS1_17partition_subalgoE6EyNS0_10empty_typeEbEEZZNS1_14partition_implILS5_6ELb0ES3_mN6thrust23THRUST_200600_302600_NS6detail15normal_iteratorINSA_10device_ptrIyEEEEPS6_SG_NS0_5tupleIJSF_S6_EEENSH_IJSG_SG_EEES6_PlJ7is_evenIyEEEE10hipError_tPvRmT3_T4_T5_T6_T7_T9_mT8_P12ihipStream_tbDpT10_ENKUlT_T0_E_clISt17integral_constantIbLb0EES15_IbLb1EEEEDaS11_S12_EUlS11_E_NS1_11comp_targetILNS1_3genE9ELNS1_11target_archE1100ELNS1_3gpuE3ELNS1_3repE0EEENS1_30default_config_static_selectorELNS0_4arch9wavefront6targetE0EEEvT1_
; %bb.0:
	s_clause 0x3
	s_load_b64 s[12:13], s[0:1], 0x28
	s_load_b128 s[8:11], s[0:1], 0x40
	s_load_b64 s[16:17], s[0:1], 0x50
	s_load_b64 s[14:15], s[0:1], 0x60
	v_cmp_eq_u32_e64 s2, 0, v0
	s_delay_alu instid0(VALU_DEP_1)
	s_and_saveexec_b32 s3, s2
	s_cbranch_execz .LBB294_4
; %bb.1:
	s_mov_b32 s5, exec_lo
	s_mov_b32 s4, exec_lo
	v_mbcnt_lo_u32_b32 v1, s5, 0
                                        ; implicit-def: $vgpr2
	s_delay_alu instid0(VALU_DEP_1)
	v_cmpx_eq_u32_e32 0, v1
	s_cbranch_execz .LBB294_3
; %bb.2:
	s_load_b64 s[6:7], s[0:1], 0x70
	s_bcnt1_i32_b32 s5, s5
	s_delay_alu instid0(SALU_CYCLE_1)
	v_dual_mov_b32 v2, 0 :: v_dual_mov_b32 v3, s5
	s_waitcnt lgkmcnt(0)
	global_atomic_add_u32 v2, v2, v3, s[6:7] glc
.LBB294_3:
	s_or_b32 exec_lo, exec_lo, s4
	s_waitcnt vmcnt(0)
	v_readfirstlane_b32 s4, v2
	s_delay_alu instid0(VALU_DEP_1)
	v_dual_mov_b32 v2, 0 :: v_dual_add_nc_u32 v1, s4, v1
	ds_store_b32 v2, v1
.LBB294_4:
	s_or_b32 exec_lo, exec_lo, s3
	v_mov_b32_e32 v2, 0
	s_clause 0x1
	s_load_b128 s[4:7], s[0:1], 0x8
	s_load_b32 s0, s[0:1], 0x68
	s_waitcnt lgkmcnt(0)
	s_barrier
	buffer_gl0_inv
	ds_load_b32 v1, v2
	s_waitcnt lgkmcnt(0)
	s_barrier
	buffer_gl0_inv
	global_load_b64 v[21:22], v2, s[10:11]
	s_lshl_b64 s[10:11], s[6:7], 3
	s_delay_alu instid0(SALU_CYCLE_1)
	s_add_u32 s1, s4, s10
	s_mul_i32 s4, s0, 0x900
	s_addc_u32 s3, s5, s11
	v_readfirstlane_b32 s10, v1
	v_mul_lo_u32 v1, 0x900, v1
	s_add_i32 s5, s4, s6
	s_add_i32 s11, s0, -1
	s_sub_i32 s0, s16, s5
	s_add_u32 s4, s6, s4
	s_addc_u32 s5, s7, 0
	s_cmp_eq_u32 s10, s11
	v_cmp_ge_u64_e64 s4, s[4:5], s[16:17]
	v_lshlrev_b64 v[1:2], 3, v[1:2]
	s_cselect_b32 s5, -1, 0
	s_delay_alu instid0(VALU_DEP_2) | instid1(SALU_CYCLE_1)
	s_and_b32 s4, s4, s5
	s_delay_alu instid0(VALU_DEP_1) | instskip(NEXT) | instid1(VALU_DEP_2)
	v_add_co_u32 v17, vcc_lo, s1, v1
	v_add_co_ci_u32_e32 v18, vcc_lo, s3, v2, vcc_lo
	s_xor_b32 s6, s4, -1
	s_mov_b32 s1, -1
	s_and_b32 vcc_lo, exec_lo, s6
	s_cbranch_vccz .LBB294_6
; %bb.5:
	v_lshlrev_b32_e32 v13, 3, v0
	s_mov_b32 s1, 0
	s_delay_alu instid0(VALU_DEP_1) | instskip(SKIP_1) | instid1(VALU_DEP_2)
	v_add_co_u32 v1, vcc_lo, v17, v13
	v_add_co_ci_u32_e32 v2, vcc_lo, 0, v18, vcc_lo
	v_add_co_u32 v3, vcc_lo, 0x1000, v1
	s_delay_alu instid0(VALU_DEP_2)
	v_add_co_ci_u32_e32 v4, vcc_lo, 0, v2, vcc_lo
	v_add_co_u32 v5, vcc_lo, 0x2000, v1
	v_add_co_ci_u32_e32 v6, vcc_lo, 0, v2, vcc_lo
	v_add_co_u32 v7, vcc_lo, 0x3000, v1
	v_add_co_ci_u32_e32 v8, vcc_lo, 0, v2, vcc_lo
	s_clause 0x5
	flat_load_b64 v[9:10], v[1:2]
	flat_load_b64 v[1:2], v[1:2] offset:3072
	flat_load_b64 v[3:4], v[3:4] offset:2048
	;; [unrolled: 1-line block ×3, first 2 shown]
	flat_load_b64 v[11:12], v[7:8]
	flat_load_b64 v[7:8], v[7:8] offset:3072
	s_waitcnt vmcnt(4) lgkmcnt(4)
	ds_store_2addr_stride64_b64 v13, v[9:10], v[1:2] offset1:6
	s_waitcnt vmcnt(2) lgkmcnt(3)
	ds_store_2addr_stride64_b64 v13, v[3:4], v[5:6] offset0:12 offset1:18
	s_waitcnt vmcnt(0) lgkmcnt(2)
	ds_store_2addr_stride64_b64 v13, v[11:12], v[7:8] offset0:24 offset1:30
	s_waitcnt lgkmcnt(0)
	s_barrier
.LBB294_6:
	s_and_not1_b32 vcc_lo, exec_lo, s1
	s_addk_i32 s0, 0x900
	s_cbranch_vccnz .LBB294_20
; %bb.7:
	s_mov_b32 s1, exec_lo
                                        ; implicit-def: $vgpr1_vgpr2_vgpr3_vgpr4_vgpr5_vgpr6_vgpr7_vgpr8_vgpr9_vgpr10_vgpr11_vgpr12_vgpr13_vgpr14_vgpr15_vgpr16
	v_cmpx_gt_u32_e64 s0, v0
	s_cbranch_execz .LBB294_9
; %bb.8:
	v_lshlrev_b32_e32 v1, 3, v0
	s_delay_alu instid0(VALU_DEP_1)
	v_add_co_u32 v1, vcc_lo, v17, v1
	v_add_co_ci_u32_e32 v2, vcc_lo, 0, v18, vcc_lo
	flat_load_b64 v[1:2], v[1:2]
.LBB294_9:
	s_or_b32 exec_lo, exec_lo, s1
	v_add_nc_u32_e32 v13, 0x180, v0
	s_mov_b32 s1, exec_lo
	s_delay_alu instid0(VALU_DEP_1)
	v_cmpx_gt_u32_e64 s0, v13
	s_cbranch_execz .LBB294_11
; %bb.10:
	v_lshlrev_b32_e32 v3, 3, v0
	s_delay_alu instid0(VALU_DEP_1)
	v_add_co_u32 v3, vcc_lo, v17, v3
	v_add_co_ci_u32_e32 v4, vcc_lo, 0, v18, vcc_lo
	flat_load_b64 v[3:4], v[3:4] offset:3072
.LBB294_11:
	s_or_b32 exec_lo, exec_lo, s1
	v_add_nc_u32_e32 v13, 0x300, v0
	s_mov_b32 s1, exec_lo
	s_delay_alu instid0(VALU_DEP_1)
	v_cmpx_gt_u32_e64 s0, v13
	s_cbranch_execz .LBB294_13
; %bb.12:
	v_lshlrev_b32_e32 v5, 3, v13
	s_delay_alu instid0(VALU_DEP_1)
	v_add_co_u32 v5, vcc_lo, v17, v5
	v_add_co_ci_u32_e32 v6, vcc_lo, 0, v18, vcc_lo
	flat_load_b64 v[5:6], v[5:6]
.LBB294_13:
	s_or_b32 exec_lo, exec_lo, s1
	v_add_nc_u32_e32 v13, 0x480, v0
	s_mov_b32 s1, exec_lo
	s_delay_alu instid0(VALU_DEP_1)
	v_cmpx_gt_u32_e64 s0, v13
	s_cbranch_execz .LBB294_15
; %bb.14:
	v_lshlrev_b32_e32 v7, 3, v13
	s_delay_alu instid0(VALU_DEP_1)
	v_add_co_u32 v7, vcc_lo, v17, v7
	v_add_co_ci_u32_e32 v8, vcc_lo, 0, v18, vcc_lo
	flat_load_b64 v[7:8], v[7:8]
.LBB294_15:
	s_or_b32 exec_lo, exec_lo, s1
	v_or_b32_e32 v13, 0x600, v0
	s_mov_b32 s1, exec_lo
	s_delay_alu instid0(VALU_DEP_1)
	v_cmpx_gt_u32_e64 s0, v13
	s_cbranch_execz .LBB294_17
; %bb.16:
	v_lshlrev_b32_e32 v9, 3, v13
	s_delay_alu instid0(VALU_DEP_1)
	v_add_co_u32 v9, vcc_lo, v17, v9
	v_add_co_ci_u32_e32 v10, vcc_lo, 0, v18, vcc_lo
	flat_load_b64 v[9:10], v[9:10]
.LBB294_17:
	s_or_b32 exec_lo, exec_lo, s1
	v_add_nc_u32_e32 v13, 0x780, v0
	s_mov_b32 s1, exec_lo
	s_delay_alu instid0(VALU_DEP_1)
	v_cmpx_gt_u32_e64 s0, v13
	s_cbranch_execz .LBB294_19
; %bb.18:
	v_lshlrev_b32_e32 v11, 3, v13
	s_delay_alu instid0(VALU_DEP_1)
	v_add_co_u32 v11, vcc_lo, v17, v11
	v_add_co_ci_u32_e32 v12, vcc_lo, 0, v18, vcc_lo
	flat_load_b64 v[11:12], v[11:12]
.LBB294_19:
	s_or_b32 exec_lo, exec_lo, s1
	v_lshlrev_b32_e32 v13, 3, v0
	s_waitcnt vmcnt(0) lgkmcnt(0)
	ds_store_2addr_stride64_b64 v13, v[1:2], v[3:4] offset1:6
	ds_store_2addr_stride64_b64 v13, v[5:6], v[7:8] offset0:12 offset1:18
	ds_store_2addr_stride64_b64 v13, v[9:10], v[11:12] offset0:24 offset1:30
	s_waitcnt lgkmcnt(0)
	s_barrier
.LBB294_20:
	v_mul_u32_u24_e32 v13, 6, v0
	s_waitcnt vmcnt(0)
	buffer_gl0_inv
	s_and_not1_b32 vcc_lo, exec_lo, s6
	v_lshlrev_b32_e32 v37, 3, v13
	ds_load_b128 v[9:12], v37
	ds_load_b128 v[5:8], v37 offset:16
	ds_load_b128 v[1:4], v37 offset:32
	s_waitcnt lgkmcnt(0)
	s_barrier
	buffer_gl0_inv
	v_xor_b32_e32 v16, -1, v9
	v_xor_b32_e32 v18, -1, v11
	;; [unrolled: 1-line block ×6, first 2 shown]
	s_cbranch_vccnz .LBB294_22
; %bb.21:
	v_and_b32_e32 v20, 1, v18
	v_and_b32_e32 v23, 1, v19
	;; [unrolled: 1-line block ×5, first 2 shown]
	v_lshlrev_b16 v20, 8, v20
	v_lshlrev_b16 v23, 8, v23
	v_and_b32_e32 v33, 1, v15
	s_delay_alu instid0(VALU_DEP_3) | instskip(NEXT) | instid1(VALU_DEP_3)
	v_or_b32_e32 v20, v24, v20
	v_or_b32_e32 v23, v25, v23
	s_delay_alu instid0(VALU_DEP_2) | instskip(NEXT) | instid1(VALU_DEP_2)
	v_and_b32_e32 v20, 0xffff, v20
	v_lshlrev_b32_e32 v23, 16, v23
	s_delay_alu instid0(VALU_DEP_1)
	v_or_b32_e32 v36, v20, v23
	s_cbranch_execz .LBB294_23
	s_branch .LBB294_24
.LBB294_22:
                                        ; implicit-def: $vgpr33
                                        ; implicit-def: $vgpr34
                                        ; implicit-def: $vgpr36
.LBB294_23:
	v_or_b32_e32 v20, 1, v13
	v_add_nc_u32_e32 v23, 3, v13
	v_add_nc_u32_e32 v24, 2, v13
	s_delay_alu instid0(VALU_DEP_3) | instskip(SKIP_1) | instid1(VALU_DEP_4)
	v_cmp_gt_u32_e32 vcc_lo, s0, v20
	v_cndmask_b32_e64 v20, 0, 1, vcc_lo
	v_cmp_gt_u32_e32 vcc_lo, s0, v23
	s_delay_alu instid0(VALU_DEP_2)
	v_and_b32_e32 v18, v20, v18
	v_cndmask_b32_e64 v23, 0, 1, vcc_lo
	v_cmp_gt_u32_e32 vcc_lo, s0, v13
	v_add_nc_u32_e32 v20, 4, v13
	v_add_nc_u32_e32 v13, 5, v13
	v_lshlrev_b16 v18, 8, v18
	v_and_b32_e32 v19, v23, v19
	v_cndmask_b32_e64 v25, 0, 1, vcc_lo
	v_cmp_gt_u32_e32 vcc_lo, s0, v24
	s_delay_alu instid0(VALU_DEP_3) | instskip(NEXT) | instid1(VALU_DEP_3)
	v_lshlrev_b16 v19, 8, v19
	v_and_b32_e32 v16, v25, v16
	v_cndmask_b32_e64 v24, 0, 1, vcc_lo
	v_cmp_gt_u32_e32 vcc_lo, s0, v20
	s_delay_alu instid0(VALU_DEP_3) | instskip(NEXT) | instid1(VALU_DEP_3)
	v_or_b32_e32 v16, v16, v18
	v_and_b32_e32 v17, v24, v17
	v_cndmask_b32_e64 v18, 0, 1, vcc_lo
	v_cmp_gt_u32_e32 vcc_lo, s0, v13
	s_delay_alu instid0(VALU_DEP_4) | instskip(NEXT) | instid1(VALU_DEP_4)
	v_and_b32_e32 v16, 0xffff, v16
	v_or_b32_e32 v17, v17, v19
	s_delay_alu instid0(VALU_DEP_4) | instskip(SKIP_1) | instid1(VALU_DEP_3)
	v_and_b32_e32 v34, v18, v14
	v_cndmask_b32_e64 v13, 0, 1, vcc_lo
	v_lshlrev_b32_e32 v17, 16, v17
	s_delay_alu instid0(VALU_DEP_2) | instskip(NEXT) | instid1(VALU_DEP_2)
	v_and_b32_e32 v33, v13, v15
	v_or_b32_e32 v36, v16, v17
.LBB294_24:
	s_delay_alu instid0(VALU_DEP_1)
	v_dual_mov_b32 v14, 0 :: v_dual_and_b32 v41, 0xff, v36
	v_bfe_u32 v40, v36, 8, 8
	v_bfe_u32 v39, v36, 16, 8
	v_lshrrev_b32_e32 v35, 24, v36
	v_and_b32_e32 v38, 0xff, v34
	v_mbcnt_lo_u32_b32 v42, -1, 0
	v_add_co_u32 v13, s0, v40, v41
	s_delay_alu instid0(VALU_DEP_1) | instskip(SKIP_1) | instid1(VALU_DEP_3)
	v_add_co_ci_u32_e64 v15, null, 0, 0, s0
	v_and_b32_e32 v16, 0xff, v33
	v_add_co_u32 v13, vcc_lo, v13, v39
	s_delay_alu instid0(VALU_DEP_3) | instskip(SKIP_1) | instid1(VALU_DEP_3)
	v_add_co_ci_u32_e32 v15, vcc_lo, 0, v15, vcc_lo
	v_and_b32_e32 v43, 15, v42
	v_add_co_u32 v13, vcc_lo, v13, v35
	s_delay_alu instid0(VALU_DEP_3) | instskip(NEXT) | instid1(VALU_DEP_3)
	v_add_co_ci_u32_e32 v15, vcc_lo, 0, v15, vcc_lo
	v_cmp_ne_u32_e64 s0, 0, v43
	s_delay_alu instid0(VALU_DEP_3) | instskip(NEXT) | instid1(VALU_DEP_3)
	v_add_co_u32 v13, vcc_lo, v13, v38
	v_add_co_ci_u32_e32 v15, vcc_lo, 0, v15, vcc_lo
	s_cmp_lg_u32 s10, 0
	s_delay_alu instid0(VALU_DEP_2) | instskip(NEXT) | instid1(VALU_DEP_2)
	v_add_co_u32 v23, vcc_lo, v13, v16
	v_add_co_ci_u32_e32 v24, vcc_lo, 0, v15, vcc_lo
	s_mov_b32 s1, -1
	s_cbranch_scc0 .LBB294_88
; %bb.25:
	s_delay_alu instid0(VALU_DEP_2)
	v_mov_b32_e32 v15, v23
	v_mov_b32_dpp v13, v23 row_shr:1 row_mask:0xf bank_mask:0xf
	v_mov_b32_dpp v18, v14 row_shr:1 row_mask:0xf bank_mask:0xf
	v_dual_mov_b32 v17, v23 :: v_dual_mov_b32 v16, v24
	s_and_saveexec_b32 s1, s0
; %bb.26:
	s_delay_alu instid0(VALU_DEP_3) | instskip(SKIP_1) | instid1(VALU_DEP_2)
	v_add_co_u32 v17, vcc_lo, v23, v13
	v_add_co_ci_u32_e32 v14, vcc_lo, 0, v24, vcc_lo
	v_add_co_u32 v13, vcc_lo, 0, v17
	s_delay_alu instid0(VALU_DEP_2) | instskip(NEXT) | instid1(VALU_DEP_1)
	v_add_co_ci_u32_e32 v14, vcc_lo, v18, v14, vcc_lo
	v_dual_mov_b32 v16, v14 :: v_dual_mov_b32 v15, v13
; %bb.27:
	s_or_b32 exec_lo, exec_lo, s1
	v_mov_b32_dpp v13, v17 row_shr:2 row_mask:0xf bank_mask:0xf
	v_mov_b32_dpp v18, v14 row_shr:2 row_mask:0xf bank_mask:0xf
	v_cmp_lt_u32_e32 vcc_lo, 1, v43
	s_and_saveexec_b32 s3, vcc_lo
; %bb.28:
	s_delay_alu instid0(VALU_DEP_3) | instskip(NEXT) | instid1(VALU_DEP_1)
	v_add_co_u32 v17, s1, v15, v13
	v_add_co_ci_u32_e64 v14, s1, 0, v16, s1
	s_delay_alu instid0(VALU_DEP_2) | instskip(NEXT) | instid1(VALU_DEP_1)
	v_add_co_u32 v13, s1, 0, v17
	v_add_co_ci_u32_e64 v14, s1, v18, v14, s1
	s_delay_alu instid0(VALU_DEP_1)
	v_dual_mov_b32 v16, v14 :: v_dual_mov_b32 v15, v13
; %bb.29:
	s_or_b32 exec_lo, exec_lo, s3
	v_mov_b32_dpp v13, v17 row_shr:4 row_mask:0xf bank_mask:0xf
	v_mov_b32_dpp v18, v14 row_shr:4 row_mask:0xf bank_mask:0xf
	v_cmp_lt_u32_e64 s1, 3, v43
	s_delay_alu instid0(VALU_DEP_1)
	s_and_saveexec_b32 s4, s1
; %bb.30:
	s_delay_alu instid0(VALU_DEP_3) | instskip(NEXT) | instid1(VALU_DEP_1)
	v_add_co_u32 v17, s3, v15, v13
	v_add_co_ci_u32_e64 v14, s3, 0, v16, s3
	s_delay_alu instid0(VALU_DEP_2) | instskip(NEXT) | instid1(VALU_DEP_1)
	v_add_co_u32 v13, s3, 0, v17
	v_add_co_ci_u32_e64 v14, s3, v18, v14, s3
	s_delay_alu instid0(VALU_DEP_1)
	v_dual_mov_b32 v16, v14 :: v_dual_mov_b32 v15, v13
; %bb.31:
	s_or_b32 exec_lo, exec_lo, s4
	v_mov_b32_dpp v18, v17 row_shr:8 row_mask:0xf bank_mask:0xf
	v_mov_b32_dpp v13, v14 row_shr:8 row_mask:0xf bank_mask:0xf
	v_cmp_lt_u32_e64 s3, 7, v43
	s_delay_alu instid0(VALU_DEP_1)
	s_and_saveexec_b32 s7, s3
; %bb.32:
	s_delay_alu instid0(VALU_DEP_3) | instskip(NEXT) | instid1(VALU_DEP_1)
	v_add_co_u32 v17, s4, v15, v18
	v_add_co_ci_u32_e64 v14, s4, 0, v16, s4
	s_delay_alu instid0(VALU_DEP_2) | instskip(NEXT) | instid1(VALU_DEP_1)
	v_add_co_u32 v15, s4, 0, v17
	v_add_co_ci_u32_e64 v16, s4, v13, v14, s4
	s_delay_alu instid0(VALU_DEP_1)
	v_mov_b32_e32 v14, v16
; %bb.33:
	s_or_b32 exec_lo, exec_lo, s7
	ds_swizzle_b32 v13, v17 offset:swizzle(BROADCAST,32,15)
	ds_swizzle_b32 v18, v14 offset:swizzle(BROADCAST,32,15)
	v_and_b32_e32 v19, 16, v42
	s_mov_b32 s7, exec_lo
	s_delay_alu instid0(VALU_DEP_1)
	v_cmpx_ne_u32_e32 0, v19
	s_cbranch_execz .LBB294_35
; %bb.34:
	s_waitcnt lgkmcnt(1)
	v_add_co_u32 v17, s4, v15, v13
	s_delay_alu instid0(VALU_DEP_1) | instskip(NEXT) | instid1(VALU_DEP_2)
	v_add_co_ci_u32_e64 v14, s4, 0, v16, s4
	v_add_co_u32 v13, s4, 0, v17
	s_waitcnt lgkmcnt(0)
	s_delay_alu instid0(VALU_DEP_2) | instskip(NEXT) | instid1(VALU_DEP_1)
	v_add_co_ci_u32_e64 v14, s4, v18, v14, s4
	v_dual_mov_b32 v16, v14 :: v_dual_mov_b32 v15, v13
.LBB294_35:
	s_or_b32 exec_lo, exec_lo, s7
	s_waitcnt lgkmcnt(1)
	v_and_b32_e32 v13, 0x1e0, v0
	s_mov_b32 s7, exec_lo
	s_delay_alu instid0(VALU_DEP_1) | instskip(SKIP_1) | instid1(VALU_DEP_1)
	v_min_u32_e32 v13, 0x160, v13
	s_waitcnt lgkmcnt(0)
	v_or_b32_e32 v18, 31, v13
	v_lshrrev_b32_e32 v13, 5, v0
	s_delay_alu instid0(VALU_DEP_2)
	v_cmpx_eq_u32_e64 v18, v0
	s_cbranch_execz .LBB294_37
; %bb.36:
	s_delay_alu instid0(VALU_DEP_2)
	v_lshlrev_b32_e32 v18, 3, v13
	ds_store_b64 v18, v[15:16]
.LBB294_37:
	s_or_b32 exec_lo, exec_lo, s7
	s_delay_alu instid0(SALU_CYCLE_1)
	s_mov_b32 s7, exec_lo
	s_waitcnt lgkmcnt(0)
	s_barrier
	buffer_gl0_inv
	v_cmpx_gt_u32_e32 12, v0
	s_cbranch_execz .LBB294_47
; %bb.38:
	v_lshlrev_b32_e32 v18, 3, v0
	ds_load_b64 v[15:16], v18
	s_waitcnt lgkmcnt(0)
	v_mov_b32_e32 v19, v15
	v_mov_b32_dpp v25, v15 row_shr:1 row_mask:0xf bank_mask:0xf
	v_mov_b32_dpp v20, v16 row_shr:1 row_mask:0xf bank_mask:0xf
	s_and_saveexec_b32 s11, s0
; %bb.39:
	s_delay_alu instid0(VALU_DEP_2) | instskip(NEXT) | instid1(VALU_DEP_1)
	v_add_co_u32 v19, s4, v15, v25
	v_add_co_ci_u32_e64 v16, s4, 0, v16, s4
	s_delay_alu instid0(VALU_DEP_2) | instskip(NEXT) | instid1(VALU_DEP_1)
	v_add_co_u32 v15, s4, 0, v19
	v_add_co_ci_u32_e64 v16, s4, v20, v16, s4
; %bb.40:
	s_or_b32 exec_lo, exec_lo, s11
	v_mov_b32_dpp v25, v19 row_shr:2 row_mask:0xf bank_mask:0xf
	s_delay_alu instid0(VALU_DEP_2)
	v_mov_b32_dpp v20, v16 row_shr:2 row_mask:0xf bank_mask:0xf
	s_and_saveexec_b32 s4, vcc_lo
; %bb.41:
	s_delay_alu instid0(VALU_DEP_2) | instskip(SKIP_1) | instid1(VALU_DEP_2)
	v_add_co_u32 v19, vcc_lo, v15, v25
	v_add_co_ci_u32_e32 v16, vcc_lo, 0, v16, vcc_lo
	v_add_co_u32 v15, vcc_lo, 0, v19
	s_delay_alu instid0(VALU_DEP_2)
	v_add_co_ci_u32_e32 v16, vcc_lo, v20, v16, vcc_lo
; %bb.42:
	s_or_b32 exec_lo, exec_lo, s4
	v_mov_b32_dpp v25, v19 row_shr:4 row_mask:0xf bank_mask:0xf
	s_delay_alu instid0(VALU_DEP_2)
	v_mov_b32_dpp v20, v16 row_shr:4 row_mask:0xf bank_mask:0xf
	s_and_saveexec_b32 s4, s1
; %bb.43:
	s_delay_alu instid0(VALU_DEP_2) | instskip(SKIP_1) | instid1(VALU_DEP_2)
	v_add_co_u32 v19, vcc_lo, v15, v25
	v_add_co_ci_u32_e32 v16, vcc_lo, 0, v16, vcc_lo
	v_add_co_u32 v15, vcc_lo, 0, v19
	s_delay_alu instid0(VALU_DEP_2)
	v_add_co_ci_u32_e32 v16, vcc_lo, v20, v16, vcc_lo
; %bb.44:
	s_or_b32 exec_lo, exec_lo, s4
	v_mov_b32_dpp v20, v19 row_shr:8 row_mask:0xf bank_mask:0xf
	s_delay_alu instid0(VALU_DEP_2)
	v_mov_b32_dpp v19, v16 row_shr:8 row_mask:0xf bank_mask:0xf
	s_and_saveexec_b32 s1, s3
; %bb.45:
	s_delay_alu instid0(VALU_DEP_2) | instskip(SKIP_1) | instid1(VALU_DEP_2)
	v_add_co_u32 v15, vcc_lo, v15, v20
	v_add_co_ci_u32_e32 v16, vcc_lo, 0, v16, vcc_lo
	v_add_co_u32 v15, vcc_lo, v15, 0
	s_delay_alu instid0(VALU_DEP_2)
	v_add_co_ci_u32_e32 v16, vcc_lo, v16, v19, vcc_lo
; %bb.46:
	s_or_b32 exec_lo, exec_lo, s1
	ds_store_b64 v18, v[15:16]
.LBB294_47:
	s_or_b32 exec_lo, exec_lo, s7
	v_cmp_gt_u32_e32 vcc_lo, 32, v0
	s_mov_b32 s3, exec_lo
	s_waitcnt lgkmcnt(0)
	s_barrier
	buffer_gl0_inv
                                        ; implicit-def: $vgpr25_vgpr26
	v_cmpx_lt_u32_e32 31, v0
	s_cbranch_execz .LBB294_49
; %bb.48:
	v_lshl_add_u32 v13, v13, 3, -8
	ds_load_b64 v[25:26], v13
	s_waitcnt lgkmcnt(0)
	v_add_co_u32 v17, s1, v17, v25
	s_delay_alu instid0(VALU_DEP_1)
	v_add_co_ci_u32_e64 v14, s1, v14, v26, s1
.LBB294_49:
	s_or_b32 exec_lo, exec_lo, s3
	v_add_nc_u32_e32 v13, -1, v42
	s_delay_alu instid0(VALU_DEP_1) | instskip(NEXT) | instid1(VALU_DEP_1)
	v_cmp_gt_i32_e64 s1, 0, v13
	v_cndmask_b32_e64 v13, v13, v42, s1
	v_cmp_eq_u32_e64 s1, 0, v42
	s_delay_alu instid0(VALU_DEP_2)
	v_lshlrev_b32_e32 v13, 2, v13
	ds_bpermute_b32 v31, v13, v17
	ds_bpermute_b32 v32, v13, v14
	s_and_saveexec_b32 s3, vcc_lo
	s_cbranch_execz .LBB294_87
; %bb.50:
	v_mov_b32_e32 v16, 0
	ds_load_b64 v[13:14], v16 offset:88
	s_and_saveexec_b32 s4, s1
	s_cbranch_execz .LBB294_52
; %bb.51:
	s_add_i32 s16, s10, 32
	s_mov_b32 s17, 0
	s_delay_alu instid0(SALU_CYCLE_1) | instskip(NEXT) | instid1(SALU_CYCLE_1)
	s_lshl_b64 s[16:17], s[16:17], 4
	s_add_u32 s16, s14, s16
	s_addc_u32 s17, s15, s17
	s_delay_alu instid0(SALU_CYCLE_1)
	v_dual_mov_b32 v15, 1 :: v_dual_mov_b32 v18, s17
	v_mov_b32_e32 v17, s16
	s_waitcnt lgkmcnt(0)
	;;#ASMSTART
	global_store_dwordx4 v[17:18], v[13:16] off	
s_waitcnt vmcnt(0)
	;;#ASMEND
.LBB294_52:
	s_or_b32 exec_lo, exec_lo, s4
	v_xad_u32 v27, v42, -1, s10
	s_mov_b32 s7, 0
	s_mov_b32 s4, exec_lo
	s_delay_alu instid0(VALU_DEP_1) | instskip(NEXT) | instid1(VALU_DEP_1)
	v_add_nc_u32_e32 v15, 32, v27
	v_lshlrev_b64 v[15:16], 4, v[15:16]
	s_delay_alu instid0(VALU_DEP_1) | instskip(NEXT) | instid1(VALU_DEP_2)
	v_add_co_u32 v15, vcc_lo, s14, v15
	v_add_co_ci_u32_e32 v16, vcc_lo, s15, v16, vcc_lo
	;;#ASMSTART
	global_load_dwordx4 v[17:20], v[15:16] off glc	
s_waitcnt vmcnt(0)
	;;#ASMEND
	v_and_b32_e32 v20, 0xff, v18
	v_and_b32_e32 v28, 0xff00, v18
	v_or3_b32 v17, v17, 0, 0
	v_and_b32_e32 v29, 0xff000000, v18
	v_and_b32_e32 v18, 0xff0000, v18
	s_delay_alu instid0(VALU_DEP_4) | instskip(SKIP_2) | instid1(VALU_DEP_3)
	v_or3_b32 v20, 0, v20, v28
	v_and_b32_e32 v28, 0xff, v19
	v_or3_b32 v17, v17, 0, 0
	v_or3_b32 v18, v20, v18, v29
	s_delay_alu instid0(VALU_DEP_3)
	v_cmpx_eq_u16_e32 0, v28
	s_cbranch_execz .LBB294_55
.LBB294_53:                             ; =>This Inner Loop Header: Depth=1
	;;#ASMSTART
	global_load_dwordx4 v[17:20], v[15:16] off glc	
s_waitcnt vmcnt(0)
	;;#ASMEND
	v_and_b32_e32 v20, 0xff, v19
	s_delay_alu instid0(VALU_DEP_1) | instskip(SKIP_1) | instid1(SALU_CYCLE_1)
	v_cmp_ne_u16_e32 vcc_lo, 0, v20
	s_or_b32 s7, vcc_lo, s7
	s_and_not1_b32 exec_lo, exec_lo, s7
	s_cbranch_execnz .LBB294_53
; %bb.54:
	s_or_b32 exec_lo, exec_lo, s7
.LBB294_55:
	s_delay_alu instid0(SALU_CYCLE_1)
	s_or_b32 exec_lo, exec_lo, s4
	v_cmp_ne_u32_e32 vcc_lo, 31, v42
	v_and_b32_e32 v16, 0xff, v19
	v_lshlrev_b32_e64 v45, v42, -1
	s_mov_b32 s4, exec_lo
	v_add_co_ci_u32_e32 v15, vcc_lo, 0, v42, vcc_lo
	s_delay_alu instid0(VALU_DEP_3) | instskip(SKIP_1) | instid1(VALU_DEP_3)
	v_cmp_eq_u16_e32 vcc_lo, 2, v16
	v_mov_b32_e32 v16, v17
	v_lshlrev_b32_e32 v44, 2, v15
	v_and_or_b32 v15, vcc_lo, v45, 0x80000000
	ds_bpermute_b32 v28, v44, v17
	ds_bpermute_b32 v20, v44, v18
	v_ctz_i32_b32_e32 v15, v15
	s_delay_alu instid0(VALU_DEP_1)
	v_cmpx_lt_u32_e64 v42, v15
	s_cbranch_execz .LBB294_57
; %bb.56:
	s_waitcnt lgkmcnt(1)
	v_add_co_u32 v16, vcc_lo, v17, v28
	v_add_co_ci_u32_e32 v18, vcc_lo, 0, v18, vcc_lo
	s_delay_alu instid0(VALU_DEP_2) | instskip(SKIP_1) | instid1(VALU_DEP_2)
	v_add_co_u32 v17, vcc_lo, 0, v16
	s_waitcnt lgkmcnt(0)
	v_add_co_ci_u32_e32 v18, vcc_lo, v20, v18, vcc_lo
.LBB294_57:
	s_or_b32 exec_lo, exec_lo, s4
	v_cmp_gt_u32_e32 vcc_lo, 30, v42
	v_add_nc_u32_e32 v47, 2, v42
	s_mov_b32 s4, exec_lo
	s_waitcnt lgkmcnt(0)
	v_cndmask_b32_e64 v20, 0, 1, vcc_lo
	s_delay_alu instid0(VALU_DEP_1) | instskip(NEXT) | instid1(VALU_DEP_1)
	v_lshlrev_b32_e32 v20, 1, v20
	v_add_lshl_u32 v46, v20, v42, 2
	ds_bpermute_b32 v28, v46, v16
	ds_bpermute_b32 v20, v46, v18
	v_cmpx_le_u32_e64 v47, v15
	s_cbranch_execz .LBB294_59
; %bb.58:
	s_waitcnt lgkmcnt(1)
	v_add_co_u32 v16, vcc_lo, v17, v28
	v_add_co_ci_u32_e32 v18, vcc_lo, 0, v18, vcc_lo
	s_delay_alu instid0(VALU_DEP_2) | instskip(SKIP_1) | instid1(VALU_DEP_2)
	v_add_co_u32 v17, vcc_lo, 0, v16
	s_waitcnt lgkmcnt(0)
	v_add_co_ci_u32_e32 v18, vcc_lo, v20, v18, vcc_lo
.LBB294_59:
	s_or_b32 exec_lo, exec_lo, s4
	v_cmp_gt_u32_e32 vcc_lo, 28, v42
	v_add_nc_u32_e32 v49, 4, v42
	s_mov_b32 s4, exec_lo
	s_waitcnt lgkmcnt(0)
	v_cndmask_b32_e64 v20, 0, 1, vcc_lo
	s_delay_alu instid0(VALU_DEP_1) | instskip(NEXT) | instid1(VALU_DEP_1)
	v_lshlrev_b32_e32 v20, 2, v20
	v_add_lshl_u32 v48, v20, v42, 2
	ds_bpermute_b32 v28, v48, v16
	ds_bpermute_b32 v20, v48, v18
	v_cmpx_le_u32_e64 v49, v15
	;; [unrolled: 22-line block ×4, first 2 shown]
	s_cbranch_execz .LBB294_65
; %bb.64:
	s_waitcnt lgkmcnt(1)
	v_add_co_u32 v15, vcc_lo, v17, v20
	v_add_co_ci_u32_e32 v18, vcc_lo, 0, v18, vcc_lo
	s_delay_alu instid0(VALU_DEP_2) | instskip(SKIP_1) | instid1(VALU_DEP_2)
	v_add_co_u32 v17, vcc_lo, v15, 0
	s_waitcnt lgkmcnt(0)
	v_add_co_ci_u32_e32 v18, vcc_lo, v18, v16, vcc_lo
.LBB294_65:
	s_or_b32 exec_lo, exec_lo, s4
	v_mov_b32_e32 v28, 0
	s_branch .LBB294_67
.LBB294_66:                             ;   in Loop: Header=BB294_67 Depth=1
	s_or_b32 exec_lo, exec_lo, s4
	v_add_co_u32 v17, vcc_lo, v17, v15
	v_subrev_nc_u32_e32 v27, 32, v27
	v_add_co_ci_u32_e32 v18, vcc_lo, v18, v16, vcc_lo
.LBB294_67:                             ; =>This Loop Header: Depth=1
                                        ;     Child Loop BB294_70 Depth 2
	v_and_b32_e32 v15, 0xff, v19
	s_delay_alu instid0(VALU_DEP_1) | instskip(SKIP_2) | instid1(VALU_DEP_1)
	v_cmp_ne_u16_e32 vcc_lo, 2, v15
	v_cndmask_b32_e64 v15, 0, 1, vcc_lo
	;;#ASMSTART
	;;#ASMEND
	v_cmp_ne_u32_e32 vcc_lo, 0, v15
	s_waitcnt lgkmcnt(0)
	v_dual_mov_b32 v15, v17 :: v_dual_mov_b32 v16, v18
	s_cmp_lg_u32 vcc_lo, exec_lo
	s_cbranch_scc1 .LBB294_82
; %bb.68:                               ;   in Loop: Header=BB294_67 Depth=1
	v_lshlrev_b64 v[17:18], 4, v[27:28]
	s_mov_b32 s4, exec_lo
	s_delay_alu instid0(VALU_DEP_1) | instskip(NEXT) | instid1(VALU_DEP_2)
	v_add_co_u32 v29, vcc_lo, s14, v17
	v_add_co_ci_u32_e32 v30, vcc_lo, s15, v18, vcc_lo
	;;#ASMSTART
	global_load_dwordx4 v[17:20], v[29:30] off glc	
s_waitcnt vmcnt(0)
	;;#ASMEND
	v_and_b32_e32 v20, 0xff, v18
	v_and_b32_e32 v54, 0xff00, v18
	v_or3_b32 v17, v17, 0, 0
	v_and_b32_e32 v55, 0xff000000, v18
	v_and_b32_e32 v18, 0xff0000, v18
	s_delay_alu instid0(VALU_DEP_4) | instskip(SKIP_2) | instid1(VALU_DEP_3)
	v_or3_b32 v20, 0, v20, v54
	v_and_b32_e32 v54, 0xff, v19
	v_or3_b32 v17, v17, 0, 0
	v_or3_b32 v18, v20, v18, v55
	s_delay_alu instid0(VALU_DEP_3)
	v_cmpx_eq_u16_e32 0, v54
	s_cbranch_execz .LBB294_72
; %bb.69:                               ;   in Loop: Header=BB294_67 Depth=1
	s_mov_b32 s7, 0
.LBB294_70:                             ;   Parent Loop BB294_67 Depth=1
                                        ; =>  This Inner Loop Header: Depth=2
	;;#ASMSTART
	global_load_dwordx4 v[17:20], v[29:30] off glc	
s_waitcnt vmcnt(0)
	;;#ASMEND
	v_and_b32_e32 v20, 0xff, v19
	s_delay_alu instid0(VALU_DEP_1) | instskip(SKIP_1) | instid1(SALU_CYCLE_1)
	v_cmp_ne_u16_e32 vcc_lo, 0, v20
	s_or_b32 s7, vcc_lo, s7
	s_and_not1_b32 exec_lo, exec_lo, s7
	s_cbranch_execnz .LBB294_70
; %bb.71:                               ;   in Loop: Header=BB294_67 Depth=1
	s_or_b32 exec_lo, exec_lo, s7
.LBB294_72:                             ;   in Loop: Header=BB294_67 Depth=1
	s_delay_alu instid0(SALU_CYCLE_1)
	s_or_b32 exec_lo, exec_lo, s4
	v_dual_mov_b32 v29, v17 :: v_dual_and_b32 v20, 0xff, v19
	ds_bpermute_b32 v54, v44, v17
	ds_bpermute_b32 v30, v44, v18
	s_mov_b32 s4, exec_lo
	v_cmp_eq_u16_e32 vcc_lo, 2, v20
	v_and_or_b32 v20, vcc_lo, v45, 0x80000000
	s_delay_alu instid0(VALU_DEP_1) | instskip(NEXT) | instid1(VALU_DEP_1)
	v_ctz_i32_b32_e32 v20, v20
	v_cmpx_lt_u32_e64 v42, v20
	s_cbranch_execz .LBB294_74
; %bb.73:                               ;   in Loop: Header=BB294_67 Depth=1
	s_waitcnt lgkmcnt(1)
	v_add_co_u32 v29, vcc_lo, v17, v54
	v_add_co_ci_u32_e32 v18, vcc_lo, 0, v18, vcc_lo
	s_delay_alu instid0(VALU_DEP_2) | instskip(SKIP_1) | instid1(VALU_DEP_2)
	v_add_co_u32 v17, vcc_lo, 0, v29
	s_waitcnt lgkmcnt(0)
	v_add_co_ci_u32_e32 v18, vcc_lo, v30, v18, vcc_lo
.LBB294_74:                             ;   in Loop: Header=BB294_67 Depth=1
	s_or_b32 exec_lo, exec_lo, s4
	s_waitcnt lgkmcnt(1)
	ds_bpermute_b32 v54, v46, v29
	s_waitcnt lgkmcnt(1)
	ds_bpermute_b32 v30, v46, v18
	s_mov_b32 s4, exec_lo
	v_cmpx_le_u32_e64 v47, v20
	s_cbranch_execz .LBB294_76
; %bb.75:                               ;   in Loop: Header=BB294_67 Depth=1
	s_waitcnt lgkmcnt(1)
	v_add_co_u32 v29, vcc_lo, v17, v54
	v_add_co_ci_u32_e32 v18, vcc_lo, 0, v18, vcc_lo
	s_delay_alu instid0(VALU_DEP_2) | instskip(SKIP_1) | instid1(VALU_DEP_2)
	v_add_co_u32 v17, vcc_lo, 0, v29
	s_waitcnt lgkmcnt(0)
	v_add_co_ci_u32_e32 v18, vcc_lo, v30, v18, vcc_lo
.LBB294_76:                             ;   in Loop: Header=BB294_67 Depth=1
	s_or_b32 exec_lo, exec_lo, s4
	s_waitcnt lgkmcnt(1)
	ds_bpermute_b32 v54, v48, v29
	s_waitcnt lgkmcnt(1)
	ds_bpermute_b32 v30, v48, v18
	s_mov_b32 s4, exec_lo
	v_cmpx_le_u32_e64 v49, v20
	;; [unrolled: 17-line block ×3, first 2 shown]
	s_cbranch_execz .LBB294_80
; %bb.79:                               ;   in Loop: Header=BB294_67 Depth=1
	s_waitcnt lgkmcnt(1)
	v_add_co_u32 v29, vcc_lo, v17, v54
	v_add_co_ci_u32_e32 v18, vcc_lo, 0, v18, vcc_lo
	s_delay_alu instid0(VALU_DEP_2) | instskip(SKIP_1) | instid1(VALU_DEP_2)
	v_add_co_u32 v17, vcc_lo, 0, v29
	s_waitcnt lgkmcnt(0)
	v_add_co_ci_u32_e32 v18, vcc_lo, v30, v18, vcc_lo
.LBB294_80:                             ;   in Loop: Header=BB294_67 Depth=1
	s_or_b32 exec_lo, exec_lo, s4
	s_waitcnt lgkmcnt(0)
	ds_bpermute_b32 v30, v52, v29
	ds_bpermute_b32 v29, v52, v18
	s_mov_b32 s4, exec_lo
	v_cmpx_le_u32_e64 v53, v20
	s_cbranch_execz .LBB294_66
; %bb.81:                               ;   in Loop: Header=BB294_67 Depth=1
	s_waitcnt lgkmcnt(1)
	v_add_co_u32 v17, vcc_lo, v17, v30
	v_add_co_ci_u32_e32 v18, vcc_lo, 0, v18, vcc_lo
	s_delay_alu instid0(VALU_DEP_2) | instskip(SKIP_1) | instid1(VALU_DEP_2)
	v_add_co_u32 v17, vcc_lo, v17, 0
	s_waitcnt lgkmcnt(0)
	v_add_co_ci_u32_e32 v18, vcc_lo, v18, v29, vcc_lo
	s_branch .LBB294_66
.LBB294_82:                             ;   in Loop: Header=BB294_67 Depth=1
                                        ; implicit-def: $vgpr17_vgpr18
	s_cbranch_execz .LBB294_67
; %bb.83:
	s_and_saveexec_b32 s4, s1
	s_cbranch_execz .LBB294_85
; %bb.84:
	s_add_i32 s10, s10, 32
	s_mov_b32 s11, 0
	v_add_co_u32 v17, vcc_lo, v15, v13
	s_lshl_b64 s[10:11], s[10:11], 4
	v_dual_mov_b32 v19, 2 :: v_dual_mov_b32 v20, 0
	s_add_u32 s10, s14, s10
	s_addc_u32 s11, s15, s11
	v_add_co_ci_u32_e32 v18, vcc_lo, v16, v14, vcc_lo
	v_dual_mov_b32 v28, s11 :: v_dual_mov_b32 v27, s10
	;;#ASMSTART
	global_store_dwordx4 v[27:28], v[17:20] off	
s_waitcnt vmcnt(0)
	;;#ASMEND
	ds_store_b128 v20, v[13:16] offset:18432
.LBB294_85:
	s_or_b32 exec_lo, exec_lo, s4
	s_delay_alu instid0(SALU_CYCLE_1)
	s_and_b32 exec_lo, exec_lo, s2
	s_cbranch_execz .LBB294_87
; %bb.86:
	v_mov_b32_e32 v13, 0
	ds_store_b64 v13, v[15:16] offset:88
.LBB294_87:
	s_or_b32 exec_lo, exec_lo, s3
	v_mov_b32_e32 v15, 0
	s_waitcnt lgkmcnt(0)
	s_barrier
	buffer_gl0_inv
	v_cndmask_b32_e64 v16, v31, v25, s1
	ds_load_b64 v[13:14], v15 offset:88
	v_cndmask_b32_e64 v17, v32, v26, s1
	s_waitcnt lgkmcnt(0)
	s_barrier
	v_cndmask_b32_e64 v16, v16, 0, s2
	buffer_gl0_inv
	v_cndmask_b32_e64 v17, v17, 0, s2
	v_add_co_u32 v31, vcc_lo, v13, v16
	s_delay_alu instid0(VALU_DEP_2) | instskip(SKIP_3) | instid1(VALU_DEP_2)
	v_add_co_ci_u32_e32 v32, vcc_lo, v14, v17, vcc_lo
	ds_load_b128 v[13:16], v15 offset:18432
	v_add_co_u32 v29, vcc_lo, v31, v41
	v_add_co_ci_u32_e32 v30, vcc_lo, 0, v32, vcc_lo
	v_add_co_u32 v27, vcc_lo, v29, v40
	s_delay_alu instid0(VALU_DEP_2) | instskip(NEXT) | instid1(VALU_DEP_2)
	v_add_co_ci_u32_e32 v28, vcc_lo, 0, v30, vcc_lo
	v_add_co_u32 v25, vcc_lo, v27, v39
	s_delay_alu instid0(VALU_DEP_2) | instskip(NEXT) | instid1(VALU_DEP_2)
	;; [unrolled: 3-line block ×3, first 2 shown]
	v_add_co_ci_u32_e32 v20, vcc_lo, 0, v26, vcc_lo
	v_add_co_u32 v17, vcc_lo, v19, v38
	s_delay_alu instid0(VALU_DEP_2)
	v_add_co_ci_u32_e32 v18, vcc_lo, 0, v20, vcc_lo
	s_branch .LBB294_116
.LBB294_88:
                                        ; implicit-def: $vgpr17_vgpr18
                                        ; implicit-def: $vgpr19_vgpr20
                                        ; implicit-def: $vgpr25_vgpr26
                                        ; implicit-def: $vgpr27_vgpr28
                                        ; implicit-def: $vgpr29_vgpr30
                                        ; implicit-def: $vgpr31_vgpr32
                                        ; implicit-def: $vgpr15_vgpr16
	s_and_b32 vcc_lo, exec_lo, s1
	s_cbranch_vccz .LBB294_116
; %bb.89:
	s_waitcnt lgkmcnt(0)
	v_dual_mov_b32 v14, 0 :: v_dual_mov_b32 v15, v23
	v_mov_b32_dpp v16, v23 row_shr:1 row_mask:0xf bank_mask:0xf
	s_delay_alu instid0(VALU_DEP_2)
	v_mov_b32_dpp v13, v14 row_shr:1 row_mask:0xf bank_mask:0xf
	s_and_saveexec_b32 s1, s0
; %bb.90:
	s_delay_alu instid0(VALU_DEP_2) | instskip(SKIP_1) | instid1(VALU_DEP_2)
	v_add_co_u32 v15, vcc_lo, v23, v16
	v_add_co_ci_u32_e32 v14, vcc_lo, 0, v24, vcc_lo
	v_add_co_u32 v23, vcc_lo, 0, v15
	s_delay_alu instid0(VALU_DEP_2) | instskip(NEXT) | instid1(VALU_DEP_1)
	v_add_co_ci_u32_e32 v24, vcc_lo, v13, v14, vcc_lo
	v_mov_b32_e32 v14, v24
; %bb.91:
	s_or_b32 exec_lo, exec_lo, s1
	v_mov_b32_dpp v13, v15 row_shr:2 row_mask:0xf bank_mask:0xf
	s_delay_alu instid0(VALU_DEP_2)
	v_mov_b32_dpp v16, v14 row_shr:2 row_mask:0xf bank_mask:0xf
	v_cmp_lt_u32_e32 vcc_lo, 1, v43
	s_and_saveexec_b32 s3, vcc_lo
; %bb.92:
	s_delay_alu instid0(VALU_DEP_3) | instskip(NEXT) | instid1(VALU_DEP_1)
	v_add_co_u32 v15, s1, v23, v13
	v_add_co_ci_u32_e64 v14, s1, 0, v24, s1
	s_delay_alu instid0(VALU_DEP_2) | instskip(NEXT) | instid1(VALU_DEP_1)
	v_add_co_u32 v13, s1, 0, v15
	v_add_co_ci_u32_e64 v14, s1, v16, v14, s1
	s_delay_alu instid0(VALU_DEP_1)
	v_dual_mov_b32 v24, v14 :: v_dual_mov_b32 v23, v13
; %bb.93:
	s_or_b32 exec_lo, exec_lo, s3
	v_mov_b32_dpp v13, v15 row_shr:4 row_mask:0xf bank_mask:0xf
	v_mov_b32_dpp v16, v14 row_shr:4 row_mask:0xf bank_mask:0xf
	v_cmp_lt_u32_e64 s1, 3, v43
	s_delay_alu instid0(VALU_DEP_1)
	s_and_saveexec_b32 s4, s1
; %bb.94:
	s_delay_alu instid0(VALU_DEP_3) | instskip(NEXT) | instid1(VALU_DEP_1)
	v_add_co_u32 v15, s3, v23, v13
	v_add_co_ci_u32_e64 v14, s3, 0, v24, s3
	s_delay_alu instid0(VALU_DEP_2) | instskip(NEXT) | instid1(VALU_DEP_1)
	v_add_co_u32 v13, s3, 0, v15
	v_add_co_ci_u32_e64 v14, s3, v16, v14, s3
	s_delay_alu instid0(VALU_DEP_1)
	v_dual_mov_b32 v24, v14 :: v_dual_mov_b32 v23, v13
; %bb.95:
	s_or_b32 exec_lo, exec_lo, s4
	v_mov_b32_dpp v16, v15 row_shr:8 row_mask:0xf bank_mask:0xf
	v_mov_b32_dpp v13, v14 row_shr:8 row_mask:0xf bank_mask:0xf
	v_cmp_lt_u32_e64 s3, 7, v43
	s_delay_alu instid0(VALU_DEP_1)
	s_and_saveexec_b32 s7, s3
; %bb.96:
	s_delay_alu instid0(VALU_DEP_3) | instskip(NEXT) | instid1(VALU_DEP_1)
	v_add_co_u32 v15, s4, v23, v16
	v_add_co_ci_u32_e64 v14, s4, 0, v24, s4
	s_delay_alu instid0(VALU_DEP_2) | instskip(NEXT) | instid1(VALU_DEP_1)
	v_add_co_u32 v23, s4, 0, v15
	v_add_co_ci_u32_e64 v24, s4, v13, v14, s4
	s_delay_alu instid0(VALU_DEP_1)
	v_mov_b32_e32 v14, v24
; %bb.97:
	s_or_b32 exec_lo, exec_lo, s7
	ds_swizzle_b32 v15, v15 offset:swizzle(BROADCAST,32,15)
	ds_swizzle_b32 v13, v14 offset:swizzle(BROADCAST,32,15)
	v_and_b32_e32 v14, 16, v42
	s_mov_b32 s7, exec_lo
	s_delay_alu instid0(VALU_DEP_1)
	v_cmpx_ne_u32_e32 0, v14
	s_cbranch_execz .LBB294_99
; %bb.98:
	s_waitcnt lgkmcnt(1)
	v_add_co_u32 v14, s4, v23, v15
	s_delay_alu instid0(VALU_DEP_1) | instskip(NEXT) | instid1(VALU_DEP_2)
	v_add_co_ci_u32_e64 v15, s4, 0, v24, s4
	v_add_co_u32 v23, s4, v14, 0
	s_waitcnt lgkmcnt(0)
	s_delay_alu instid0(VALU_DEP_2)
	v_add_co_ci_u32_e64 v24, s4, v15, v13, s4
.LBB294_99:
	s_or_b32 exec_lo, exec_lo, s7
	s_waitcnt lgkmcnt(0)
	v_and_b32_e32 v13, 0x1e0, v0
	v_lshrrev_b32_e32 v15, 5, v0
	s_mov_b32 s7, exec_lo
	s_delay_alu instid0(VALU_DEP_2) | instskip(NEXT) | instid1(VALU_DEP_1)
	v_min_u32_e32 v13, 0x160, v13
	v_or_b32_e32 v13, 31, v13
	s_delay_alu instid0(VALU_DEP_1)
	v_cmpx_eq_u32_e64 v13, v0
	s_cbranch_execz .LBB294_101
; %bb.100:
	v_lshlrev_b32_e32 v13, 3, v15
	ds_store_b64 v13, v[23:24]
.LBB294_101:
	s_or_b32 exec_lo, exec_lo, s7
	s_delay_alu instid0(SALU_CYCLE_1)
	s_mov_b32 s7, exec_lo
	s_waitcnt lgkmcnt(0)
	s_barrier
	buffer_gl0_inv
	v_cmpx_gt_u32_e32 12, v0
	s_cbranch_execz .LBB294_111
; %bb.102:
	v_mad_i32_i24 v13, 0xffffffd8, v0, v37
	ds_load_b64 v[13:14], v13
	s_waitcnt lgkmcnt(0)
	v_mov_b32_dpp v18, v13 row_shr:1 row_mask:0xf bank_mask:0xf
	v_mov_b32_dpp v17, v14 row_shr:1 row_mask:0xf bank_mask:0xf
	v_mov_b32_e32 v16, v13
	s_and_saveexec_b32 s4, s0
; %bb.103:
	s_delay_alu instid0(VALU_DEP_3) | instskip(NEXT) | instid1(VALU_DEP_1)
	v_add_co_u32 v16, s0, v13, v18
	v_add_co_ci_u32_e64 v14, s0, 0, v14, s0
	s_delay_alu instid0(VALU_DEP_2) | instskip(NEXT) | instid1(VALU_DEP_1)
	v_add_co_u32 v13, s0, 0, v16
	v_add_co_ci_u32_e64 v14, s0, v17, v14, s0
; %bb.104:
	s_or_b32 exec_lo, exec_lo, s4
	v_mov_b32_dpp v18, v16 row_shr:2 row_mask:0xf bank_mask:0xf
	s_delay_alu instid0(VALU_DEP_2)
	v_mov_b32_dpp v17, v14 row_shr:2 row_mask:0xf bank_mask:0xf
	s_and_saveexec_b32 s0, vcc_lo
; %bb.105:
	s_delay_alu instid0(VALU_DEP_2) | instskip(SKIP_1) | instid1(VALU_DEP_2)
	v_add_co_u32 v16, vcc_lo, v13, v18
	v_add_co_ci_u32_e32 v14, vcc_lo, 0, v14, vcc_lo
	v_add_co_u32 v13, vcc_lo, 0, v16
	s_delay_alu instid0(VALU_DEP_2)
	v_add_co_ci_u32_e32 v14, vcc_lo, v17, v14, vcc_lo
; %bb.106:
	s_or_b32 exec_lo, exec_lo, s0
	v_mov_b32_dpp v18, v16 row_shr:4 row_mask:0xf bank_mask:0xf
	s_delay_alu instid0(VALU_DEP_2)
	v_mov_b32_dpp v17, v14 row_shr:4 row_mask:0xf bank_mask:0xf
	s_and_saveexec_b32 s0, s1
; %bb.107:
	s_delay_alu instid0(VALU_DEP_2) | instskip(SKIP_1) | instid1(VALU_DEP_2)
	v_add_co_u32 v16, vcc_lo, v13, v18
	v_add_co_ci_u32_e32 v14, vcc_lo, 0, v14, vcc_lo
	v_add_co_u32 v13, vcc_lo, 0, v16
	s_delay_alu instid0(VALU_DEP_2)
	v_add_co_ci_u32_e32 v14, vcc_lo, v17, v14, vcc_lo
; %bb.108:
	s_or_b32 exec_lo, exec_lo, s0
	v_mul_i32_i24_e32 v17, 0xffffffd8, v0
	v_mov_b32_dpp v18, v16 row_shr:8 row_mask:0xf bank_mask:0xf
	s_delay_alu instid0(VALU_DEP_3)
	v_mov_b32_dpp v16, v14 row_shr:8 row_mask:0xf bank_mask:0xf
	s_and_saveexec_b32 s0, s3
; %bb.109:
	s_delay_alu instid0(VALU_DEP_2) | instskip(SKIP_1) | instid1(VALU_DEP_2)
	v_add_co_u32 v13, vcc_lo, v13, v18
	v_add_co_ci_u32_e32 v14, vcc_lo, 0, v14, vcc_lo
	v_add_co_u32 v13, vcc_lo, v13, 0
	s_delay_alu instid0(VALU_DEP_2)
	v_add_co_ci_u32_e32 v14, vcc_lo, v14, v16, vcc_lo
; %bb.110:
	s_or_b32 exec_lo, exec_lo, s0
	v_add_nc_u32_e32 v16, v37, v17
	ds_store_b64 v16, v[13:14]
.LBB294_111:
	s_or_b32 exec_lo, exec_lo, s7
	v_mov_b32_e32 v17, 0
	v_mov_b32_e32 v18, 0
	s_mov_b32 s0, exec_lo
	s_waitcnt lgkmcnt(0)
	s_barrier
	buffer_gl0_inv
	v_cmpx_lt_u32_e32 31, v0
	s_cbranch_execz .LBB294_113
; %bb.112:
	v_lshl_add_u32 v13, v15, 3, -8
	ds_load_b64 v[17:18], v13
.LBB294_113:
	s_or_b32 exec_lo, exec_lo, s0
	v_dual_mov_b32 v16, 0 :: v_dual_add_nc_u32 v13, -1, v42
	s_delay_alu instid0(VALU_DEP_1) | instskip(SKIP_4) | instid1(VALU_DEP_3)
	v_cmp_gt_i32_e32 vcc_lo, 0, v13
	v_cndmask_b32_e32 v13, v13, v42, vcc_lo
	s_waitcnt lgkmcnt(0)
	v_add_co_u32 v14, vcc_lo, v17, v23
	v_add_co_ci_u32_e32 v15, vcc_lo, v18, v24, vcc_lo
	v_lshlrev_b32_e32 v13, 2, v13
	ds_bpermute_b32 v19, v13, v14
	ds_bpermute_b32 v20, v13, v15
	ds_load_b64 v[13:14], v16 offset:88
	s_and_saveexec_b32 s0, s2
	s_cbranch_execz .LBB294_115
; %bb.114:
	s_add_u32 s10, s14, 0x200
	s_addc_u32 s11, s15, 0
	s_delay_alu instid0(SALU_CYCLE_1)
	v_dual_mov_b32 v15, 2 :: v_dual_mov_b32 v24, s11
	v_mov_b32_e32 v23, s10
	s_waitcnt lgkmcnt(0)
	;;#ASMSTART
	global_store_dwordx4 v[23:24], v[13:16] off	
s_waitcnt vmcnt(0)
	;;#ASMEND
.LBB294_115:
	s_or_b32 exec_lo, exec_lo, s0
	v_cmp_eq_u32_e32 vcc_lo, 0, v42
	s_waitcnt lgkmcnt(0)
	s_barrier
	buffer_gl0_inv
	v_dual_cndmask_b32 v15, v19, v17 :: v_dual_cndmask_b32 v16, v20, v18
	s_delay_alu instid0(VALU_DEP_1) | instskip(NEXT) | instid1(VALU_DEP_2)
	v_cndmask_b32_e64 v31, v15, 0, s2
	v_cndmask_b32_e64 v32, v16, 0, s2
	v_mov_b32_e32 v15, 0
	v_mov_b32_e32 v16, 0
	s_delay_alu instid0(VALU_DEP_4) | instskip(NEXT) | instid1(VALU_DEP_4)
	v_add_co_u32 v29, vcc_lo, v31, v41
	v_add_co_ci_u32_e32 v30, vcc_lo, 0, v32, vcc_lo
	s_delay_alu instid0(VALU_DEP_2) | instskip(NEXT) | instid1(VALU_DEP_2)
	v_add_co_u32 v27, vcc_lo, v29, v40
	v_add_co_ci_u32_e32 v28, vcc_lo, 0, v30, vcc_lo
	s_delay_alu instid0(VALU_DEP_2) | instskip(NEXT) | instid1(VALU_DEP_2)
	;; [unrolled: 3-line block ×4, first 2 shown]
	v_add_co_u32 v17, vcc_lo, v19, v38
	v_add_co_ci_u32_e32 v18, vcc_lo, 0, v20, vcc_lo
.LBB294_116:
	s_waitcnt lgkmcnt(0)
	v_cmp_gt_u64_e32 vcc_lo, 0x181, v[13:14]
	v_lshrrev_b32_e32 v38, 8, v36
	v_lshrrev_b32_e32 v37, 16, v36
	s_mov_b32 s0, -1
	s_cbranch_vccnz .LBB294_120
; %bb.117:
	s_and_b32 vcc_lo, exec_lo, s0
	s_cbranch_vccnz .LBB294_139
.LBB294_118:
	s_and_b32 s0, s2, s5
	s_delay_alu instid0(SALU_CYCLE_1)
	s_and_saveexec_b32 s1, s0
	s_cbranch_execnz .LBB294_155
.LBB294_119:
	s_nop 0
	s_sendmsg sendmsg(MSG_DEALLOC_VGPRS)
	s_endpgm
.LBB294_120:
	v_add_co_u32 v23, vcc_lo, v15, v13
	v_add_co_ci_u32_e32 v24, vcc_lo, v16, v14, vcc_lo
	v_lshlrev_b64 v[39:40], 3, v[21:22]
	s_delay_alu instid0(VALU_DEP_2) | instskip(NEXT) | instid1(VALU_DEP_2)
	v_cmp_lt_u64_e32 vcc_lo, v[31:32], v[23:24]
	v_add_co_u32 v39, s0, s12, v39
	s_delay_alu instid0(VALU_DEP_1) | instskip(SKIP_1) | instid1(SALU_CYCLE_1)
	v_add_co_ci_u32_e64 v40, s0, s13, v40, s0
	s_or_b32 s1, s6, vcc_lo
	s_and_saveexec_b32 s0, s1
	s_cbranch_execz .LBB294_123
; %bb.121:
	v_and_b32_e32 v41, 1, v36
	s_delay_alu instid0(VALU_DEP_1)
	v_cmp_eq_u32_e32 vcc_lo, 1, v41
	s_and_b32 exec_lo, exec_lo, vcc_lo
	s_cbranch_execz .LBB294_123
; %bb.122:
	v_lshlrev_b64 v[41:42], 3, v[31:32]
	s_delay_alu instid0(VALU_DEP_1) | instskip(NEXT) | instid1(VALU_DEP_2)
	v_add_co_u32 v41, vcc_lo, v39, v41
	v_add_co_ci_u32_e32 v42, vcc_lo, v40, v42, vcc_lo
	global_store_b64 v[41:42], v[9:10], off
.LBB294_123:
	s_or_b32 exec_lo, exec_lo, s0
	v_cmp_lt_u64_e32 vcc_lo, v[29:30], v[23:24]
	s_or_b32 s1, s6, vcc_lo
	s_delay_alu instid0(SALU_CYCLE_1)
	s_and_saveexec_b32 s0, s1
	s_cbranch_execz .LBB294_126
; %bb.124:
	v_and_b32_e32 v32, 1, v38
	s_delay_alu instid0(VALU_DEP_1)
	v_cmp_eq_u32_e32 vcc_lo, 1, v32
	s_and_b32 exec_lo, exec_lo, vcc_lo
	s_cbranch_execz .LBB294_126
; %bb.125:
	v_lshlrev_b64 v[41:42], 3, v[29:30]
	s_delay_alu instid0(VALU_DEP_1) | instskip(NEXT) | instid1(VALU_DEP_2)
	v_add_co_u32 v41, vcc_lo, v39, v41
	v_add_co_ci_u32_e32 v42, vcc_lo, v40, v42, vcc_lo
	global_store_b64 v[41:42], v[11:12], off
.LBB294_126:
	s_or_b32 exec_lo, exec_lo, s0
	v_cmp_lt_u64_e32 vcc_lo, v[27:28], v[23:24]
	s_or_b32 s1, s6, vcc_lo
	s_delay_alu instid0(SALU_CYCLE_1)
	s_and_saveexec_b32 s0, s1
	s_cbranch_execz .LBB294_129
; %bb.127:
	v_and_b32_e32 v30, 1, v37
	s_delay_alu instid0(VALU_DEP_1)
	v_cmp_eq_u32_e32 vcc_lo, 1, v30
	s_and_b32 exec_lo, exec_lo, vcc_lo
	s_cbranch_execz .LBB294_129
; %bb.128:
	v_lshlrev_b64 v[41:42], 3, v[27:28]
	s_delay_alu instid0(VALU_DEP_1) | instskip(NEXT) | instid1(VALU_DEP_2)
	v_add_co_u32 v41, vcc_lo, v39, v41
	v_add_co_ci_u32_e32 v42, vcc_lo, v40, v42, vcc_lo
	global_store_b64 v[41:42], v[5:6], off
.LBB294_129:
	s_or_b32 exec_lo, exec_lo, s0
	v_cmp_lt_u64_e32 vcc_lo, v[25:26], v[23:24]
	s_or_b32 s1, s6, vcc_lo
	s_delay_alu instid0(SALU_CYCLE_1)
	s_and_saveexec_b32 s0, s1
	s_cbranch_execz .LBB294_132
; %bb.130:
	v_and_b32_e32 v28, 1, v35
	s_delay_alu instid0(VALU_DEP_1)
	v_cmp_eq_u32_e32 vcc_lo, 1, v28
	s_and_b32 exec_lo, exec_lo, vcc_lo
	s_cbranch_execz .LBB294_132
; %bb.131:
	v_lshlrev_b64 v[41:42], 3, v[25:26]
	s_delay_alu instid0(VALU_DEP_1) | instskip(NEXT) | instid1(VALU_DEP_2)
	v_add_co_u32 v41, vcc_lo, v39, v41
	v_add_co_ci_u32_e32 v42, vcc_lo, v40, v42, vcc_lo
	global_store_b64 v[41:42], v[7:8], off
.LBB294_132:
	s_or_b32 exec_lo, exec_lo, s0
	v_cmp_lt_u64_e32 vcc_lo, v[19:20], v[23:24]
	s_or_b32 s1, s6, vcc_lo
	s_delay_alu instid0(SALU_CYCLE_1)
	s_and_saveexec_b32 s0, s1
	s_cbranch_execz .LBB294_135
; %bb.133:
	v_and_b32_e32 v26, 1, v34
	s_delay_alu instid0(VALU_DEP_1)
	v_cmp_eq_u32_e32 vcc_lo, 1, v26
	s_and_b32 exec_lo, exec_lo, vcc_lo
	s_cbranch_execz .LBB294_135
; %bb.134:
	v_lshlrev_b64 v[41:42], 3, v[19:20]
	s_delay_alu instid0(VALU_DEP_1) | instskip(NEXT) | instid1(VALU_DEP_2)
	v_add_co_u32 v41, vcc_lo, v39, v41
	v_add_co_ci_u32_e32 v42, vcc_lo, v40, v42, vcc_lo
	global_store_b64 v[41:42], v[1:2], off
.LBB294_135:
	s_or_b32 exec_lo, exec_lo, s0
	v_cmp_lt_u64_e32 vcc_lo, v[17:18], v[23:24]
	s_or_b32 s1, s6, vcc_lo
	s_delay_alu instid0(SALU_CYCLE_1)
	s_and_saveexec_b32 s0, s1
	s_cbranch_execz .LBB294_138
; %bb.136:
	v_and_b32_e32 v20, 1, v33
	s_delay_alu instid0(VALU_DEP_1)
	v_cmp_eq_u32_e32 vcc_lo, 1, v20
	s_and_b32 exec_lo, exec_lo, vcc_lo
	s_cbranch_execz .LBB294_138
; %bb.137:
	v_lshlrev_b64 v[23:24], 3, v[17:18]
	s_delay_alu instid0(VALU_DEP_1) | instskip(NEXT) | instid1(VALU_DEP_2)
	v_add_co_u32 v23, vcc_lo, v39, v23
	v_add_co_ci_u32_e32 v24, vcc_lo, v40, v24, vcc_lo
	global_store_b64 v[23:24], v[3:4], off
.LBB294_138:
	s_or_b32 exec_lo, exec_lo, s0
	s_branch .LBB294_118
.LBB294_139:
	v_and_b32_e32 v18, 1, v36
	s_mov_b32 s0, exec_lo
	s_delay_alu instid0(VALU_DEP_1)
	v_cmpx_eq_u32_e32 1, v18
	s_cbranch_execz .LBB294_141
; %bb.140:
	v_sub_nc_u32_e32 v18, v31, v15
	s_delay_alu instid0(VALU_DEP_1)
	v_lshlrev_b32_e32 v18, 3, v18
	ds_store_b64 v18, v[9:10]
.LBB294_141:
	s_or_b32 exec_lo, exec_lo, s0
	v_and_b32_e32 v9, 1, v38
	s_mov_b32 s0, exec_lo
	s_delay_alu instid0(VALU_DEP_1)
	v_cmpx_eq_u32_e32 1, v9
	s_cbranch_execz .LBB294_143
; %bb.142:
	v_sub_nc_u32_e32 v9, v29, v15
	s_delay_alu instid0(VALU_DEP_1)
	v_lshlrev_b32_e32 v9, 3, v9
	ds_store_b64 v9, v[11:12]
.LBB294_143:
	s_or_b32 exec_lo, exec_lo, s0
	v_and_b32_e32 v9, 1, v37
	s_mov_b32 s0, exec_lo
	s_delay_alu instid0(VALU_DEP_1)
	v_cmpx_eq_u32_e32 1, v9
	s_cbranch_execz .LBB294_145
; %bb.144:
	v_sub_nc_u32_e32 v9, v27, v15
	s_delay_alu instid0(VALU_DEP_1)
	v_lshlrev_b32_e32 v9, 3, v9
	ds_store_b64 v9, v[5:6]
.LBB294_145:
	s_or_b32 exec_lo, exec_lo, s0
	v_and_b32_e32 v5, 1, v35
	s_mov_b32 s0, exec_lo
	s_delay_alu instid0(VALU_DEP_1)
	v_cmpx_eq_u32_e32 1, v5
	s_cbranch_execz .LBB294_147
; %bb.146:
	v_sub_nc_u32_e32 v5, v25, v15
	s_delay_alu instid0(VALU_DEP_1)
	v_lshlrev_b32_e32 v5, 3, v5
	ds_store_b64 v5, v[7:8]
.LBB294_147:
	s_or_b32 exec_lo, exec_lo, s0
	v_and_b32_e32 v5, 1, v34
	s_mov_b32 s0, exec_lo
	s_delay_alu instid0(VALU_DEP_1)
	v_cmpx_eq_u32_e32 1, v5
	s_cbranch_execz .LBB294_149
; %bb.148:
	v_sub_nc_u32_e32 v5, v19, v15
	s_delay_alu instid0(VALU_DEP_1)
	v_lshlrev_b32_e32 v5, 3, v5
	ds_store_b64 v5, v[1:2]
.LBB294_149:
	s_or_b32 exec_lo, exec_lo, s0
	v_and_b32_e32 v1, 1, v33
	s_mov_b32 s0, exec_lo
	s_delay_alu instid0(VALU_DEP_1)
	v_cmpx_eq_u32_e32 1, v1
	s_cbranch_execz .LBB294_151
; %bb.150:
	v_sub_nc_u32_e32 v1, v17, v15
	s_delay_alu instid0(VALU_DEP_1)
	v_lshlrev_b32_e32 v1, 3, v1
	ds_store_b64 v1, v[3:4]
.LBB294_151:
	s_or_b32 exec_lo, exec_lo, s0
	v_mov_b32_e32 v1, 0
	s_mov_b32 s1, exec_lo
	s_waitcnt lgkmcnt(0)
	s_waitcnt_vscnt null, 0x0
	s_barrier
	buffer_gl0_inv
	v_cmpx_gt_u64_e64 v[13:14], v[0:1]
	s_cbranch_execz .LBB294_154
; %bb.152:
	v_lshlrev_b64 v[2:3], 3, v[15:16]
	v_lshlrev_b64 v[4:5], 3, v[21:22]
	s_mov_b32 s3, 0
	s_delay_alu instid0(VALU_DEP_2) | instskip(NEXT) | instid1(VALU_DEP_3)
	v_add_co_u32 v6, vcc_lo, s12, v2
	v_add_co_ci_u32_e32 v7, vcc_lo, s13, v3, vcc_lo
	v_dual_mov_b32 v3, v1 :: v_dual_mov_b32 v2, v0
	s_delay_alu instid0(VALU_DEP_3) | instskip(NEXT) | instid1(VALU_DEP_3)
	v_add_co_u32 v4, vcc_lo, v6, v4
	v_add_co_ci_u32_e32 v5, vcc_lo, v7, v5, vcc_lo
	v_add_nc_u32_e32 v0, 0x180, v0
	.p2align	6
.LBB294_153:                            ; =>This Inner Loop Header: Depth=1
	s_delay_alu instid0(VALU_DEP_4) | instskip(SKIP_2) | instid1(VALU_DEP_4)
	v_lshlrev_b32_e32 v6, 3, v2
	v_lshlrev_b64 v[8:9], 3, v[2:3]
	v_mov_b32_e32 v3, v1
	v_cmp_le_u64_e32 vcc_lo, v[13:14], v[0:1]
	v_mov_b32_e32 v2, v0
	ds_load_b64 v[6:7], v6
	v_add_nc_u32_e32 v0, 0x180, v0
	v_add_co_u32 v8, s0, v4, v8
	s_delay_alu instid0(VALU_DEP_1)
	v_add_co_ci_u32_e64 v9, s0, v5, v9, s0
	s_or_b32 s3, vcc_lo, s3
	s_waitcnt lgkmcnt(0)
	global_store_b64 v[8:9], v[6:7], off
	s_and_not1_b32 exec_lo, exec_lo, s3
	s_cbranch_execnz .LBB294_153
.LBB294_154:
	s_or_b32 exec_lo, exec_lo, s1
	s_and_b32 s0, s2, s5
	s_delay_alu instid0(SALU_CYCLE_1)
	s_and_saveexec_b32 s1, s0
	s_cbranch_execz .LBB294_119
.LBB294_155:
	v_add_co_u32 v0, vcc_lo, v15, v13
	v_add_co_ci_u32_e32 v1, vcc_lo, v16, v14, vcc_lo
	v_mov_b32_e32 v2, 0
	s_delay_alu instid0(VALU_DEP_3) | instskip(NEXT) | instid1(VALU_DEP_3)
	v_add_co_u32 v0, vcc_lo, v0, v21
	v_add_co_ci_u32_e32 v1, vcc_lo, v1, v22, vcc_lo
	global_store_b64 v2, v[0:1], s[8:9]
	s_nop 0
	s_sendmsg sendmsg(MSG_DEALLOC_VGPRS)
	s_endpgm
	.section	.rodata,"a",@progbits
	.p2align	6, 0x0
	.amdhsa_kernel _ZN7rocprim17ROCPRIM_400000_NS6detail17trampoline_kernelINS0_14default_configENS1_25partition_config_selectorILNS1_17partition_subalgoE6EyNS0_10empty_typeEbEEZZNS1_14partition_implILS5_6ELb0ES3_mN6thrust23THRUST_200600_302600_NS6detail15normal_iteratorINSA_10device_ptrIyEEEEPS6_SG_NS0_5tupleIJSF_S6_EEENSH_IJSG_SG_EEES6_PlJ7is_evenIyEEEE10hipError_tPvRmT3_T4_T5_T6_T7_T9_mT8_P12ihipStream_tbDpT10_ENKUlT_T0_E_clISt17integral_constantIbLb0EES15_IbLb1EEEEDaS11_S12_EUlS11_E_NS1_11comp_targetILNS1_3genE9ELNS1_11target_archE1100ELNS1_3gpuE3ELNS1_3repE0EEENS1_30default_config_static_selectorELNS0_4arch9wavefront6targetE0EEEvT1_
		.amdhsa_group_segment_fixed_size 18448
		.amdhsa_private_segment_fixed_size 0
		.amdhsa_kernarg_size 128
		.amdhsa_user_sgpr_count 15
		.amdhsa_user_sgpr_dispatch_ptr 0
		.amdhsa_user_sgpr_queue_ptr 0
		.amdhsa_user_sgpr_kernarg_segment_ptr 1
		.amdhsa_user_sgpr_dispatch_id 0
		.amdhsa_user_sgpr_private_segment_size 0
		.amdhsa_wavefront_size32 1
		.amdhsa_uses_dynamic_stack 0
		.amdhsa_enable_private_segment 0
		.amdhsa_system_sgpr_workgroup_id_x 1
		.amdhsa_system_sgpr_workgroup_id_y 0
		.amdhsa_system_sgpr_workgroup_id_z 0
		.amdhsa_system_sgpr_workgroup_info 0
		.amdhsa_system_vgpr_workitem_id 0
		.amdhsa_next_free_vgpr 56
		.amdhsa_next_free_sgpr 18
		.amdhsa_reserve_vcc 1
		.amdhsa_float_round_mode_32 0
		.amdhsa_float_round_mode_16_64 0
		.amdhsa_float_denorm_mode_32 3
		.amdhsa_float_denorm_mode_16_64 3
		.amdhsa_dx10_clamp 1
		.amdhsa_ieee_mode 1
		.amdhsa_fp16_overflow 0
		.amdhsa_workgroup_processor_mode 1
		.amdhsa_memory_ordered 1
		.amdhsa_forward_progress 0
		.amdhsa_shared_vgpr_count 0
		.amdhsa_exception_fp_ieee_invalid_op 0
		.amdhsa_exception_fp_denorm_src 0
		.amdhsa_exception_fp_ieee_div_zero 0
		.amdhsa_exception_fp_ieee_overflow 0
		.amdhsa_exception_fp_ieee_underflow 0
		.amdhsa_exception_fp_ieee_inexact 0
		.amdhsa_exception_int_div_zero 0
	.end_amdhsa_kernel
	.section	.text._ZN7rocprim17ROCPRIM_400000_NS6detail17trampoline_kernelINS0_14default_configENS1_25partition_config_selectorILNS1_17partition_subalgoE6EyNS0_10empty_typeEbEEZZNS1_14partition_implILS5_6ELb0ES3_mN6thrust23THRUST_200600_302600_NS6detail15normal_iteratorINSA_10device_ptrIyEEEEPS6_SG_NS0_5tupleIJSF_S6_EEENSH_IJSG_SG_EEES6_PlJ7is_evenIyEEEE10hipError_tPvRmT3_T4_T5_T6_T7_T9_mT8_P12ihipStream_tbDpT10_ENKUlT_T0_E_clISt17integral_constantIbLb0EES15_IbLb1EEEEDaS11_S12_EUlS11_E_NS1_11comp_targetILNS1_3genE9ELNS1_11target_archE1100ELNS1_3gpuE3ELNS1_3repE0EEENS1_30default_config_static_selectorELNS0_4arch9wavefront6targetE0EEEvT1_,"axG",@progbits,_ZN7rocprim17ROCPRIM_400000_NS6detail17trampoline_kernelINS0_14default_configENS1_25partition_config_selectorILNS1_17partition_subalgoE6EyNS0_10empty_typeEbEEZZNS1_14partition_implILS5_6ELb0ES3_mN6thrust23THRUST_200600_302600_NS6detail15normal_iteratorINSA_10device_ptrIyEEEEPS6_SG_NS0_5tupleIJSF_S6_EEENSH_IJSG_SG_EEES6_PlJ7is_evenIyEEEE10hipError_tPvRmT3_T4_T5_T6_T7_T9_mT8_P12ihipStream_tbDpT10_ENKUlT_T0_E_clISt17integral_constantIbLb0EES15_IbLb1EEEEDaS11_S12_EUlS11_E_NS1_11comp_targetILNS1_3genE9ELNS1_11target_archE1100ELNS1_3gpuE3ELNS1_3repE0EEENS1_30default_config_static_selectorELNS0_4arch9wavefront6targetE0EEEvT1_,comdat
.Lfunc_end294:
	.size	_ZN7rocprim17ROCPRIM_400000_NS6detail17trampoline_kernelINS0_14default_configENS1_25partition_config_selectorILNS1_17partition_subalgoE6EyNS0_10empty_typeEbEEZZNS1_14partition_implILS5_6ELb0ES3_mN6thrust23THRUST_200600_302600_NS6detail15normal_iteratorINSA_10device_ptrIyEEEEPS6_SG_NS0_5tupleIJSF_S6_EEENSH_IJSG_SG_EEES6_PlJ7is_evenIyEEEE10hipError_tPvRmT3_T4_T5_T6_T7_T9_mT8_P12ihipStream_tbDpT10_ENKUlT_T0_E_clISt17integral_constantIbLb0EES15_IbLb1EEEEDaS11_S12_EUlS11_E_NS1_11comp_targetILNS1_3genE9ELNS1_11target_archE1100ELNS1_3gpuE3ELNS1_3repE0EEENS1_30default_config_static_selectorELNS0_4arch9wavefront6targetE0EEEvT1_, .Lfunc_end294-_ZN7rocprim17ROCPRIM_400000_NS6detail17trampoline_kernelINS0_14default_configENS1_25partition_config_selectorILNS1_17partition_subalgoE6EyNS0_10empty_typeEbEEZZNS1_14partition_implILS5_6ELb0ES3_mN6thrust23THRUST_200600_302600_NS6detail15normal_iteratorINSA_10device_ptrIyEEEEPS6_SG_NS0_5tupleIJSF_S6_EEENSH_IJSG_SG_EEES6_PlJ7is_evenIyEEEE10hipError_tPvRmT3_T4_T5_T6_T7_T9_mT8_P12ihipStream_tbDpT10_ENKUlT_T0_E_clISt17integral_constantIbLb0EES15_IbLb1EEEEDaS11_S12_EUlS11_E_NS1_11comp_targetILNS1_3genE9ELNS1_11target_archE1100ELNS1_3gpuE3ELNS1_3repE0EEENS1_30default_config_static_selectorELNS0_4arch9wavefront6targetE0EEEvT1_
                                        ; -- End function
	.section	.AMDGPU.csdata,"",@progbits
; Kernel info:
; codeLenInByte = 6652
; NumSgprs: 20
; NumVgprs: 56
; ScratchSize: 0
; MemoryBound: 0
; FloatMode: 240
; IeeeMode: 1
; LDSByteSize: 18448 bytes/workgroup (compile time only)
; SGPRBlocks: 2
; VGPRBlocks: 6
; NumSGPRsForWavesPerEU: 20
; NumVGPRsForWavesPerEU: 56
; Occupancy: 15
; WaveLimiterHint : 1
; COMPUTE_PGM_RSRC2:SCRATCH_EN: 0
; COMPUTE_PGM_RSRC2:USER_SGPR: 15
; COMPUTE_PGM_RSRC2:TRAP_HANDLER: 0
; COMPUTE_PGM_RSRC2:TGID_X_EN: 1
; COMPUTE_PGM_RSRC2:TGID_Y_EN: 0
; COMPUTE_PGM_RSRC2:TGID_Z_EN: 0
; COMPUTE_PGM_RSRC2:TIDIG_COMP_CNT: 0
	.section	.text._ZN7rocprim17ROCPRIM_400000_NS6detail17trampoline_kernelINS0_14default_configENS1_25partition_config_selectorILNS1_17partition_subalgoE6EyNS0_10empty_typeEbEEZZNS1_14partition_implILS5_6ELb0ES3_mN6thrust23THRUST_200600_302600_NS6detail15normal_iteratorINSA_10device_ptrIyEEEEPS6_SG_NS0_5tupleIJSF_S6_EEENSH_IJSG_SG_EEES6_PlJ7is_evenIyEEEE10hipError_tPvRmT3_T4_T5_T6_T7_T9_mT8_P12ihipStream_tbDpT10_ENKUlT_T0_E_clISt17integral_constantIbLb0EES15_IbLb1EEEEDaS11_S12_EUlS11_E_NS1_11comp_targetILNS1_3genE8ELNS1_11target_archE1030ELNS1_3gpuE2ELNS1_3repE0EEENS1_30default_config_static_selectorELNS0_4arch9wavefront6targetE0EEEvT1_,"axG",@progbits,_ZN7rocprim17ROCPRIM_400000_NS6detail17trampoline_kernelINS0_14default_configENS1_25partition_config_selectorILNS1_17partition_subalgoE6EyNS0_10empty_typeEbEEZZNS1_14partition_implILS5_6ELb0ES3_mN6thrust23THRUST_200600_302600_NS6detail15normal_iteratorINSA_10device_ptrIyEEEEPS6_SG_NS0_5tupleIJSF_S6_EEENSH_IJSG_SG_EEES6_PlJ7is_evenIyEEEE10hipError_tPvRmT3_T4_T5_T6_T7_T9_mT8_P12ihipStream_tbDpT10_ENKUlT_T0_E_clISt17integral_constantIbLb0EES15_IbLb1EEEEDaS11_S12_EUlS11_E_NS1_11comp_targetILNS1_3genE8ELNS1_11target_archE1030ELNS1_3gpuE2ELNS1_3repE0EEENS1_30default_config_static_selectorELNS0_4arch9wavefront6targetE0EEEvT1_,comdat
	.protected	_ZN7rocprim17ROCPRIM_400000_NS6detail17trampoline_kernelINS0_14default_configENS1_25partition_config_selectorILNS1_17partition_subalgoE6EyNS0_10empty_typeEbEEZZNS1_14partition_implILS5_6ELb0ES3_mN6thrust23THRUST_200600_302600_NS6detail15normal_iteratorINSA_10device_ptrIyEEEEPS6_SG_NS0_5tupleIJSF_S6_EEENSH_IJSG_SG_EEES6_PlJ7is_evenIyEEEE10hipError_tPvRmT3_T4_T5_T6_T7_T9_mT8_P12ihipStream_tbDpT10_ENKUlT_T0_E_clISt17integral_constantIbLb0EES15_IbLb1EEEEDaS11_S12_EUlS11_E_NS1_11comp_targetILNS1_3genE8ELNS1_11target_archE1030ELNS1_3gpuE2ELNS1_3repE0EEENS1_30default_config_static_selectorELNS0_4arch9wavefront6targetE0EEEvT1_ ; -- Begin function _ZN7rocprim17ROCPRIM_400000_NS6detail17trampoline_kernelINS0_14default_configENS1_25partition_config_selectorILNS1_17partition_subalgoE6EyNS0_10empty_typeEbEEZZNS1_14partition_implILS5_6ELb0ES3_mN6thrust23THRUST_200600_302600_NS6detail15normal_iteratorINSA_10device_ptrIyEEEEPS6_SG_NS0_5tupleIJSF_S6_EEENSH_IJSG_SG_EEES6_PlJ7is_evenIyEEEE10hipError_tPvRmT3_T4_T5_T6_T7_T9_mT8_P12ihipStream_tbDpT10_ENKUlT_T0_E_clISt17integral_constantIbLb0EES15_IbLb1EEEEDaS11_S12_EUlS11_E_NS1_11comp_targetILNS1_3genE8ELNS1_11target_archE1030ELNS1_3gpuE2ELNS1_3repE0EEENS1_30default_config_static_selectorELNS0_4arch9wavefront6targetE0EEEvT1_
	.globl	_ZN7rocprim17ROCPRIM_400000_NS6detail17trampoline_kernelINS0_14default_configENS1_25partition_config_selectorILNS1_17partition_subalgoE6EyNS0_10empty_typeEbEEZZNS1_14partition_implILS5_6ELb0ES3_mN6thrust23THRUST_200600_302600_NS6detail15normal_iteratorINSA_10device_ptrIyEEEEPS6_SG_NS0_5tupleIJSF_S6_EEENSH_IJSG_SG_EEES6_PlJ7is_evenIyEEEE10hipError_tPvRmT3_T4_T5_T6_T7_T9_mT8_P12ihipStream_tbDpT10_ENKUlT_T0_E_clISt17integral_constantIbLb0EES15_IbLb1EEEEDaS11_S12_EUlS11_E_NS1_11comp_targetILNS1_3genE8ELNS1_11target_archE1030ELNS1_3gpuE2ELNS1_3repE0EEENS1_30default_config_static_selectorELNS0_4arch9wavefront6targetE0EEEvT1_
	.p2align	8
	.type	_ZN7rocprim17ROCPRIM_400000_NS6detail17trampoline_kernelINS0_14default_configENS1_25partition_config_selectorILNS1_17partition_subalgoE6EyNS0_10empty_typeEbEEZZNS1_14partition_implILS5_6ELb0ES3_mN6thrust23THRUST_200600_302600_NS6detail15normal_iteratorINSA_10device_ptrIyEEEEPS6_SG_NS0_5tupleIJSF_S6_EEENSH_IJSG_SG_EEES6_PlJ7is_evenIyEEEE10hipError_tPvRmT3_T4_T5_T6_T7_T9_mT8_P12ihipStream_tbDpT10_ENKUlT_T0_E_clISt17integral_constantIbLb0EES15_IbLb1EEEEDaS11_S12_EUlS11_E_NS1_11comp_targetILNS1_3genE8ELNS1_11target_archE1030ELNS1_3gpuE2ELNS1_3repE0EEENS1_30default_config_static_selectorELNS0_4arch9wavefront6targetE0EEEvT1_,@function
_ZN7rocprim17ROCPRIM_400000_NS6detail17trampoline_kernelINS0_14default_configENS1_25partition_config_selectorILNS1_17partition_subalgoE6EyNS0_10empty_typeEbEEZZNS1_14partition_implILS5_6ELb0ES3_mN6thrust23THRUST_200600_302600_NS6detail15normal_iteratorINSA_10device_ptrIyEEEEPS6_SG_NS0_5tupleIJSF_S6_EEENSH_IJSG_SG_EEES6_PlJ7is_evenIyEEEE10hipError_tPvRmT3_T4_T5_T6_T7_T9_mT8_P12ihipStream_tbDpT10_ENKUlT_T0_E_clISt17integral_constantIbLb0EES15_IbLb1EEEEDaS11_S12_EUlS11_E_NS1_11comp_targetILNS1_3genE8ELNS1_11target_archE1030ELNS1_3gpuE2ELNS1_3repE0EEENS1_30default_config_static_selectorELNS0_4arch9wavefront6targetE0EEEvT1_: ; @_ZN7rocprim17ROCPRIM_400000_NS6detail17trampoline_kernelINS0_14default_configENS1_25partition_config_selectorILNS1_17partition_subalgoE6EyNS0_10empty_typeEbEEZZNS1_14partition_implILS5_6ELb0ES3_mN6thrust23THRUST_200600_302600_NS6detail15normal_iteratorINSA_10device_ptrIyEEEEPS6_SG_NS0_5tupleIJSF_S6_EEENSH_IJSG_SG_EEES6_PlJ7is_evenIyEEEE10hipError_tPvRmT3_T4_T5_T6_T7_T9_mT8_P12ihipStream_tbDpT10_ENKUlT_T0_E_clISt17integral_constantIbLb0EES15_IbLb1EEEEDaS11_S12_EUlS11_E_NS1_11comp_targetILNS1_3genE8ELNS1_11target_archE1030ELNS1_3gpuE2ELNS1_3repE0EEENS1_30default_config_static_selectorELNS0_4arch9wavefront6targetE0EEEvT1_
; %bb.0:
	.section	.rodata,"a",@progbits
	.p2align	6, 0x0
	.amdhsa_kernel _ZN7rocprim17ROCPRIM_400000_NS6detail17trampoline_kernelINS0_14default_configENS1_25partition_config_selectorILNS1_17partition_subalgoE6EyNS0_10empty_typeEbEEZZNS1_14partition_implILS5_6ELb0ES3_mN6thrust23THRUST_200600_302600_NS6detail15normal_iteratorINSA_10device_ptrIyEEEEPS6_SG_NS0_5tupleIJSF_S6_EEENSH_IJSG_SG_EEES6_PlJ7is_evenIyEEEE10hipError_tPvRmT3_T4_T5_T6_T7_T9_mT8_P12ihipStream_tbDpT10_ENKUlT_T0_E_clISt17integral_constantIbLb0EES15_IbLb1EEEEDaS11_S12_EUlS11_E_NS1_11comp_targetILNS1_3genE8ELNS1_11target_archE1030ELNS1_3gpuE2ELNS1_3repE0EEENS1_30default_config_static_selectorELNS0_4arch9wavefront6targetE0EEEvT1_
		.amdhsa_group_segment_fixed_size 0
		.amdhsa_private_segment_fixed_size 0
		.amdhsa_kernarg_size 128
		.amdhsa_user_sgpr_count 15
		.amdhsa_user_sgpr_dispatch_ptr 0
		.amdhsa_user_sgpr_queue_ptr 0
		.amdhsa_user_sgpr_kernarg_segment_ptr 1
		.amdhsa_user_sgpr_dispatch_id 0
		.amdhsa_user_sgpr_private_segment_size 0
		.amdhsa_wavefront_size32 1
		.amdhsa_uses_dynamic_stack 0
		.amdhsa_enable_private_segment 0
		.amdhsa_system_sgpr_workgroup_id_x 1
		.amdhsa_system_sgpr_workgroup_id_y 0
		.amdhsa_system_sgpr_workgroup_id_z 0
		.amdhsa_system_sgpr_workgroup_info 0
		.amdhsa_system_vgpr_workitem_id 0
		.amdhsa_next_free_vgpr 1
		.amdhsa_next_free_sgpr 1
		.amdhsa_reserve_vcc 0
		.amdhsa_float_round_mode_32 0
		.amdhsa_float_round_mode_16_64 0
		.amdhsa_float_denorm_mode_32 3
		.amdhsa_float_denorm_mode_16_64 3
		.amdhsa_dx10_clamp 1
		.amdhsa_ieee_mode 1
		.amdhsa_fp16_overflow 0
		.amdhsa_workgroup_processor_mode 1
		.amdhsa_memory_ordered 1
		.amdhsa_forward_progress 0
		.amdhsa_shared_vgpr_count 0
		.amdhsa_exception_fp_ieee_invalid_op 0
		.amdhsa_exception_fp_denorm_src 0
		.amdhsa_exception_fp_ieee_div_zero 0
		.amdhsa_exception_fp_ieee_overflow 0
		.amdhsa_exception_fp_ieee_underflow 0
		.amdhsa_exception_fp_ieee_inexact 0
		.amdhsa_exception_int_div_zero 0
	.end_amdhsa_kernel
	.section	.text._ZN7rocprim17ROCPRIM_400000_NS6detail17trampoline_kernelINS0_14default_configENS1_25partition_config_selectorILNS1_17partition_subalgoE6EyNS0_10empty_typeEbEEZZNS1_14partition_implILS5_6ELb0ES3_mN6thrust23THRUST_200600_302600_NS6detail15normal_iteratorINSA_10device_ptrIyEEEEPS6_SG_NS0_5tupleIJSF_S6_EEENSH_IJSG_SG_EEES6_PlJ7is_evenIyEEEE10hipError_tPvRmT3_T4_T5_T6_T7_T9_mT8_P12ihipStream_tbDpT10_ENKUlT_T0_E_clISt17integral_constantIbLb0EES15_IbLb1EEEEDaS11_S12_EUlS11_E_NS1_11comp_targetILNS1_3genE8ELNS1_11target_archE1030ELNS1_3gpuE2ELNS1_3repE0EEENS1_30default_config_static_selectorELNS0_4arch9wavefront6targetE0EEEvT1_,"axG",@progbits,_ZN7rocprim17ROCPRIM_400000_NS6detail17trampoline_kernelINS0_14default_configENS1_25partition_config_selectorILNS1_17partition_subalgoE6EyNS0_10empty_typeEbEEZZNS1_14partition_implILS5_6ELb0ES3_mN6thrust23THRUST_200600_302600_NS6detail15normal_iteratorINSA_10device_ptrIyEEEEPS6_SG_NS0_5tupleIJSF_S6_EEENSH_IJSG_SG_EEES6_PlJ7is_evenIyEEEE10hipError_tPvRmT3_T4_T5_T6_T7_T9_mT8_P12ihipStream_tbDpT10_ENKUlT_T0_E_clISt17integral_constantIbLb0EES15_IbLb1EEEEDaS11_S12_EUlS11_E_NS1_11comp_targetILNS1_3genE8ELNS1_11target_archE1030ELNS1_3gpuE2ELNS1_3repE0EEENS1_30default_config_static_selectorELNS0_4arch9wavefront6targetE0EEEvT1_,comdat
.Lfunc_end295:
	.size	_ZN7rocprim17ROCPRIM_400000_NS6detail17trampoline_kernelINS0_14default_configENS1_25partition_config_selectorILNS1_17partition_subalgoE6EyNS0_10empty_typeEbEEZZNS1_14partition_implILS5_6ELb0ES3_mN6thrust23THRUST_200600_302600_NS6detail15normal_iteratorINSA_10device_ptrIyEEEEPS6_SG_NS0_5tupleIJSF_S6_EEENSH_IJSG_SG_EEES6_PlJ7is_evenIyEEEE10hipError_tPvRmT3_T4_T5_T6_T7_T9_mT8_P12ihipStream_tbDpT10_ENKUlT_T0_E_clISt17integral_constantIbLb0EES15_IbLb1EEEEDaS11_S12_EUlS11_E_NS1_11comp_targetILNS1_3genE8ELNS1_11target_archE1030ELNS1_3gpuE2ELNS1_3repE0EEENS1_30default_config_static_selectorELNS0_4arch9wavefront6targetE0EEEvT1_, .Lfunc_end295-_ZN7rocprim17ROCPRIM_400000_NS6detail17trampoline_kernelINS0_14default_configENS1_25partition_config_selectorILNS1_17partition_subalgoE6EyNS0_10empty_typeEbEEZZNS1_14partition_implILS5_6ELb0ES3_mN6thrust23THRUST_200600_302600_NS6detail15normal_iteratorINSA_10device_ptrIyEEEEPS6_SG_NS0_5tupleIJSF_S6_EEENSH_IJSG_SG_EEES6_PlJ7is_evenIyEEEE10hipError_tPvRmT3_T4_T5_T6_T7_T9_mT8_P12ihipStream_tbDpT10_ENKUlT_T0_E_clISt17integral_constantIbLb0EES15_IbLb1EEEEDaS11_S12_EUlS11_E_NS1_11comp_targetILNS1_3genE8ELNS1_11target_archE1030ELNS1_3gpuE2ELNS1_3repE0EEENS1_30default_config_static_selectorELNS0_4arch9wavefront6targetE0EEEvT1_
                                        ; -- End function
	.section	.AMDGPU.csdata,"",@progbits
; Kernel info:
; codeLenInByte = 0
; NumSgprs: 0
; NumVgprs: 0
; ScratchSize: 0
; MemoryBound: 0
; FloatMode: 240
; IeeeMode: 1
; LDSByteSize: 0 bytes/workgroup (compile time only)
; SGPRBlocks: 0
; VGPRBlocks: 0
; NumSGPRsForWavesPerEU: 1
; NumVGPRsForWavesPerEU: 1
; Occupancy: 16
; WaveLimiterHint : 0
; COMPUTE_PGM_RSRC2:SCRATCH_EN: 0
; COMPUTE_PGM_RSRC2:USER_SGPR: 15
; COMPUTE_PGM_RSRC2:TRAP_HANDLER: 0
; COMPUTE_PGM_RSRC2:TGID_X_EN: 1
; COMPUTE_PGM_RSRC2:TGID_Y_EN: 0
; COMPUTE_PGM_RSRC2:TGID_Z_EN: 0
; COMPUTE_PGM_RSRC2:TIDIG_COMP_CNT: 0
	.section	.text._ZN7rocprim17ROCPRIM_400000_NS6detail17trampoline_kernelINS0_14default_configENS1_25partition_config_selectorILNS1_17partition_subalgoE6EjNS0_10empty_typeEbEEZZNS1_14partition_implILS5_6ELb0ES3_mN6thrust23THRUST_200600_302600_NS6detail15normal_iteratorINSA_10device_ptrIjEEEEPS6_SG_NS0_5tupleIJSF_S6_EEENSH_IJSG_SG_EEES6_PlJ7is_evenIjEEEE10hipError_tPvRmT3_T4_T5_T6_T7_T9_mT8_P12ihipStream_tbDpT10_ENKUlT_T0_E_clISt17integral_constantIbLb0EES16_EEDaS11_S12_EUlS11_E_NS1_11comp_targetILNS1_3genE0ELNS1_11target_archE4294967295ELNS1_3gpuE0ELNS1_3repE0EEENS1_30default_config_static_selectorELNS0_4arch9wavefront6targetE0EEEvT1_,"axG",@progbits,_ZN7rocprim17ROCPRIM_400000_NS6detail17trampoline_kernelINS0_14default_configENS1_25partition_config_selectorILNS1_17partition_subalgoE6EjNS0_10empty_typeEbEEZZNS1_14partition_implILS5_6ELb0ES3_mN6thrust23THRUST_200600_302600_NS6detail15normal_iteratorINSA_10device_ptrIjEEEEPS6_SG_NS0_5tupleIJSF_S6_EEENSH_IJSG_SG_EEES6_PlJ7is_evenIjEEEE10hipError_tPvRmT3_T4_T5_T6_T7_T9_mT8_P12ihipStream_tbDpT10_ENKUlT_T0_E_clISt17integral_constantIbLb0EES16_EEDaS11_S12_EUlS11_E_NS1_11comp_targetILNS1_3genE0ELNS1_11target_archE4294967295ELNS1_3gpuE0ELNS1_3repE0EEENS1_30default_config_static_selectorELNS0_4arch9wavefront6targetE0EEEvT1_,comdat
	.protected	_ZN7rocprim17ROCPRIM_400000_NS6detail17trampoline_kernelINS0_14default_configENS1_25partition_config_selectorILNS1_17partition_subalgoE6EjNS0_10empty_typeEbEEZZNS1_14partition_implILS5_6ELb0ES3_mN6thrust23THRUST_200600_302600_NS6detail15normal_iteratorINSA_10device_ptrIjEEEEPS6_SG_NS0_5tupleIJSF_S6_EEENSH_IJSG_SG_EEES6_PlJ7is_evenIjEEEE10hipError_tPvRmT3_T4_T5_T6_T7_T9_mT8_P12ihipStream_tbDpT10_ENKUlT_T0_E_clISt17integral_constantIbLb0EES16_EEDaS11_S12_EUlS11_E_NS1_11comp_targetILNS1_3genE0ELNS1_11target_archE4294967295ELNS1_3gpuE0ELNS1_3repE0EEENS1_30default_config_static_selectorELNS0_4arch9wavefront6targetE0EEEvT1_ ; -- Begin function _ZN7rocprim17ROCPRIM_400000_NS6detail17trampoline_kernelINS0_14default_configENS1_25partition_config_selectorILNS1_17partition_subalgoE6EjNS0_10empty_typeEbEEZZNS1_14partition_implILS5_6ELb0ES3_mN6thrust23THRUST_200600_302600_NS6detail15normal_iteratorINSA_10device_ptrIjEEEEPS6_SG_NS0_5tupleIJSF_S6_EEENSH_IJSG_SG_EEES6_PlJ7is_evenIjEEEE10hipError_tPvRmT3_T4_T5_T6_T7_T9_mT8_P12ihipStream_tbDpT10_ENKUlT_T0_E_clISt17integral_constantIbLb0EES16_EEDaS11_S12_EUlS11_E_NS1_11comp_targetILNS1_3genE0ELNS1_11target_archE4294967295ELNS1_3gpuE0ELNS1_3repE0EEENS1_30default_config_static_selectorELNS0_4arch9wavefront6targetE0EEEvT1_
	.globl	_ZN7rocprim17ROCPRIM_400000_NS6detail17trampoline_kernelINS0_14default_configENS1_25partition_config_selectorILNS1_17partition_subalgoE6EjNS0_10empty_typeEbEEZZNS1_14partition_implILS5_6ELb0ES3_mN6thrust23THRUST_200600_302600_NS6detail15normal_iteratorINSA_10device_ptrIjEEEEPS6_SG_NS0_5tupleIJSF_S6_EEENSH_IJSG_SG_EEES6_PlJ7is_evenIjEEEE10hipError_tPvRmT3_T4_T5_T6_T7_T9_mT8_P12ihipStream_tbDpT10_ENKUlT_T0_E_clISt17integral_constantIbLb0EES16_EEDaS11_S12_EUlS11_E_NS1_11comp_targetILNS1_3genE0ELNS1_11target_archE4294967295ELNS1_3gpuE0ELNS1_3repE0EEENS1_30default_config_static_selectorELNS0_4arch9wavefront6targetE0EEEvT1_
	.p2align	8
	.type	_ZN7rocprim17ROCPRIM_400000_NS6detail17trampoline_kernelINS0_14default_configENS1_25partition_config_selectorILNS1_17partition_subalgoE6EjNS0_10empty_typeEbEEZZNS1_14partition_implILS5_6ELb0ES3_mN6thrust23THRUST_200600_302600_NS6detail15normal_iteratorINSA_10device_ptrIjEEEEPS6_SG_NS0_5tupleIJSF_S6_EEENSH_IJSG_SG_EEES6_PlJ7is_evenIjEEEE10hipError_tPvRmT3_T4_T5_T6_T7_T9_mT8_P12ihipStream_tbDpT10_ENKUlT_T0_E_clISt17integral_constantIbLb0EES16_EEDaS11_S12_EUlS11_E_NS1_11comp_targetILNS1_3genE0ELNS1_11target_archE4294967295ELNS1_3gpuE0ELNS1_3repE0EEENS1_30default_config_static_selectorELNS0_4arch9wavefront6targetE0EEEvT1_,@function
_ZN7rocprim17ROCPRIM_400000_NS6detail17trampoline_kernelINS0_14default_configENS1_25partition_config_selectorILNS1_17partition_subalgoE6EjNS0_10empty_typeEbEEZZNS1_14partition_implILS5_6ELb0ES3_mN6thrust23THRUST_200600_302600_NS6detail15normal_iteratorINSA_10device_ptrIjEEEEPS6_SG_NS0_5tupleIJSF_S6_EEENSH_IJSG_SG_EEES6_PlJ7is_evenIjEEEE10hipError_tPvRmT3_T4_T5_T6_T7_T9_mT8_P12ihipStream_tbDpT10_ENKUlT_T0_E_clISt17integral_constantIbLb0EES16_EEDaS11_S12_EUlS11_E_NS1_11comp_targetILNS1_3genE0ELNS1_11target_archE4294967295ELNS1_3gpuE0ELNS1_3repE0EEENS1_30default_config_static_selectorELNS0_4arch9wavefront6targetE0EEEvT1_: ; @_ZN7rocprim17ROCPRIM_400000_NS6detail17trampoline_kernelINS0_14default_configENS1_25partition_config_selectorILNS1_17partition_subalgoE6EjNS0_10empty_typeEbEEZZNS1_14partition_implILS5_6ELb0ES3_mN6thrust23THRUST_200600_302600_NS6detail15normal_iteratorINSA_10device_ptrIjEEEEPS6_SG_NS0_5tupleIJSF_S6_EEENSH_IJSG_SG_EEES6_PlJ7is_evenIjEEEE10hipError_tPvRmT3_T4_T5_T6_T7_T9_mT8_P12ihipStream_tbDpT10_ENKUlT_T0_E_clISt17integral_constantIbLb0EES16_EEDaS11_S12_EUlS11_E_NS1_11comp_targetILNS1_3genE0ELNS1_11target_archE4294967295ELNS1_3gpuE0ELNS1_3repE0EEENS1_30default_config_static_selectorELNS0_4arch9wavefront6targetE0EEEvT1_
; %bb.0:
	.section	.rodata,"a",@progbits
	.p2align	6, 0x0
	.amdhsa_kernel _ZN7rocprim17ROCPRIM_400000_NS6detail17trampoline_kernelINS0_14default_configENS1_25partition_config_selectorILNS1_17partition_subalgoE6EjNS0_10empty_typeEbEEZZNS1_14partition_implILS5_6ELb0ES3_mN6thrust23THRUST_200600_302600_NS6detail15normal_iteratorINSA_10device_ptrIjEEEEPS6_SG_NS0_5tupleIJSF_S6_EEENSH_IJSG_SG_EEES6_PlJ7is_evenIjEEEE10hipError_tPvRmT3_T4_T5_T6_T7_T9_mT8_P12ihipStream_tbDpT10_ENKUlT_T0_E_clISt17integral_constantIbLb0EES16_EEDaS11_S12_EUlS11_E_NS1_11comp_targetILNS1_3genE0ELNS1_11target_archE4294967295ELNS1_3gpuE0ELNS1_3repE0EEENS1_30default_config_static_selectorELNS0_4arch9wavefront6targetE0EEEvT1_
		.amdhsa_group_segment_fixed_size 0
		.amdhsa_private_segment_fixed_size 0
		.amdhsa_kernarg_size 112
		.amdhsa_user_sgpr_count 15
		.amdhsa_user_sgpr_dispatch_ptr 0
		.amdhsa_user_sgpr_queue_ptr 0
		.amdhsa_user_sgpr_kernarg_segment_ptr 1
		.amdhsa_user_sgpr_dispatch_id 0
		.amdhsa_user_sgpr_private_segment_size 0
		.amdhsa_wavefront_size32 1
		.amdhsa_uses_dynamic_stack 0
		.amdhsa_enable_private_segment 0
		.amdhsa_system_sgpr_workgroup_id_x 1
		.amdhsa_system_sgpr_workgroup_id_y 0
		.amdhsa_system_sgpr_workgroup_id_z 0
		.amdhsa_system_sgpr_workgroup_info 0
		.amdhsa_system_vgpr_workitem_id 0
		.amdhsa_next_free_vgpr 1
		.amdhsa_next_free_sgpr 1
		.amdhsa_reserve_vcc 0
		.amdhsa_float_round_mode_32 0
		.amdhsa_float_round_mode_16_64 0
		.amdhsa_float_denorm_mode_32 3
		.amdhsa_float_denorm_mode_16_64 3
		.amdhsa_dx10_clamp 1
		.amdhsa_ieee_mode 1
		.amdhsa_fp16_overflow 0
		.amdhsa_workgroup_processor_mode 1
		.amdhsa_memory_ordered 1
		.amdhsa_forward_progress 0
		.amdhsa_shared_vgpr_count 0
		.amdhsa_exception_fp_ieee_invalid_op 0
		.amdhsa_exception_fp_denorm_src 0
		.amdhsa_exception_fp_ieee_div_zero 0
		.amdhsa_exception_fp_ieee_overflow 0
		.amdhsa_exception_fp_ieee_underflow 0
		.amdhsa_exception_fp_ieee_inexact 0
		.amdhsa_exception_int_div_zero 0
	.end_amdhsa_kernel
	.section	.text._ZN7rocprim17ROCPRIM_400000_NS6detail17trampoline_kernelINS0_14default_configENS1_25partition_config_selectorILNS1_17partition_subalgoE6EjNS0_10empty_typeEbEEZZNS1_14partition_implILS5_6ELb0ES3_mN6thrust23THRUST_200600_302600_NS6detail15normal_iteratorINSA_10device_ptrIjEEEEPS6_SG_NS0_5tupleIJSF_S6_EEENSH_IJSG_SG_EEES6_PlJ7is_evenIjEEEE10hipError_tPvRmT3_T4_T5_T6_T7_T9_mT8_P12ihipStream_tbDpT10_ENKUlT_T0_E_clISt17integral_constantIbLb0EES16_EEDaS11_S12_EUlS11_E_NS1_11comp_targetILNS1_3genE0ELNS1_11target_archE4294967295ELNS1_3gpuE0ELNS1_3repE0EEENS1_30default_config_static_selectorELNS0_4arch9wavefront6targetE0EEEvT1_,"axG",@progbits,_ZN7rocprim17ROCPRIM_400000_NS6detail17trampoline_kernelINS0_14default_configENS1_25partition_config_selectorILNS1_17partition_subalgoE6EjNS0_10empty_typeEbEEZZNS1_14partition_implILS5_6ELb0ES3_mN6thrust23THRUST_200600_302600_NS6detail15normal_iteratorINSA_10device_ptrIjEEEEPS6_SG_NS0_5tupleIJSF_S6_EEENSH_IJSG_SG_EEES6_PlJ7is_evenIjEEEE10hipError_tPvRmT3_T4_T5_T6_T7_T9_mT8_P12ihipStream_tbDpT10_ENKUlT_T0_E_clISt17integral_constantIbLb0EES16_EEDaS11_S12_EUlS11_E_NS1_11comp_targetILNS1_3genE0ELNS1_11target_archE4294967295ELNS1_3gpuE0ELNS1_3repE0EEENS1_30default_config_static_selectorELNS0_4arch9wavefront6targetE0EEEvT1_,comdat
.Lfunc_end296:
	.size	_ZN7rocprim17ROCPRIM_400000_NS6detail17trampoline_kernelINS0_14default_configENS1_25partition_config_selectorILNS1_17partition_subalgoE6EjNS0_10empty_typeEbEEZZNS1_14partition_implILS5_6ELb0ES3_mN6thrust23THRUST_200600_302600_NS6detail15normal_iteratorINSA_10device_ptrIjEEEEPS6_SG_NS0_5tupleIJSF_S6_EEENSH_IJSG_SG_EEES6_PlJ7is_evenIjEEEE10hipError_tPvRmT3_T4_T5_T6_T7_T9_mT8_P12ihipStream_tbDpT10_ENKUlT_T0_E_clISt17integral_constantIbLb0EES16_EEDaS11_S12_EUlS11_E_NS1_11comp_targetILNS1_3genE0ELNS1_11target_archE4294967295ELNS1_3gpuE0ELNS1_3repE0EEENS1_30default_config_static_selectorELNS0_4arch9wavefront6targetE0EEEvT1_, .Lfunc_end296-_ZN7rocprim17ROCPRIM_400000_NS6detail17trampoline_kernelINS0_14default_configENS1_25partition_config_selectorILNS1_17partition_subalgoE6EjNS0_10empty_typeEbEEZZNS1_14partition_implILS5_6ELb0ES3_mN6thrust23THRUST_200600_302600_NS6detail15normal_iteratorINSA_10device_ptrIjEEEEPS6_SG_NS0_5tupleIJSF_S6_EEENSH_IJSG_SG_EEES6_PlJ7is_evenIjEEEE10hipError_tPvRmT3_T4_T5_T6_T7_T9_mT8_P12ihipStream_tbDpT10_ENKUlT_T0_E_clISt17integral_constantIbLb0EES16_EEDaS11_S12_EUlS11_E_NS1_11comp_targetILNS1_3genE0ELNS1_11target_archE4294967295ELNS1_3gpuE0ELNS1_3repE0EEENS1_30default_config_static_selectorELNS0_4arch9wavefront6targetE0EEEvT1_
                                        ; -- End function
	.section	.AMDGPU.csdata,"",@progbits
; Kernel info:
; codeLenInByte = 0
; NumSgprs: 0
; NumVgprs: 0
; ScratchSize: 0
; MemoryBound: 0
; FloatMode: 240
; IeeeMode: 1
; LDSByteSize: 0 bytes/workgroup (compile time only)
; SGPRBlocks: 0
; VGPRBlocks: 0
; NumSGPRsForWavesPerEU: 1
; NumVGPRsForWavesPerEU: 1
; Occupancy: 16
; WaveLimiterHint : 0
; COMPUTE_PGM_RSRC2:SCRATCH_EN: 0
; COMPUTE_PGM_RSRC2:USER_SGPR: 15
; COMPUTE_PGM_RSRC2:TRAP_HANDLER: 0
; COMPUTE_PGM_RSRC2:TGID_X_EN: 1
; COMPUTE_PGM_RSRC2:TGID_Y_EN: 0
; COMPUTE_PGM_RSRC2:TGID_Z_EN: 0
; COMPUTE_PGM_RSRC2:TIDIG_COMP_CNT: 0
	.section	.text._ZN7rocprim17ROCPRIM_400000_NS6detail17trampoline_kernelINS0_14default_configENS1_25partition_config_selectorILNS1_17partition_subalgoE6EjNS0_10empty_typeEbEEZZNS1_14partition_implILS5_6ELb0ES3_mN6thrust23THRUST_200600_302600_NS6detail15normal_iteratorINSA_10device_ptrIjEEEEPS6_SG_NS0_5tupleIJSF_S6_EEENSH_IJSG_SG_EEES6_PlJ7is_evenIjEEEE10hipError_tPvRmT3_T4_T5_T6_T7_T9_mT8_P12ihipStream_tbDpT10_ENKUlT_T0_E_clISt17integral_constantIbLb0EES16_EEDaS11_S12_EUlS11_E_NS1_11comp_targetILNS1_3genE5ELNS1_11target_archE942ELNS1_3gpuE9ELNS1_3repE0EEENS1_30default_config_static_selectorELNS0_4arch9wavefront6targetE0EEEvT1_,"axG",@progbits,_ZN7rocprim17ROCPRIM_400000_NS6detail17trampoline_kernelINS0_14default_configENS1_25partition_config_selectorILNS1_17partition_subalgoE6EjNS0_10empty_typeEbEEZZNS1_14partition_implILS5_6ELb0ES3_mN6thrust23THRUST_200600_302600_NS6detail15normal_iteratorINSA_10device_ptrIjEEEEPS6_SG_NS0_5tupleIJSF_S6_EEENSH_IJSG_SG_EEES6_PlJ7is_evenIjEEEE10hipError_tPvRmT3_T4_T5_T6_T7_T9_mT8_P12ihipStream_tbDpT10_ENKUlT_T0_E_clISt17integral_constantIbLb0EES16_EEDaS11_S12_EUlS11_E_NS1_11comp_targetILNS1_3genE5ELNS1_11target_archE942ELNS1_3gpuE9ELNS1_3repE0EEENS1_30default_config_static_selectorELNS0_4arch9wavefront6targetE0EEEvT1_,comdat
	.protected	_ZN7rocprim17ROCPRIM_400000_NS6detail17trampoline_kernelINS0_14default_configENS1_25partition_config_selectorILNS1_17partition_subalgoE6EjNS0_10empty_typeEbEEZZNS1_14partition_implILS5_6ELb0ES3_mN6thrust23THRUST_200600_302600_NS6detail15normal_iteratorINSA_10device_ptrIjEEEEPS6_SG_NS0_5tupleIJSF_S6_EEENSH_IJSG_SG_EEES6_PlJ7is_evenIjEEEE10hipError_tPvRmT3_T4_T5_T6_T7_T9_mT8_P12ihipStream_tbDpT10_ENKUlT_T0_E_clISt17integral_constantIbLb0EES16_EEDaS11_S12_EUlS11_E_NS1_11comp_targetILNS1_3genE5ELNS1_11target_archE942ELNS1_3gpuE9ELNS1_3repE0EEENS1_30default_config_static_selectorELNS0_4arch9wavefront6targetE0EEEvT1_ ; -- Begin function _ZN7rocprim17ROCPRIM_400000_NS6detail17trampoline_kernelINS0_14default_configENS1_25partition_config_selectorILNS1_17partition_subalgoE6EjNS0_10empty_typeEbEEZZNS1_14partition_implILS5_6ELb0ES3_mN6thrust23THRUST_200600_302600_NS6detail15normal_iteratorINSA_10device_ptrIjEEEEPS6_SG_NS0_5tupleIJSF_S6_EEENSH_IJSG_SG_EEES6_PlJ7is_evenIjEEEE10hipError_tPvRmT3_T4_T5_T6_T7_T9_mT8_P12ihipStream_tbDpT10_ENKUlT_T0_E_clISt17integral_constantIbLb0EES16_EEDaS11_S12_EUlS11_E_NS1_11comp_targetILNS1_3genE5ELNS1_11target_archE942ELNS1_3gpuE9ELNS1_3repE0EEENS1_30default_config_static_selectorELNS0_4arch9wavefront6targetE0EEEvT1_
	.globl	_ZN7rocprim17ROCPRIM_400000_NS6detail17trampoline_kernelINS0_14default_configENS1_25partition_config_selectorILNS1_17partition_subalgoE6EjNS0_10empty_typeEbEEZZNS1_14partition_implILS5_6ELb0ES3_mN6thrust23THRUST_200600_302600_NS6detail15normal_iteratorINSA_10device_ptrIjEEEEPS6_SG_NS0_5tupleIJSF_S6_EEENSH_IJSG_SG_EEES6_PlJ7is_evenIjEEEE10hipError_tPvRmT3_T4_T5_T6_T7_T9_mT8_P12ihipStream_tbDpT10_ENKUlT_T0_E_clISt17integral_constantIbLb0EES16_EEDaS11_S12_EUlS11_E_NS1_11comp_targetILNS1_3genE5ELNS1_11target_archE942ELNS1_3gpuE9ELNS1_3repE0EEENS1_30default_config_static_selectorELNS0_4arch9wavefront6targetE0EEEvT1_
	.p2align	8
	.type	_ZN7rocprim17ROCPRIM_400000_NS6detail17trampoline_kernelINS0_14default_configENS1_25partition_config_selectorILNS1_17partition_subalgoE6EjNS0_10empty_typeEbEEZZNS1_14partition_implILS5_6ELb0ES3_mN6thrust23THRUST_200600_302600_NS6detail15normal_iteratorINSA_10device_ptrIjEEEEPS6_SG_NS0_5tupleIJSF_S6_EEENSH_IJSG_SG_EEES6_PlJ7is_evenIjEEEE10hipError_tPvRmT3_T4_T5_T6_T7_T9_mT8_P12ihipStream_tbDpT10_ENKUlT_T0_E_clISt17integral_constantIbLb0EES16_EEDaS11_S12_EUlS11_E_NS1_11comp_targetILNS1_3genE5ELNS1_11target_archE942ELNS1_3gpuE9ELNS1_3repE0EEENS1_30default_config_static_selectorELNS0_4arch9wavefront6targetE0EEEvT1_,@function
_ZN7rocprim17ROCPRIM_400000_NS6detail17trampoline_kernelINS0_14default_configENS1_25partition_config_selectorILNS1_17partition_subalgoE6EjNS0_10empty_typeEbEEZZNS1_14partition_implILS5_6ELb0ES3_mN6thrust23THRUST_200600_302600_NS6detail15normal_iteratorINSA_10device_ptrIjEEEEPS6_SG_NS0_5tupleIJSF_S6_EEENSH_IJSG_SG_EEES6_PlJ7is_evenIjEEEE10hipError_tPvRmT3_T4_T5_T6_T7_T9_mT8_P12ihipStream_tbDpT10_ENKUlT_T0_E_clISt17integral_constantIbLb0EES16_EEDaS11_S12_EUlS11_E_NS1_11comp_targetILNS1_3genE5ELNS1_11target_archE942ELNS1_3gpuE9ELNS1_3repE0EEENS1_30default_config_static_selectorELNS0_4arch9wavefront6targetE0EEEvT1_: ; @_ZN7rocprim17ROCPRIM_400000_NS6detail17trampoline_kernelINS0_14default_configENS1_25partition_config_selectorILNS1_17partition_subalgoE6EjNS0_10empty_typeEbEEZZNS1_14partition_implILS5_6ELb0ES3_mN6thrust23THRUST_200600_302600_NS6detail15normal_iteratorINSA_10device_ptrIjEEEEPS6_SG_NS0_5tupleIJSF_S6_EEENSH_IJSG_SG_EEES6_PlJ7is_evenIjEEEE10hipError_tPvRmT3_T4_T5_T6_T7_T9_mT8_P12ihipStream_tbDpT10_ENKUlT_T0_E_clISt17integral_constantIbLb0EES16_EEDaS11_S12_EUlS11_E_NS1_11comp_targetILNS1_3genE5ELNS1_11target_archE942ELNS1_3gpuE9ELNS1_3repE0EEENS1_30default_config_static_selectorELNS0_4arch9wavefront6targetE0EEEvT1_
; %bb.0:
	.section	.rodata,"a",@progbits
	.p2align	6, 0x0
	.amdhsa_kernel _ZN7rocprim17ROCPRIM_400000_NS6detail17trampoline_kernelINS0_14default_configENS1_25partition_config_selectorILNS1_17partition_subalgoE6EjNS0_10empty_typeEbEEZZNS1_14partition_implILS5_6ELb0ES3_mN6thrust23THRUST_200600_302600_NS6detail15normal_iteratorINSA_10device_ptrIjEEEEPS6_SG_NS0_5tupleIJSF_S6_EEENSH_IJSG_SG_EEES6_PlJ7is_evenIjEEEE10hipError_tPvRmT3_T4_T5_T6_T7_T9_mT8_P12ihipStream_tbDpT10_ENKUlT_T0_E_clISt17integral_constantIbLb0EES16_EEDaS11_S12_EUlS11_E_NS1_11comp_targetILNS1_3genE5ELNS1_11target_archE942ELNS1_3gpuE9ELNS1_3repE0EEENS1_30default_config_static_selectorELNS0_4arch9wavefront6targetE0EEEvT1_
		.amdhsa_group_segment_fixed_size 0
		.amdhsa_private_segment_fixed_size 0
		.amdhsa_kernarg_size 112
		.amdhsa_user_sgpr_count 15
		.amdhsa_user_sgpr_dispatch_ptr 0
		.amdhsa_user_sgpr_queue_ptr 0
		.amdhsa_user_sgpr_kernarg_segment_ptr 1
		.amdhsa_user_sgpr_dispatch_id 0
		.amdhsa_user_sgpr_private_segment_size 0
		.amdhsa_wavefront_size32 1
		.amdhsa_uses_dynamic_stack 0
		.amdhsa_enable_private_segment 0
		.amdhsa_system_sgpr_workgroup_id_x 1
		.amdhsa_system_sgpr_workgroup_id_y 0
		.amdhsa_system_sgpr_workgroup_id_z 0
		.amdhsa_system_sgpr_workgroup_info 0
		.amdhsa_system_vgpr_workitem_id 0
		.amdhsa_next_free_vgpr 1
		.amdhsa_next_free_sgpr 1
		.amdhsa_reserve_vcc 0
		.amdhsa_float_round_mode_32 0
		.amdhsa_float_round_mode_16_64 0
		.amdhsa_float_denorm_mode_32 3
		.amdhsa_float_denorm_mode_16_64 3
		.amdhsa_dx10_clamp 1
		.amdhsa_ieee_mode 1
		.amdhsa_fp16_overflow 0
		.amdhsa_workgroup_processor_mode 1
		.amdhsa_memory_ordered 1
		.amdhsa_forward_progress 0
		.amdhsa_shared_vgpr_count 0
		.amdhsa_exception_fp_ieee_invalid_op 0
		.amdhsa_exception_fp_denorm_src 0
		.amdhsa_exception_fp_ieee_div_zero 0
		.amdhsa_exception_fp_ieee_overflow 0
		.amdhsa_exception_fp_ieee_underflow 0
		.amdhsa_exception_fp_ieee_inexact 0
		.amdhsa_exception_int_div_zero 0
	.end_amdhsa_kernel
	.section	.text._ZN7rocprim17ROCPRIM_400000_NS6detail17trampoline_kernelINS0_14default_configENS1_25partition_config_selectorILNS1_17partition_subalgoE6EjNS0_10empty_typeEbEEZZNS1_14partition_implILS5_6ELb0ES3_mN6thrust23THRUST_200600_302600_NS6detail15normal_iteratorINSA_10device_ptrIjEEEEPS6_SG_NS0_5tupleIJSF_S6_EEENSH_IJSG_SG_EEES6_PlJ7is_evenIjEEEE10hipError_tPvRmT3_T4_T5_T6_T7_T9_mT8_P12ihipStream_tbDpT10_ENKUlT_T0_E_clISt17integral_constantIbLb0EES16_EEDaS11_S12_EUlS11_E_NS1_11comp_targetILNS1_3genE5ELNS1_11target_archE942ELNS1_3gpuE9ELNS1_3repE0EEENS1_30default_config_static_selectorELNS0_4arch9wavefront6targetE0EEEvT1_,"axG",@progbits,_ZN7rocprim17ROCPRIM_400000_NS6detail17trampoline_kernelINS0_14default_configENS1_25partition_config_selectorILNS1_17partition_subalgoE6EjNS0_10empty_typeEbEEZZNS1_14partition_implILS5_6ELb0ES3_mN6thrust23THRUST_200600_302600_NS6detail15normal_iteratorINSA_10device_ptrIjEEEEPS6_SG_NS0_5tupleIJSF_S6_EEENSH_IJSG_SG_EEES6_PlJ7is_evenIjEEEE10hipError_tPvRmT3_T4_T5_T6_T7_T9_mT8_P12ihipStream_tbDpT10_ENKUlT_T0_E_clISt17integral_constantIbLb0EES16_EEDaS11_S12_EUlS11_E_NS1_11comp_targetILNS1_3genE5ELNS1_11target_archE942ELNS1_3gpuE9ELNS1_3repE0EEENS1_30default_config_static_selectorELNS0_4arch9wavefront6targetE0EEEvT1_,comdat
.Lfunc_end297:
	.size	_ZN7rocprim17ROCPRIM_400000_NS6detail17trampoline_kernelINS0_14default_configENS1_25partition_config_selectorILNS1_17partition_subalgoE6EjNS0_10empty_typeEbEEZZNS1_14partition_implILS5_6ELb0ES3_mN6thrust23THRUST_200600_302600_NS6detail15normal_iteratorINSA_10device_ptrIjEEEEPS6_SG_NS0_5tupleIJSF_S6_EEENSH_IJSG_SG_EEES6_PlJ7is_evenIjEEEE10hipError_tPvRmT3_T4_T5_T6_T7_T9_mT8_P12ihipStream_tbDpT10_ENKUlT_T0_E_clISt17integral_constantIbLb0EES16_EEDaS11_S12_EUlS11_E_NS1_11comp_targetILNS1_3genE5ELNS1_11target_archE942ELNS1_3gpuE9ELNS1_3repE0EEENS1_30default_config_static_selectorELNS0_4arch9wavefront6targetE0EEEvT1_, .Lfunc_end297-_ZN7rocprim17ROCPRIM_400000_NS6detail17trampoline_kernelINS0_14default_configENS1_25partition_config_selectorILNS1_17partition_subalgoE6EjNS0_10empty_typeEbEEZZNS1_14partition_implILS5_6ELb0ES3_mN6thrust23THRUST_200600_302600_NS6detail15normal_iteratorINSA_10device_ptrIjEEEEPS6_SG_NS0_5tupleIJSF_S6_EEENSH_IJSG_SG_EEES6_PlJ7is_evenIjEEEE10hipError_tPvRmT3_T4_T5_T6_T7_T9_mT8_P12ihipStream_tbDpT10_ENKUlT_T0_E_clISt17integral_constantIbLb0EES16_EEDaS11_S12_EUlS11_E_NS1_11comp_targetILNS1_3genE5ELNS1_11target_archE942ELNS1_3gpuE9ELNS1_3repE0EEENS1_30default_config_static_selectorELNS0_4arch9wavefront6targetE0EEEvT1_
                                        ; -- End function
	.section	.AMDGPU.csdata,"",@progbits
; Kernel info:
; codeLenInByte = 0
; NumSgprs: 0
; NumVgprs: 0
; ScratchSize: 0
; MemoryBound: 0
; FloatMode: 240
; IeeeMode: 1
; LDSByteSize: 0 bytes/workgroup (compile time only)
; SGPRBlocks: 0
; VGPRBlocks: 0
; NumSGPRsForWavesPerEU: 1
; NumVGPRsForWavesPerEU: 1
; Occupancy: 16
; WaveLimiterHint : 0
; COMPUTE_PGM_RSRC2:SCRATCH_EN: 0
; COMPUTE_PGM_RSRC2:USER_SGPR: 15
; COMPUTE_PGM_RSRC2:TRAP_HANDLER: 0
; COMPUTE_PGM_RSRC2:TGID_X_EN: 1
; COMPUTE_PGM_RSRC2:TGID_Y_EN: 0
; COMPUTE_PGM_RSRC2:TGID_Z_EN: 0
; COMPUTE_PGM_RSRC2:TIDIG_COMP_CNT: 0
	.section	.text._ZN7rocprim17ROCPRIM_400000_NS6detail17trampoline_kernelINS0_14default_configENS1_25partition_config_selectorILNS1_17partition_subalgoE6EjNS0_10empty_typeEbEEZZNS1_14partition_implILS5_6ELb0ES3_mN6thrust23THRUST_200600_302600_NS6detail15normal_iteratorINSA_10device_ptrIjEEEEPS6_SG_NS0_5tupleIJSF_S6_EEENSH_IJSG_SG_EEES6_PlJ7is_evenIjEEEE10hipError_tPvRmT3_T4_T5_T6_T7_T9_mT8_P12ihipStream_tbDpT10_ENKUlT_T0_E_clISt17integral_constantIbLb0EES16_EEDaS11_S12_EUlS11_E_NS1_11comp_targetILNS1_3genE4ELNS1_11target_archE910ELNS1_3gpuE8ELNS1_3repE0EEENS1_30default_config_static_selectorELNS0_4arch9wavefront6targetE0EEEvT1_,"axG",@progbits,_ZN7rocprim17ROCPRIM_400000_NS6detail17trampoline_kernelINS0_14default_configENS1_25partition_config_selectorILNS1_17partition_subalgoE6EjNS0_10empty_typeEbEEZZNS1_14partition_implILS5_6ELb0ES3_mN6thrust23THRUST_200600_302600_NS6detail15normal_iteratorINSA_10device_ptrIjEEEEPS6_SG_NS0_5tupleIJSF_S6_EEENSH_IJSG_SG_EEES6_PlJ7is_evenIjEEEE10hipError_tPvRmT3_T4_T5_T6_T7_T9_mT8_P12ihipStream_tbDpT10_ENKUlT_T0_E_clISt17integral_constantIbLb0EES16_EEDaS11_S12_EUlS11_E_NS1_11comp_targetILNS1_3genE4ELNS1_11target_archE910ELNS1_3gpuE8ELNS1_3repE0EEENS1_30default_config_static_selectorELNS0_4arch9wavefront6targetE0EEEvT1_,comdat
	.protected	_ZN7rocprim17ROCPRIM_400000_NS6detail17trampoline_kernelINS0_14default_configENS1_25partition_config_selectorILNS1_17partition_subalgoE6EjNS0_10empty_typeEbEEZZNS1_14partition_implILS5_6ELb0ES3_mN6thrust23THRUST_200600_302600_NS6detail15normal_iteratorINSA_10device_ptrIjEEEEPS6_SG_NS0_5tupleIJSF_S6_EEENSH_IJSG_SG_EEES6_PlJ7is_evenIjEEEE10hipError_tPvRmT3_T4_T5_T6_T7_T9_mT8_P12ihipStream_tbDpT10_ENKUlT_T0_E_clISt17integral_constantIbLb0EES16_EEDaS11_S12_EUlS11_E_NS1_11comp_targetILNS1_3genE4ELNS1_11target_archE910ELNS1_3gpuE8ELNS1_3repE0EEENS1_30default_config_static_selectorELNS0_4arch9wavefront6targetE0EEEvT1_ ; -- Begin function _ZN7rocprim17ROCPRIM_400000_NS6detail17trampoline_kernelINS0_14default_configENS1_25partition_config_selectorILNS1_17partition_subalgoE6EjNS0_10empty_typeEbEEZZNS1_14partition_implILS5_6ELb0ES3_mN6thrust23THRUST_200600_302600_NS6detail15normal_iteratorINSA_10device_ptrIjEEEEPS6_SG_NS0_5tupleIJSF_S6_EEENSH_IJSG_SG_EEES6_PlJ7is_evenIjEEEE10hipError_tPvRmT3_T4_T5_T6_T7_T9_mT8_P12ihipStream_tbDpT10_ENKUlT_T0_E_clISt17integral_constantIbLb0EES16_EEDaS11_S12_EUlS11_E_NS1_11comp_targetILNS1_3genE4ELNS1_11target_archE910ELNS1_3gpuE8ELNS1_3repE0EEENS1_30default_config_static_selectorELNS0_4arch9wavefront6targetE0EEEvT1_
	.globl	_ZN7rocprim17ROCPRIM_400000_NS6detail17trampoline_kernelINS0_14default_configENS1_25partition_config_selectorILNS1_17partition_subalgoE6EjNS0_10empty_typeEbEEZZNS1_14partition_implILS5_6ELb0ES3_mN6thrust23THRUST_200600_302600_NS6detail15normal_iteratorINSA_10device_ptrIjEEEEPS6_SG_NS0_5tupleIJSF_S6_EEENSH_IJSG_SG_EEES6_PlJ7is_evenIjEEEE10hipError_tPvRmT3_T4_T5_T6_T7_T9_mT8_P12ihipStream_tbDpT10_ENKUlT_T0_E_clISt17integral_constantIbLb0EES16_EEDaS11_S12_EUlS11_E_NS1_11comp_targetILNS1_3genE4ELNS1_11target_archE910ELNS1_3gpuE8ELNS1_3repE0EEENS1_30default_config_static_selectorELNS0_4arch9wavefront6targetE0EEEvT1_
	.p2align	8
	.type	_ZN7rocprim17ROCPRIM_400000_NS6detail17trampoline_kernelINS0_14default_configENS1_25partition_config_selectorILNS1_17partition_subalgoE6EjNS0_10empty_typeEbEEZZNS1_14partition_implILS5_6ELb0ES3_mN6thrust23THRUST_200600_302600_NS6detail15normal_iteratorINSA_10device_ptrIjEEEEPS6_SG_NS0_5tupleIJSF_S6_EEENSH_IJSG_SG_EEES6_PlJ7is_evenIjEEEE10hipError_tPvRmT3_T4_T5_T6_T7_T9_mT8_P12ihipStream_tbDpT10_ENKUlT_T0_E_clISt17integral_constantIbLb0EES16_EEDaS11_S12_EUlS11_E_NS1_11comp_targetILNS1_3genE4ELNS1_11target_archE910ELNS1_3gpuE8ELNS1_3repE0EEENS1_30default_config_static_selectorELNS0_4arch9wavefront6targetE0EEEvT1_,@function
_ZN7rocprim17ROCPRIM_400000_NS6detail17trampoline_kernelINS0_14default_configENS1_25partition_config_selectorILNS1_17partition_subalgoE6EjNS0_10empty_typeEbEEZZNS1_14partition_implILS5_6ELb0ES3_mN6thrust23THRUST_200600_302600_NS6detail15normal_iteratorINSA_10device_ptrIjEEEEPS6_SG_NS0_5tupleIJSF_S6_EEENSH_IJSG_SG_EEES6_PlJ7is_evenIjEEEE10hipError_tPvRmT3_T4_T5_T6_T7_T9_mT8_P12ihipStream_tbDpT10_ENKUlT_T0_E_clISt17integral_constantIbLb0EES16_EEDaS11_S12_EUlS11_E_NS1_11comp_targetILNS1_3genE4ELNS1_11target_archE910ELNS1_3gpuE8ELNS1_3repE0EEENS1_30default_config_static_selectorELNS0_4arch9wavefront6targetE0EEEvT1_: ; @_ZN7rocprim17ROCPRIM_400000_NS6detail17trampoline_kernelINS0_14default_configENS1_25partition_config_selectorILNS1_17partition_subalgoE6EjNS0_10empty_typeEbEEZZNS1_14partition_implILS5_6ELb0ES3_mN6thrust23THRUST_200600_302600_NS6detail15normal_iteratorINSA_10device_ptrIjEEEEPS6_SG_NS0_5tupleIJSF_S6_EEENSH_IJSG_SG_EEES6_PlJ7is_evenIjEEEE10hipError_tPvRmT3_T4_T5_T6_T7_T9_mT8_P12ihipStream_tbDpT10_ENKUlT_T0_E_clISt17integral_constantIbLb0EES16_EEDaS11_S12_EUlS11_E_NS1_11comp_targetILNS1_3genE4ELNS1_11target_archE910ELNS1_3gpuE8ELNS1_3repE0EEENS1_30default_config_static_selectorELNS0_4arch9wavefront6targetE0EEEvT1_
; %bb.0:
	.section	.rodata,"a",@progbits
	.p2align	6, 0x0
	.amdhsa_kernel _ZN7rocprim17ROCPRIM_400000_NS6detail17trampoline_kernelINS0_14default_configENS1_25partition_config_selectorILNS1_17partition_subalgoE6EjNS0_10empty_typeEbEEZZNS1_14partition_implILS5_6ELb0ES3_mN6thrust23THRUST_200600_302600_NS6detail15normal_iteratorINSA_10device_ptrIjEEEEPS6_SG_NS0_5tupleIJSF_S6_EEENSH_IJSG_SG_EEES6_PlJ7is_evenIjEEEE10hipError_tPvRmT3_T4_T5_T6_T7_T9_mT8_P12ihipStream_tbDpT10_ENKUlT_T0_E_clISt17integral_constantIbLb0EES16_EEDaS11_S12_EUlS11_E_NS1_11comp_targetILNS1_3genE4ELNS1_11target_archE910ELNS1_3gpuE8ELNS1_3repE0EEENS1_30default_config_static_selectorELNS0_4arch9wavefront6targetE0EEEvT1_
		.amdhsa_group_segment_fixed_size 0
		.amdhsa_private_segment_fixed_size 0
		.amdhsa_kernarg_size 112
		.amdhsa_user_sgpr_count 15
		.amdhsa_user_sgpr_dispatch_ptr 0
		.amdhsa_user_sgpr_queue_ptr 0
		.amdhsa_user_sgpr_kernarg_segment_ptr 1
		.amdhsa_user_sgpr_dispatch_id 0
		.amdhsa_user_sgpr_private_segment_size 0
		.amdhsa_wavefront_size32 1
		.amdhsa_uses_dynamic_stack 0
		.amdhsa_enable_private_segment 0
		.amdhsa_system_sgpr_workgroup_id_x 1
		.amdhsa_system_sgpr_workgroup_id_y 0
		.amdhsa_system_sgpr_workgroup_id_z 0
		.amdhsa_system_sgpr_workgroup_info 0
		.amdhsa_system_vgpr_workitem_id 0
		.amdhsa_next_free_vgpr 1
		.amdhsa_next_free_sgpr 1
		.amdhsa_reserve_vcc 0
		.amdhsa_float_round_mode_32 0
		.amdhsa_float_round_mode_16_64 0
		.amdhsa_float_denorm_mode_32 3
		.amdhsa_float_denorm_mode_16_64 3
		.amdhsa_dx10_clamp 1
		.amdhsa_ieee_mode 1
		.amdhsa_fp16_overflow 0
		.amdhsa_workgroup_processor_mode 1
		.amdhsa_memory_ordered 1
		.amdhsa_forward_progress 0
		.amdhsa_shared_vgpr_count 0
		.amdhsa_exception_fp_ieee_invalid_op 0
		.amdhsa_exception_fp_denorm_src 0
		.amdhsa_exception_fp_ieee_div_zero 0
		.amdhsa_exception_fp_ieee_overflow 0
		.amdhsa_exception_fp_ieee_underflow 0
		.amdhsa_exception_fp_ieee_inexact 0
		.amdhsa_exception_int_div_zero 0
	.end_amdhsa_kernel
	.section	.text._ZN7rocprim17ROCPRIM_400000_NS6detail17trampoline_kernelINS0_14default_configENS1_25partition_config_selectorILNS1_17partition_subalgoE6EjNS0_10empty_typeEbEEZZNS1_14partition_implILS5_6ELb0ES3_mN6thrust23THRUST_200600_302600_NS6detail15normal_iteratorINSA_10device_ptrIjEEEEPS6_SG_NS0_5tupleIJSF_S6_EEENSH_IJSG_SG_EEES6_PlJ7is_evenIjEEEE10hipError_tPvRmT3_T4_T5_T6_T7_T9_mT8_P12ihipStream_tbDpT10_ENKUlT_T0_E_clISt17integral_constantIbLb0EES16_EEDaS11_S12_EUlS11_E_NS1_11comp_targetILNS1_3genE4ELNS1_11target_archE910ELNS1_3gpuE8ELNS1_3repE0EEENS1_30default_config_static_selectorELNS0_4arch9wavefront6targetE0EEEvT1_,"axG",@progbits,_ZN7rocprim17ROCPRIM_400000_NS6detail17trampoline_kernelINS0_14default_configENS1_25partition_config_selectorILNS1_17partition_subalgoE6EjNS0_10empty_typeEbEEZZNS1_14partition_implILS5_6ELb0ES3_mN6thrust23THRUST_200600_302600_NS6detail15normal_iteratorINSA_10device_ptrIjEEEEPS6_SG_NS0_5tupleIJSF_S6_EEENSH_IJSG_SG_EEES6_PlJ7is_evenIjEEEE10hipError_tPvRmT3_T4_T5_T6_T7_T9_mT8_P12ihipStream_tbDpT10_ENKUlT_T0_E_clISt17integral_constantIbLb0EES16_EEDaS11_S12_EUlS11_E_NS1_11comp_targetILNS1_3genE4ELNS1_11target_archE910ELNS1_3gpuE8ELNS1_3repE0EEENS1_30default_config_static_selectorELNS0_4arch9wavefront6targetE0EEEvT1_,comdat
.Lfunc_end298:
	.size	_ZN7rocprim17ROCPRIM_400000_NS6detail17trampoline_kernelINS0_14default_configENS1_25partition_config_selectorILNS1_17partition_subalgoE6EjNS0_10empty_typeEbEEZZNS1_14partition_implILS5_6ELb0ES3_mN6thrust23THRUST_200600_302600_NS6detail15normal_iteratorINSA_10device_ptrIjEEEEPS6_SG_NS0_5tupleIJSF_S6_EEENSH_IJSG_SG_EEES6_PlJ7is_evenIjEEEE10hipError_tPvRmT3_T4_T5_T6_T7_T9_mT8_P12ihipStream_tbDpT10_ENKUlT_T0_E_clISt17integral_constantIbLb0EES16_EEDaS11_S12_EUlS11_E_NS1_11comp_targetILNS1_3genE4ELNS1_11target_archE910ELNS1_3gpuE8ELNS1_3repE0EEENS1_30default_config_static_selectorELNS0_4arch9wavefront6targetE0EEEvT1_, .Lfunc_end298-_ZN7rocprim17ROCPRIM_400000_NS6detail17trampoline_kernelINS0_14default_configENS1_25partition_config_selectorILNS1_17partition_subalgoE6EjNS0_10empty_typeEbEEZZNS1_14partition_implILS5_6ELb0ES3_mN6thrust23THRUST_200600_302600_NS6detail15normal_iteratorINSA_10device_ptrIjEEEEPS6_SG_NS0_5tupleIJSF_S6_EEENSH_IJSG_SG_EEES6_PlJ7is_evenIjEEEE10hipError_tPvRmT3_T4_T5_T6_T7_T9_mT8_P12ihipStream_tbDpT10_ENKUlT_T0_E_clISt17integral_constantIbLb0EES16_EEDaS11_S12_EUlS11_E_NS1_11comp_targetILNS1_3genE4ELNS1_11target_archE910ELNS1_3gpuE8ELNS1_3repE0EEENS1_30default_config_static_selectorELNS0_4arch9wavefront6targetE0EEEvT1_
                                        ; -- End function
	.section	.AMDGPU.csdata,"",@progbits
; Kernel info:
; codeLenInByte = 0
; NumSgprs: 0
; NumVgprs: 0
; ScratchSize: 0
; MemoryBound: 0
; FloatMode: 240
; IeeeMode: 1
; LDSByteSize: 0 bytes/workgroup (compile time only)
; SGPRBlocks: 0
; VGPRBlocks: 0
; NumSGPRsForWavesPerEU: 1
; NumVGPRsForWavesPerEU: 1
; Occupancy: 16
; WaveLimiterHint : 0
; COMPUTE_PGM_RSRC2:SCRATCH_EN: 0
; COMPUTE_PGM_RSRC2:USER_SGPR: 15
; COMPUTE_PGM_RSRC2:TRAP_HANDLER: 0
; COMPUTE_PGM_RSRC2:TGID_X_EN: 1
; COMPUTE_PGM_RSRC2:TGID_Y_EN: 0
; COMPUTE_PGM_RSRC2:TGID_Z_EN: 0
; COMPUTE_PGM_RSRC2:TIDIG_COMP_CNT: 0
	.section	.text._ZN7rocprim17ROCPRIM_400000_NS6detail17trampoline_kernelINS0_14default_configENS1_25partition_config_selectorILNS1_17partition_subalgoE6EjNS0_10empty_typeEbEEZZNS1_14partition_implILS5_6ELb0ES3_mN6thrust23THRUST_200600_302600_NS6detail15normal_iteratorINSA_10device_ptrIjEEEEPS6_SG_NS0_5tupleIJSF_S6_EEENSH_IJSG_SG_EEES6_PlJ7is_evenIjEEEE10hipError_tPvRmT3_T4_T5_T6_T7_T9_mT8_P12ihipStream_tbDpT10_ENKUlT_T0_E_clISt17integral_constantIbLb0EES16_EEDaS11_S12_EUlS11_E_NS1_11comp_targetILNS1_3genE3ELNS1_11target_archE908ELNS1_3gpuE7ELNS1_3repE0EEENS1_30default_config_static_selectorELNS0_4arch9wavefront6targetE0EEEvT1_,"axG",@progbits,_ZN7rocprim17ROCPRIM_400000_NS6detail17trampoline_kernelINS0_14default_configENS1_25partition_config_selectorILNS1_17partition_subalgoE6EjNS0_10empty_typeEbEEZZNS1_14partition_implILS5_6ELb0ES3_mN6thrust23THRUST_200600_302600_NS6detail15normal_iteratorINSA_10device_ptrIjEEEEPS6_SG_NS0_5tupleIJSF_S6_EEENSH_IJSG_SG_EEES6_PlJ7is_evenIjEEEE10hipError_tPvRmT3_T4_T5_T6_T7_T9_mT8_P12ihipStream_tbDpT10_ENKUlT_T0_E_clISt17integral_constantIbLb0EES16_EEDaS11_S12_EUlS11_E_NS1_11comp_targetILNS1_3genE3ELNS1_11target_archE908ELNS1_3gpuE7ELNS1_3repE0EEENS1_30default_config_static_selectorELNS0_4arch9wavefront6targetE0EEEvT1_,comdat
	.protected	_ZN7rocprim17ROCPRIM_400000_NS6detail17trampoline_kernelINS0_14default_configENS1_25partition_config_selectorILNS1_17partition_subalgoE6EjNS0_10empty_typeEbEEZZNS1_14partition_implILS5_6ELb0ES3_mN6thrust23THRUST_200600_302600_NS6detail15normal_iteratorINSA_10device_ptrIjEEEEPS6_SG_NS0_5tupleIJSF_S6_EEENSH_IJSG_SG_EEES6_PlJ7is_evenIjEEEE10hipError_tPvRmT3_T4_T5_T6_T7_T9_mT8_P12ihipStream_tbDpT10_ENKUlT_T0_E_clISt17integral_constantIbLb0EES16_EEDaS11_S12_EUlS11_E_NS1_11comp_targetILNS1_3genE3ELNS1_11target_archE908ELNS1_3gpuE7ELNS1_3repE0EEENS1_30default_config_static_selectorELNS0_4arch9wavefront6targetE0EEEvT1_ ; -- Begin function _ZN7rocprim17ROCPRIM_400000_NS6detail17trampoline_kernelINS0_14default_configENS1_25partition_config_selectorILNS1_17partition_subalgoE6EjNS0_10empty_typeEbEEZZNS1_14partition_implILS5_6ELb0ES3_mN6thrust23THRUST_200600_302600_NS6detail15normal_iteratorINSA_10device_ptrIjEEEEPS6_SG_NS0_5tupleIJSF_S6_EEENSH_IJSG_SG_EEES6_PlJ7is_evenIjEEEE10hipError_tPvRmT3_T4_T5_T6_T7_T9_mT8_P12ihipStream_tbDpT10_ENKUlT_T0_E_clISt17integral_constantIbLb0EES16_EEDaS11_S12_EUlS11_E_NS1_11comp_targetILNS1_3genE3ELNS1_11target_archE908ELNS1_3gpuE7ELNS1_3repE0EEENS1_30default_config_static_selectorELNS0_4arch9wavefront6targetE0EEEvT1_
	.globl	_ZN7rocprim17ROCPRIM_400000_NS6detail17trampoline_kernelINS0_14default_configENS1_25partition_config_selectorILNS1_17partition_subalgoE6EjNS0_10empty_typeEbEEZZNS1_14partition_implILS5_6ELb0ES3_mN6thrust23THRUST_200600_302600_NS6detail15normal_iteratorINSA_10device_ptrIjEEEEPS6_SG_NS0_5tupleIJSF_S6_EEENSH_IJSG_SG_EEES6_PlJ7is_evenIjEEEE10hipError_tPvRmT3_T4_T5_T6_T7_T9_mT8_P12ihipStream_tbDpT10_ENKUlT_T0_E_clISt17integral_constantIbLb0EES16_EEDaS11_S12_EUlS11_E_NS1_11comp_targetILNS1_3genE3ELNS1_11target_archE908ELNS1_3gpuE7ELNS1_3repE0EEENS1_30default_config_static_selectorELNS0_4arch9wavefront6targetE0EEEvT1_
	.p2align	8
	.type	_ZN7rocprim17ROCPRIM_400000_NS6detail17trampoline_kernelINS0_14default_configENS1_25partition_config_selectorILNS1_17partition_subalgoE6EjNS0_10empty_typeEbEEZZNS1_14partition_implILS5_6ELb0ES3_mN6thrust23THRUST_200600_302600_NS6detail15normal_iteratorINSA_10device_ptrIjEEEEPS6_SG_NS0_5tupleIJSF_S6_EEENSH_IJSG_SG_EEES6_PlJ7is_evenIjEEEE10hipError_tPvRmT3_T4_T5_T6_T7_T9_mT8_P12ihipStream_tbDpT10_ENKUlT_T0_E_clISt17integral_constantIbLb0EES16_EEDaS11_S12_EUlS11_E_NS1_11comp_targetILNS1_3genE3ELNS1_11target_archE908ELNS1_3gpuE7ELNS1_3repE0EEENS1_30default_config_static_selectorELNS0_4arch9wavefront6targetE0EEEvT1_,@function
_ZN7rocprim17ROCPRIM_400000_NS6detail17trampoline_kernelINS0_14default_configENS1_25partition_config_selectorILNS1_17partition_subalgoE6EjNS0_10empty_typeEbEEZZNS1_14partition_implILS5_6ELb0ES3_mN6thrust23THRUST_200600_302600_NS6detail15normal_iteratorINSA_10device_ptrIjEEEEPS6_SG_NS0_5tupleIJSF_S6_EEENSH_IJSG_SG_EEES6_PlJ7is_evenIjEEEE10hipError_tPvRmT3_T4_T5_T6_T7_T9_mT8_P12ihipStream_tbDpT10_ENKUlT_T0_E_clISt17integral_constantIbLb0EES16_EEDaS11_S12_EUlS11_E_NS1_11comp_targetILNS1_3genE3ELNS1_11target_archE908ELNS1_3gpuE7ELNS1_3repE0EEENS1_30default_config_static_selectorELNS0_4arch9wavefront6targetE0EEEvT1_: ; @_ZN7rocprim17ROCPRIM_400000_NS6detail17trampoline_kernelINS0_14default_configENS1_25partition_config_selectorILNS1_17partition_subalgoE6EjNS0_10empty_typeEbEEZZNS1_14partition_implILS5_6ELb0ES3_mN6thrust23THRUST_200600_302600_NS6detail15normal_iteratorINSA_10device_ptrIjEEEEPS6_SG_NS0_5tupleIJSF_S6_EEENSH_IJSG_SG_EEES6_PlJ7is_evenIjEEEE10hipError_tPvRmT3_T4_T5_T6_T7_T9_mT8_P12ihipStream_tbDpT10_ENKUlT_T0_E_clISt17integral_constantIbLb0EES16_EEDaS11_S12_EUlS11_E_NS1_11comp_targetILNS1_3genE3ELNS1_11target_archE908ELNS1_3gpuE7ELNS1_3repE0EEENS1_30default_config_static_selectorELNS0_4arch9wavefront6targetE0EEEvT1_
; %bb.0:
	.section	.rodata,"a",@progbits
	.p2align	6, 0x0
	.amdhsa_kernel _ZN7rocprim17ROCPRIM_400000_NS6detail17trampoline_kernelINS0_14default_configENS1_25partition_config_selectorILNS1_17partition_subalgoE6EjNS0_10empty_typeEbEEZZNS1_14partition_implILS5_6ELb0ES3_mN6thrust23THRUST_200600_302600_NS6detail15normal_iteratorINSA_10device_ptrIjEEEEPS6_SG_NS0_5tupleIJSF_S6_EEENSH_IJSG_SG_EEES6_PlJ7is_evenIjEEEE10hipError_tPvRmT3_T4_T5_T6_T7_T9_mT8_P12ihipStream_tbDpT10_ENKUlT_T0_E_clISt17integral_constantIbLb0EES16_EEDaS11_S12_EUlS11_E_NS1_11comp_targetILNS1_3genE3ELNS1_11target_archE908ELNS1_3gpuE7ELNS1_3repE0EEENS1_30default_config_static_selectorELNS0_4arch9wavefront6targetE0EEEvT1_
		.amdhsa_group_segment_fixed_size 0
		.amdhsa_private_segment_fixed_size 0
		.amdhsa_kernarg_size 112
		.amdhsa_user_sgpr_count 15
		.amdhsa_user_sgpr_dispatch_ptr 0
		.amdhsa_user_sgpr_queue_ptr 0
		.amdhsa_user_sgpr_kernarg_segment_ptr 1
		.amdhsa_user_sgpr_dispatch_id 0
		.amdhsa_user_sgpr_private_segment_size 0
		.amdhsa_wavefront_size32 1
		.amdhsa_uses_dynamic_stack 0
		.amdhsa_enable_private_segment 0
		.amdhsa_system_sgpr_workgroup_id_x 1
		.amdhsa_system_sgpr_workgroup_id_y 0
		.amdhsa_system_sgpr_workgroup_id_z 0
		.amdhsa_system_sgpr_workgroup_info 0
		.amdhsa_system_vgpr_workitem_id 0
		.amdhsa_next_free_vgpr 1
		.amdhsa_next_free_sgpr 1
		.amdhsa_reserve_vcc 0
		.amdhsa_float_round_mode_32 0
		.amdhsa_float_round_mode_16_64 0
		.amdhsa_float_denorm_mode_32 3
		.amdhsa_float_denorm_mode_16_64 3
		.amdhsa_dx10_clamp 1
		.amdhsa_ieee_mode 1
		.amdhsa_fp16_overflow 0
		.amdhsa_workgroup_processor_mode 1
		.amdhsa_memory_ordered 1
		.amdhsa_forward_progress 0
		.amdhsa_shared_vgpr_count 0
		.amdhsa_exception_fp_ieee_invalid_op 0
		.amdhsa_exception_fp_denorm_src 0
		.amdhsa_exception_fp_ieee_div_zero 0
		.amdhsa_exception_fp_ieee_overflow 0
		.amdhsa_exception_fp_ieee_underflow 0
		.amdhsa_exception_fp_ieee_inexact 0
		.amdhsa_exception_int_div_zero 0
	.end_amdhsa_kernel
	.section	.text._ZN7rocprim17ROCPRIM_400000_NS6detail17trampoline_kernelINS0_14default_configENS1_25partition_config_selectorILNS1_17partition_subalgoE6EjNS0_10empty_typeEbEEZZNS1_14partition_implILS5_6ELb0ES3_mN6thrust23THRUST_200600_302600_NS6detail15normal_iteratorINSA_10device_ptrIjEEEEPS6_SG_NS0_5tupleIJSF_S6_EEENSH_IJSG_SG_EEES6_PlJ7is_evenIjEEEE10hipError_tPvRmT3_T4_T5_T6_T7_T9_mT8_P12ihipStream_tbDpT10_ENKUlT_T0_E_clISt17integral_constantIbLb0EES16_EEDaS11_S12_EUlS11_E_NS1_11comp_targetILNS1_3genE3ELNS1_11target_archE908ELNS1_3gpuE7ELNS1_3repE0EEENS1_30default_config_static_selectorELNS0_4arch9wavefront6targetE0EEEvT1_,"axG",@progbits,_ZN7rocprim17ROCPRIM_400000_NS6detail17trampoline_kernelINS0_14default_configENS1_25partition_config_selectorILNS1_17partition_subalgoE6EjNS0_10empty_typeEbEEZZNS1_14partition_implILS5_6ELb0ES3_mN6thrust23THRUST_200600_302600_NS6detail15normal_iteratorINSA_10device_ptrIjEEEEPS6_SG_NS0_5tupleIJSF_S6_EEENSH_IJSG_SG_EEES6_PlJ7is_evenIjEEEE10hipError_tPvRmT3_T4_T5_T6_T7_T9_mT8_P12ihipStream_tbDpT10_ENKUlT_T0_E_clISt17integral_constantIbLb0EES16_EEDaS11_S12_EUlS11_E_NS1_11comp_targetILNS1_3genE3ELNS1_11target_archE908ELNS1_3gpuE7ELNS1_3repE0EEENS1_30default_config_static_selectorELNS0_4arch9wavefront6targetE0EEEvT1_,comdat
.Lfunc_end299:
	.size	_ZN7rocprim17ROCPRIM_400000_NS6detail17trampoline_kernelINS0_14default_configENS1_25partition_config_selectorILNS1_17partition_subalgoE6EjNS0_10empty_typeEbEEZZNS1_14partition_implILS5_6ELb0ES3_mN6thrust23THRUST_200600_302600_NS6detail15normal_iteratorINSA_10device_ptrIjEEEEPS6_SG_NS0_5tupleIJSF_S6_EEENSH_IJSG_SG_EEES6_PlJ7is_evenIjEEEE10hipError_tPvRmT3_T4_T5_T6_T7_T9_mT8_P12ihipStream_tbDpT10_ENKUlT_T0_E_clISt17integral_constantIbLb0EES16_EEDaS11_S12_EUlS11_E_NS1_11comp_targetILNS1_3genE3ELNS1_11target_archE908ELNS1_3gpuE7ELNS1_3repE0EEENS1_30default_config_static_selectorELNS0_4arch9wavefront6targetE0EEEvT1_, .Lfunc_end299-_ZN7rocprim17ROCPRIM_400000_NS6detail17trampoline_kernelINS0_14default_configENS1_25partition_config_selectorILNS1_17partition_subalgoE6EjNS0_10empty_typeEbEEZZNS1_14partition_implILS5_6ELb0ES3_mN6thrust23THRUST_200600_302600_NS6detail15normal_iteratorINSA_10device_ptrIjEEEEPS6_SG_NS0_5tupleIJSF_S6_EEENSH_IJSG_SG_EEES6_PlJ7is_evenIjEEEE10hipError_tPvRmT3_T4_T5_T6_T7_T9_mT8_P12ihipStream_tbDpT10_ENKUlT_T0_E_clISt17integral_constantIbLb0EES16_EEDaS11_S12_EUlS11_E_NS1_11comp_targetILNS1_3genE3ELNS1_11target_archE908ELNS1_3gpuE7ELNS1_3repE0EEENS1_30default_config_static_selectorELNS0_4arch9wavefront6targetE0EEEvT1_
                                        ; -- End function
	.section	.AMDGPU.csdata,"",@progbits
; Kernel info:
; codeLenInByte = 0
; NumSgprs: 0
; NumVgprs: 0
; ScratchSize: 0
; MemoryBound: 0
; FloatMode: 240
; IeeeMode: 1
; LDSByteSize: 0 bytes/workgroup (compile time only)
; SGPRBlocks: 0
; VGPRBlocks: 0
; NumSGPRsForWavesPerEU: 1
; NumVGPRsForWavesPerEU: 1
; Occupancy: 16
; WaveLimiterHint : 0
; COMPUTE_PGM_RSRC2:SCRATCH_EN: 0
; COMPUTE_PGM_RSRC2:USER_SGPR: 15
; COMPUTE_PGM_RSRC2:TRAP_HANDLER: 0
; COMPUTE_PGM_RSRC2:TGID_X_EN: 1
; COMPUTE_PGM_RSRC2:TGID_Y_EN: 0
; COMPUTE_PGM_RSRC2:TGID_Z_EN: 0
; COMPUTE_PGM_RSRC2:TIDIG_COMP_CNT: 0
	.section	.text._ZN7rocprim17ROCPRIM_400000_NS6detail17trampoline_kernelINS0_14default_configENS1_25partition_config_selectorILNS1_17partition_subalgoE6EjNS0_10empty_typeEbEEZZNS1_14partition_implILS5_6ELb0ES3_mN6thrust23THRUST_200600_302600_NS6detail15normal_iteratorINSA_10device_ptrIjEEEEPS6_SG_NS0_5tupleIJSF_S6_EEENSH_IJSG_SG_EEES6_PlJ7is_evenIjEEEE10hipError_tPvRmT3_T4_T5_T6_T7_T9_mT8_P12ihipStream_tbDpT10_ENKUlT_T0_E_clISt17integral_constantIbLb0EES16_EEDaS11_S12_EUlS11_E_NS1_11comp_targetILNS1_3genE2ELNS1_11target_archE906ELNS1_3gpuE6ELNS1_3repE0EEENS1_30default_config_static_selectorELNS0_4arch9wavefront6targetE0EEEvT1_,"axG",@progbits,_ZN7rocprim17ROCPRIM_400000_NS6detail17trampoline_kernelINS0_14default_configENS1_25partition_config_selectorILNS1_17partition_subalgoE6EjNS0_10empty_typeEbEEZZNS1_14partition_implILS5_6ELb0ES3_mN6thrust23THRUST_200600_302600_NS6detail15normal_iteratorINSA_10device_ptrIjEEEEPS6_SG_NS0_5tupleIJSF_S6_EEENSH_IJSG_SG_EEES6_PlJ7is_evenIjEEEE10hipError_tPvRmT3_T4_T5_T6_T7_T9_mT8_P12ihipStream_tbDpT10_ENKUlT_T0_E_clISt17integral_constantIbLb0EES16_EEDaS11_S12_EUlS11_E_NS1_11comp_targetILNS1_3genE2ELNS1_11target_archE906ELNS1_3gpuE6ELNS1_3repE0EEENS1_30default_config_static_selectorELNS0_4arch9wavefront6targetE0EEEvT1_,comdat
	.protected	_ZN7rocprim17ROCPRIM_400000_NS6detail17trampoline_kernelINS0_14default_configENS1_25partition_config_selectorILNS1_17partition_subalgoE6EjNS0_10empty_typeEbEEZZNS1_14partition_implILS5_6ELb0ES3_mN6thrust23THRUST_200600_302600_NS6detail15normal_iteratorINSA_10device_ptrIjEEEEPS6_SG_NS0_5tupleIJSF_S6_EEENSH_IJSG_SG_EEES6_PlJ7is_evenIjEEEE10hipError_tPvRmT3_T4_T5_T6_T7_T9_mT8_P12ihipStream_tbDpT10_ENKUlT_T0_E_clISt17integral_constantIbLb0EES16_EEDaS11_S12_EUlS11_E_NS1_11comp_targetILNS1_3genE2ELNS1_11target_archE906ELNS1_3gpuE6ELNS1_3repE0EEENS1_30default_config_static_selectorELNS0_4arch9wavefront6targetE0EEEvT1_ ; -- Begin function _ZN7rocprim17ROCPRIM_400000_NS6detail17trampoline_kernelINS0_14default_configENS1_25partition_config_selectorILNS1_17partition_subalgoE6EjNS0_10empty_typeEbEEZZNS1_14partition_implILS5_6ELb0ES3_mN6thrust23THRUST_200600_302600_NS6detail15normal_iteratorINSA_10device_ptrIjEEEEPS6_SG_NS0_5tupleIJSF_S6_EEENSH_IJSG_SG_EEES6_PlJ7is_evenIjEEEE10hipError_tPvRmT3_T4_T5_T6_T7_T9_mT8_P12ihipStream_tbDpT10_ENKUlT_T0_E_clISt17integral_constantIbLb0EES16_EEDaS11_S12_EUlS11_E_NS1_11comp_targetILNS1_3genE2ELNS1_11target_archE906ELNS1_3gpuE6ELNS1_3repE0EEENS1_30default_config_static_selectorELNS0_4arch9wavefront6targetE0EEEvT1_
	.globl	_ZN7rocprim17ROCPRIM_400000_NS6detail17trampoline_kernelINS0_14default_configENS1_25partition_config_selectorILNS1_17partition_subalgoE6EjNS0_10empty_typeEbEEZZNS1_14partition_implILS5_6ELb0ES3_mN6thrust23THRUST_200600_302600_NS6detail15normal_iteratorINSA_10device_ptrIjEEEEPS6_SG_NS0_5tupleIJSF_S6_EEENSH_IJSG_SG_EEES6_PlJ7is_evenIjEEEE10hipError_tPvRmT3_T4_T5_T6_T7_T9_mT8_P12ihipStream_tbDpT10_ENKUlT_T0_E_clISt17integral_constantIbLb0EES16_EEDaS11_S12_EUlS11_E_NS1_11comp_targetILNS1_3genE2ELNS1_11target_archE906ELNS1_3gpuE6ELNS1_3repE0EEENS1_30default_config_static_selectorELNS0_4arch9wavefront6targetE0EEEvT1_
	.p2align	8
	.type	_ZN7rocprim17ROCPRIM_400000_NS6detail17trampoline_kernelINS0_14default_configENS1_25partition_config_selectorILNS1_17partition_subalgoE6EjNS0_10empty_typeEbEEZZNS1_14partition_implILS5_6ELb0ES3_mN6thrust23THRUST_200600_302600_NS6detail15normal_iteratorINSA_10device_ptrIjEEEEPS6_SG_NS0_5tupleIJSF_S6_EEENSH_IJSG_SG_EEES6_PlJ7is_evenIjEEEE10hipError_tPvRmT3_T4_T5_T6_T7_T9_mT8_P12ihipStream_tbDpT10_ENKUlT_T0_E_clISt17integral_constantIbLb0EES16_EEDaS11_S12_EUlS11_E_NS1_11comp_targetILNS1_3genE2ELNS1_11target_archE906ELNS1_3gpuE6ELNS1_3repE0EEENS1_30default_config_static_selectorELNS0_4arch9wavefront6targetE0EEEvT1_,@function
_ZN7rocprim17ROCPRIM_400000_NS6detail17trampoline_kernelINS0_14default_configENS1_25partition_config_selectorILNS1_17partition_subalgoE6EjNS0_10empty_typeEbEEZZNS1_14partition_implILS5_6ELb0ES3_mN6thrust23THRUST_200600_302600_NS6detail15normal_iteratorINSA_10device_ptrIjEEEEPS6_SG_NS0_5tupleIJSF_S6_EEENSH_IJSG_SG_EEES6_PlJ7is_evenIjEEEE10hipError_tPvRmT3_T4_T5_T6_T7_T9_mT8_P12ihipStream_tbDpT10_ENKUlT_T0_E_clISt17integral_constantIbLb0EES16_EEDaS11_S12_EUlS11_E_NS1_11comp_targetILNS1_3genE2ELNS1_11target_archE906ELNS1_3gpuE6ELNS1_3repE0EEENS1_30default_config_static_selectorELNS0_4arch9wavefront6targetE0EEEvT1_: ; @_ZN7rocprim17ROCPRIM_400000_NS6detail17trampoline_kernelINS0_14default_configENS1_25partition_config_selectorILNS1_17partition_subalgoE6EjNS0_10empty_typeEbEEZZNS1_14partition_implILS5_6ELb0ES3_mN6thrust23THRUST_200600_302600_NS6detail15normal_iteratorINSA_10device_ptrIjEEEEPS6_SG_NS0_5tupleIJSF_S6_EEENSH_IJSG_SG_EEES6_PlJ7is_evenIjEEEE10hipError_tPvRmT3_T4_T5_T6_T7_T9_mT8_P12ihipStream_tbDpT10_ENKUlT_T0_E_clISt17integral_constantIbLb0EES16_EEDaS11_S12_EUlS11_E_NS1_11comp_targetILNS1_3genE2ELNS1_11target_archE906ELNS1_3gpuE6ELNS1_3repE0EEENS1_30default_config_static_selectorELNS0_4arch9wavefront6targetE0EEEvT1_
; %bb.0:
	.section	.rodata,"a",@progbits
	.p2align	6, 0x0
	.amdhsa_kernel _ZN7rocprim17ROCPRIM_400000_NS6detail17trampoline_kernelINS0_14default_configENS1_25partition_config_selectorILNS1_17partition_subalgoE6EjNS0_10empty_typeEbEEZZNS1_14partition_implILS5_6ELb0ES3_mN6thrust23THRUST_200600_302600_NS6detail15normal_iteratorINSA_10device_ptrIjEEEEPS6_SG_NS0_5tupleIJSF_S6_EEENSH_IJSG_SG_EEES6_PlJ7is_evenIjEEEE10hipError_tPvRmT3_T4_T5_T6_T7_T9_mT8_P12ihipStream_tbDpT10_ENKUlT_T0_E_clISt17integral_constantIbLb0EES16_EEDaS11_S12_EUlS11_E_NS1_11comp_targetILNS1_3genE2ELNS1_11target_archE906ELNS1_3gpuE6ELNS1_3repE0EEENS1_30default_config_static_selectorELNS0_4arch9wavefront6targetE0EEEvT1_
		.amdhsa_group_segment_fixed_size 0
		.amdhsa_private_segment_fixed_size 0
		.amdhsa_kernarg_size 112
		.amdhsa_user_sgpr_count 15
		.amdhsa_user_sgpr_dispatch_ptr 0
		.amdhsa_user_sgpr_queue_ptr 0
		.amdhsa_user_sgpr_kernarg_segment_ptr 1
		.amdhsa_user_sgpr_dispatch_id 0
		.amdhsa_user_sgpr_private_segment_size 0
		.amdhsa_wavefront_size32 1
		.amdhsa_uses_dynamic_stack 0
		.amdhsa_enable_private_segment 0
		.amdhsa_system_sgpr_workgroup_id_x 1
		.amdhsa_system_sgpr_workgroup_id_y 0
		.amdhsa_system_sgpr_workgroup_id_z 0
		.amdhsa_system_sgpr_workgroup_info 0
		.amdhsa_system_vgpr_workitem_id 0
		.amdhsa_next_free_vgpr 1
		.amdhsa_next_free_sgpr 1
		.amdhsa_reserve_vcc 0
		.amdhsa_float_round_mode_32 0
		.amdhsa_float_round_mode_16_64 0
		.amdhsa_float_denorm_mode_32 3
		.amdhsa_float_denorm_mode_16_64 3
		.amdhsa_dx10_clamp 1
		.amdhsa_ieee_mode 1
		.amdhsa_fp16_overflow 0
		.amdhsa_workgroup_processor_mode 1
		.amdhsa_memory_ordered 1
		.amdhsa_forward_progress 0
		.amdhsa_shared_vgpr_count 0
		.amdhsa_exception_fp_ieee_invalid_op 0
		.amdhsa_exception_fp_denorm_src 0
		.amdhsa_exception_fp_ieee_div_zero 0
		.amdhsa_exception_fp_ieee_overflow 0
		.amdhsa_exception_fp_ieee_underflow 0
		.amdhsa_exception_fp_ieee_inexact 0
		.amdhsa_exception_int_div_zero 0
	.end_amdhsa_kernel
	.section	.text._ZN7rocprim17ROCPRIM_400000_NS6detail17trampoline_kernelINS0_14default_configENS1_25partition_config_selectorILNS1_17partition_subalgoE6EjNS0_10empty_typeEbEEZZNS1_14partition_implILS5_6ELb0ES3_mN6thrust23THRUST_200600_302600_NS6detail15normal_iteratorINSA_10device_ptrIjEEEEPS6_SG_NS0_5tupleIJSF_S6_EEENSH_IJSG_SG_EEES6_PlJ7is_evenIjEEEE10hipError_tPvRmT3_T4_T5_T6_T7_T9_mT8_P12ihipStream_tbDpT10_ENKUlT_T0_E_clISt17integral_constantIbLb0EES16_EEDaS11_S12_EUlS11_E_NS1_11comp_targetILNS1_3genE2ELNS1_11target_archE906ELNS1_3gpuE6ELNS1_3repE0EEENS1_30default_config_static_selectorELNS0_4arch9wavefront6targetE0EEEvT1_,"axG",@progbits,_ZN7rocprim17ROCPRIM_400000_NS6detail17trampoline_kernelINS0_14default_configENS1_25partition_config_selectorILNS1_17partition_subalgoE6EjNS0_10empty_typeEbEEZZNS1_14partition_implILS5_6ELb0ES3_mN6thrust23THRUST_200600_302600_NS6detail15normal_iteratorINSA_10device_ptrIjEEEEPS6_SG_NS0_5tupleIJSF_S6_EEENSH_IJSG_SG_EEES6_PlJ7is_evenIjEEEE10hipError_tPvRmT3_T4_T5_T6_T7_T9_mT8_P12ihipStream_tbDpT10_ENKUlT_T0_E_clISt17integral_constantIbLb0EES16_EEDaS11_S12_EUlS11_E_NS1_11comp_targetILNS1_3genE2ELNS1_11target_archE906ELNS1_3gpuE6ELNS1_3repE0EEENS1_30default_config_static_selectorELNS0_4arch9wavefront6targetE0EEEvT1_,comdat
.Lfunc_end300:
	.size	_ZN7rocprim17ROCPRIM_400000_NS6detail17trampoline_kernelINS0_14default_configENS1_25partition_config_selectorILNS1_17partition_subalgoE6EjNS0_10empty_typeEbEEZZNS1_14partition_implILS5_6ELb0ES3_mN6thrust23THRUST_200600_302600_NS6detail15normal_iteratorINSA_10device_ptrIjEEEEPS6_SG_NS0_5tupleIJSF_S6_EEENSH_IJSG_SG_EEES6_PlJ7is_evenIjEEEE10hipError_tPvRmT3_T4_T5_T6_T7_T9_mT8_P12ihipStream_tbDpT10_ENKUlT_T0_E_clISt17integral_constantIbLb0EES16_EEDaS11_S12_EUlS11_E_NS1_11comp_targetILNS1_3genE2ELNS1_11target_archE906ELNS1_3gpuE6ELNS1_3repE0EEENS1_30default_config_static_selectorELNS0_4arch9wavefront6targetE0EEEvT1_, .Lfunc_end300-_ZN7rocprim17ROCPRIM_400000_NS6detail17trampoline_kernelINS0_14default_configENS1_25partition_config_selectorILNS1_17partition_subalgoE6EjNS0_10empty_typeEbEEZZNS1_14partition_implILS5_6ELb0ES3_mN6thrust23THRUST_200600_302600_NS6detail15normal_iteratorINSA_10device_ptrIjEEEEPS6_SG_NS0_5tupleIJSF_S6_EEENSH_IJSG_SG_EEES6_PlJ7is_evenIjEEEE10hipError_tPvRmT3_T4_T5_T6_T7_T9_mT8_P12ihipStream_tbDpT10_ENKUlT_T0_E_clISt17integral_constantIbLb0EES16_EEDaS11_S12_EUlS11_E_NS1_11comp_targetILNS1_3genE2ELNS1_11target_archE906ELNS1_3gpuE6ELNS1_3repE0EEENS1_30default_config_static_selectorELNS0_4arch9wavefront6targetE0EEEvT1_
                                        ; -- End function
	.section	.AMDGPU.csdata,"",@progbits
; Kernel info:
; codeLenInByte = 0
; NumSgprs: 0
; NumVgprs: 0
; ScratchSize: 0
; MemoryBound: 0
; FloatMode: 240
; IeeeMode: 1
; LDSByteSize: 0 bytes/workgroup (compile time only)
; SGPRBlocks: 0
; VGPRBlocks: 0
; NumSGPRsForWavesPerEU: 1
; NumVGPRsForWavesPerEU: 1
; Occupancy: 15
; WaveLimiterHint : 0
; COMPUTE_PGM_RSRC2:SCRATCH_EN: 0
; COMPUTE_PGM_RSRC2:USER_SGPR: 15
; COMPUTE_PGM_RSRC2:TRAP_HANDLER: 0
; COMPUTE_PGM_RSRC2:TGID_X_EN: 1
; COMPUTE_PGM_RSRC2:TGID_Y_EN: 0
; COMPUTE_PGM_RSRC2:TGID_Z_EN: 0
; COMPUTE_PGM_RSRC2:TIDIG_COMP_CNT: 0
	.section	.text._ZN7rocprim17ROCPRIM_400000_NS6detail17trampoline_kernelINS0_14default_configENS1_25partition_config_selectorILNS1_17partition_subalgoE6EjNS0_10empty_typeEbEEZZNS1_14partition_implILS5_6ELb0ES3_mN6thrust23THRUST_200600_302600_NS6detail15normal_iteratorINSA_10device_ptrIjEEEEPS6_SG_NS0_5tupleIJSF_S6_EEENSH_IJSG_SG_EEES6_PlJ7is_evenIjEEEE10hipError_tPvRmT3_T4_T5_T6_T7_T9_mT8_P12ihipStream_tbDpT10_ENKUlT_T0_E_clISt17integral_constantIbLb0EES16_EEDaS11_S12_EUlS11_E_NS1_11comp_targetILNS1_3genE10ELNS1_11target_archE1200ELNS1_3gpuE4ELNS1_3repE0EEENS1_30default_config_static_selectorELNS0_4arch9wavefront6targetE0EEEvT1_,"axG",@progbits,_ZN7rocprim17ROCPRIM_400000_NS6detail17trampoline_kernelINS0_14default_configENS1_25partition_config_selectorILNS1_17partition_subalgoE6EjNS0_10empty_typeEbEEZZNS1_14partition_implILS5_6ELb0ES3_mN6thrust23THRUST_200600_302600_NS6detail15normal_iteratorINSA_10device_ptrIjEEEEPS6_SG_NS0_5tupleIJSF_S6_EEENSH_IJSG_SG_EEES6_PlJ7is_evenIjEEEE10hipError_tPvRmT3_T4_T5_T6_T7_T9_mT8_P12ihipStream_tbDpT10_ENKUlT_T0_E_clISt17integral_constantIbLb0EES16_EEDaS11_S12_EUlS11_E_NS1_11comp_targetILNS1_3genE10ELNS1_11target_archE1200ELNS1_3gpuE4ELNS1_3repE0EEENS1_30default_config_static_selectorELNS0_4arch9wavefront6targetE0EEEvT1_,comdat
	.protected	_ZN7rocprim17ROCPRIM_400000_NS6detail17trampoline_kernelINS0_14default_configENS1_25partition_config_selectorILNS1_17partition_subalgoE6EjNS0_10empty_typeEbEEZZNS1_14partition_implILS5_6ELb0ES3_mN6thrust23THRUST_200600_302600_NS6detail15normal_iteratorINSA_10device_ptrIjEEEEPS6_SG_NS0_5tupleIJSF_S6_EEENSH_IJSG_SG_EEES6_PlJ7is_evenIjEEEE10hipError_tPvRmT3_T4_T5_T6_T7_T9_mT8_P12ihipStream_tbDpT10_ENKUlT_T0_E_clISt17integral_constantIbLb0EES16_EEDaS11_S12_EUlS11_E_NS1_11comp_targetILNS1_3genE10ELNS1_11target_archE1200ELNS1_3gpuE4ELNS1_3repE0EEENS1_30default_config_static_selectorELNS0_4arch9wavefront6targetE0EEEvT1_ ; -- Begin function _ZN7rocprim17ROCPRIM_400000_NS6detail17trampoline_kernelINS0_14default_configENS1_25partition_config_selectorILNS1_17partition_subalgoE6EjNS0_10empty_typeEbEEZZNS1_14partition_implILS5_6ELb0ES3_mN6thrust23THRUST_200600_302600_NS6detail15normal_iteratorINSA_10device_ptrIjEEEEPS6_SG_NS0_5tupleIJSF_S6_EEENSH_IJSG_SG_EEES6_PlJ7is_evenIjEEEE10hipError_tPvRmT3_T4_T5_T6_T7_T9_mT8_P12ihipStream_tbDpT10_ENKUlT_T0_E_clISt17integral_constantIbLb0EES16_EEDaS11_S12_EUlS11_E_NS1_11comp_targetILNS1_3genE10ELNS1_11target_archE1200ELNS1_3gpuE4ELNS1_3repE0EEENS1_30default_config_static_selectorELNS0_4arch9wavefront6targetE0EEEvT1_
	.globl	_ZN7rocprim17ROCPRIM_400000_NS6detail17trampoline_kernelINS0_14default_configENS1_25partition_config_selectorILNS1_17partition_subalgoE6EjNS0_10empty_typeEbEEZZNS1_14partition_implILS5_6ELb0ES3_mN6thrust23THRUST_200600_302600_NS6detail15normal_iteratorINSA_10device_ptrIjEEEEPS6_SG_NS0_5tupleIJSF_S6_EEENSH_IJSG_SG_EEES6_PlJ7is_evenIjEEEE10hipError_tPvRmT3_T4_T5_T6_T7_T9_mT8_P12ihipStream_tbDpT10_ENKUlT_T0_E_clISt17integral_constantIbLb0EES16_EEDaS11_S12_EUlS11_E_NS1_11comp_targetILNS1_3genE10ELNS1_11target_archE1200ELNS1_3gpuE4ELNS1_3repE0EEENS1_30default_config_static_selectorELNS0_4arch9wavefront6targetE0EEEvT1_
	.p2align	8
	.type	_ZN7rocprim17ROCPRIM_400000_NS6detail17trampoline_kernelINS0_14default_configENS1_25partition_config_selectorILNS1_17partition_subalgoE6EjNS0_10empty_typeEbEEZZNS1_14partition_implILS5_6ELb0ES3_mN6thrust23THRUST_200600_302600_NS6detail15normal_iteratorINSA_10device_ptrIjEEEEPS6_SG_NS0_5tupleIJSF_S6_EEENSH_IJSG_SG_EEES6_PlJ7is_evenIjEEEE10hipError_tPvRmT3_T4_T5_T6_T7_T9_mT8_P12ihipStream_tbDpT10_ENKUlT_T0_E_clISt17integral_constantIbLb0EES16_EEDaS11_S12_EUlS11_E_NS1_11comp_targetILNS1_3genE10ELNS1_11target_archE1200ELNS1_3gpuE4ELNS1_3repE0EEENS1_30default_config_static_selectorELNS0_4arch9wavefront6targetE0EEEvT1_,@function
_ZN7rocprim17ROCPRIM_400000_NS6detail17trampoline_kernelINS0_14default_configENS1_25partition_config_selectorILNS1_17partition_subalgoE6EjNS0_10empty_typeEbEEZZNS1_14partition_implILS5_6ELb0ES3_mN6thrust23THRUST_200600_302600_NS6detail15normal_iteratorINSA_10device_ptrIjEEEEPS6_SG_NS0_5tupleIJSF_S6_EEENSH_IJSG_SG_EEES6_PlJ7is_evenIjEEEE10hipError_tPvRmT3_T4_T5_T6_T7_T9_mT8_P12ihipStream_tbDpT10_ENKUlT_T0_E_clISt17integral_constantIbLb0EES16_EEDaS11_S12_EUlS11_E_NS1_11comp_targetILNS1_3genE10ELNS1_11target_archE1200ELNS1_3gpuE4ELNS1_3repE0EEENS1_30default_config_static_selectorELNS0_4arch9wavefront6targetE0EEEvT1_: ; @_ZN7rocprim17ROCPRIM_400000_NS6detail17trampoline_kernelINS0_14default_configENS1_25partition_config_selectorILNS1_17partition_subalgoE6EjNS0_10empty_typeEbEEZZNS1_14partition_implILS5_6ELb0ES3_mN6thrust23THRUST_200600_302600_NS6detail15normal_iteratorINSA_10device_ptrIjEEEEPS6_SG_NS0_5tupleIJSF_S6_EEENSH_IJSG_SG_EEES6_PlJ7is_evenIjEEEE10hipError_tPvRmT3_T4_T5_T6_T7_T9_mT8_P12ihipStream_tbDpT10_ENKUlT_T0_E_clISt17integral_constantIbLb0EES16_EEDaS11_S12_EUlS11_E_NS1_11comp_targetILNS1_3genE10ELNS1_11target_archE1200ELNS1_3gpuE4ELNS1_3repE0EEENS1_30default_config_static_selectorELNS0_4arch9wavefront6targetE0EEEvT1_
; %bb.0:
	.section	.rodata,"a",@progbits
	.p2align	6, 0x0
	.amdhsa_kernel _ZN7rocprim17ROCPRIM_400000_NS6detail17trampoline_kernelINS0_14default_configENS1_25partition_config_selectorILNS1_17partition_subalgoE6EjNS0_10empty_typeEbEEZZNS1_14partition_implILS5_6ELb0ES3_mN6thrust23THRUST_200600_302600_NS6detail15normal_iteratorINSA_10device_ptrIjEEEEPS6_SG_NS0_5tupleIJSF_S6_EEENSH_IJSG_SG_EEES6_PlJ7is_evenIjEEEE10hipError_tPvRmT3_T4_T5_T6_T7_T9_mT8_P12ihipStream_tbDpT10_ENKUlT_T0_E_clISt17integral_constantIbLb0EES16_EEDaS11_S12_EUlS11_E_NS1_11comp_targetILNS1_3genE10ELNS1_11target_archE1200ELNS1_3gpuE4ELNS1_3repE0EEENS1_30default_config_static_selectorELNS0_4arch9wavefront6targetE0EEEvT1_
		.amdhsa_group_segment_fixed_size 0
		.amdhsa_private_segment_fixed_size 0
		.amdhsa_kernarg_size 112
		.amdhsa_user_sgpr_count 15
		.amdhsa_user_sgpr_dispatch_ptr 0
		.amdhsa_user_sgpr_queue_ptr 0
		.amdhsa_user_sgpr_kernarg_segment_ptr 1
		.amdhsa_user_sgpr_dispatch_id 0
		.amdhsa_user_sgpr_private_segment_size 0
		.amdhsa_wavefront_size32 1
		.amdhsa_uses_dynamic_stack 0
		.amdhsa_enable_private_segment 0
		.amdhsa_system_sgpr_workgroup_id_x 1
		.amdhsa_system_sgpr_workgroup_id_y 0
		.amdhsa_system_sgpr_workgroup_id_z 0
		.amdhsa_system_sgpr_workgroup_info 0
		.amdhsa_system_vgpr_workitem_id 0
		.amdhsa_next_free_vgpr 1
		.amdhsa_next_free_sgpr 1
		.amdhsa_reserve_vcc 0
		.amdhsa_float_round_mode_32 0
		.amdhsa_float_round_mode_16_64 0
		.amdhsa_float_denorm_mode_32 3
		.amdhsa_float_denorm_mode_16_64 3
		.amdhsa_dx10_clamp 1
		.amdhsa_ieee_mode 1
		.amdhsa_fp16_overflow 0
		.amdhsa_workgroup_processor_mode 1
		.amdhsa_memory_ordered 1
		.amdhsa_forward_progress 0
		.amdhsa_shared_vgpr_count 0
		.amdhsa_exception_fp_ieee_invalid_op 0
		.amdhsa_exception_fp_denorm_src 0
		.amdhsa_exception_fp_ieee_div_zero 0
		.amdhsa_exception_fp_ieee_overflow 0
		.amdhsa_exception_fp_ieee_underflow 0
		.amdhsa_exception_fp_ieee_inexact 0
		.amdhsa_exception_int_div_zero 0
	.end_amdhsa_kernel
	.section	.text._ZN7rocprim17ROCPRIM_400000_NS6detail17trampoline_kernelINS0_14default_configENS1_25partition_config_selectorILNS1_17partition_subalgoE6EjNS0_10empty_typeEbEEZZNS1_14partition_implILS5_6ELb0ES3_mN6thrust23THRUST_200600_302600_NS6detail15normal_iteratorINSA_10device_ptrIjEEEEPS6_SG_NS0_5tupleIJSF_S6_EEENSH_IJSG_SG_EEES6_PlJ7is_evenIjEEEE10hipError_tPvRmT3_T4_T5_T6_T7_T9_mT8_P12ihipStream_tbDpT10_ENKUlT_T0_E_clISt17integral_constantIbLb0EES16_EEDaS11_S12_EUlS11_E_NS1_11comp_targetILNS1_3genE10ELNS1_11target_archE1200ELNS1_3gpuE4ELNS1_3repE0EEENS1_30default_config_static_selectorELNS0_4arch9wavefront6targetE0EEEvT1_,"axG",@progbits,_ZN7rocprim17ROCPRIM_400000_NS6detail17trampoline_kernelINS0_14default_configENS1_25partition_config_selectorILNS1_17partition_subalgoE6EjNS0_10empty_typeEbEEZZNS1_14partition_implILS5_6ELb0ES3_mN6thrust23THRUST_200600_302600_NS6detail15normal_iteratorINSA_10device_ptrIjEEEEPS6_SG_NS0_5tupleIJSF_S6_EEENSH_IJSG_SG_EEES6_PlJ7is_evenIjEEEE10hipError_tPvRmT3_T4_T5_T6_T7_T9_mT8_P12ihipStream_tbDpT10_ENKUlT_T0_E_clISt17integral_constantIbLb0EES16_EEDaS11_S12_EUlS11_E_NS1_11comp_targetILNS1_3genE10ELNS1_11target_archE1200ELNS1_3gpuE4ELNS1_3repE0EEENS1_30default_config_static_selectorELNS0_4arch9wavefront6targetE0EEEvT1_,comdat
.Lfunc_end301:
	.size	_ZN7rocprim17ROCPRIM_400000_NS6detail17trampoline_kernelINS0_14default_configENS1_25partition_config_selectorILNS1_17partition_subalgoE6EjNS0_10empty_typeEbEEZZNS1_14partition_implILS5_6ELb0ES3_mN6thrust23THRUST_200600_302600_NS6detail15normal_iteratorINSA_10device_ptrIjEEEEPS6_SG_NS0_5tupleIJSF_S6_EEENSH_IJSG_SG_EEES6_PlJ7is_evenIjEEEE10hipError_tPvRmT3_T4_T5_T6_T7_T9_mT8_P12ihipStream_tbDpT10_ENKUlT_T0_E_clISt17integral_constantIbLb0EES16_EEDaS11_S12_EUlS11_E_NS1_11comp_targetILNS1_3genE10ELNS1_11target_archE1200ELNS1_3gpuE4ELNS1_3repE0EEENS1_30default_config_static_selectorELNS0_4arch9wavefront6targetE0EEEvT1_, .Lfunc_end301-_ZN7rocprim17ROCPRIM_400000_NS6detail17trampoline_kernelINS0_14default_configENS1_25partition_config_selectorILNS1_17partition_subalgoE6EjNS0_10empty_typeEbEEZZNS1_14partition_implILS5_6ELb0ES3_mN6thrust23THRUST_200600_302600_NS6detail15normal_iteratorINSA_10device_ptrIjEEEEPS6_SG_NS0_5tupleIJSF_S6_EEENSH_IJSG_SG_EEES6_PlJ7is_evenIjEEEE10hipError_tPvRmT3_T4_T5_T6_T7_T9_mT8_P12ihipStream_tbDpT10_ENKUlT_T0_E_clISt17integral_constantIbLb0EES16_EEDaS11_S12_EUlS11_E_NS1_11comp_targetILNS1_3genE10ELNS1_11target_archE1200ELNS1_3gpuE4ELNS1_3repE0EEENS1_30default_config_static_selectorELNS0_4arch9wavefront6targetE0EEEvT1_
                                        ; -- End function
	.section	.AMDGPU.csdata,"",@progbits
; Kernel info:
; codeLenInByte = 0
; NumSgprs: 0
; NumVgprs: 0
; ScratchSize: 0
; MemoryBound: 0
; FloatMode: 240
; IeeeMode: 1
; LDSByteSize: 0 bytes/workgroup (compile time only)
; SGPRBlocks: 0
; VGPRBlocks: 0
; NumSGPRsForWavesPerEU: 1
; NumVGPRsForWavesPerEU: 1
; Occupancy: 15
; WaveLimiterHint : 0
; COMPUTE_PGM_RSRC2:SCRATCH_EN: 0
; COMPUTE_PGM_RSRC2:USER_SGPR: 15
; COMPUTE_PGM_RSRC2:TRAP_HANDLER: 0
; COMPUTE_PGM_RSRC2:TGID_X_EN: 1
; COMPUTE_PGM_RSRC2:TGID_Y_EN: 0
; COMPUTE_PGM_RSRC2:TGID_Z_EN: 0
; COMPUTE_PGM_RSRC2:TIDIG_COMP_CNT: 0
	.section	.text._ZN7rocprim17ROCPRIM_400000_NS6detail17trampoline_kernelINS0_14default_configENS1_25partition_config_selectorILNS1_17partition_subalgoE6EjNS0_10empty_typeEbEEZZNS1_14partition_implILS5_6ELb0ES3_mN6thrust23THRUST_200600_302600_NS6detail15normal_iteratorINSA_10device_ptrIjEEEEPS6_SG_NS0_5tupleIJSF_S6_EEENSH_IJSG_SG_EEES6_PlJ7is_evenIjEEEE10hipError_tPvRmT3_T4_T5_T6_T7_T9_mT8_P12ihipStream_tbDpT10_ENKUlT_T0_E_clISt17integral_constantIbLb0EES16_EEDaS11_S12_EUlS11_E_NS1_11comp_targetILNS1_3genE9ELNS1_11target_archE1100ELNS1_3gpuE3ELNS1_3repE0EEENS1_30default_config_static_selectorELNS0_4arch9wavefront6targetE0EEEvT1_,"axG",@progbits,_ZN7rocprim17ROCPRIM_400000_NS6detail17trampoline_kernelINS0_14default_configENS1_25partition_config_selectorILNS1_17partition_subalgoE6EjNS0_10empty_typeEbEEZZNS1_14partition_implILS5_6ELb0ES3_mN6thrust23THRUST_200600_302600_NS6detail15normal_iteratorINSA_10device_ptrIjEEEEPS6_SG_NS0_5tupleIJSF_S6_EEENSH_IJSG_SG_EEES6_PlJ7is_evenIjEEEE10hipError_tPvRmT3_T4_T5_T6_T7_T9_mT8_P12ihipStream_tbDpT10_ENKUlT_T0_E_clISt17integral_constantIbLb0EES16_EEDaS11_S12_EUlS11_E_NS1_11comp_targetILNS1_3genE9ELNS1_11target_archE1100ELNS1_3gpuE3ELNS1_3repE0EEENS1_30default_config_static_selectorELNS0_4arch9wavefront6targetE0EEEvT1_,comdat
	.protected	_ZN7rocprim17ROCPRIM_400000_NS6detail17trampoline_kernelINS0_14default_configENS1_25partition_config_selectorILNS1_17partition_subalgoE6EjNS0_10empty_typeEbEEZZNS1_14partition_implILS5_6ELb0ES3_mN6thrust23THRUST_200600_302600_NS6detail15normal_iteratorINSA_10device_ptrIjEEEEPS6_SG_NS0_5tupleIJSF_S6_EEENSH_IJSG_SG_EEES6_PlJ7is_evenIjEEEE10hipError_tPvRmT3_T4_T5_T6_T7_T9_mT8_P12ihipStream_tbDpT10_ENKUlT_T0_E_clISt17integral_constantIbLb0EES16_EEDaS11_S12_EUlS11_E_NS1_11comp_targetILNS1_3genE9ELNS1_11target_archE1100ELNS1_3gpuE3ELNS1_3repE0EEENS1_30default_config_static_selectorELNS0_4arch9wavefront6targetE0EEEvT1_ ; -- Begin function _ZN7rocprim17ROCPRIM_400000_NS6detail17trampoline_kernelINS0_14default_configENS1_25partition_config_selectorILNS1_17partition_subalgoE6EjNS0_10empty_typeEbEEZZNS1_14partition_implILS5_6ELb0ES3_mN6thrust23THRUST_200600_302600_NS6detail15normal_iteratorINSA_10device_ptrIjEEEEPS6_SG_NS0_5tupleIJSF_S6_EEENSH_IJSG_SG_EEES6_PlJ7is_evenIjEEEE10hipError_tPvRmT3_T4_T5_T6_T7_T9_mT8_P12ihipStream_tbDpT10_ENKUlT_T0_E_clISt17integral_constantIbLb0EES16_EEDaS11_S12_EUlS11_E_NS1_11comp_targetILNS1_3genE9ELNS1_11target_archE1100ELNS1_3gpuE3ELNS1_3repE0EEENS1_30default_config_static_selectorELNS0_4arch9wavefront6targetE0EEEvT1_
	.globl	_ZN7rocprim17ROCPRIM_400000_NS6detail17trampoline_kernelINS0_14default_configENS1_25partition_config_selectorILNS1_17partition_subalgoE6EjNS0_10empty_typeEbEEZZNS1_14partition_implILS5_6ELb0ES3_mN6thrust23THRUST_200600_302600_NS6detail15normal_iteratorINSA_10device_ptrIjEEEEPS6_SG_NS0_5tupleIJSF_S6_EEENSH_IJSG_SG_EEES6_PlJ7is_evenIjEEEE10hipError_tPvRmT3_T4_T5_T6_T7_T9_mT8_P12ihipStream_tbDpT10_ENKUlT_T0_E_clISt17integral_constantIbLb0EES16_EEDaS11_S12_EUlS11_E_NS1_11comp_targetILNS1_3genE9ELNS1_11target_archE1100ELNS1_3gpuE3ELNS1_3repE0EEENS1_30default_config_static_selectorELNS0_4arch9wavefront6targetE0EEEvT1_
	.p2align	8
	.type	_ZN7rocprim17ROCPRIM_400000_NS6detail17trampoline_kernelINS0_14default_configENS1_25partition_config_selectorILNS1_17partition_subalgoE6EjNS0_10empty_typeEbEEZZNS1_14partition_implILS5_6ELb0ES3_mN6thrust23THRUST_200600_302600_NS6detail15normal_iteratorINSA_10device_ptrIjEEEEPS6_SG_NS0_5tupleIJSF_S6_EEENSH_IJSG_SG_EEES6_PlJ7is_evenIjEEEE10hipError_tPvRmT3_T4_T5_T6_T7_T9_mT8_P12ihipStream_tbDpT10_ENKUlT_T0_E_clISt17integral_constantIbLb0EES16_EEDaS11_S12_EUlS11_E_NS1_11comp_targetILNS1_3genE9ELNS1_11target_archE1100ELNS1_3gpuE3ELNS1_3repE0EEENS1_30default_config_static_selectorELNS0_4arch9wavefront6targetE0EEEvT1_,@function
_ZN7rocprim17ROCPRIM_400000_NS6detail17trampoline_kernelINS0_14default_configENS1_25partition_config_selectorILNS1_17partition_subalgoE6EjNS0_10empty_typeEbEEZZNS1_14partition_implILS5_6ELb0ES3_mN6thrust23THRUST_200600_302600_NS6detail15normal_iteratorINSA_10device_ptrIjEEEEPS6_SG_NS0_5tupleIJSF_S6_EEENSH_IJSG_SG_EEES6_PlJ7is_evenIjEEEE10hipError_tPvRmT3_T4_T5_T6_T7_T9_mT8_P12ihipStream_tbDpT10_ENKUlT_T0_E_clISt17integral_constantIbLb0EES16_EEDaS11_S12_EUlS11_E_NS1_11comp_targetILNS1_3genE9ELNS1_11target_archE1100ELNS1_3gpuE3ELNS1_3repE0EEENS1_30default_config_static_selectorELNS0_4arch9wavefront6targetE0EEEvT1_: ; @_ZN7rocprim17ROCPRIM_400000_NS6detail17trampoline_kernelINS0_14default_configENS1_25partition_config_selectorILNS1_17partition_subalgoE6EjNS0_10empty_typeEbEEZZNS1_14partition_implILS5_6ELb0ES3_mN6thrust23THRUST_200600_302600_NS6detail15normal_iteratorINSA_10device_ptrIjEEEEPS6_SG_NS0_5tupleIJSF_S6_EEENSH_IJSG_SG_EEES6_PlJ7is_evenIjEEEE10hipError_tPvRmT3_T4_T5_T6_T7_T9_mT8_P12ihipStream_tbDpT10_ENKUlT_T0_E_clISt17integral_constantIbLb0EES16_EEDaS11_S12_EUlS11_E_NS1_11comp_targetILNS1_3genE9ELNS1_11target_archE1100ELNS1_3gpuE3ELNS1_3repE0EEENS1_30default_config_static_selectorELNS0_4arch9wavefront6targetE0EEEvT1_
; %bb.0:
	s_clause 0x3
	s_load_b128 s[8:11], s[0:1], 0x8
	s_load_b128 s[4:7], s[0:1], 0x40
	s_load_b32 s14, s[0:1], 0x68
	s_load_b64 s[12:13], s[0:1], 0x50
	v_lshlrev_b32_e32 v17, 2, v0
	s_waitcnt lgkmcnt(0)
	s_lshl_b64 s[16:17], s[10:11], 2
	s_load_b64 s[2:3], s[6:7], 0x0
	s_mul_i32 s6, s14, 0x700
	s_add_u32 s8, s8, s16
	s_addc_u32 s9, s9, s17
	s_add_i32 s7, s6, s10
	s_add_i32 s16, s14, -1
	s_sub_i32 s14, s12, s7
	s_add_u32 s6, s10, s6
	s_addc_u32 s7, s11, 0
	s_cmp_eq_u32 s15, s16
	v_cmp_ge_u64_e64 s11, s[6:7], s[12:13]
	s_cselect_b32 s10, -1, 0
	s_mov_b32 s7, 0
	s_mul_i32 s6, s15, 0x700
	s_mov_b32 s16, -1
	s_lshl_b64 s[6:7], s[6:7], 2
	s_and_b32 s11, s10, s11
	s_delay_alu instid0(SALU_CYCLE_1)
	s_xor_b32 s11, s11, -1
	s_add_u32 s12, s8, s6
	s_addc_u32 s13, s9, s7
	s_and_b32 vcc_lo, exec_lo, s11
	s_cbranch_vccz .LBB302_2
; %bb.1:
	v_add_co_u32 v1, s6, s12, v17
	s_delay_alu instid0(VALU_DEP_1) | instskip(SKIP_1) | instid1(VALU_DEP_2)
	v_add_co_ci_u32_e64 v2, null, s13, 0, s6
	s_mov_b32 s16, 0
	v_add_co_u32 v3, vcc_lo, 0x1000, v1
	s_delay_alu instid0(VALU_DEP_2)
	v_add_co_ci_u32_e32 v4, vcc_lo, 0, v2, vcc_lo
	s_clause 0xd
	flat_load_b32 v5, v[1:2]
	flat_load_b32 v6, v[1:2] offset:512
	flat_load_b32 v7, v[1:2] offset:1024
	;; [unrolled: 1-line block ×7, first 2 shown]
	flat_load_b32 v2, v[3:4]
	flat_load_b32 v12, v[3:4] offset:512
	flat_load_b32 v13, v[3:4] offset:1024
	;; [unrolled: 1-line block ×5, first 2 shown]
	s_waitcnt vmcnt(12) lgkmcnt(0)
	ds_store_2addr_stride64_b32 v17, v5, v6 offset1:2
	s_waitcnt vmcnt(10)
	ds_store_2addr_stride64_b32 v17, v7, v8 offset0:4 offset1:6
	s_waitcnt vmcnt(8)
	ds_store_2addr_stride64_b32 v17, v9, v10 offset0:8 offset1:10
	;; [unrolled: 2-line block ×6, first 2 shown]
	s_waitcnt lgkmcnt(0)
	s_barrier
.LBB302_2:
	s_clause 0x1
	s_load_b64 s[6:7], s[0:1], 0x28
	s_load_b64 s[8:9], s[0:1], 0x60
	s_and_not1_b32 vcc_lo, exec_lo, s16
	s_add_i32 s0, s14, 0x700
	s_cbranch_vccnz .LBB302_32
; %bb.3:
	s_mov_b32 s1, exec_lo
                                        ; implicit-def: $vgpr1_vgpr2_vgpr3_vgpr4_vgpr5_vgpr6_vgpr7_vgpr8_vgpr9_vgpr10_vgpr11_vgpr12_vgpr13_vgpr14_vgpr15_vgpr16
	v_cmpx_gt_u32_e64 s0, v0
	s_cbranch_execz .LBB302_5
; %bb.4:
	v_add_co_u32 v1, s14, s12, v17
	s_delay_alu instid0(VALU_DEP_1)
	v_add_co_ci_u32_e64 v2, null, s13, 0, s14
	flat_load_b32 v1, v[1:2]
.LBB302_5:
	s_or_b32 exec_lo, exec_lo, s1
	v_or_b32_e32 v15, 0x80, v0
	s_mov_b32 s1, exec_lo
	s_delay_alu instid0(VALU_DEP_1)
	v_cmpx_gt_u32_e64 s0, v15
	s_cbranch_execz .LBB302_7
; %bb.6:
	v_add_co_u32 v15, s14, s12, v17
	s_delay_alu instid0(VALU_DEP_1)
	v_add_co_ci_u32_e64 v16, null, s13, 0, s14
	flat_load_b32 v2, v[15:16] offset:512
.LBB302_7:
	s_or_b32 exec_lo, exec_lo, s1
	v_or_b32_e32 v15, 0x100, v0
	s_mov_b32 s1, exec_lo
	s_delay_alu instid0(VALU_DEP_1)
	v_cmpx_gt_u32_e64 s0, v15
	s_cbranch_execz .LBB302_9
; %bb.8:
	v_add_co_u32 v15, s14, s12, v17
	s_delay_alu instid0(VALU_DEP_1)
	v_add_co_ci_u32_e64 v16, null, s13, 0, s14
	flat_load_b32 v3, v[15:16] offset:1024
.LBB302_9:
	s_or_b32 exec_lo, exec_lo, s1
	v_or_b32_e32 v15, 0x180, v0
	s_mov_b32 s1, exec_lo
	s_delay_alu instid0(VALU_DEP_1)
	v_cmpx_gt_u32_e64 s0, v15
	s_cbranch_execz .LBB302_11
; %bb.10:
	v_add_co_u32 v15, s14, s12, v17
	s_delay_alu instid0(VALU_DEP_1)
	v_add_co_ci_u32_e64 v16, null, s13, 0, s14
	flat_load_b32 v4, v[15:16] offset:1536
.LBB302_11:
	s_or_b32 exec_lo, exec_lo, s1
	v_or_b32_e32 v15, 0x200, v0
	s_mov_b32 s1, exec_lo
	s_delay_alu instid0(VALU_DEP_1)
	v_cmpx_gt_u32_e64 s0, v15
	s_cbranch_execz .LBB302_13
; %bb.12:
	v_add_co_u32 v15, s14, s12, v17
	s_delay_alu instid0(VALU_DEP_1)
	v_add_co_ci_u32_e64 v16, null, s13, 0, s14
	flat_load_b32 v5, v[15:16] offset:2048
.LBB302_13:
	s_or_b32 exec_lo, exec_lo, s1
	v_or_b32_e32 v15, 0x280, v0
	s_mov_b32 s1, exec_lo
	s_delay_alu instid0(VALU_DEP_1)
	v_cmpx_gt_u32_e64 s0, v15
	s_cbranch_execz .LBB302_15
; %bb.14:
	v_add_co_u32 v15, s14, s12, v17
	s_delay_alu instid0(VALU_DEP_1)
	v_add_co_ci_u32_e64 v16, null, s13, 0, s14
	flat_load_b32 v6, v[15:16] offset:2560
.LBB302_15:
	s_or_b32 exec_lo, exec_lo, s1
	v_or_b32_e32 v15, 0x300, v0
	s_mov_b32 s1, exec_lo
	s_delay_alu instid0(VALU_DEP_1)
	v_cmpx_gt_u32_e64 s0, v15
	s_cbranch_execz .LBB302_17
; %bb.16:
	v_add_co_u32 v15, s14, s12, v17
	s_delay_alu instid0(VALU_DEP_1)
	v_add_co_ci_u32_e64 v16, null, s13, 0, s14
	flat_load_b32 v7, v[15:16] offset:3072
.LBB302_17:
	s_or_b32 exec_lo, exec_lo, s1
	v_or_b32_e32 v15, 0x380, v0
	s_mov_b32 s1, exec_lo
	s_delay_alu instid0(VALU_DEP_1)
	v_cmpx_gt_u32_e64 s0, v15
	s_cbranch_execz .LBB302_19
; %bb.18:
	v_add_co_u32 v15, s14, s12, v17
	s_delay_alu instid0(VALU_DEP_1)
	v_add_co_ci_u32_e64 v16, null, s13, 0, s14
	flat_load_b32 v8, v[15:16] offset:3584
.LBB302_19:
	s_or_b32 exec_lo, exec_lo, s1
	v_or_b32_e32 v15, 0x400, v0
	s_mov_b32 s1, exec_lo
	s_delay_alu instid0(VALU_DEP_1)
	v_cmpx_gt_u32_e64 s0, v15
	s_cbranch_execz .LBB302_21
; %bb.20:
	v_lshlrev_b32_e32 v9, 2, v15
	s_delay_alu instid0(VALU_DEP_1) | instskip(NEXT) | instid1(VALU_DEP_1)
	v_add_co_u32 v15, s14, s12, v9
	v_add_co_ci_u32_e64 v16, null, s13, 0, s14
	flat_load_b32 v9, v[15:16]
.LBB302_21:
	s_or_b32 exec_lo, exec_lo, s1
	v_or_b32_e32 v15, 0x480, v0
	s_mov_b32 s1, exec_lo
	s_delay_alu instid0(VALU_DEP_1)
	v_cmpx_gt_u32_e64 s0, v15
	s_cbranch_execz .LBB302_23
; %bb.22:
	v_lshlrev_b32_e32 v10, 2, v15
	s_delay_alu instid0(VALU_DEP_1) | instskip(NEXT) | instid1(VALU_DEP_1)
	v_add_co_u32 v15, s14, s12, v10
	v_add_co_ci_u32_e64 v16, null, s13, 0, s14
	flat_load_b32 v10, v[15:16]
.LBB302_23:
	;; [unrolled: 13-line block ×6, first 2 shown]
	s_or_b32 exec_lo, exec_lo, s1
	s_waitcnt vmcnt(0) lgkmcnt(0)
	ds_store_2addr_stride64_b32 v17, v1, v2 offset1:2
	ds_store_2addr_stride64_b32 v17, v3, v4 offset0:4 offset1:6
	ds_store_2addr_stride64_b32 v17, v5, v6 offset0:8 offset1:10
	;; [unrolled: 1-line block ×6, first 2 shown]
	s_waitcnt lgkmcnt(0)
	s_barrier
.LBB302_32:
	v_mul_u32_u24_e32 v12, 14, v0
	s_waitcnt lgkmcnt(0)
	buffer_gl0_inv
	s_and_not1_b32 vcc_lo, exec_lo, s11
	v_lshlrev_b32_e32 v61, 2, v12
	ds_load_2addr_b64 v[41:44], v61 offset1:1
	ds_load_2addr_b64 v[37:40], v61 offset0:2 offset1:3
	ds_load_2addr_b64 v[33:36], v61 offset0:4 offset1:5
	ds_load_b64 v[49:50], v61 offset:48
	s_waitcnt lgkmcnt(0)
	s_barrier
	buffer_gl0_inv
	v_xor_b32_e32 v13, -1, v41
	v_xor_b32_e32 v14, -1, v42
	;; [unrolled: 1-line block ×14, first 2 shown]
	s_cbranch_vccnz .LBB302_34
; %bb.33:
	v_and_b32_e32 v16, 1, v14
	v_and_b32_e32 v17, 1, v13
	;; [unrolled: 1-line block ×5, first 2 shown]
	v_lshlrev_b16 v16, 8, v16
	v_and_b32_e32 v26, 1, v6
	v_and_b32_e32 v18, 1, v15
	v_and_b32_e32 v20, 1, v8
	v_and_b32_e32 v22, 1, v10
	v_or_b32_e32 v16, v17, v16
	v_and_b32_e32 v17, 1, v4
	v_and_b32_e32 v24, 1, v3
	;; [unrolled: 1-line block ×3, first 2 shown]
	v_lshlrev_b16 v19, 8, v19
	v_lshlrev_b16 v21, 8, v21
	;; [unrolled: 1-line block ×5, first 2 shown]
	v_or_b32_e32 v18, v18, v19
	v_or_b32_e32 v19, v20, v21
	;; [unrolled: 1-line block ×5, first 2 shown]
	v_and_b32_e32 v16, 0xffff, v16
	v_lshlrev_b32_e32 v18, 16, v18
	v_and_b32_e32 v19, 0xffff, v19
	v_lshlrev_b32_e32 v20, 16, v20
	;; [unrolled: 2-line block ×3, first 2 shown]
	v_and_b32_e32 v54, 1, v1
	v_and_b32_e32 v53, 1, v2
	v_or_b32_e32 v59, v16, v18
	v_or_b32_e32 v56, v19, v20
	;; [unrolled: 1-line block ×3, first 2 shown]
	s_cbranch_execz .LBB302_35
	s_branch .LBB302_36
.LBB302_34:
                                        ; implicit-def: $vgpr53
                                        ; implicit-def: $vgpr54
                                        ; implicit-def: $vgpr55
                                        ; implicit-def: $vgpr56
                                        ; implicit-def: $vgpr59
.LBB302_35:
	v_or_b32_e32 v16, 1, v12
	v_cmp_gt_u32_e32 vcc_lo, s0, v12
	v_add_nc_u32_e32 v17, 2, v12
	v_add_nc_u32_e32 v18, 3, v12
	;; [unrolled: 1-line block ×4, first 2 shown]
	v_cndmask_b32_e64 v27, 0, 1, vcc_lo
	v_cmp_gt_u32_e32 vcc_lo, s0, v16
	v_add_nc_u32_e32 v21, 6, v12
	v_add_nc_u32_e32 v22, 7, v12
	;; [unrolled: 1-line block ×4, first 2 shown]
	v_cndmask_b32_e64 v16, 0, 1, vcc_lo
	v_cmp_gt_u32_e32 vcc_lo, s0, v17
	v_add_nc_u32_e32 v25, 10, v12
	v_add_nc_u32_e32 v26, 11, v12
	v_add_nc_u32_e32 v28, 12, v12
	v_and_b32_e32 v14, v16, v14
	v_cndmask_b32_e64 v17, 0, 1, vcc_lo
	v_cmp_gt_u32_e32 vcc_lo, s0, v18
	v_add_nc_u32_e32 v12, 13, v12
	v_and_b32_e32 v13, v27, v13
	v_lshlrev_b16 v14, 8, v14
	v_and_b32_e32 v15, v17, v15
	v_cndmask_b32_e64 v16, 0, 1, vcc_lo
	v_cmp_gt_u32_e32 vcc_lo, s0, v19
	s_delay_alu instid0(VALU_DEP_4) | instskip(NEXT) | instid1(VALU_DEP_3)
	v_or_b32_e32 v13, v13, v14
	v_and_b32_e32 v7, v16, v7
	v_cndmask_b32_e64 v17, 0, 1, vcc_lo
	v_cmp_gt_u32_e32 vcc_lo, s0, v20
	s_delay_alu instid0(VALU_DEP_4) | instskip(NEXT) | instid1(VALU_DEP_4)
	v_and_b32_e32 v13, 0xffff, v13
	v_lshlrev_b16 v7, 8, v7
	s_delay_alu instid0(VALU_DEP_4) | instskip(SKIP_2) | instid1(VALU_DEP_4)
	v_and_b32_e32 v8, v17, v8
	v_cndmask_b32_e64 v18, 0, 1, vcc_lo
	v_cmp_gt_u32_e32 vcc_lo, s0, v21
	v_or_b32_e32 v7, v15, v7
	s_delay_alu instid0(VALU_DEP_3) | instskip(SKIP_2) | instid1(VALU_DEP_3)
	v_and_b32_e32 v9, v18, v9
	v_cndmask_b32_e64 v19, 0, 1, vcc_lo
	v_cmp_gt_u32_e32 vcc_lo, s0, v22
	v_lshlrev_b16 v9, 8, v9
	s_delay_alu instid0(VALU_DEP_3) | instskip(SKIP_2) | instid1(VALU_DEP_4)
	v_and_b32_e32 v10, v19, v10
	v_cndmask_b32_e64 v20, 0, 1, vcc_lo
	v_cmp_gt_u32_e32 vcc_lo, s0, v23
	v_or_b32_e32 v8, v8, v9
	s_delay_alu instid0(VALU_DEP_3) | instskip(SKIP_2) | instid1(VALU_DEP_3)
	v_and_b32_e32 v11, v20, v11
	v_cndmask_b32_e64 v16, 0, 1, vcc_lo
	v_cmp_gt_u32_e32 vcc_lo, s0, v24
	v_lshlrev_b16 v11, 8, v11
	s_delay_alu instid0(VALU_DEP_3) | instskip(SKIP_2) | instid1(VALU_DEP_4)
	;; [unrolled: 10-line block ×3, first 2 shown]
	v_and_b32_e32 v5, v18, v5
	v_cndmask_b32_e64 v19, 0, 1, vcc_lo
	v_cmp_gt_u32_e32 vcc_lo, s0, v28
	v_or_b32_e32 v3, v3, v4
	s_delay_alu instid0(VALU_DEP_3) | instskip(SKIP_2) | instid1(VALU_DEP_4)
	v_and_b32_e32 v6, v19, v6
	v_cndmask_b32_e64 v14, 0, 1, vcc_lo
	v_cmp_gt_u32_e32 vcc_lo, s0, v12
	v_and_b32_e32 v3, 0xffff, v3
	s_delay_alu instid0(VALU_DEP_4) | instskip(NEXT) | instid1(VALU_DEP_4)
	v_lshlrev_b16 v6, 8, v6
	v_and_b32_e32 v54, v14, v1
	v_cndmask_b32_e64 v12, 0, 1, vcc_lo
	s_delay_alu instid0(VALU_DEP_3)
	v_or_b32_e32 v4, v5, v6
	v_lshlrev_b32_e32 v5, 16, v7
	v_and_b32_e32 v6, 0xffff, v8
	v_lshlrev_b32_e32 v7, 16, v9
	v_and_b32_e32 v53, v12, v2
	v_lshlrev_b32_e32 v4, 16, v4
	v_or_b32_e32 v59, v13, v5
	s_delay_alu instid0(VALU_DEP_4) | instskip(NEXT) | instid1(VALU_DEP_3)
	v_or_b32_e32 v56, v6, v7
	v_or_b32_e32 v55, v3, v4
.LBB302_36:
	s_delay_alu instid0(VALU_DEP_3)
	v_dual_mov_b32 v2, 0 :: v_dual_and_b32 v63, 0xff, v59
	v_bfe_u32 v64, v59, 8, 8
	v_bfe_u32 v65, v59, 16, 8
	v_lshrrev_b32_e32 v60, 24, v59
	v_and_b32_e32 v66, 0xff, v56
	v_bfe_u32 v67, v56, 8, 8
	v_add_co_u32 v1, s0, v64, v63
	s_delay_alu instid0(VALU_DEP_1) | instskip(SKIP_1) | instid1(VALU_DEP_3)
	v_add_co_ci_u32_e64 v3, null, 0, 0, s0
	v_bfe_u32 v68, v56, 16, 8
	v_add_co_u32 v1, vcc_lo, v1, v65
	s_delay_alu instid0(VALU_DEP_3) | instskip(SKIP_1) | instid1(VALU_DEP_3)
	v_add_co_ci_u32_e32 v3, vcc_lo, 0, v3, vcc_lo
	v_lshrrev_b32_e32 v58, 24, v56
	v_add_co_u32 v1, vcc_lo, v1, v60
	s_delay_alu instid0(VALU_DEP_3) | instskip(SKIP_1) | instid1(VALU_DEP_3)
	v_add_co_ci_u32_e32 v3, vcc_lo, 0, v3, vcc_lo
	v_and_b32_e32 v69, 0xff, v55
	v_add_co_u32 v1, vcc_lo, v1, v66
	s_delay_alu instid0(VALU_DEP_3) | instskip(SKIP_1) | instid1(VALU_DEP_3)
	v_add_co_ci_u32_e32 v3, vcc_lo, 0, v3, vcc_lo
	v_bfe_u32 v70, v55, 8, 8
	v_add_co_u32 v1, vcc_lo, v1, v67
	s_delay_alu instid0(VALU_DEP_3) | instskip(SKIP_1) | instid1(VALU_DEP_3)
	v_add_co_ci_u32_e32 v3, vcc_lo, 0, v3, vcc_lo
	v_bfe_u32 v71, v55, 16, 8
	v_add_co_u32 v1, vcc_lo, v1, v68
	s_delay_alu instid0(VALU_DEP_3) | instskip(SKIP_1) | instid1(VALU_DEP_3)
	v_add_co_ci_u32_e32 v3, vcc_lo, 0, v3, vcc_lo
	v_lshrrev_b32_e32 v57, 24, v55
	v_add_co_u32 v1, vcc_lo, v1, v58
	s_delay_alu instid0(VALU_DEP_3) | instskip(SKIP_1) | instid1(VALU_DEP_3)
	v_add_co_ci_u32_e32 v3, vcc_lo, 0, v3, vcc_lo
	v_and_b32_e32 v62, 0xff, v54
	v_add_co_u32 v1, vcc_lo, v1, v69
	s_delay_alu instid0(VALU_DEP_3) | instskip(SKIP_1) | instid1(VALU_DEP_3)
	v_add_co_ci_u32_e32 v3, vcc_lo, 0, v3, vcc_lo
	v_mbcnt_lo_u32_b32 v72, -1, 0
	v_add_co_u32 v1, vcc_lo, v1, v70
	s_delay_alu instid0(VALU_DEP_3) | instskip(SKIP_1) | instid1(VALU_DEP_3)
	v_add_co_ci_u32_e32 v3, vcc_lo, 0, v3, vcc_lo
	v_and_b32_e32 v4, 0xff, v53
	v_add_co_u32 v1, vcc_lo, v1, v71
	s_delay_alu instid0(VALU_DEP_3) | instskip(SKIP_1) | instid1(VALU_DEP_3)
	v_add_co_ci_u32_e32 v3, vcc_lo, 0, v3, vcc_lo
	v_and_b32_e32 v73, 15, v72
	v_add_co_u32 v1, vcc_lo, v1, v57
	s_delay_alu instid0(VALU_DEP_3) | instskip(NEXT) | instid1(VALU_DEP_3)
	v_add_co_ci_u32_e32 v3, vcc_lo, 0, v3, vcc_lo
	v_cmp_ne_u32_e64 s0, 0, v73
	s_delay_alu instid0(VALU_DEP_3) | instskip(NEXT) | instid1(VALU_DEP_3)
	v_add_co_u32 v1, vcc_lo, v1, v62
	v_add_co_ci_u32_e32 v3, vcc_lo, 0, v3, vcc_lo
	s_cmp_lg_u32 s15, 0
	s_delay_alu instid0(VALU_DEP_2) | instskip(NEXT) | instid1(VALU_DEP_2)
	v_add_co_u32 v51, vcc_lo, v1, v4
	v_add_co_ci_u32_e32 v52, vcc_lo, 0, v3, vcc_lo
	s_mov_b32 s1, -1
	s_cbranch_scc0 .LBB302_96
; %bb.37:
	s_delay_alu instid0(VALU_DEP_2)
	v_mov_b32_e32 v3, v51
	v_mov_b32_dpp v1, v51 row_shr:1 row_mask:0xf bank_mask:0xf
	v_mov_b32_dpp v6, v2 row_shr:1 row_mask:0xf bank_mask:0xf
	v_dual_mov_b32 v5, v51 :: v_dual_mov_b32 v4, v52
	s_and_saveexec_b32 s1, s0
; %bb.38:
	s_delay_alu instid0(VALU_DEP_3) | instskip(SKIP_1) | instid1(VALU_DEP_2)
	v_add_co_u32 v5, vcc_lo, v51, v1
	v_add_co_ci_u32_e32 v2, vcc_lo, 0, v52, vcc_lo
	v_add_co_u32 v1, vcc_lo, 0, v5
	s_delay_alu instid0(VALU_DEP_2) | instskip(NEXT) | instid1(VALU_DEP_1)
	v_add_co_ci_u32_e32 v2, vcc_lo, v6, v2, vcc_lo
	v_dual_mov_b32 v4, v2 :: v_dual_mov_b32 v3, v1
; %bb.39:
	s_or_b32 exec_lo, exec_lo, s1
	v_mov_b32_dpp v1, v5 row_shr:2 row_mask:0xf bank_mask:0xf
	v_mov_b32_dpp v6, v2 row_shr:2 row_mask:0xf bank_mask:0xf
	s_mov_b32 s1, exec_lo
	v_cmpx_lt_u32_e32 1, v73
; %bb.40:
	s_delay_alu instid0(VALU_DEP_3) | instskip(SKIP_1) | instid1(VALU_DEP_2)
	v_add_co_u32 v5, vcc_lo, v3, v1
	v_add_co_ci_u32_e32 v2, vcc_lo, 0, v4, vcc_lo
	v_add_co_u32 v1, vcc_lo, 0, v5
	s_delay_alu instid0(VALU_DEP_2) | instskip(NEXT) | instid1(VALU_DEP_1)
	v_add_co_ci_u32_e32 v2, vcc_lo, v6, v2, vcc_lo
	v_dual_mov_b32 v4, v2 :: v_dual_mov_b32 v3, v1
; %bb.41:
	s_or_b32 exec_lo, exec_lo, s1
	v_mov_b32_dpp v1, v5 row_shr:4 row_mask:0xf bank_mask:0xf
	v_mov_b32_dpp v6, v2 row_shr:4 row_mask:0xf bank_mask:0xf
	s_mov_b32 s1, exec_lo
	v_cmpx_lt_u32_e32 3, v73
	;; [unrolled: 14-line block ×3, first 2 shown]
; %bb.44:
	s_delay_alu instid0(VALU_DEP_3) | instskip(SKIP_1) | instid1(VALU_DEP_2)
	v_add_co_u32 v5, vcc_lo, v3, v6
	v_add_co_ci_u32_e32 v2, vcc_lo, 0, v4, vcc_lo
	v_add_co_u32 v3, vcc_lo, 0, v5
	s_delay_alu instid0(VALU_DEP_2) | instskip(NEXT) | instid1(VALU_DEP_1)
	v_add_co_ci_u32_e32 v4, vcc_lo, v1, v2, vcc_lo
	v_mov_b32_e32 v2, v4
; %bb.45:
	s_or_b32 exec_lo, exec_lo, s1
	ds_swizzle_b32 v1, v5 offset:swizzle(BROADCAST,32,15)
	ds_swizzle_b32 v6, v2 offset:swizzle(BROADCAST,32,15)
	v_and_b32_e32 v7, 16, v72
	s_mov_b32 s1, exec_lo
	s_delay_alu instid0(VALU_DEP_1)
	v_cmpx_ne_u32_e32 0, v7
	s_cbranch_execz .LBB302_47
; %bb.46:
	s_waitcnt lgkmcnt(1)
	v_add_co_u32 v5, vcc_lo, v3, v1
	v_add_co_ci_u32_e32 v2, vcc_lo, 0, v4, vcc_lo
	s_delay_alu instid0(VALU_DEP_2) | instskip(SKIP_1) | instid1(VALU_DEP_2)
	v_add_co_u32 v1, vcc_lo, 0, v5
	s_waitcnt lgkmcnt(0)
	v_add_co_ci_u32_e32 v2, vcc_lo, v6, v2, vcc_lo
	s_delay_alu instid0(VALU_DEP_1)
	v_dual_mov_b32 v4, v2 :: v_dual_mov_b32 v3, v1
.LBB302_47:
	s_or_b32 exec_lo, exec_lo, s1
	s_waitcnt lgkmcnt(0)
	v_or_b32_e32 v6, 31, v0
	v_lshrrev_b32_e32 v1, 5, v0
	s_mov_b32 s1, exec_lo
	s_delay_alu instid0(VALU_DEP_2)
	v_cmpx_eq_u32_e64 v6, v0
	s_cbranch_execz .LBB302_49
; %bb.48:
	s_delay_alu instid0(VALU_DEP_2)
	v_lshlrev_b32_e32 v6, 3, v1
	ds_store_b64 v6, v[3:4]
.LBB302_49:
	s_or_b32 exec_lo, exec_lo, s1
	s_delay_alu instid0(SALU_CYCLE_1)
	s_mov_b32 s1, exec_lo
	s_waitcnt lgkmcnt(0)
	s_barrier
	buffer_gl0_inv
	v_cmpx_gt_u32_e32 4, v0
	s_cbranch_execz .LBB302_55
; %bb.50:
	v_lshlrev_b32_e32 v6, 3, v0
	s_mov_b32 s12, exec_lo
	ds_load_b64 v[3:4], v6
	s_waitcnt lgkmcnt(0)
	v_dual_mov_b32 v8, v3 :: v_dual_and_b32 v7, 3, v72
	v_mov_b32_dpp v10, v3 row_shr:1 row_mask:0xf bank_mask:0xf
	v_mov_b32_dpp v9, v4 row_shr:1 row_mask:0xf bank_mask:0xf
	s_delay_alu instid0(VALU_DEP_3)
	v_cmpx_ne_u32_e32 0, v7
; %bb.51:
	s_delay_alu instid0(VALU_DEP_3) | instskip(SKIP_1) | instid1(VALU_DEP_2)
	v_add_co_u32 v8, vcc_lo, v3, v10
	v_add_co_ci_u32_e32 v4, vcc_lo, 0, v4, vcc_lo
	v_add_co_u32 v3, vcc_lo, 0, v8
	s_delay_alu instid0(VALU_DEP_2)
	v_add_co_ci_u32_e32 v4, vcc_lo, v9, v4, vcc_lo
; %bb.52:
	s_or_b32 exec_lo, exec_lo, s12
	v_mov_b32_dpp v9, v8 row_shr:2 row_mask:0xf bank_mask:0xf
	s_delay_alu instid0(VALU_DEP_2)
	v_mov_b32_dpp v8, v4 row_shr:2 row_mask:0xf bank_mask:0xf
	s_mov_b32 s12, exec_lo
	v_cmpx_lt_u32_e32 1, v7
; %bb.53:
	s_delay_alu instid0(VALU_DEP_3) | instskip(SKIP_1) | instid1(VALU_DEP_2)
	v_add_co_u32 v3, vcc_lo, v3, v9
	v_add_co_ci_u32_e32 v4, vcc_lo, 0, v4, vcc_lo
	v_add_co_u32 v3, vcc_lo, v3, 0
	s_delay_alu instid0(VALU_DEP_2)
	v_add_co_ci_u32_e32 v4, vcc_lo, v4, v8, vcc_lo
; %bb.54:
	s_or_b32 exec_lo, exec_lo, s12
	ds_store_b64 v6, v[3:4]
.LBB302_55:
	s_or_b32 exec_lo, exec_lo, s1
	v_cmp_gt_u32_e32 vcc_lo, 32, v0
	s_mov_b32 s12, exec_lo
	s_waitcnt lgkmcnt(0)
	s_barrier
	buffer_gl0_inv
                                        ; implicit-def: $vgpr9_vgpr10
	v_cmpx_lt_u32_e32 31, v0
	s_cbranch_execz .LBB302_57
; %bb.56:
	v_lshl_add_u32 v1, v1, 3, -8
	ds_load_b64 v[9:10], v1
	s_waitcnt lgkmcnt(0)
	v_add_co_u32 v5, s1, v5, v9
	s_delay_alu instid0(VALU_DEP_1)
	v_add_co_ci_u32_e64 v2, s1, v2, v10, s1
.LBB302_57:
	s_or_b32 exec_lo, exec_lo, s12
	v_add_nc_u32_e32 v1, -1, v72
	s_delay_alu instid0(VALU_DEP_1) | instskip(NEXT) | instid1(VALU_DEP_1)
	v_cmp_gt_i32_e64 s1, 0, v1
	v_cndmask_b32_e64 v1, v1, v72, s1
	v_cmp_eq_u32_e64 s1, 0, v72
	s_delay_alu instid0(VALU_DEP_2)
	v_lshlrev_b32_e32 v1, 2, v1
	ds_bpermute_b32 v15, v1, v5
	ds_bpermute_b32 v16, v1, v2
	s_and_saveexec_b32 s12, vcc_lo
	s_cbranch_execz .LBB302_95
; %bb.58:
	v_mov_b32_e32 v4, 0
	ds_load_b64 v[1:2], v4 offset:24
	s_and_saveexec_b32 s13, s1
	s_cbranch_execz .LBB302_60
; %bb.59:
	s_add_i32 s16, s15, 32
	s_mov_b32 s17, 0
	s_delay_alu instid0(SALU_CYCLE_1) | instskip(NEXT) | instid1(SALU_CYCLE_1)
	s_lshl_b64 s[16:17], s[16:17], 4
	s_add_u32 s16, s8, s16
	s_addc_u32 s17, s9, s17
	v_mov_b32_e32 v5, s16
	v_dual_mov_b32 v3, 1 :: v_dual_mov_b32 v6, s17
	s_waitcnt lgkmcnt(0)
	;;#ASMSTART
	global_store_dwordx4 v[5:6], v[1:4] off	
s_waitcnt vmcnt(0)
	;;#ASMEND
.LBB302_60:
	s_or_b32 exec_lo, exec_lo, s13
	v_xad_u32 v11, v72, -1, s15
	s_mov_b32 s14, 0
	s_mov_b32 s13, exec_lo
	s_delay_alu instid0(VALU_DEP_1) | instskip(NEXT) | instid1(VALU_DEP_1)
	v_add_nc_u32_e32 v3, 32, v11
	v_lshlrev_b64 v[3:4], 4, v[3:4]
	s_delay_alu instid0(VALU_DEP_1) | instskip(NEXT) | instid1(VALU_DEP_2)
	v_add_co_u32 v3, vcc_lo, s8, v3
	v_add_co_ci_u32_e32 v4, vcc_lo, s9, v4, vcc_lo
	;;#ASMSTART
	global_load_dwordx4 v[5:8], v[3:4] off glc	
s_waitcnt vmcnt(0)
	;;#ASMEND
	v_and_b32_e32 v8, 0xff, v6
	v_and_b32_e32 v12, 0xff00, v6
	v_or3_b32 v5, v5, 0, 0
	v_and_b32_e32 v13, 0xff000000, v6
	v_and_b32_e32 v6, 0xff0000, v6
	s_delay_alu instid0(VALU_DEP_4) | instskip(SKIP_2) | instid1(VALU_DEP_3)
	v_or3_b32 v8, 0, v8, v12
	v_and_b32_e32 v12, 0xff, v7
	v_or3_b32 v5, v5, 0, 0
	v_or3_b32 v6, v8, v6, v13
	s_delay_alu instid0(VALU_DEP_3)
	v_cmpx_eq_u16_e32 0, v12
	s_cbranch_execz .LBB302_63
.LBB302_61:                             ; =>This Inner Loop Header: Depth=1
	;;#ASMSTART
	global_load_dwordx4 v[5:8], v[3:4] off glc	
s_waitcnt vmcnt(0)
	;;#ASMEND
	v_and_b32_e32 v8, 0xff, v7
	s_delay_alu instid0(VALU_DEP_1) | instskip(SKIP_1) | instid1(SALU_CYCLE_1)
	v_cmp_ne_u16_e32 vcc_lo, 0, v8
	s_or_b32 s14, vcc_lo, s14
	s_and_not1_b32 exec_lo, exec_lo, s14
	s_cbranch_execnz .LBB302_61
; %bb.62:
	s_or_b32 exec_lo, exec_lo, s14
.LBB302_63:
	s_delay_alu instid0(SALU_CYCLE_1)
	s_or_b32 exec_lo, exec_lo, s13
	v_cmp_ne_u32_e32 vcc_lo, 31, v72
	v_and_b32_e32 v4, 0xff, v7
	v_lshlrev_b32_e64 v18, v72, -1
	s_mov_b32 s13, exec_lo
	v_add_co_ci_u32_e32 v3, vcc_lo, 0, v72, vcc_lo
	s_delay_alu instid0(VALU_DEP_3) | instskip(NEXT) | instid1(VALU_DEP_2)
	v_cmp_eq_u16_e32 vcc_lo, 2, v4
	v_dual_mov_b32 v4, v5 :: v_dual_lshlrev_b32 v17, 2, v3
	v_and_or_b32 v3, vcc_lo, v18, 0x80000000
	ds_bpermute_b32 v12, v17, v5
	ds_bpermute_b32 v8, v17, v6
	v_ctz_i32_b32_e32 v3, v3
	s_delay_alu instid0(VALU_DEP_1)
	v_cmpx_lt_u32_e64 v72, v3
	s_cbranch_execz .LBB302_65
; %bb.64:
	s_waitcnt lgkmcnt(1)
	v_add_co_u32 v4, vcc_lo, v5, v12
	v_add_co_ci_u32_e32 v6, vcc_lo, 0, v6, vcc_lo
	s_delay_alu instid0(VALU_DEP_2) | instskip(SKIP_1) | instid1(VALU_DEP_2)
	v_add_co_u32 v5, vcc_lo, 0, v4
	s_waitcnt lgkmcnt(0)
	v_add_co_ci_u32_e32 v6, vcc_lo, v8, v6, vcc_lo
.LBB302_65:
	s_or_b32 exec_lo, exec_lo, s13
	v_cmp_gt_u32_e32 vcc_lo, 30, v72
	v_add_nc_u32_e32 v20, 2, v72
	s_mov_b32 s13, exec_lo
	s_waitcnt lgkmcnt(0)
	v_cndmask_b32_e64 v8, 0, 1, vcc_lo
	s_delay_alu instid0(VALU_DEP_1) | instskip(NEXT) | instid1(VALU_DEP_1)
	v_lshlrev_b32_e32 v8, 1, v8
	v_add_lshl_u32 v19, v8, v72, 2
	ds_bpermute_b32 v12, v19, v4
	ds_bpermute_b32 v8, v19, v6
	v_cmpx_le_u32_e64 v20, v3
	s_cbranch_execz .LBB302_67
; %bb.66:
	s_waitcnt lgkmcnt(1)
	v_add_co_u32 v4, vcc_lo, v5, v12
	v_add_co_ci_u32_e32 v6, vcc_lo, 0, v6, vcc_lo
	s_delay_alu instid0(VALU_DEP_2) | instskip(SKIP_1) | instid1(VALU_DEP_2)
	v_add_co_u32 v5, vcc_lo, 0, v4
	s_waitcnt lgkmcnt(0)
	v_add_co_ci_u32_e32 v6, vcc_lo, v8, v6, vcc_lo
.LBB302_67:
	s_or_b32 exec_lo, exec_lo, s13
	v_cmp_gt_u32_e32 vcc_lo, 28, v72
	v_add_nc_u32_e32 v22, 4, v72
	s_mov_b32 s13, exec_lo
	s_waitcnt lgkmcnt(0)
	v_cndmask_b32_e64 v8, 0, 1, vcc_lo
	s_delay_alu instid0(VALU_DEP_1) | instskip(NEXT) | instid1(VALU_DEP_1)
	v_lshlrev_b32_e32 v8, 2, v8
	v_add_lshl_u32 v21, v8, v72, 2
	ds_bpermute_b32 v12, v21, v4
	ds_bpermute_b32 v8, v21, v6
	v_cmpx_le_u32_e64 v22, v3
	;; [unrolled: 22-line block ×4, first 2 shown]
	s_cbranch_execz .LBB302_73
; %bb.72:
	s_waitcnt lgkmcnt(1)
	v_add_co_u32 v3, vcc_lo, v5, v8
	v_add_co_ci_u32_e32 v6, vcc_lo, 0, v6, vcc_lo
	s_delay_alu instid0(VALU_DEP_2) | instskip(SKIP_1) | instid1(VALU_DEP_2)
	v_add_co_u32 v5, vcc_lo, v3, 0
	s_waitcnt lgkmcnt(0)
	v_add_co_ci_u32_e32 v6, vcc_lo, v6, v4, vcc_lo
.LBB302_73:
	s_or_b32 exec_lo, exec_lo, s13
	v_mov_b32_e32 v12, 0
	s_branch .LBB302_75
.LBB302_74:                             ;   in Loop: Header=BB302_75 Depth=1
	s_or_b32 exec_lo, exec_lo, s13
	v_add_co_u32 v5, vcc_lo, v5, v3
	v_subrev_nc_u32_e32 v11, 32, v11
	v_add_co_ci_u32_e32 v6, vcc_lo, v6, v4, vcc_lo
.LBB302_75:                             ; =>This Loop Header: Depth=1
                                        ;     Child Loop BB302_78 Depth 2
	v_and_b32_e32 v3, 0xff, v7
	s_delay_alu instid0(VALU_DEP_1) | instskip(SKIP_2) | instid1(VALU_DEP_1)
	v_cmp_ne_u16_e32 vcc_lo, 2, v3
	v_cndmask_b32_e64 v3, 0, 1, vcc_lo
	;;#ASMSTART
	;;#ASMEND
	v_cmp_ne_u32_e32 vcc_lo, 0, v3
	s_waitcnt lgkmcnt(0)
	v_dual_mov_b32 v3, v5 :: v_dual_mov_b32 v4, v6
	s_cmp_lg_u32 vcc_lo, exec_lo
	s_cbranch_scc1 .LBB302_90
; %bb.76:                               ;   in Loop: Header=BB302_75 Depth=1
	v_lshlrev_b64 v[5:6], 4, v[11:12]
	s_mov_b32 s13, exec_lo
	s_delay_alu instid0(VALU_DEP_1) | instskip(NEXT) | instid1(VALU_DEP_2)
	v_add_co_u32 v13, vcc_lo, s8, v5
	v_add_co_ci_u32_e32 v14, vcc_lo, s9, v6, vcc_lo
	;;#ASMSTART
	global_load_dwordx4 v[5:8], v[13:14] off glc	
s_waitcnt vmcnt(0)
	;;#ASMEND
	v_and_b32_e32 v8, 0xff, v6
	v_and_b32_e32 v27, 0xff00, v6
	v_or3_b32 v5, v5, 0, 0
	v_and_b32_e32 v28, 0xff000000, v6
	v_and_b32_e32 v6, 0xff0000, v6
	s_delay_alu instid0(VALU_DEP_4) | instskip(SKIP_2) | instid1(VALU_DEP_3)
	v_or3_b32 v8, 0, v8, v27
	v_and_b32_e32 v27, 0xff, v7
	v_or3_b32 v5, v5, 0, 0
	v_or3_b32 v6, v8, v6, v28
	s_delay_alu instid0(VALU_DEP_3)
	v_cmpx_eq_u16_e32 0, v27
	s_cbranch_execz .LBB302_80
; %bb.77:                               ;   in Loop: Header=BB302_75 Depth=1
	s_mov_b32 s14, 0
.LBB302_78:                             ;   Parent Loop BB302_75 Depth=1
                                        ; =>  This Inner Loop Header: Depth=2
	;;#ASMSTART
	global_load_dwordx4 v[5:8], v[13:14] off glc	
s_waitcnt vmcnt(0)
	;;#ASMEND
	v_and_b32_e32 v8, 0xff, v7
	s_delay_alu instid0(VALU_DEP_1) | instskip(SKIP_1) | instid1(SALU_CYCLE_1)
	v_cmp_ne_u16_e32 vcc_lo, 0, v8
	s_or_b32 s14, vcc_lo, s14
	s_and_not1_b32 exec_lo, exec_lo, s14
	s_cbranch_execnz .LBB302_78
; %bb.79:                               ;   in Loop: Header=BB302_75 Depth=1
	s_or_b32 exec_lo, exec_lo, s14
.LBB302_80:                             ;   in Loop: Header=BB302_75 Depth=1
	s_delay_alu instid0(SALU_CYCLE_1)
	s_or_b32 exec_lo, exec_lo, s13
	v_dual_mov_b32 v13, v5 :: v_dual_and_b32 v8, 0xff, v7
	ds_bpermute_b32 v27, v17, v5
	ds_bpermute_b32 v14, v17, v6
	s_mov_b32 s13, exec_lo
	v_cmp_eq_u16_e32 vcc_lo, 2, v8
	v_and_or_b32 v8, vcc_lo, v18, 0x80000000
	s_delay_alu instid0(VALU_DEP_1) | instskip(NEXT) | instid1(VALU_DEP_1)
	v_ctz_i32_b32_e32 v8, v8
	v_cmpx_lt_u32_e64 v72, v8
	s_cbranch_execz .LBB302_82
; %bb.81:                               ;   in Loop: Header=BB302_75 Depth=1
	s_waitcnt lgkmcnt(1)
	v_add_co_u32 v13, vcc_lo, v5, v27
	v_add_co_ci_u32_e32 v6, vcc_lo, 0, v6, vcc_lo
	s_delay_alu instid0(VALU_DEP_2) | instskip(SKIP_1) | instid1(VALU_DEP_2)
	v_add_co_u32 v5, vcc_lo, 0, v13
	s_waitcnt lgkmcnt(0)
	v_add_co_ci_u32_e32 v6, vcc_lo, v14, v6, vcc_lo
.LBB302_82:                             ;   in Loop: Header=BB302_75 Depth=1
	s_or_b32 exec_lo, exec_lo, s13
	s_waitcnt lgkmcnt(1)
	ds_bpermute_b32 v27, v19, v13
	s_waitcnt lgkmcnt(1)
	ds_bpermute_b32 v14, v19, v6
	s_mov_b32 s13, exec_lo
	v_cmpx_le_u32_e64 v20, v8
	s_cbranch_execz .LBB302_84
; %bb.83:                               ;   in Loop: Header=BB302_75 Depth=1
	s_waitcnt lgkmcnt(1)
	v_add_co_u32 v13, vcc_lo, v5, v27
	v_add_co_ci_u32_e32 v6, vcc_lo, 0, v6, vcc_lo
	s_delay_alu instid0(VALU_DEP_2) | instskip(SKIP_1) | instid1(VALU_DEP_2)
	v_add_co_u32 v5, vcc_lo, 0, v13
	s_waitcnt lgkmcnt(0)
	v_add_co_ci_u32_e32 v6, vcc_lo, v14, v6, vcc_lo
.LBB302_84:                             ;   in Loop: Header=BB302_75 Depth=1
	s_or_b32 exec_lo, exec_lo, s13
	s_waitcnt lgkmcnt(1)
	ds_bpermute_b32 v27, v21, v13
	s_waitcnt lgkmcnt(1)
	ds_bpermute_b32 v14, v21, v6
	s_mov_b32 s13, exec_lo
	v_cmpx_le_u32_e64 v22, v8
	;; [unrolled: 17-line block ×3, first 2 shown]
	s_cbranch_execz .LBB302_88
; %bb.87:                               ;   in Loop: Header=BB302_75 Depth=1
	s_waitcnt lgkmcnt(1)
	v_add_co_u32 v13, vcc_lo, v5, v27
	v_add_co_ci_u32_e32 v6, vcc_lo, 0, v6, vcc_lo
	s_delay_alu instid0(VALU_DEP_2) | instskip(SKIP_1) | instid1(VALU_DEP_2)
	v_add_co_u32 v5, vcc_lo, 0, v13
	s_waitcnt lgkmcnt(0)
	v_add_co_ci_u32_e32 v6, vcc_lo, v14, v6, vcc_lo
.LBB302_88:                             ;   in Loop: Header=BB302_75 Depth=1
	s_or_b32 exec_lo, exec_lo, s13
	s_waitcnt lgkmcnt(0)
	ds_bpermute_b32 v14, v25, v13
	ds_bpermute_b32 v13, v25, v6
	s_mov_b32 s13, exec_lo
	v_cmpx_le_u32_e64 v26, v8
	s_cbranch_execz .LBB302_74
; %bb.89:                               ;   in Loop: Header=BB302_75 Depth=1
	s_waitcnt lgkmcnt(1)
	v_add_co_u32 v5, vcc_lo, v5, v14
	v_add_co_ci_u32_e32 v6, vcc_lo, 0, v6, vcc_lo
	s_delay_alu instid0(VALU_DEP_2) | instskip(SKIP_1) | instid1(VALU_DEP_2)
	v_add_co_u32 v5, vcc_lo, v5, 0
	s_waitcnt lgkmcnt(0)
	v_add_co_ci_u32_e32 v6, vcc_lo, v6, v13, vcc_lo
	s_branch .LBB302_74
.LBB302_90:                             ;   in Loop: Header=BB302_75 Depth=1
                                        ; implicit-def: $vgpr5_vgpr6
	s_cbranch_execz .LBB302_75
; %bb.91:
	s_and_saveexec_b32 s13, s1
	s_cbranch_execz .LBB302_93
; %bb.92:
	s_add_i32 s14, s15, 32
	s_mov_b32 s15, 0
	v_add_co_u32 v5, vcc_lo, v3, v1
	s_lshl_b64 s[14:15], s[14:15], 4
	v_dual_mov_b32 v7, 2 :: v_dual_mov_b32 v8, 0
	s_add_u32 s14, s8, s14
	s_addc_u32 s15, s9, s15
	v_add_co_ci_u32_e32 v6, vcc_lo, v4, v2, vcc_lo
	v_dual_mov_b32 v11, s14 :: v_dual_mov_b32 v12, s15
	;;#ASMSTART
	global_store_dwordx4 v[11:12], v[5:8] off	
s_waitcnt vmcnt(0)
	;;#ASMEND
	ds_store_b128 v8, v[1:4] offset:7168
.LBB302_93:
	s_or_b32 exec_lo, exec_lo, s13
	v_cmp_eq_u32_e32 vcc_lo, 0, v0
	s_and_b32 exec_lo, exec_lo, vcc_lo
	s_cbranch_execz .LBB302_95
; %bb.94:
	v_mov_b32_e32 v1, 0
	ds_store_b64 v1, v[3:4] offset:24
.LBB302_95:
	s_or_b32 exec_lo, exec_lo, s12
	s_waitcnt lgkmcnt(0)
	v_cndmask_b32_e64 v4, v16, v10, s1
	v_cmp_ne_u32_e32 vcc_lo, 0, v0
	v_mov_b32_e32 v21, 0
	s_barrier
	buffer_gl0_inv
	v_cndmask_b32_e32 v4, 0, v4, vcc_lo
	ds_load_b64 v[1:2], v21 offset:24
	v_cndmask_b32_e64 v3, v15, v9, s1
	s_waitcnt lgkmcnt(0)
	s_barrier
	buffer_gl0_inv
	ds_load_b128 v[45:48], v21 offset:7168
	v_cndmask_b32_e32 v3, 0, v3, vcc_lo
	s_delay_alu instid0(VALU_DEP_1) | instskip(SKIP_1) | instid1(VALU_DEP_2)
	v_add_co_u32 v1, vcc_lo, v1, v3
	v_add_co_ci_u32_e32 v2, vcc_lo, v2, v4, vcc_lo
	v_add_co_u32 v3, vcc_lo, v1, v63
	s_delay_alu instid0(VALU_DEP_2) | instskip(NEXT) | instid1(VALU_DEP_2)
	v_add_co_ci_u32_e32 v4, vcc_lo, 0, v2, vcc_lo
	v_add_co_u32 v5, vcc_lo, v3, v64
	s_delay_alu instid0(VALU_DEP_2) | instskip(NEXT) | instid1(VALU_DEP_2)
	;; [unrolled: 3-line block ×12, first 2 shown]
	v_add_co_ci_u32_e32 v26, vcc_lo, 0, v24, vcc_lo
	v_add_co_u32 v27, vcc_lo, v25, v62
	s_delay_alu instid0(VALU_DEP_2)
	v_add_co_ci_u32_e32 v28, vcc_lo, 0, v26, vcc_lo
	s_branch .LBB302_120
.LBB302_96:
                                        ; implicit-def: $vgpr47_vgpr48
                                        ; implicit-def: $vgpr1_vgpr2_vgpr3_vgpr4_vgpr5_vgpr6_vgpr7_vgpr8_vgpr9_vgpr10_vgpr11_vgpr12_vgpr13_vgpr14_vgpr15_vgpr16_vgpr17_vgpr18_vgpr19_vgpr20_vgpr21_vgpr22_vgpr23_vgpr24_vgpr25_vgpr26_vgpr27_vgpr28_vgpr29_vgpr30_vgpr31_vgpr32
	s_and_b32 vcc_lo, exec_lo, s1
	s_cbranch_vccz .LBB302_120
; %bb.97:
	v_dual_mov_b32 v2, 0 :: v_dual_mov_b32 v3, v51
	v_mov_b32_dpp v4, v51 row_shr:1 row_mask:0xf bank_mask:0xf
	s_delay_alu instid0(VALU_DEP_2)
	v_mov_b32_dpp v1, v2 row_shr:1 row_mask:0xf bank_mask:0xf
	s_and_saveexec_b32 s1, s0
; %bb.98:
	s_delay_alu instid0(VALU_DEP_2) | instskip(SKIP_1) | instid1(VALU_DEP_2)
	v_add_co_u32 v3, vcc_lo, v51, v4
	v_add_co_ci_u32_e32 v2, vcc_lo, 0, v52, vcc_lo
	v_add_co_u32 v51, vcc_lo, 0, v3
	s_delay_alu instid0(VALU_DEP_2) | instskip(NEXT) | instid1(VALU_DEP_1)
	v_add_co_ci_u32_e32 v52, vcc_lo, v1, v2, vcc_lo
	v_mov_b32_e32 v2, v52
; %bb.99:
	s_or_b32 exec_lo, exec_lo, s1
	v_mov_b32_dpp v1, v3 row_shr:2 row_mask:0xf bank_mask:0xf
	s_delay_alu instid0(VALU_DEP_2)
	v_mov_b32_dpp v4, v2 row_shr:2 row_mask:0xf bank_mask:0xf
	s_mov_b32 s0, exec_lo
	v_cmpx_lt_u32_e32 1, v73
; %bb.100:
	s_delay_alu instid0(VALU_DEP_3) | instskip(SKIP_1) | instid1(VALU_DEP_2)
	v_add_co_u32 v3, vcc_lo, v51, v1
	v_add_co_ci_u32_e32 v2, vcc_lo, 0, v52, vcc_lo
	v_add_co_u32 v1, vcc_lo, 0, v3
	s_delay_alu instid0(VALU_DEP_2) | instskip(NEXT) | instid1(VALU_DEP_1)
	v_add_co_ci_u32_e32 v2, vcc_lo, v4, v2, vcc_lo
	v_dual_mov_b32 v52, v2 :: v_dual_mov_b32 v51, v1
; %bb.101:
	s_or_b32 exec_lo, exec_lo, s0
	v_mov_b32_dpp v1, v3 row_shr:4 row_mask:0xf bank_mask:0xf
	v_mov_b32_dpp v4, v2 row_shr:4 row_mask:0xf bank_mask:0xf
	s_mov_b32 s0, exec_lo
	v_cmpx_lt_u32_e32 3, v73
; %bb.102:
	s_delay_alu instid0(VALU_DEP_3) | instskip(SKIP_1) | instid1(VALU_DEP_2)
	v_add_co_u32 v3, vcc_lo, v51, v1
	v_add_co_ci_u32_e32 v2, vcc_lo, 0, v52, vcc_lo
	v_add_co_u32 v1, vcc_lo, 0, v3
	s_delay_alu instid0(VALU_DEP_2) | instskip(NEXT) | instid1(VALU_DEP_1)
	v_add_co_ci_u32_e32 v2, vcc_lo, v4, v2, vcc_lo
	v_dual_mov_b32 v52, v2 :: v_dual_mov_b32 v51, v1
; %bb.103:
	s_or_b32 exec_lo, exec_lo, s0
	v_mov_b32_dpp v4, v3 row_shr:8 row_mask:0xf bank_mask:0xf
	v_mov_b32_dpp v1, v2 row_shr:8 row_mask:0xf bank_mask:0xf
	s_mov_b32 s0, exec_lo
	v_cmpx_lt_u32_e32 7, v73
; %bb.104:
	s_delay_alu instid0(VALU_DEP_3) | instskip(SKIP_1) | instid1(VALU_DEP_2)
	v_add_co_u32 v3, vcc_lo, v51, v4
	v_add_co_ci_u32_e32 v2, vcc_lo, 0, v52, vcc_lo
	v_add_co_u32 v51, vcc_lo, 0, v3
	s_delay_alu instid0(VALU_DEP_2) | instskip(NEXT) | instid1(VALU_DEP_1)
	v_add_co_ci_u32_e32 v52, vcc_lo, v1, v2, vcc_lo
	v_mov_b32_e32 v2, v52
; %bb.105:
	s_or_b32 exec_lo, exec_lo, s0
	ds_swizzle_b32 v3, v3 offset:swizzle(BROADCAST,32,15)
	ds_swizzle_b32 v1, v2 offset:swizzle(BROADCAST,32,15)
	v_and_b32_e32 v2, 16, v72
	s_mov_b32 s0, exec_lo
	s_delay_alu instid0(VALU_DEP_1)
	v_cmpx_ne_u32_e32 0, v2
	s_cbranch_execz .LBB302_107
; %bb.106:
	s_waitcnt lgkmcnt(1)
	v_add_co_u32 v2, vcc_lo, v51, v3
	v_add_co_ci_u32_e32 v3, vcc_lo, 0, v52, vcc_lo
	s_delay_alu instid0(VALU_DEP_2) | instskip(SKIP_1) | instid1(VALU_DEP_2)
	v_add_co_u32 v51, vcc_lo, v2, 0
	s_waitcnt lgkmcnt(0)
	v_add_co_ci_u32_e32 v52, vcc_lo, v3, v1, vcc_lo
.LBB302_107:
	s_or_b32 exec_lo, exec_lo, s0
	s_waitcnt lgkmcnt(0)
	v_or_b32_e32 v1, 31, v0
	v_lshrrev_b32_e32 v3, 5, v0
	s_mov_b32 s0, exec_lo
	s_delay_alu instid0(VALU_DEP_2)
	v_cmpx_eq_u32_e64 v1, v0
	s_cbranch_execz .LBB302_109
; %bb.108:
	s_delay_alu instid0(VALU_DEP_2)
	v_lshlrev_b32_e32 v1, 3, v3
	ds_store_b64 v1, v[51:52]
.LBB302_109:
	s_or_b32 exec_lo, exec_lo, s0
	s_delay_alu instid0(SALU_CYCLE_1)
	s_mov_b32 s0, exec_lo
	s_waitcnt lgkmcnt(0)
	s_barrier
	buffer_gl0_inv
	v_cmpx_gt_u32_e32 4, v0
	s_cbranch_execz .LBB302_115
; %bb.110:
	v_mad_i32_i24 v1, 0xffffffd0, v0, v61
	s_mov_b32 s1, exec_lo
	ds_load_b64 v[1:2], v1
	s_waitcnt lgkmcnt(0)
	v_dual_mov_b32 v5, v1 :: v_dual_and_b32 v4, 3, v72
	v_mov_b32_dpp v7, v1 row_shr:1 row_mask:0xf bank_mask:0xf
	v_mov_b32_dpp v6, v2 row_shr:1 row_mask:0xf bank_mask:0xf
	s_delay_alu instid0(VALU_DEP_3)
	v_cmpx_ne_u32_e32 0, v4
; %bb.111:
	s_delay_alu instid0(VALU_DEP_3) | instskip(SKIP_1) | instid1(VALU_DEP_2)
	v_add_co_u32 v5, vcc_lo, v1, v7
	v_add_co_ci_u32_e32 v2, vcc_lo, 0, v2, vcc_lo
	v_add_co_u32 v1, vcc_lo, 0, v5
	s_delay_alu instid0(VALU_DEP_2)
	v_add_co_ci_u32_e32 v2, vcc_lo, v6, v2, vcc_lo
; %bb.112:
	s_or_b32 exec_lo, exec_lo, s1
	v_mul_i32_i24_e32 v6, 0xffffffd0, v0
	v_mov_b32_dpp v7, v5 row_shr:2 row_mask:0xf bank_mask:0xf
	s_delay_alu instid0(VALU_DEP_3)
	v_mov_b32_dpp v5, v2 row_shr:2 row_mask:0xf bank_mask:0xf
	s_mov_b32 s1, exec_lo
	v_cmpx_lt_u32_e32 1, v4
; %bb.113:
	s_delay_alu instid0(VALU_DEP_3) | instskip(SKIP_1) | instid1(VALU_DEP_2)
	v_add_co_u32 v1, vcc_lo, v1, v7
	v_add_co_ci_u32_e32 v2, vcc_lo, 0, v2, vcc_lo
	v_add_co_u32 v1, vcc_lo, v1, 0
	s_delay_alu instid0(VALU_DEP_2)
	v_add_co_ci_u32_e32 v2, vcc_lo, v2, v5, vcc_lo
; %bb.114:
	s_or_b32 exec_lo, exec_lo, s1
	v_add_nc_u32_e32 v4, v61, v6
	ds_store_b64 v4, v[1:2]
.LBB302_115:
	s_or_b32 exec_lo, exec_lo, s0
	v_mov_b32_e32 v1, 0
	v_mov_b32_e32 v2, 0
	s_mov_b32 s0, exec_lo
	s_waitcnt lgkmcnt(0)
	s_barrier
	buffer_gl0_inv
	v_cmpx_lt_u32_e32 31, v0
	s_cbranch_execz .LBB302_117
; %bb.116:
	v_lshl_add_u32 v1, v3, 3, -8
	ds_load_b64 v[1:2], v1
.LBB302_117:
	s_or_b32 exec_lo, exec_lo, s0
	v_dual_mov_b32 v48, 0 :: v_dual_add_nc_u32 v3, -1, v72
	s_delay_alu instid0(VALU_DEP_1) | instskip(SKIP_2) | instid1(VALU_DEP_1)
	v_cmp_gt_i32_e32 vcc_lo, 0, v3
	ds_load_b64 v[45:46], v48 offset:24
	v_cndmask_b32_e32 v3, v3, v72, vcc_lo
	v_lshlrev_b32_e32 v4, 2, v3
	s_waitcnt lgkmcnt(1)
	v_add_co_u32 v3, vcc_lo, v1, v51
	v_add_co_ci_u32_e32 v5, vcc_lo, v2, v52, vcc_lo
	v_cmp_eq_u32_e32 vcc_lo, 0, v0
	ds_bpermute_b32 v3, v4, v3
	ds_bpermute_b32 v4, v4, v5
	s_and_saveexec_b32 s0, vcc_lo
	s_cbranch_execz .LBB302_119
; %bb.118:
	s_add_u32 s8, s8, 0x200
	s_addc_u32 s9, s9, 0
	v_mov_b32_e32 v5, s8
	v_dual_mov_b32 v47, 2 :: v_dual_mov_b32 v6, s9
	s_waitcnt lgkmcnt(2)
	;;#ASMSTART
	global_store_dwordx4 v[5:6], v[45:48] off	
s_waitcnt vmcnt(0)
	;;#ASMEND
.LBB302_119:
	s_or_b32 exec_lo, exec_lo, s0
	v_cmp_eq_u32_e64 s0, 0, v72
	v_mov_b32_e32 v47, 0
	v_mov_b32_e32 v48, 0
	s_waitcnt lgkmcnt(0)
	s_barrier
	v_cndmask_b32_e64 v1, v3, v1, s0
	v_cndmask_b32_e64 v2, v4, v2, s0
	buffer_gl0_inv
	v_cndmask_b32_e64 v1, v1, 0, vcc_lo
	v_cndmask_b32_e64 v2, v2, 0, vcc_lo
	s_delay_alu instid0(VALU_DEP_2) | instskip(NEXT) | instid1(VALU_DEP_2)
	v_add_co_u32 v3, vcc_lo, v1, v63
	v_add_co_ci_u32_e32 v4, vcc_lo, 0, v2, vcc_lo
	s_delay_alu instid0(VALU_DEP_2) | instskip(NEXT) | instid1(VALU_DEP_2)
	v_add_co_u32 v5, vcc_lo, v3, v64
	v_add_co_ci_u32_e32 v6, vcc_lo, 0, v4, vcc_lo
	;; [unrolled: 3-line block ×13, first 2 shown]
.LBB302_120:
	s_waitcnt lgkmcnt(0)
	v_cmp_gt_u64_e32 vcc_lo, 0x81, v[45:46]
	v_lshrrev_b32_e32 v51, 16, v56
	v_lshrrev_b32_e32 v52, 8, v56
	v_lshrrev_b32_e32 v62, 8, v59
	v_lshrrev_b32_e32 v61, 16, v59
	v_lshrrev_b32_e32 v32, 8, v55
	v_lshrrev_b32_e32 v31, 16, v55
	s_mov_b32 s0, -1
	s_cbranch_vccnz .LBB302_124
; %bb.121:
	s_and_b32 vcc_lo, exec_lo, s0
	s_cbranch_vccnz .LBB302_167
.LBB302_122:
	v_cmp_eq_u32_e32 vcc_lo, 0, v0
	s_and_b32 s0, vcc_lo, s10
	s_delay_alu instid0(SALU_CYCLE_1)
	s_and_saveexec_b32 s1, s0
	s_cbranch_execnz .LBB302_199
.LBB302_123:
	s_nop 0
	s_sendmsg sendmsg(MSG_DEALLOC_VGPRS)
	s_endpgm
.LBB302_124:
	v_add_co_u32 v29, vcc_lo, v47, v45
	v_add_co_ci_u32_e32 v30, vcc_lo, v48, v46, vcc_lo
	s_lshl_b64 s[0:1], s[2:3], 2
	s_delay_alu instid0(SALU_CYCLE_1) | instskip(NEXT) | instid1(VALU_DEP_1)
	s_add_u32 s0, s6, s0
	v_cmp_lt_u64_e32 vcc_lo, v[1:2], v[29:30]
	s_addc_u32 s1, s7, s1
	s_or_b32 s9, s11, vcc_lo
	s_delay_alu instid0(SALU_CYCLE_1)
	s_and_saveexec_b32 s8, s9
	s_cbranch_execz .LBB302_127
; %bb.125:
	v_and_b32_e32 v63, 1, v59
	s_delay_alu instid0(VALU_DEP_1)
	v_cmp_eq_u32_e32 vcc_lo, 1, v63
	s_and_b32 exec_lo, exec_lo, vcc_lo
	s_cbranch_execz .LBB302_127
; %bb.126:
	v_lshlrev_b64 v[63:64], 2, v[1:2]
	s_delay_alu instid0(VALU_DEP_1) | instskip(NEXT) | instid1(VALU_DEP_2)
	v_add_co_u32 v63, vcc_lo, s0, v63
	v_add_co_ci_u32_e32 v64, vcc_lo, s1, v64, vcc_lo
	global_store_b32 v[63:64], v41, off
.LBB302_127:
	s_or_b32 exec_lo, exec_lo, s8
	v_cmp_lt_u64_e32 vcc_lo, v[3:4], v[29:30]
	s_or_b32 s9, s11, vcc_lo
	s_delay_alu instid0(SALU_CYCLE_1)
	s_and_saveexec_b32 s8, s9
	s_cbranch_execz .LBB302_130
; %bb.128:
	v_and_b32_e32 v2, 1, v62
	s_delay_alu instid0(VALU_DEP_1)
	v_cmp_eq_u32_e32 vcc_lo, 1, v2
	s_and_b32 exec_lo, exec_lo, vcc_lo
	s_cbranch_execz .LBB302_130
; %bb.129:
	v_lshlrev_b64 v[63:64], 2, v[3:4]
	s_delay_alu instid0(VALU_DEP_1) | instskip(NEXT) | instid1(VALU_DEP_2)
	v_add_co_u32 v63, vcc_lo, s0, v63
	v_add_co_ci_u32_e32 v64, vcc_lo, s1, v64, vcc_lo
	global_store_b32 v[63:64], v42, off
.LBB302_130:
	s_or_b32 exec_lo, exec_lo, s8
	v_cmp_lt_u64_e32 vcc_lo, v[5:6], v[29:30]
	;; [unrolled: 19-line block ×13, first 2 shown]
	s_or_b32 s9, s11, vcc_lo
	s_delay_alu instid0(SALU_CYCLE_1)
	s_and_saveexec_b32 s8, s9
	s_cbranch_execz .LBB302_166
; %bb.164:
	v_and_b32_e32 v2, 1, v53
	s_delay_alu instid0(VALU_DEP_1)
	v_cmp_eq_u32_e32 vcc_lo, 1, v2
	s_and_b32 exec_lo, exec_lo, vcc_lo
	s_cbranch_execz .LBB302_166
; %bb.165:
	v_lshlrev_b64 v[28:29], 2, v[27:28]
	s_delay_alu instid0(VALU_DEP_1) | instskip(NEXT) | instid1(VALU_DEP_2)
	v_add_co_u32 v28, vcc_lo, s0, v28
	v_add_co_ci_u32_e32 v29, vcc_lo, s1, v29, vcc_lo
	global_store_b32 v[28:29], v50, off
.LBB302_166:
	s_or_b32 exec_lo, exec_lo, s8
	s_branch .LBB302_122
.LBB302_167:
	v_and_b32_e32 v2, 1, v59
	s_mov_b32 s0, exec_lo
	s_delay_alu instid0(VALU_DEP_1)
	v_cmpx_eq_u32_e32 1, v2
	s_cbranch_execz .LBB302_169
; %bb.168:
	v_sub_nc_u32_e32 v1, v1, v47
	s_delay_alu instid0(VALU_DEP_1)
	v_lshlrev_b32_e32 v1, 2, v1
	ds_store_b32 v1, v41
.LBB302_169:
	s_or_b32 exec_lo, exec_lo, s0
	v_and_b32_e32 v1, 1, v62
	s_mov_b32 s0, exec_lo
	s_delay_alu instid0(VALU_DEP_1)
	v_cmpx_eq_u32_e32 1, v1
	s_cbranch_execz .LBB302_171
; %bb.170:
	v_sub_nc_u32_e32 v1, v3, v47
	s_delay_alu instid0(VALU_DEP_1)
	v_lshlrev_b32_e32 v1, 2, v1
	ds_store_b32 v1, v42
.LBB302_171:
	s_or_b32 exec_lo, exec_lo, s0
	;; [unrolled: 12-line block ×14, first 2 shown]
	v_mov_b32_e32 v3, 0
	s_mov_b32 s1, exec_lo
	s_waitcnt lgkmcnt(0)
	s_waitcnt_vscnt null, 0x0
	s_barrier
	buffer_gl0_inv
	v_mov_b32_e32 v1, v3
	s_delay_alu instid0(VALU_DEP_1)
	v_cmpx_gt_u64_e64 v[45:46], v[0:1]
	s_cbranch_execz .LBB302_198
; %bb.196:
	v_lshlrev_b64 v[4:5], 2, v[47:48]
	s_lshl_b64 s[8:9], s[2:3], 2
	v_or_b32_e32 v2, 0x80, v0
	s_delay_alu instid0(VALU_DEP_2) | instskip(NEXT) | instid1(VALU_DEP_3)
	v_add_co_u32 v4, vcc_lo, s6, v4
	v_add_co_ci_u32_e32 v5, vcc_lo, s7, v5, vcc_lo
	s_mov_b32 s6, 0
	s_delay_alu instid0(VALU_DEP_2) | instskip(NEXT) | instid1(VALU_DEP_2)
	v_add_co_u32 v6, vcc_lo, v4, s8
	v_add_co_ci_u32_e32 v7, vcc_lo, s9, v5, vcc_lo
	v_dual_mov_b32 v5, v1 :: v_dual_mov_b32 v4, v0
	.p2align	6
.LBB302_197:                            ; =>This Inner Loop Header: Depth=1
	s_delay_alu instid0(VALU_DEP_1) | instskip(NEXT) | instid1(VALU_DEP_2)
	v_lshlrev_b32_e32 v1, 2, v4
	v_lshlrev_b64 v[8:9], 2, v[4:5]
	v_dual_mov_b32 v5, v3 :: v_dual_mov_b32 v4, v2
	v_cmp_le_u64_e32 vcc_lo, v[45:46], v[2:3]
	v_add_nc_u32_e32 v2, 0x80, v2
	ds_load_b32 v1, v1
	v_add_co_u32 v8, s0, v6, v8
	s_delay_alu instid0(VALU_DEP_1)
	v_add_co_ci_u32_e64 v9, s0, v7, v9, s0
	s_or_b32 s6, vcc_lo, s6
	s_waitcnt lgkmcnt(0)
	global_store_b32 v[8:9], v1, off
	s_and_not1_b32 exec_lo, exec_lo, s6
	s_cbranch_execnz .LBB302_197
.LBB302_198:
	s_or_b32 exec_lo, exec_lo, s1
	v_cmp_eq_u32_e32 vcc_lo, 0, v0
	s_and_b32 s0, vcc_lo, s10
	s_delay_alu instid0(SALU_CYCLE_1)
	s_and_saveexec_b32 s1, s0
	s_cbranch_execz .LBB302_123
.LBB302_199:
	v_add_co_u32 v0, vcc_lo, v47, v45
	v_add_co_ci_u32_e32 v1, vcc_lo, v48, v46, vcc_lo
	v_mov_b32_e32 v2, 0
	s_delay_alu instid0(VALU_DEP_3) | instskip(NEXT) | instid1(VALU_DEP_3)
	v_add_co_u32 v0, vcc_lo, v0, s2
	v_add_co_ci_u32_e32 v1, vcc_lo, s3, v1, vcc_lo
	global_store_b64 v2, v[0:1], s[4:5]
	s_nop 0
	s_sendmsg sendmsg(MSG_DEALLOC_VGPRS)
	s_endpgm
	.section	.rodata,"a",@progbits
	.p2align	6, 0x0
	.amdhsa_kernel _ZN7rocprim17ROCPRIM_400000_NS6detail17trampoline_kernelINS0_14default_configENS1_25partition_config_selectorILNS1_17partition_subalgoE6EjNS0_10empty_typeEbEEZZNS1_14partition_implILS5_6ELb0ES3_mN6thrust23THRUST_200600_302600_NS6detail15normal_iteratorINSA_10device_ptrIjEEEEPS6_SG_NS0_5tupleIJSF_S6_EEENSH_IJSG_SG_EEES6_PlJ7is_evenIjEEEE10hipError_tPvRmT3_T4_T5_T6_T7_T9_mT8_P12ihipStream_tbDpT10_ENKUlT_T0_E_clISt17integral_constantIbLb0EES16_EEDaS11_S12_EUlS11_E_NS1_11comp_targetILNS1_3genE9ELNS1_11target_archE1100ELNS1_3gpuE3ELNS1_3repE0EEENS1_30default_config_static_selectorELNS0_4arch9wavefront6targetE0EEEvT1_
		.amdhsa_group_segment_fixed_size 7184
		.amdhsa_private_segment_fixed_size 0
		.amdhsa_kernarg_size 112
		.amdhsa_user_sgpr_count 15
		.amdhsa_user_sgpr_dispatch_ptr 0
		.amdhsa_user_sgpr_queue_ptr 0
		.amdhsa_user_sgpr_kernarg_segment_ptr 1
		.amdhsa_user_sgpr_dispatch_id 0
		.amdhsa_user_sgpr_private_segment_size 0
		.amdhsa_wavefront_size32 1
		.amdhsa_uses_dynamic_stack 0
		.amdhsa_enable_private_segment 0
		.amdhsa_system_sgpr_workgroup_id_x 1
		.amdhsa_system_sgpr_workgroup_id_y 0
		.amdhsa_system_sgpr_workgroup_id_z 0
		.amdhsa_system_sgpr_workgroup_info 0
		.amdhsa_system_vgpr_workitem_id 0
		.amdhsa_next_free_vgpr 74
		.amdhsa_next_free_sgpr 18
		.amdhsa_reserve_vcc 1
		.amdhsa_float_round_mode_32 0
		.amdhsa_float_round_mode_16_64 0
		.amdhsa_float_denorm_mode_32 3
		.amdhsa_float_denorm_mode_16_64 3
		.amdhsa_dx10_clamp 1
		.amdhsa_ieee_mode 1
		.amdhsa_fp16_overflow 0
		.amdhsa_workgroup_processor_mode 1
		.amdhsa_memory_ordered 1
		.amdhsa_forward_progress 0
		.amdhsa_shared_vgpr_count 0
		.amdhsa_exception_fp_ieee_invalid_op 0
		.amdhsa_exception_fp_denorm_src 0
		.amdhsa_exception_fp_ieee_div_zero 0
		.amdhsa_exception_fp_ieee_overflow 0
		.amdhsa_exception_fp_ieee_underflow 0
		.amdhsa_exception_fp_ieee_inexact 0
		.amdhsa_exception_int_div_zero 0
	.end_amdhsa_kernel
	.section	.text._ZN7rocprim17ROCPRIM_400000_NS6detail17trampoline_kernelINS0_14default_configENS1_25partition_config_selectorILNS1_17partition_subalgoE6EjNS0_10empty_typeEbEEZZNS1_14partition_implILS5_6ELb0ES3_mN6thrust23THRUST_200600_302600_NS6detail15normal_iteratorINSA_10device_ptrIjEEEEPS6_SG_NS0_5tupleIJSF_S6_EEENSH_IJSG_SG_EEES6_PlJ7is_evenIjEEEE10hipError_tPvRmT3_T4_T5_T6_T7_T9_mT8_P12ihipStream_tbDpT10_ENKUlT_T0_E_clISt17integral_constantIbLb0EES16_EEDaS11_S12_EUlS11_E_NS1_11comp_targetILNS1_3genE9ELNS1_11target_archE1100ELNS1_3gpuE3ELNS1_3repE0EEENS1_30default_config_static_selectorELNS0_4arch9wavefront6targetE0EEEvT1_,"axG",@progbits,_ZN7rocprim17ROCPRIM_400000_NS6detail17trampoline_kernelINS0_14default_configENS1_25partition_config_selectorILNS1_17partition_subalgoE6EjNS0_10empty_typeEbEEZZNS1_14partition_implILS5_6ELb0ES3_mN6thrust23THRUST_200600_302600_NS6detail15normal_iteratorINSA_10device_ptrIjEEEEPS6_SG_NS0_5tupleIJSF_S6_EEENSH_IJSG_SG_EEES6_PlJ7is_evenIjEEEE10hipError_tPvRmT3_T4_T5_T6_T7_T9_mT8_P12ihipStream_tbDpT10_ENKUlT_T0_E_clISt17integral_constantIbLb0EES16_EEDaS11_S12_EUlS11_E_NS1_11comp_targetILNS1_3genE9ELNS1_11target_archE1100ELNS1_3gpuE3ELNS1_3repE0EEENS1_30default_config_static_selectorELNS0_4arch9wavefront6targetE0EEEvT1_,comdat
.Lfunc_end302:
	.size	_ZN7rocprim17ROCPRIM_400000_NS6detail17trampoline_kernelINS0_14default_configENS1_25partition_config_selectorILNS1_17partition_subalgoE6EjNS0_10empty_typeEbEEZZNS1_14partition_implILS5_6ELb0ES3_mN6thrust23THRUST_200600_302600_NS6detail15normal_iteratorINSA_10device_ptrIjEEEEPS6_SG_NS0_5tupleIJSF_S6_EEENSH_IJSG_SG_EEES6_PlJ7is_evenIjEEEE10hipError_tPvRmT3_T4_T5_T6_T7_T9_mT8_P12ihipStream_tbDpT10_ENKUlT_T0_E_clISt17integral_constantIbLb0EES16_EEDaS11_S12_EUlS11_E_NS1_11comp_targetILNS1_3genE9ELNS1_11target_archE1100ELNS1_3gpuE3ELNS1_3repE0EEENS1_30default_config_static_selectorELNS0_4arch9wavefront6targetE0EEEvT1_, .Lfunc_end302-_ZN7rocprim17ROCPRIM_400000_NS6detail17trampoline_kernelINS0_14default_configENS1_25partition_config_selectorILNS1_17partition_subalgoE6EjNS0_10empty_typeEbEEZZNS1_14partition_implILS5_6ELb0ES3_mN6thrust23THRUST_200600_302600_NS6detail15normal_iteratorINSA_10device_ptrIjEEEEPS6_SG_NS0_5tupleIJSF_S6_EEENSH_IJSG_SG_EEES6_PlJ7is_evenIjEEEE10hipError_tPvRmT3_T4_T5_T6_T7_T9_mT8_P12ihipStream_tbDpT10_ENKUlT_T0_E_clISt17integral_constantIbLb0EES16_EEDaS11_S12_EUlS11_E_NS1_11comp_targetILNS1_3genE9ELNS1_11target_archE1100ELNS1_3gpuE3ELNS1_3repE0EEENS1_30default_config_static_selectorELNS0_4arch9wavefront6targetE0EEEvT1_
                                        ; -- End function
	.section	.AMDGPU.csdata,"",@progbits
; Kernel info:
; codeLenInByte = 8524
; NumSgprs: 20
; NumVgprs: 74
; ScratchSize: 0
; MemoryBound: 0
; FloatMode: 240
; IeeeMode: 1
; LDSByteSize: 7184 bytes/workgroup (compile time only)
; SGPRBlocks: 2
; VGPRBlocks: 9
; NumSGPRsForWavesPerEU: 20
; NumVGPRsForWavesPerEU: 74
; Occupancy: 16
; WaveLimiterHint : 1
; COMPUTE_PGM_RSRC2:SCRATCH_EN: 0
; COMPUTE_PGM_RSRC2:USER_SGPR: 15
; COMPUTE_PGM_RSRC2:TRAP_HANDLER: 0
; COMPUTE_PGM_RSRC2:TGID_X_EN: 1
; COMPUTE_PGM_RSRC2:TGID_Y_EN: 0
; COMPUTE_PGM_RSRC2:TGID_Z_EN: 0
; COMPUTE_PGM_RSRC2:TIDIG_COMP_CNT: 0
	.section	.text._ZN7rocprim17ROCPRIM_400000_NS6detail17trampoline_kernelINS0_14default_configENS1_25partition_config_selectorILNS1_17partition_subalgoE6EjNS0_10empty_typeEbEEZZNS1_14partition_implILS5_6ELb0ES3_mN6thrust23THRUST_200600_302600_NS6detail15normal_iteratorINSA_10device_ptrIjEEEEPS6_SG_NS0_5tupleIJSF_S6_EEENSH_IJSG_SG_EEES6_PlJ7is_evenIjEEEE10hipError_tPvRmT3_T4_T5_T6_T7_T9_mT8_P12ihipStream_tbDpT10_ENKUlT_T0_E_clISt17integral_constantIbLb0EES16_EEDaS11_S12_EUlS11_E_NS1_11comp_targetILNS1_3genE8ELNS1_11target_archE1030ELNS1_3gpuE2ELNS1_3repE0EEENS1_30default_config_static_selectorELNS0_4arch9wavefront6targetE0EEEvT1_,"axG",@progbits,_ZN7rocprim17ROCPRIM_400000_NS6detail17trampoline_kernelINS0_14default_configENS1_25partition_config_selectorILNS1_17partition_subalgoE6EjNS0_10empty_typeEbEEZZNS1_14partition_implILS5_6ELb0ES3_mN6thrust23THRUST_200600_302600_NS6detail15normal_iteratorINSA_10device_ptrIjEEEEPS6_SG_NS0_5tupleIJSF_S6_EEENSH_IJSG_SG_EEES6_PlJ7is_evenIjEEEE10hipError_tPvRmT3_T4_T5_T6_T7_T9_mT8_P12ihipStream_tbDpT10_ENKUlT_T0_E_clISt17integral_constantIbLb0EES16_EEDaS11_S12_EUlS11_E_NS1_11comp_targetILNS1_3genE8ELNS1_11target_archE1030ELNS1_3gpuE2ELNS1_3repE0EEENS1_30default_config_static_selectorELNS0_4arch9wavefront6targetE0EEEvT1_,comdat
	.protected	_ZN7rocprim17ROCPRIM_400000_NS6detail17trampoline_kernelINS0_14default_configENS1_25partition_config_selectorILNS1_17partition_subalgoE6EjNS0_10empty_typeEbEEZZNS1_14partition_implILS5_6ELb0ES3_mN6thrust23THRUST_200600_302600_NS6detail15normal_iteratorINSA_10device_ptrIjEEEEPS6_SG_NS0_5tupleIJSF_S6_EEENSH_IJSG_SG_EEES6_PlJ7is_evenIjEEEE10hipError_tPvRmT3_T4_T5_T6_T7_T9_mT8_P12ihipStream_tbDpT10_ENKUlT_T0_E_clISt17integral_constantIbLb0EES16_EEDaS11_S12_EUlS11_E_NS1_11comp_targetILNS1_3genE8ELNS1_11target_archE1030ELNS1_3gpuE2ELNS1_3repE0EEENS1_30default_config_static_selectorELNS0_4arch9wavefront6targetE0EEEvT1_ ; -- Begin function _ZN7rocprim17ROCPRIM_400000_NS6detail17trampoline_kernelINS0_14default_configENS1_25partition_config_selectorILNS1_17partition_subalgoE6EjNS0_10empty_typeEbEEZZNS1_14partition_implILS5_6ELb0ES3_mN6thrust23THRUST_200600_302600_NS6detail15normal_iteratorINSA_10device_ptrIjEEEEPS6_SG_NS0_5tupleIJSF_S6_EEENSH_IJSG_SG_EEES6_PlJ7is_evenIjEEEE10hipError_tPvRmT3_T4_T5_T6_T7_T9_mT8_P12ihipStream_tbDpT10_ENKUlT_T0_E_clISt17integral_constantIbLb0EES16_EEDaS11_S12_EUlS11_E_NS1_11comp_targetILNS1_3genE8ELNS1_11target_archE1030ELNS1_3gpuE2ELNS1_3repE0EEENS1_30default_config_static_selectorELNS0_4arch9wavefront6targetE0EEEvT1_
	.globl	_ZN7rocprim17ROCPRIM_400000_NS6detail17trampoline_kernelINS0_14default_configENS1_25partition_config_selectorILNS1_17partition_subalgoE6EjNS0_10empty_typeEbEEZZNS1_14partition_implILS5_6ELb0ES3_mN6thrust23THRUST_200600_302600_NS6detail15normal_iteratorINSA_10device_ptrIjEEEEPS6_SG_NS0_5tupleIJSF_S6_EEENSH_IJSG_SG_EEES6_PlJ7is_evenIjEEEE10hipError_tPvRmT3_T4_T5_T6_T7_T9_mT8_P12ihipStream_tbDpT10_ENKUlT_T0_E_clISt17integral_constantIbLb0EES16_EEDaS11_S12_EUlS11_E_NS1_11comp_targetILNS1_3genE8ELNS1_11target_archE1030ELNS1_3gpuE2ELNS1_3repE0EEENS1_30default_config_static_selectorELNS0_4arch9wavefront6targetE0EEEvT1_
	.p2align	8
	.type	_ZN7rocprim17ROCPRIM_400000_NS6detail17trampoline_kernelINS0_14default_configENS1_25partition_config_selectorILNS1_17partition_subalgoE6EjNS0_10empty_typeEbEEZZNS1_14partition_implILS5_6ELb0ES3_mN6thrust23THRUST_200600_302600_NS6detail15normal_iteratorINSA_10device_ptrIjEEEEPS6_SG_NS0_5tupleIJSF_S6_EEENSH_IJSG_SG_EEES6_PlJ7is_evenIjEEEE10hipError_tPvRmT3_T4_T5_T6_T7_T9_mT8_P12ihipStream_tbDpT10_ENKUlT_T0_E_clISt17integral_constantIbLb0EES16_EEDaS11_S12_EUlS11_E_NS1_11comp_targetILNS1_3genE8ELNS1_11target_archE1030ELNS1_3gpuE2ELNS1_3repE0EEENS1_30default_config_static_selectorELNS0_4arch9wavefront6targetE0EEEvT1_,@function
_ZN7rocprim17ROCPRIM_400000_NS6detail17trampoline_kernelINS0_14default_configENS1_25partition_config_selectorILNS1_17partition_subalgoE6EjNS0_10empty_typeEbEEZZNS1_14partition_implILS5_6ELb0ES3_mN6thrust23THRUST_200600_302600_NS6detail15normal_iteratorINSA_10device_ptrIjEEEEPS6_SG_NS0_5tupleIJSF_S6_EEENSH_IJSG_SG_EEES6_PlJ7is_evenIjEEEE10hipError_tPvRmT3_T4_T5_T6_T7_T9_mT8_P12ihipStream_tbDpT10_ENKUlT_T0_E_clISt17integral_constantIbLb0EES16_EEDaS11_S12_EUlS11_E_NS1_11comp_targetILNS1_3genE8ELNS1_11target_archE1030ELNS1_3gpuE2ELNS1_3repE0EEENS1_30default_config_static_selectorELNS0_4arch9wavefront6targetE0EEEvT1_: ; @_ZN7rocprim17ROCPRIM_400000_NS6detail17trampoline_kernelINS0_14default_configENS1_25partition_config_selectorILNS1_17partition_subalgoE6EjNS0_10empty_typeEbEEZZNS1_14partition_implILS5_6ELb0ES3_mN6thrust23THRUST_200600_302600_NS6detail15normal_iteratorINSA_10device_ptrIjEEEEPS6_SG_NS0_5tupleIJSF_S6_EEENSH_IJSG_SG_EEES6_PlJ7is_evenIjEEEE10hipError_tPvRmT3_T4_T5_T6_T7_T9_mT8_P12ihipStream_tbDpT10_ENKUlT_T0_E_clISt17integral_constantIbLb0EES16_EEDaS11_S12_EUlS11_E_NS1_11comp_targetILNS1_3genE8ELNS1_11target_archE1030ELNS1_3gpuE2ELNS1_3repE0EEENS1_30default_config_static_selectorELNS0_4arch9wavefront6targetE0EEEvT1_
; %bb.0:
	.section	.rodata,"a",@progbits
	.p2align	6, 0x0
	.amdhsa_kernel _ZN7rocprim17ROCPRIM_400000_NS6detail17trampoline_kernelINS0_14default_configENS1_25partition_config_selectorILNS1_17partition_subalgoE6EjNS0_10empty_typeEbEEZZNS1_14partition_implILS5_6ELb0ES3_mN6thrust23THRUST_200600_302600_NS6detail15normal_iteratorINSA_10device_ptrIjEEEEPS6_SG_NS0_5tupleIJSF_S6_EEENSH_IJSG_SG_EEES6_PlJ7is_evenIjEEEE10hipError_tPvRmT3_T4_T5_T6_T7_T9_mT8_P12ihipStream_tbDpT10_ENKUlT_T0_E_clISt17integral_constantIbLb0EES16_EEDaS11_S12_EUlS11_E_NS1_11comp_targetILNS1_3genE8ELNS1_11target_archE1030ELNS1_3gpuE2ELNS1_3repE0EEENS1_30default_config_static_selectorELNS0_4arch9wavefront6targetE0EEEvT1_
		.amdhsa_group_segment_fixed_size 0
		.amdhsa_private_segment_fixed_size 0
		.amdhsa_kernarg_size 112
		.amdhsa_user_sgpr_count 15
		.amdhsa_user_sgpr_dispatch_ptr 0
		.amdhsa_user_sgpr_queue_ptr 0
		.amdhsa_user_sgpr_kernarg_segment_ptr 1
		.amdhsa_user_sgpr_dispatch_id 0
		.amdhsa_user_sgpr_private_segment_size 0
		.amdhsa_wavefront_size32 1
		.amdhsa_uses_dynamic_stack 0
		.amdhsa_enable_private_segment 0
		.amdhsa_system_sgpr_workgroup_id_x 1
		.amdhsa_system_sgpr_workgroup_id_y 0
		.amdhsa_system_sgpr_workgroup_id_z 0
		.amdhsa_system_sgpr_workgroup_info 0
		.amdhsa_system_vgpr_workitem_id 0
		.amdhsa_next_free_vgpr 1
		.amdhsa_next_free_sgpr 1
		.amdhsa_reserve_vcc 0
		.amdhsa_float_round_mode_32 0
		.amdhsa_float_round_mode_16_64 0
		.amdhsa_float_denorm_mode_32 3
		.amdhsa_float_denorm_mode_16_64 3
		.amdhsa_dx10_clamp 1
		.amdhsa_ieee_mode 1
		.amdhsa_fp16_overflow 0
		.amdhsa_workgroup_processor_mode 1
		.amdhsa_memory_ordered 1
		.amdhsa_forward_progress 0
		.amdhsa_shared_vgpr_count 0
		.amdhsa_exception_fp_ieee_invalid_op 0
		.amdhsa_exception_fp_denorm_src 0
		.amdhsa_exception_fp_ieee_div_zero 0
		.amdhsa_exception_fp_ieee_overflow 0
		.amdhsa_exception_fp_ieee_underflow 0
		.amdhsa_exception_fp_ieee_inexact 0
		.amdhsa_exception_int_div_zero 0
	.end_amdhsa_kernel
	.section	.text._ZN7rocprim17ROCPRIM_400000_NS6detail17trampoline_kernelINS0_14default_configENS1_25partition_config_selectorILNS1_17partition_subalgoE6EjNS0_10empty_typeEbEEZZNS1_14partition_implILS5_6ELb0ES3_mN6thrust23THRUST_200600_302600_NS6detail15normal_iteratorINSA_10device_ptrIjEEEEPS6_SG_NS0_5tupleIJSF_S6_EEENSH_IJSG_SG_EEES6_PlJ7is_evenIjEEEE10hipError_tPvRmT3_T4_T5_T6_T7_T9_mT8_P12ihipStream_tbDpT10_ENKUlT_T0_E_clISt17integral_constantIbLb0EES16_EEDaS11_S12_EUlS11_E_NS1_11comp_targetILNS1_3genE8ELNS1_11target_archE1030ELNS1_3gpuE2ELNS1_3repE0EEENS1_30default_config_static_selectorELNS0_4arch9wavefront6targetE0EEEvT1_,"axG",@progbits,_ZN7rocprim17ROCPRIM_400000_NS6detail17trampoline_kernelINS0_14default_configENS1_25partition_config_selectorILNS1_17partition_subalgoE6EjNS0_10empty_typeEbEEZZNS1_14partition_implILS5_6ELb0ES3_mN6thrust23THRUST_200600_302600_NS6detail15normal_iteratorINSA_10device_ptrIjEEEEPS6_SG_NS0_5tupleIJSF_S6_EEENSH_IJSG_SG_EEES6_PlJ7is_evenIjEEEE10hipError_tPvRmT3_T4_T5_T6_T7_T9_mT8_P12ihipStream_tbDpT10_ENKUlT_T0_E_clISt17integral_constantIbLb0EES16_EEDaS11_S12_EUlS11_E_NS1_11comp_targetILNS1_3genE8ELNS1_11target_archE1030ELNS1_3gpuE2ELNS1_3repE0EEENS1_30default_config_static_selectorELNS0_4arch9wavefront6targetE0EEEvT1_,comdat
.Lfunc_end303:
	.size	_ZN7rocprim17ROCPRIM_400000_NS6detail17trampoline_kernelINS0_14default_configENS1_25partition_config_selectorILNS1_17partition_subalgoE6EjNS0_10empty_typeEbEEZZNS1_14partition_implILS5_6ELb0ES3_mN6thrust23THRUST_200600_302600_NS6detail15normal_iteratorINSA_10device_ptrIjEEEEPS6_SG_NS0_5tupleIJSF_S6_EEENSH_IJSG_SG_EEES6_PlJ7is_evenIjEEEE10hipError_tPvRmT3_T4_T5_T6_T7_T9_mT8_P12ihipStream_tbDpT10_ENKUlT_T0_E_clISt17integral_constantIbLb0EES16_EEDaS11_S12_EUlS11_E_NS1_11comp_targetILNS1_3genE8ELNS1_11target_archE1030ELNS1_3gpuE2ELNS1_3repE0EEENS1_30default_config_static_selectorELNS0_4arch9wavefront6targetE0EEEvT1_, .Lfunc_end303-_ZN7rocprim17ROCPRIM_400000_NS6detail17trampoline_kernelINS0_14default_configENS1_25partition_config_selectorILNS1_17partition_subalgoE6EjNS0_10empty_typeEbEEZZNS1_14partition_implILS5_6ELb0ES3_mN6thrust23THRUST_200600_302600_NS6detail15normal_iteratorINSA_10device_ptrIjEEEEPS6_SG_NS0_5tupleIJSF_S6_EEENSH_IJSG_SG_EEES6_PlJ7is_evenIjEEEE10hipError_tPvRmT3_T4_T5_T6_T7_T9_mT8_P12ihipStream_tbDpT10_ENKUlT_T0_E_clISt17integral_constantIbLb0EES16_EEDaS11_S12_EUlS11_E_NS1_11comp_targetILNS1_3genE8ELNS1_11target_archE1030ELNS1_3gpuE2ELNS1_3repE0EEENS1_30default_config_static_selectorELNS0_4arch9wavefront6targetE0EEEvT1_
                                        ; -- End function
	.section	.AMDGPU.csdata,"",@progbits
; Kernel info:
; codeLenInByte = 0
; NumSgprs: 0
; NumVgprs: 0
; ScratchSize: 0
; MemoryBound: 0
; FloatMode: 240
; IeeeMode: 1
; LDSByteSize: 0 bytes/workgroup (compile time only)
; SGPRBlocks: 0
; VGPRBlocks: 0
; NumSGPRsForWavesPerEU: 1
; NumVGPRsForWavesPerEU: 1
; Occupancy: 16
; WaveLimiterHint : 0
; COMPUTE_PGM_RSRC2:SCRATCH_EN: 0
; COMPUTE_PGM_RSRC2:USER_SGPR: 15
; COMPUTE_PGM_RSRC2:TRAP_HANDLER: 0
; COMPUTE_PGM_RSRC2:TGID_X_EN: 1
; COMPUTE_PGM_RSRC2:TGID_Y_EN: 0
; COMPUTE_PGM_RSRC2:TGID_Z_EN: 0
; COMPUTE_PGM_RSRC2:TIDIG_COMP_CNT: 0
	.section	.text._ZN7rocprim17ROCPRIM_400000_NS6detail17trampoline_kernelINS0_14default_configENS1_25partition_config_selectorILNS1_17partition_subalgoE6EjNS0_10empty_typeEbEEZZNS1_14partition_implILS5_6ELb0ES3_mN6thrust23THRUST_200600_302600_NS6detail15normal_iteratorINSA_10device_ptrIjEEEEPS6_SG_NS0_5tupleIJSF_S6_EEENSH_IJSG_SG_EEES6_PlJ7is_evenIjEEEE10hipError_tPvRmT3_T4_T5_T6_T7_T9_mT8_P12ihipStream_tbDpT10_ENKUlT_T0_E_clISt17integral_constantIbLb1EES16_EEDaS11_S12_EUlS11_E_NS1_11comp_targetILNS1_3genE0ELNS1_11target_archE4294967295ELNS1_3gpuE0ELNS1_3repE0EEENS1_30default_config_static_selectorELNS0_4arch9wavefront6targetE0EEEvT1_,"axG",@progbits,_ZN7rocprim17ROCPRIM_400000_NS6detail17trampoline_kernelINS0_14default_configENS1_25partition_config_selectorILNS1_17partition_subalgoE6EjNS0_10empty_typeEbEEZZNS1_14partition_implILS5_6ELb0ES3_mN6thrust23THRUST_200600_302600_NS6detail15normal_iteratorINSA_10device_ptrIjEEEEPS6_SG_NS0_5tupleIJSF_S6_EEENSH_IJSG_SG_EEES6_PlJ7is_evenIjEEEE10hipError_tPvRmT3_T4_T5_T6_T7_T9_mT8_P12ihipStream_tbDpT10_ENKUlT_T0_E_clISt17integral_constantIbLb1EES16_EEDaS11_S12_EUlS11_E_NS1_11comp_targetILNS1_3genE0ELNS1_11target_archE4294967295ELNS1_3gpuE0ELNS1_3repE0EEENS1_30default_config_static_selectorELNS0_4arch9wavefront6targetE0EEEvT1_,comdat
	.protected	_ZN7rocprim17ROCPRIM_400000_NS6detail17trampoline_kernelINS0_14default_configENS1_25partition_config_selectorILNS1_17partition_subalgoE6EjNS0_10empty_typeEbEEZZNS1_14partition_implILS5_6ELb0ES3_mN6thrust23THRUST_200600_302600_NS6detail15normal_iteratorINSA_10device_ptrIjEEEEPS6_SG_NS0_5tupleIJSF_S6_EEENSH_IJSG_SG_EEES6_PlJ7is_evenIjEEEE10hipError_tPvRmT3_T4_T5_T6_T7_T9_mT8_P12ihipStream_tbDpT10_ENKUlT_T0_E_clISt17integral_constantIbLb1EES16_EEDaS11_S12_EUlS11_E_NS1_11comp_targetILNS1_3genE0ELNS1_11target_archE4294967295ELNS1_3gpuE0ELNS1_3repE0EEENS1_30default_config_static_selectorELNS0_4arch9wavefront6targetE0EEEvT1_ ; -- Begin function _ZN7rocprim17ROCPRIM_400000_NS6detail17trampoline_kernelINS0_14default_configENS1_25partition_config_selectorILNS1_17partition_subalgoE6EjNS0_10empty_typeEbEEZZNS1_14partition_implILS5_6ELb0ES3_mN6thrust23THRUST_200600_302600_NS6detail15normal_iteratorINSA_10device_ptrIjEEEEPS6_SG_NS0_5tupleIJSF_S6_EEENSH_IJSG_SG_EEES6_PlJ7is_evenIjEEEE10hipError_tPvRmT3_T4_T5_T6_T7_T9_mT8_P12ihipStream_tbDpT10_ENKUlT_T0_E_clISt17integral_constantIbLb1EES16_EEDaS11_S12_EUlS11_E_NS1_11comp_targetILNS1_3genE0ELNS1_11target_archE4294967295ELNS1_3gpuE0ELNS1_3repE0EEENS1_30default_config_static_selectorELNS0_4arch9wavefront6targetE0EEEvT1_
	.globl	_ZN7rocprim17ROCPRIM_400000_NS6detail17trampoline_kernelINS0_14default_configENS1_25partition_config_selectorILNS1_17partition_subalgoE6EjNS0_10empty_typeEbEEZZNS1_14partition_implILS5_6ELb0ES3_mN6thrust23THRUST_200600_302600_NS6detail15normal_iteratorINSA_10device_ptrIjEEEEPS6_SG_NS0_5tupleIJSF_S6_EEENSH_IJSG_SG_EEES6_PlJ7is_evenIjEEEE10hipError_tPvRmT3_T4_T5_T6_T7_T9_mT8_P12ihipStream_tbDpT10_ENKUlT_T0_E_clISt17integral_constantIbLb1EES16_EEDaS11_S12_EUlS11_E_NS1_11comp_targetILNS1_3genE0ELNS1_11target_archE4294967295ELNS1_3gpuE0ELNS1_3repE0EEENS1_30default_config_static_selectorELNS0_4arch9wavefront6targetE0EEEvT1_
	.p2align	8
	.type	_ZN7rocprim17ROCPRIM_400000_NS6detail17trampoline_kernelINS0_14default_configENS1_25partition_config_selectorILNS1_17partition_subalgoE6EjNS0_10empty_typeEbEEZZNS1_14partition_implILS5_6ELb0ES3_mN6thrust23THRUST_200600_302600_NS6detail15normal_iteratorINSA_10device_ptrIjEEEEPS6_SG_NS0_5tupleIJSF_S6_EEENSH_IJSG_SG_EEES6_PlJ7is_evenIjEEEE10hipError_tPvRmT3_T4_T5_T6_T7_T9_mT8_P12ihipStream_tbDpT10_ENKUlT_T0_E_clISt17integral_constantIbLb1EES16_EEDaS11_S12_EUlS11_E_NS1_11comp_targetILNS1_3genE0ELNS1_11target_archE4294967295ELNS1_3gpuE0ELNS1_3repE0EEENS1_30default_config_static_selectorELNS0_4arch9wavefront6targetE0EEEvT1_,@function
_ZN7rocprim17ROCPRIM_400000_NS6detail17trampoline_kernelINS0_14default_configENS1_25partition_config_selectorILNS1_17partition_subalgoE6EjNS0_10empty_typeEbEEZZNS1_14partition_implILS5_6ELb0ES3_mN6thrust23THRUST_200600_302600_NS6detail15normal_iteratorINSA_10device_ptrIjEEEEPS6_SG_NS0_5tupleIJSF_S6_EEENSH_IJSG_SG_EEES6_PlJ7is_evenIjEEEE10hipError_tPvRmT3_T4_T5_T6_T7_T9_mT8_P12ihipStream_tbDpT10_ENKUlT_T0_E_clISt17integral_constantIbLb1EES16_EEDaS11_S12_EUlS11_E_NS1_11comp_targetILNS1_3genE0ELNS1_11target_archE4294967295ELNS1_3gpuE0ELNS1_3repE0EEENS1_30default_config_static_selectorELNS0_4arch9wavefront6targetE0EEEvT1_: ; @_ZN7rocprim17ROCPRIM_400000_NS6detail17trampoline_kernelINS0_14default_configENS1_25partition_config_selectorILNS1_17partition_subalgoE6EjNS0_10empty_typeEbEEZZNS1_14partition_implILS5_6ELb0ES3_mN6thrust23THRUST_200600_302600_NS6detail15normal_iteratorINSA_10device_ptrIjEEEEPS6_SG_NS0_5tupleIJSF_S6_EEENSH_IJSG_SG_EEES6_PlJ7is_evenIjEEEE10hipError_tPvRmT3_T4_T5_T6_T7_T9_mT8_P12ihipStream_tbDpT10_ENKUlT_T0_E_clISt17integral_constantIbLb1EES16_EEDaS11_S12_EUlS11_E_NS1_11comp_targetILNS1_3genE0ELNS1_11target_archE4294967295ELNS1_3gpuE0ELNS1_3repE0EEENS1_30default_config_static_selectorELNS0_4arch9wavefront6targetE0EEEvT1_
; %bb.0:
	.section	.rodata,"a",@progbits
	.p2align	6, 0x0
	.amdhsa_kernel _ZN7rocprim17ROCPRIM_400000_NS6detail17trampoline_kernelINS0_14default_configENS1_25partition_config_selectorILNS1_17partition_subalgoE6EjNS0_10empty_typeEbEEZZNS1_14partition_implILS5_6ELb0ES3_mN6thrust23THRUST_200600_302600_NS6detail15normal_iteratorINSA_10device_ptrIjEEEEPS6_SG_NS0_5tupleIJSF_S6_EEENSH_IJSG_SG_EEES6_PlJ7is_evenIjEEEE10hipError_tPvRmT3_T4_T5_T6_T7_T9_mT8_P12ihipStream_tbDpT10_ENKUlT_T0_E_clISt17integral_constantIbLb1EES16_EEDaS11_S12_EUlS11_E_NS1_11comp_targetILNS1_3genE0ELNS1_11target_archE4294967295ELNS1_3gpuE0ELNS1_3repE0EEENS1_30default_config_static_selectorELNS0_4arch9wavefront6targetE0EEEvT1_
		.amdhsa_group_segment_fixed_size 0
		.amdhsa_private_segment_fixed_size 0
		.amdhsa_kernarg_size 128
		.amdhsa_user_sgpr_count 15
		.amdhsa_user_sgpr_dispatch_ptr 0
		.amdhsa_user_sgpr_queue_ptr 0
		.amdhsa_user_sgpr_kernarg_segment_ptr 1
		.amdhsa_user_sgpr_dispatch_id 0
		.amdhsa_user_sgpr_private_segment_size 0
		.amdhsa_wavefront_size32 1
		.amdhsa_uses_dynamic_stack 0
		.amdhsa_enable_private_segment 0
		.amdhsa_system_sgpr_workgroup_id_x 1
		.amdhsa_system_sgpr_workgroup_id_y 0
		.amdhsa_system_sgpr_workgroup_id_z 0
		.amdhsa_system_sgpr_workgroup_info 0
		.amdhsa_system_vgpr_workitem_id 0
		.amdhsa_next_free_vgpr 1
		.amdhsa_next_free_sgpr 1
		.amdhsa_reserve_vcc 0
		.amdhsa_float_round_mode_32 0
		.amdhsa_float_round_mode_16_64 0
		.amdhsa_float_denorm_mode_32 3
		.amdhsa_float_denorm_mode_16_64 3
		.amdhsa_dx10_clamp 1
		.amdhsa_ieee_mode 1
		.amdhsa_fp16_overflow 0
		.amdhsa_workgroup_processor_mode 1
		.amdhsa_memory_ordered 1
		.amdhsa_forward_progress 0
		.amdhsa_shared_vgpr_count 0
		.amdhsa_exception_fp_ieee_invalid_op 0
		.amdhsa_exception_fp_denorm_src 0
		.amdhsa_exception_fp_ieee_div_zero 0
		.amdhsa_exception_fp_ieee_overflow 0
		.amdhsa_exception_fp_ieee_underflow 0
		.amdhsa_exception_fp_ieee_inexact 0
		.amdhsa_exception_int_div_zero 0
	.end_amdhsa_kernel
	.section	.text._ZN7rocprim17ROCPRIM_400000_NS6detail17trampoline_kernelINS0_14default_configENS1_25partition_config_selectorILNS1_17partition_subalgoE6EjNS0_10empty_typeEbEEZZNS1_14partition_implILS5_6ELb0ES3_mN6thrust23THRUST_200600_302600_NS6detail15normal_iteratorINSA_10device_ptrIjEEEEPS6_SG_NS0_5tupleIJSF_S6_EEENSH_IJSG_SG_EEES6_PlJ7is_evenIjEEEE10hipError_tPvRmT3_T4_T5_T6_T7_T9_mT8_P12ihipStream_tbDpT10_ENKUlT_T0_E_clISt17integral_constantIbLb1EES16_EEDaS11_S12_EUlS11_E_NS1_11comp_targetILNS1_3genE0ELNS1_11target_archE4294967295ELNS1_3gpuE0ELNS1_3repE0EEENS1_30default_config_static_selectorELNS0_4arch9wavefront6targetE0EEEvT1_,"axG",@progbits,_ZN7rocprim17ROCPRIM_400000_NS6detail17trampoline_kernelINS0_14default_configENS1_25partition_config_selectorILNS1_17partition_subalgoE6EjNS0_10empty_typeEbEEZZNS1_14partition_implILS5_6ELb0ES3_mN6thrust23THRUST_200600_302600_NS6detail15normal_iteratorINSA_10device_ptrIjEEEEPS6_SG_NS0_5tupleIJSF_S6_EEENSH_IJSG_SG_EEES6_PlJ7is_evenIjEEEE10hipError_tPvRmT3_T4_T5_T6_T7_T9_mT8_P12ihipStream_tbDpT10_ENKUlT_T0_E_clISt17integral_constantIbLb1EES16_EEDaS11_S12_EUlS11_E_NS1_11comp_targetILNS1_3genE0ELNS1_11target_archE4294967295ELNS1_3gpuE0ELNS1_3repE0EEENS1_30default_config_static_selectorELNS0_4arch9wavefront6targetE0EEEvT1_,comdat
.Lfunc_end304:
	.size	_ZN7rocprim17ROCPRIM_400000_NS6detail17trampoline_kernelINS0_14default_configENS1_25partition_config_selectorILNS1_17partition_subalgoE6EjNS0_10empty_typeEbEEZZNS1_14partition_implILS5_6ELb0ES3_mN6thrust23THRUST_200600_302600_NS6detail15normal_iteratorINSA_10device_ptrIjEEEEPS6_SG_NS0_5tupleIJSF_S6_EEENSH_IJSG_SG_EEES6_PlJ7is_evenIjEEEE10hipError_tPvRmT3_T4_T5_T6_T7_T9_mT8_P12ihipStream_tbDpT10_ENKUlT_T0_E_clISt17integral_constantIbLb1EES16_EEDaS11_S12_EUlS11_E_NS1_11comp_targetILNS1_3genE0ELNS1_11target_archE4294967295ELNS1_3gpuE0ELNS1_3repE0EEENS1_30default_config_static_selectorELNS0_4arch9wavefront6targetE0EEEvT1_, .Lfunc_end304-_ZN7rocprim17ROCPRIM_400000_NS6detail17trampoline_kernelINS0_14default_configENS1_25partition_config_selectorILNS1_17partition_subalgoE6EjNS0_10empty_typeEbEEZZNS1_14partition_implILS5_6ELb0ES3_mN6thrust23THRUST_200600_302600_NS6detail15normal_iteratorINSA_10device_ptrIjEEEEPS6_SG_NS0_5tupleIJSF_S6_EEENSH_IJSG_SG_EEES6_PlJ7is_evenIjEEEE10hipError_tPvRmT3_T4_T5_T6_T7_T9_mT8_P12ihipStream_tbDpT10_ENKUlT_T0_E_clISt17integral_constantIbLb1EES16_EEDaS11_S12_EUlS11_E_NS1_11comp_targetILNS1_3genE0ELNS1_11target_archE4294967295ELNS1_3gpuE0ELNS1_3repE0EEENS1_30default_config_static_selectorELNS0_4arch9wavefront6targetE0EEEvT1_
                                        ; -- End function
	.section	.AMDGPU.csdata,"",@progbits
; Kernel info:
; codeLenInByte = 0
; NumSgprs: 0
; NumVgprs: 0
; ScratchSize: 0
; MemoryBound: 0
; FloatMode: 240
; IeeeMode: 1
; LDSByteSize: 0 bytes/workgroup (compile time only)
; SGPRBlocks: 0
; VGPRBlocks: 0
; NumSGPRsForWavesPerEU: 1
; NumVGPRsForWavesPerEU: 1
; Occupancy: 16
; WaveLimiterHint : 0
; COMPUTE_PGM_RSRC2:SCRATCH_EN: 0
; COMPUTE_PGM_RSRC2:USER_SGPR: 15
; COMPUTE_PGM_RSRC2:TRAP_HANDLER: 0
; COMPUTE_PGM_RSRC2:TGID_X_EN: 1
; COMPUTE_PGM_RSRC2:TGID_Y_EN: 0
; COMPUTE_PGM_RSRC2:TGID_Z_EN: 0
; COMPUTE_PGM_RSRC2:TIDIG_COMP_CNT: 0
	.section	.text._ZN7rocprim17ROCPRIM_400000_NS6detail17trampoline_kernelINS0_14default_configENS1_25partition_config_selectorILNS1_17partition_subalgoE6EjNS0_10empty_typeEbEEZZNS1_14partition_implILS5_6ELb0ES3_mN6thrust23THRUST_200600_302600_NS6detail15normal_iteratorINSA_10device_ptrIjEEEEPS6_SG_NS0_5tupleIJSF_S6_EEENSH_IJSG_SG_EEES6_PlJ7is_evenIjEEEE10hipError_tPvRmT3_T4_T5_T6_T7_T9_mT8_P12ihipStream_tbDpT10_ENKUlT_T0_E_clISt17integral_constantIbLb1EES16_EEDaS11_S12_EUlS11_E_NS1_11comp_targetILNS1_3genE5ELNS1_11target_archE942ELNS1_3gpuE9ELNS1_3repE0EEENS1_30default_config_static_selectorELNS0_4arch9wavefront6targetE0EEEvT1_,"axG",@progbits,_ZN7rocprim17ROCPRIM_400000_NS6detail17trampoline_kernelINS0_14default_configENS1_25partition_config_selectorILNS1_17partition_subalgoE6EjNS0_10empty_typeEbEEZZNS1_14partition_implILS5_6ELb0ES3_mN6thrust23THRUST_200600_302600_NS6detail15normal_iteratorINSA_10device_ptrIjEEEEPS6_SG_NS0_5tupleIJSF_S6_EEENSH_IJSG_SG_EEES6_PlJ7is_evenIjEEEE10hipError_tPvRmT3_T4_T5_T6_T7_T9_mT8_P12ihipStream_tbDpT10_ENKUlT_T0_E_clISt17integral_constantIbLb1EES16_EEDaS11_S12_EUlS11_E_NS1_11comp_targetILNS1_3genE5ELNS1_11target_archE942ELNS1_3gpuE9ELNS1_3repE0EEENS1_30default_config_static_selectorELNS0_4arch9wavefront6targetE0EEEvT1_,comdat
	.protected	_ZN7rocprim17ROCPRIM_400000_NS6detail17trampoline_kernelINS0_14default_configENS1_25partition_config_selectorILNS1_17partition_subalgoE6EjNS0_10empty_typeEbEEZZNS1_14partition_implILS5_6ELb0ES3_mN6thrust23THRUST_200600_302600_NS6detail15normal_iteratorINSA_10device_ptrIjEEEEPS6_SG_NS0_5tupleIJSF_S6_EEENSH_IJSG_SG_EEES6_PlJ7is_evenIjEEEE10hipError_tPvRmT3_T4_T5_T6_T7_T9_mT8_P12ihipStream_tbDpT10_ENKUlT_T0_E_clISt17integral_constantIbLb1EES16_EEDaS11_S12_EUlS11_E_NS1_11comp_targetILNS1_3genE5ELNS1_11target_archE942ELNS1_3gpuE9ELNS1_3repE0EEENS1_30default_config_static_selectorELNS0_4arch9wavefront6targetE0EEEvT1_ ; -- Begin function _ZN7rocprim17ROCPRIM_400000_NS6detail17trampoline_kernelINS0_14default_configENS1_25partition_config_selectorILNS1_17partition_subalgoE6EjNS0_10empty_typeEbEEZZNS1_14partition_implILS5_6ELb0ES3_mN6thrust23THRUST_200600_302600_NS6detail15normal_iteratorINSA_10device_ptrIjEEEEPS6_SG_NS0_5tupleIJSF_S6_EEENSH_IJSG_SG_EEES6_PlJ7is_evenIjEEEE10hipError_tPvRmT3_T4_T5_T6_T7_T9_mT8_P12ihipStream_tbDpT10_ENKUlT_T0_E_clISt17integral_constantIbLb1EES16_EEDaS11_S12_EUlS11_E_NS1_11comp_targetILNS1_3genE5ELNS1_11target_archE942ELNS1_3gpuE9ELNS1_3repE0EEENS1_30default_config_static_selectorELNS0_4arch9wavefront6targetE0EEEvT1_
	.globl	_ZN7rocprim17ROCPRIM_400000_NS6detail17trampoline_kernelINS0_14default_configENS1_25partition_config_selectorILNS1_17partition_subalgoE6EjNS0_10empty_typeEbEEZZNS1_14partition_implILS5_6ELb0ES3_mN6thrust23THRUST_200600_302600_NS6detail15normal_iteratorINSA_10device_ptrIjEEEEPS6_SG_NS0_5tupleIJSF_S6_EEENSH_IJSG_SG_EEES6_PlJ7is_evenIjEEEE10hipError_tPvRmT3_T4_T5_T6_T7_T9_mT8_P12ihipStream_tbDpT10_ENKUlT_T0_E_clISt17integral_constantIbLb1EES16_EEDaS11_S12_EUlS11_E_NS1_11comp_targetILNS1_3genE5ELNS1_11target_archE942ELNS1_3gpuE9ELNS1_3repE0EEENS1_30default_config_static_selectorELNS0_4arch9wavefront6targetE0EEEvT1_
	.p2align	8
	.type	_ZN7rocprim17ROCPRIM_400000_NS6detail17trampoline_kernelINS0_14default_configENS1_25partition_config_selectorILNS1_17partition_subalgoE6EjNS0_10empty_typeEbEEZZNS1_14partition_implILS5_6ELb0ES3_mN6thrust23THRUST_200600_302600_NS6detail15normal_iteratorINSA_10device_ptrIjEEEEPS6_SG_NS0_5tupleIJSF_S6_EEENSH_IJSG_SG_EEES6_PlJ7is_evenIjEEEE10hipError_tPvRmT3_T4_T5_T6_T7_T9_mT8_P12ihipStream_tbDpT10_ENKUlT_T0_E_clISt17integral_constantIbLb1EES16_EEDaS11_S12_EUlS11_E_NS1_11comp_targetILNS1_3genE5ELNS1_11target_archE942ELNS1_3gpuE9ELNS1_3repE0EEENS1_30default_config_static_selectorELNS0_4arch9wavefront6targetE0EEEvT1_,@function
_ZN7rocprim17ROCPRIM_400000_NS6detail17trampoline_kernelINS0_14default_configENS1_25partition_config_selectorILNS1_17partition_subalgoE6EjNS0_10empty_typeEbEEZZNS1_14partition_implILS5_6ELb0ES3_mN6thrust23THRUST_200600_302600_NS6detail15normal_iteratorINSA_10device_ptrIjEEEEPS6_SG_NS0_5tupleIJSF_S6_EEENSH_IJSG_SG_EEES6_PlJ7is_evenIjEEEE10hipError_tPvRmT3_T4_T5_T6_T7_T9_mT8_P12ihipStream_tbDpT10_ENKUlT_T0_E_clISt17integral_constantIbLb1EES16_EEDaS11_S12_EUlS11_E_NS1_11comp_targetILNS1_3genE5ELNS1_11target_archE942ELNS1_3gpuE9ELNS1_3repE0EEENS1_30default_config_static_selectorELNS0_4arch9wavefront6targetE0EEEvT1_: ; @_ZN7rocprim17ROCPRIM_400000_NS6detail17trampoline_kernelINS0_14default_configENS1_25partition_config_selectorILNS1_17partition_subalgoE6EjNS0_10empty_typeEbEEZZNS1_14partition_implILS5_6ELb0ES3_mN6thrust23THRUST_200600_302600_NS6detail15normal_iteratorINSA_10device_ptrIjEEEEPS6_SG_NS0_5tupleIJSF_S6_EEENSH_IJSG_SG_EEES6_PlJ7is_evenIjEEEE10hipError_tPvRmT3_T4_T5_T6_T7_T9_mT8_P12ihipStream_tbDpT10_ENKUlT_T0_E_clISt17integral_constantIbLb1EES16_EEDaS11_S12_EUlS11_E_NS1_11comp_targetILNS1_3genE5ELNS1_11target_archE942ELNS1_3gpuE9ELNS1_3repE0EEENS1_30default_config_static_selectorELNS0_4arch9wavefront6targetE0EEEvT1_
; %bb.0:
	.section	.rodata,"a",@progbits
	.p2align	6, 0x0
	.amdhsa_kernel _ZN7rocprim17ROCPRIM_400000_NS6detail17trampoline_kernelINS0_14default_configENS1_25partition_config_selectorILNS1_17partition_subalgoE6EjNS0_10empty_typeEbEEZZNS1_14partition_implILS5_6ELb0ES3_mN6thrust23THRUST_200600_302600_NS6detail15normal_iteratorINSA_10device_ptrIjEEEEPS6_SG_NS0_5tupleIJSF_S6_EEENSH_IJSG_SG_EEES6_PlJ7is_evenIjEEEE10hipError_tPvRmT3_T4_T5_T6_T7_T9_mT8_P12ihipStream_tbDpT10_ENKUlT_T0_E_clISt17integral_constantIbLb1EES16_EEDaS11_S12_EUlS11_E_NS1_11comp_targetILNS1_3genE5ELNS1_11target_archE942ELNS1_3gpuE9ELNS1_3repE0EEENS1_30default_config_static_selectorELNS0_4arch9wavefront6targetE0EEEvT1_
		.amdhsa_group_segment_fixed_size 0
		.amdhsa_private_segment_fixed_size 0
		.amdhsa_kernarg_size 128
		.amdhsa_user_sgpr_count 15
		.amdhsa_user_sgpr_dispatch_ptr 0
		.amdhsa_user_sgpr_queue_ptr 0
		.amdhsa_user_sgpr_kernarg_segment_ptr 1
		.amdhsa_user_sgpr_dispatch_id 0
		.amdhsa_user_sgpr_private_segment_size 0
		.amdhsa_wavefront_size32 1
		.amdhsa_uses_dynamic_stack 0
		.amdhsa_enable_private_segment 0
		.amdhsa_system_sgpr_workgroup_id_x 1
		.amdhsa_system_sgpr_workgroup_id_y 0
		.amdhsa_system_sgpr_workgroup_id_z 0
		.amdhsa_system_sgpr_workgroup_info 0
		.amdhsa_system_vgpr_workitem_id 0
		.amdhsa_next_free_vgpr 1
		.amdhsa_next_free_sgpr 1
		.amdhsa_reserve_vcc 0
		.amdhsa_float_round_mode_32 0
		.amdhsa_float_round_mode_16_64 0
		.amdhsa_float_denorm_mode_32 3
		.amdhsa_float_denorm_mode_16_64 3
		.amdhsa_dx10_clamp 1
		.amdhsa_ieee_mode 1
		.amdhsa_fp16_overflow 0
		.amdhsa_workgroup_processor_mode 1
		.amdhsa_memory_ordered 1
		.amdhsa_forward_progress 0
		.amdhsa_shared_vgpr_count 0
		.amdhsa_exception_fp_ieee_invalid_op 0
		.amdhsa_exception_fp_denorm_src 0
		.amdhsa_exception_fp_ieee_div_zero 0
		.amdhsa_exception_fp_ieee_overflow 0
		.amdhsa_exception_fp_ieee_underflow 0
		.amdhsa_exception_fp_ieee_inexact 0
		.amdhsa_exception_int_div_zero 0
	.end_amdhsa_kernel
	.section	.text._ZN7rocprim17ROCPRIM_400000_NS6detail17trampoline_kernelINS0_14default_configENS1_25partition_config_selectorILNS1_17partition_subalgoE6EjNS0_10empty_typeEbEEZZNS1_14partition_implILS5_6ELb0ES3_mN6thrust23THRUST_200600_302600_NS6detail15normal_iteratorINSA_10device_ptrIjEEEEPS6_SG_NS0_5tupleIJSF_S6_EEENSH_IJSG_SG_EEES6_PlJ7is_evenIjEEEE10hipError_tPvRmT3_T4_T5_T6_T7_T9_mT8_P12ihipStream_tbDpT10_ENKUlT_T0_E_clISt17integral_constantIbLb1EES16_EEDaS11_S12_EUlS11_E_NS1_11comp_targetILNS1_3genE5ELNS1_11target_archE942ELNS1_3gpuE9ELNS1_3repE0EEENS1_30default_config_static_selectorELNS0_4arch9wavefront6targetE0EEEvT1_,"axG",@progbits,_ZN7rocprim17ROCPRIM_400000_NS6detail17trampoline_kernelINS0_14default_configENS1_25partition_config_selectorILNS1_17partition_subalgoE6EjNS0_10empty_typeEbEEZZNS1_14partition_implILS5_6ELb0ES3_mN6thrust23THRUST_200600_302600_NS6detail15normal_iteratorINSA_10device_ptrIjEEEEPS6_SG_NS0_5tupleIJSF_S6_EEENSH_IJSG_SG_EEES6_PlJ7is_evenIjEEEE10hipError_tPvRmT3_T4_T5_T6_T7_T9_mT8_P12ihipStream_tbDpT10_ENKUlT_T0_E_clISt17integral_constantIbLb1EES16_EEDaS11_S12_EUlS11_E_NS1_11comp_targetILNS1_3genE5ELNS1_11target_archE942ELNS1_3gpuE9ELNS1_3repE0EEENS1_30default_config_static_selectorELNS0_4arch9wavefront6targetE0EEEvT1_,comdat
.Lfunc_end305:
	.size	_ZN7rocprim17ROCPRIM_400000_NS6detail17trampoline_kernelINS0_14default_configENS1_25partition_config_selectorILNS1_17partition_subalgoE6EjNS0_10empty_typeEbEEZZNS1_14partition_implILS5_6ELb0ES3_mN6thrust23THRUST_200600_302600_NS6detail15normal_iteratorINSA_10device_ptrIjEEEEPS6_SG_NS0_5tupleIJSF_S6_EEENSH_IJSG_SG_EEES6_PlJ7is_evenIjEEEE10hipError_tPvRmT3_T4_T5_T6_T7_T9_mT8_P12ihipStream_tbDpT10_ENKUlT_T0_E_clISt17integral_constantIbLb1EES16_EEDaS11_S12_EUlS11_E_NS1_11comp_targetILNS1_3genE5ELNS1_11target_archE942ELNS1_3gpuE9ELNS1_3repE0EEENS1_30default_config_static_selectorELNS0_4arch9wavefront6targetE0EEEvT1_, .Lfunc_end305-_ZN7rocprim17ROCPRIM_400000_NS6detail17trampoline_kernelINS0_14default_configENS1_25partition_config_selectorILNS1_17partition_subalgoE6EjNS0_10empty_typeEbEEZZNS1_14partition_implILS5_6ELb0ES3_mN6thrust23THRUST_200600_302600_NS6detail15normal_iteratorINSA_10device_ptrIjEEEEPS6_SG_NS0_5tupleIJSF_S6_EEENSH_IJSG_SG_EEES6_PlJ7is_evenIjEEEE10hipError_tPvRmT3_T4_T5_T6_T7_T9_mT8_P12ihipStream_tbDpT10_ENKUlT_T0_E_clISt17integral_constantIbLb1EES16_EEDaS11_S12_EUlS11_E_NS1_11comp_targetILNS1_3genE5ELNS1_11target_archE942ELNS1_3gpuE9ELNS1_3repE0EEENS1_30default_config_static_selectorELNS0_4arch9wavefront6targetE0EEEvT1_
                                        ; -- End function
	.section	.AMDGPU.csdata,"",@progbits
; Kernel info:
; codeLenInByte = 0
; NumSgprs: 0
; NumVgprs: 0
; ScratchSize: 0
; MemoryBound: 0
; FloatMode: 240
; IeeeMode: 1
; LDSByteSize: 0 bytes/workgroup (compile time only)
; SGPRBlocks: 0
; VGPRBlocks: 0
; NumSGPRsForWavesPerEU: 1
; NumVGPRsForWavesPerEU: 1
; Occupancy: 16
; WaveLimiterHint : 0
; COMPUTE_PGM_RSRC2:SCRATCH_EN: 0
; COMPUTE_PGM_RSRC2:USER_SGPR: 15
; COMPUTE_PGM_RSRC2:TRAP_HANDLER: 0
; COMPUTE_PGM_RSRC2:TGID_X_EN: 1
; COMPUTE_PGM_RSRC2:TGID_Y_EN: 0
; COMPUTE_PGM_RSRC2:TGID_Z_EN: 0
; COMPUTE_PGM_RSRC2:TIDIG_COMP_CNT: 0
	.section	.text._ZN7rocprim17ROCPRIM_400000_NS6detail17trampoline_kernelINS0_14default_configENS1_25partition_config_selectorILNS1_17partition_subalgoE6EjNS0_10empty_typeEbEEZZNS1_14partition_implILS5_6ELb0ES3_mN6thrust23THRUST_200600_302600_NS6detail15normal_iteratorINSA_10device_ptrIjEEEEPS6_SG_NS0_5tupleIJSF_S6_EEENSH_IJSG_SG_EEES6_PlJ7is_evenIjEEEE10hipError_tPvRmT3_T4_T5_T6_T7_T9_mT8_P12ihipStream_tbDpT10_ENKUlT_T0_E_clISt17integral_constantIbLb1EES16_EEDaS11_S12_EUlS11_E_NS1_11comp_targetILNS1_3genE4ELNS1_11target_archE910ELNS1_3gpuE8ELNS1_3repE0EEENS1_30default_config_static_selectorELNS0_4arch9wavefront6targetE0EEEvT1_,"axG",@progbits,_ZN7rocprim17ROCPRIM_400000_NS6detail17trampoline_kernelINS0_14default_configENS1_25partition_config_selectorILNS1_17partition_subalgoE6EjNS0_10empty_typeEbEEZZNS1_14partition_implILS5_6ELb0ES3_mN6thrust23THRUST_200600_302600_NS6detail15normal_iteratorINSA_10device_ptrIjEEEEPS6_SG_NS0_5tupleIJSF_S6_EEENSH_IJSG_SG_EEES6_PlJ7is_evenIjEEEE10hipError_tPvRmT3_T4_T5_T6_T7_T9_mT8_P12ihipStream_tbDpT10_ENKUlT_T0_E_clISt17integral_constantIbLb1EES16_EEDaS11_S12_EUlS11_E_NS1_11comp_targetILNS1_3genE4ELNS1_11target_archE910ELNS1_3gpuE8ELNS1_3repE0EEENS1_30default_config_static_selectorELNS0_4arch9wavefront6targetE0EEEvT1_,comdat
	.protected	_ZN7rocprim17ROCPRIM_400000_NS6detail17trampoline_kernelINS0_14default_configENS1_25partition_config_selectorILNS1_17partition_subalgoE6EjNS0_10empty_typeEbEEZZNS1_14partition_implILS5_6ELb0ES3_mN6thrust23THRUST_200600_302600_NS6detail15normal_iteratorINSA_10device_ptrIjEEEEPS6_SG_NS0_5tupleIJSF_S6_EEENSH_IJSG_SG_EEES6_PlJ7is_evenIjEEEE10hipError_tPvRmT3_T4_T5_T6_T7_T9_mT8_P12ihipStream_tbDpT10_ENKUlT_T0_E_clISt17integral_constantIbLb1EES16_EEDaS11_S12_EUlS11_E_NS1_11comp_targetILNS1_3genE4ELNS1_11target_archE910ELNS1_3gpuE8ELNS1_3repE0EEENS1_30default_config_static_selectorELNS0_4arch9wavefront6targetE0EEEvT1_ ; -- Begin function _ZN7rocprim17ROCPRIM_400000_NS6detail17trampoline_kernelINS0_14default_configENS1_25partition_config_selectorILNS1_17partition_subalgoE6EjNS0_10empty_typeEbEEZZNS1_14partition_implILS5_6ELb0ES3_mN6thrust23THRUST_200600_302600_NS6detail15normal_iteratorINSA_10device_ptrIjEEEEPS6_SG_NS0_5tupleIJSF_S6_EEENSH_IJSG_SG_EEES6_PlJ7is_evenIjEEEE10hipError_tPvRmT3_T4_T5_T6_T7_T9_mT8_P12ihipStream_tbDpT10_ENKUlT_T0_E_clISt17integral_constantIbLb1EES16_EEDaS11_S12_EUlS11_E_NS1_11comp_targetILNS1_3genE4ELNS1_11target_archE910ELNS1_3gpuE8ELNS1_3repE0EEENS1_30default_config_static_selectorELNS0_4arch9wavefront6targetE0EEEvT1_
	.globl	_ZN7rocprim17ROCPRIM_400000_NS6detail17trampoline_kernelINS0_14default_configENS1_25partition_config_selectorILNS1_17partition_subalgoE6EjNS0_10empty_typeEbEEZZNS1_14partition_implILS5_6ELb0ES3_mN6thrust23THRUST_200600_302600_NS6detail15normal_iteratorINSA_10device_ptrIjEEEEPS6_SG_NS0_5tupleIJSF_S6_EEENSH_IJSG_SG_EEES6_PlJ7is_evenIjEEEE10hipError_tPvRmT3_T4_T5_T6_T7_T9_mT8_P12ihipStream_tbDpT10_ENKUlT_T0_E_clISt17integral_constantIbLb1EES16_EEDaS11_S12_EUlS11_E_NS1_11comp_targetILNS1_3genE4ELNS1_11target_archE910ELNS1_3gpuE8ELNS1_3repE0EEENS1_30default_config_static_selectorELNS0_4arch9wavefront6targetE0EEEvT1_
	.p2align	8
	.type	_ZN7rocprim17ROCPRIM_400000_NS6detail17trampoline_kernelINS0_14default_configENS1_25partition_config_selectorILNS1_17partition_subalgoE6EjNS0_10empty_typeEbEEZZNS1_14partition_implILS5_6ELb0ES3_mN6thrust23THRUST_200600_302600_NS6detail15normal_iteratorINSA_10device_ptrIjEEEEPS6_SG_NS0_5tupleIJSF_S6_EEENSH_IJSG_SG_EEES6_PlJ7is_evenIjEEEE10hipError_tPvRmT3_T4_T5_T6_T7_T9_mT8_P12ihipStream_tbDpT10_ENKUlT_T0_E_clISt17integral_constantIbLb1EES16_EEDaS11_S12_EUlS11_E_NS1_11comp_targetILNS1_3genE4ELNS1_11target_archE910ELNS1_3gpuE8ELNS1_3repE0EEENS1_30default_config_static_selectorELNS0_4arch9wavefront6targetE0EEEvT1_,@function
_ZN7rocprim17ROCPRIM_400000_NS6detail17trampoline_kernelINS0_14default_configENS1_25partition_config_selectorILNS1_17partition_subalgoE6EjNS0_10empty_typeEbEEZZNS1_14partition_implILS5_6ELb0ES3_mN6thrust23THRUST_200600_302600_NS6detail15normal_iteratorINSA_10device_ptrIjEEEEPS6_SG_NS0_5tupleIJSF_S6_EEENSH_IJSG_SG_EEES6_PlJ7is_evenIjEEEE10hipError_tPvRmT3_T4_T5_T6_T7_T9_mT8_P12ihipStream_tbDpT10_ENKUlT_T0_E_clISt17integral_constantIbLb1EES16_EEDaS11_S12_EUlS11_E_NS1_11comp_targetILNS1_3genE4ELNS1_11target_archE910ELNS1_3gpuE8ELNS1_3repE0EEENS1_30default_config_static_selectorELNS0_4arch9wavefront6targetE0EEEvT1_: ; @_ZN7rocprim17ROCPRIM_400000_NS6detail17trampoline_kernelINS0_14default_configENS1_25partition_config_selectorILNS1_17partition_subalgoE6EjNS0_10empty_typeEbEEZZNS1_14partition_implILS5_6ELb0ES3_mN6thrust23THRUST_200600_302600_NS6detail15normal_iteratorINSA_10device_ptrIjEEEEPS6_SG_NS0_5tupleIJSF_S6_EEENSH_IJSG_SG_EEES6_PlJ7is_evenIjEEEE10hipError_tPvRmT3_T4_T5_T6_T7_T9_mT8_P12ihipStream_tbDpT10_ENKUlT_T0_E_clISt17integral_constantIbLb1EES16_EEDaS11_S12_EUlS11_E_NS1_11comp_targetILNS1_3genE4ELNS1_11target_archE910ELNS1_3gpuE8ELNS1_3repE0EEENS1_30default_config_static_selectorELNS0_4arch9wavefront6targetE0EEEvT1_
; %bb.0:
	.section	.rodata,"a",@progbits
	.p2align	6, 0x0
	.amdhsa_kernel _ZN7rocprim17ROCPRIM_400000_NS6detail17trampoline_kernelINS0_14default_configENS1_25partition_config_selectorILNS1_17partition_subalgoE6EjNS0_10empty_typeEbEEZZNS1_14partition_implILS5_6ELb0ES3_mN6thrust23THRUST_200600_302600_NS6detail15normal_iteratorINSA_10device_ptrIjEEEEPS6_SG_NS0_5tupleIJSF_S6_EEENSH_IJSG_SG_EEES6_PlJ7is_evenIjEEEE10hipError_tPvRmT3_T4_T5_T6_T7_T9_mT8_P12ihipStream_tbDpT10_ENKUlT_T0_E_clISt17integral_constantIbLb1EES16_EEDaS11_S12_EUlS11_E_NS1_11comp_targetILNS1_3genE4ELNS1_11target_archE910ELNS1_3gpuE8ELNS1_3repE0EEENS1_30default_config_static_selectorELNS0_4arch9wavefront6targetE0EEEvT1_
		.amdhsa_group_segment_fixed_size 0
		.amdhsa_private_segment_fixed_size 0
		.amdhsa_kernarg_size 128
		.amdhsa_user_sgpr_count 15
		.amdhsa_user_sgpr_dispatch_ptr 0
		.amdhsa_user_sgpr_queue_ptr 0
		.amdhsa_user_sgpr_kernarg_segment_ptr 1
		.amdhsa_user_sgpr_dispatch_id 0
		.amdhsa_user_sgpr_private_segment_size 0
		.amdhsa_wavefront_size32 1
		.amdhsa_uses_dynamic_stack 0
		.amdhsa_enable_private_segment 0
		.amdhsa_system_sgpr_workgroup_id_x 1
		.amdhsa_system_sgpr_workgroup_id_y 0
		.amdhsa_system_sgpr_workgroup_id_z 0
		.amdhsa_system_sgpr_workgroup_info 0
		.amdhsa_system_vgpr_workitem_id 0
		.amdhsa_next_free_vgpr 1
		.amdhsa_next_free_sgpr 1
		.amdhsa_reserve_vcc 0
		.amdhsa_float_round_mode_32 0
		.amdhsa_float_round_mode_16_64 0
		.amdhsa_float_denorm_mode_32 3
		.amdhsa_float_denorm_mode_16_64 3
		.amdhsa_dx10_clamp 1
		.amdhsa_ieee_mode 1
		.amdhsa_fp16_overflow 0
		.amdhsa_workgroup_processor_mode 1
		.amdhsa_memory_ordered 1
		.amdhsa_forward_progress 0
		.amdhsa_shared_vgpr_count 0
		.amdhsa_exception_fp_ieee_invalid_op 0
		.amdhsa_exception_fp_denorm_src 0
		.amdhsa_exception_fp_ieee_div_zero 0
		.amdhsa_exception_fp_ieee_overflow 0
		.amdhsa_exception_fp_ieee_underflow 0
		.amdhsa_exception_fp_ieee_inexact 0
		.amdhsa_exception_int_div_zero 0
	.end_amdhsa_kernel
	.section	.text._ZN7rocprim17ROCPRIM_400000_NS6detail17trampoline_kernelINS0_14default_configENS1_25partition_config_selectorILNS1_17partition_subalgoE6EjNS0_10empty_typeEbEEZZNS1_14partition_implILS5_6ELb0ES3_mN6thrust23THRUST_200600_302600_NS6detail15normal_iteratorINSA_10device_ptrIjEEEEPS6_SG_NS0_5tupleIJSF_S6_EEENSH_IJSG_SG_EEES6_PlJ7is_evenIjEEEE10hipError_tPvRmT3_T4_T5_T6_T7_T9_mT8_P12ihipStream_tbDpT10_ENKUlT_T0_E_clISt17integral_constantIbLb1EES16_EEDaS11_S12_EUlS11_E_NS1_11comp_targetILNS1_3genE4ELNS1_11target_archE910ELNS1_3gpuE8ELNS1_3repE0EEENS1_30default_config_static_selectorELNS0_4arch9wavefront6targetE0EEEvT1_,"axG",@progbits,_ZN7rocprim17ROCPRIM_400000_NS6detail17trampoline_kernelINS0_14default_configENS1_25partition_config_selectorILNS1_17partition_subalgoE6EjNS0_10empty_typeEbEEZZNS1_14partition_implILS5_6ELb0ES3_mN6thrust23THRUST_200600_302600_NS6detail15normal_iteratorINSA_10device_ptrIjEEEEPS6_SG_NS0_5tupleIJSF_S6_EEENSH_IJSG_SG_EEES6_PlJ7is_evenIjEEEE10hipError_tPvRmT3_T4_T5_T6_T7_T9_mT8_P12ihipStream_tbDpT10_ENKUlT_T0_E_clISt17integral_constantIbLb1EES16_EEDaS11_S12_EUlS11_E_NS1_11comp_targetILNS1_3genE4ELNS1_11target_archE910ELNS1_3gpuE8ELNS1_3repE0EEENS1_30default_config_static_selectorELNS0_4arch9wavefront6targetE0EEEvT1_,comdat
.Lfunc_end306:
	.size	_ZN7rocprim17ROCPRIM_400000_NS6detail17trampoline_kernelINS0_14default_configENS1_25partition_config_selectorILNS1_17partition_subalgoE6EjNS0_10empty_typeEbEEZZNS1_14partition_implILS5_6ELb0ES3_mN6thrust23THRUST_200600_302600_NS6detail15normal_iteratorINSA_10device_ptrIjEEEEPS6_SG_NS0_5tupleIJSF_S6_EEENSH_IJSG_SG_EEES6_PlJ7is_evenIjEEEE10hipError_tPvRmT3_T4_T5_T6_T7_T9_mT8_P12ihipStream_tbDpT10_ENKUlT_T0_E_clISt17integral_constantIbLb1EES16_EEDaS11_S12_EUlS11_E_NS1_11comp_targetILNS1_3genE4ELNS1_11target_archE910ELNS1_3gpuE8ELNS1_3repE0EEENS1_30default_config_static_selectorELNS0_4arch9wavefront6targetE0EEEvT1_, .Lfunc_end306-_ZN7rocprim17ROCPRIM_400000_NS6detail17trampoline_kernelINS0_14default_configENS1_25partition_config_selectorILNS1_17partition_subalgoE6EjNS0_10empty_typeEbEEZZNS1_14partition_implILS5_6ELb0ES3_mN6thrust23THRUST_200600_302600_NS6detail15normal_iteratorINSA_10device_ptrIjEEEEPS6_SG_NS0_5tupleIJSF_S6_EEENSH_IJSG_SG_EEES6_PlJ7is_evenIjEEEE10hipError_tPvRmT3_T4_T5_T6_T7_T9_mT8_P12ihipStream_tbDpT10_ENKUlT_T0_E_clISt17integral_constantIbLb1EES16_EEDaS11_S12_EUlS11_E_NS1_11comp_targetILNS1_3genE4ELNS1_11target_archE910ELNS1_3gpuE8ELNS1_3repE0EEENS1_30default_config_static_selectorELNS0_4arch9wavefront6targetE0EEEvT1_
                                        ; -- End function
	.section	.AMDGPU.csdata,"",@progbits
; Kernel info:
; codeLenInByte = 0
; NumSgprs: 0
; NumVgprs: 0
; ScratchSize: 0
; MemoryBound: 0
; FloatMode: 240
; IeeeMode: 1
; LDSByteSize: 0 bytes/workgroup (compile time only)
; SGPRBlocks: 0
; VGPRBlocks: 0
; NumSGPRsForWavesPerEU: 1
; NumVGPRsForWavesPerEU: 1
; Occupancy: 16
; WaveLimiterHint : 0
; COMPUTE_PGM_RSRC2:SCRATCH_EN: 0
; COMPUTE_PGM_RSRC2:USER_SGPR: 15
; COMPUTE_PGM_RSRC2:TRAP_HANDLER: 0
; COMPUTE_PGM_RSRC2:TGID_X_EN: 1
; COMPUTE_PGM_RSRC2:TGID_Y_EN: 0
; COMPUTE_PGM_RSRC2:TGID_Z_EN: 0
; COMPUTE_PGM_RSRC2:TIDIG_COMP_CNT: 0
	.section	.text._ZN7rocprim17ROCPRIM_400000_NS6detail17trampoline_kernelINS0_14default_configENS1_25partition_config_selectorILNS1_17partition_subalgoE6EjNS0_10empty_typeEbEEZZNS1_14partition_implILS5_6ELb0ES3_mN6thrust23THRUST_200600_302600_NS6detail15normal_iteratorINSA_10device_ptrIjEEEEPS6_SG_NS0_5tupleIJSF_S6_EEENSH_IJSG_SG_EEES6_PlJ7is_evenIjEEEE10hipError_tPvRmT3_T4_T5_T6_T7_T9_mT8_P12ihipStream_tbDpT10_ENKUlT_T0_E_clISt17integral_constantIbLb1EES16_EEDaS11_S12_EUlS11_E_NS1_11comp_targetILNS1_3genE3ELNS1_11target_archE908ELNS1_3gpuE7ELNS1_3repE0EEENS1_30default_config_static_selectorELNS0_4arch9wavefront6targetE0EEEvT1_,"axG",@progbits,_ZN7rocprim17ROCPRIM_400000_NS6detail17trampoline_kernelINS0_14default_configENS1_25partition_config_selectorILNS1_17partition_subalgoE6EjNS0_10empty_typeEbEEZZNS1_14partition_implILS5_6ELb0ES3_mN6thrust23THRUST_200600_302600_NS6detail15normal_iteratorINSA_10device_ptrIjEEEEPS6_SG_NS0_5tupleIJSF_S6_EEENSH_IJSG_SG_EEES6_PlJ7is_evenIjEEEE10hipError_tPvRmT3_T4_T5_T6_T7_T9_mT8_P12ihipStream_tbDpT10_ENKUlT_T0_E_clISt17integral_constantIbLb1EES16_EEDaS11_S12_EUlS11_E_NS1_11comp_targetILNS1_3genE3ELNS1_11target_archE908ELNS1_3gpuE7ELNS1_3repE0EEENS1_30default_config_static_selectorELNS0_4arch9wavefront6targetE0EEEvT1_,comdat
	.protected	_ZN7rocprim17ROCPRIM_400000_NS6detail17trampoline_kernelINS0_14default_configENS1_25partition_config_selectorILNS1_17partition_subalgoE6EjNS0_10empty_typeEbEEZZNS1_14partition_implILS5_6ELb0ES3_mN6thrust23THRUST_200600_302600_NS6detail15normal_iteratorINSA_10device_ptrIjEEEEPS6_SG_NS0_5tupleIJSF_S6_EEENSH_IJSG_SG_EEES6_PlJ7is_evenIjEEEE10hipError_tPvRmT3_T4_T5_T6_T7_T9_mT8_P12ihipStream_tbDpT10_ENKUlT_T0_E_clISt17integral_constantIbLb1EES16_EEDaS11_S12_EUlS11_E_NS1_11comp_targetILNS1_3genE3ELNS1_11target_archE908ELNS1_3gpuE7ELNS1_3repE0EEENS1_30default_config_static_selectorELNS0_4arch9wavefront6targetE0EEEvT1_ ; -- Begin function _ZN7rocprim17ROCPRIM_400000_NS6detail17trampoline_kernelINS0_14default_configENS1_25partition_config_selectorILNS1_17partition_subalgoE6EjNS0_10empty_typeEbEEZZNS1_14partition_implILS5_6ELb0ES3_mN6thrust23THRUST_200600_302600_NS6detail15normal_iteratorINSA_10device_ptrIjEEEEPS6_SG_NS0_5tupleIJSF_S6_EEENSH_IJSG_SG_EEES6_PlJ7is_evenIjEEEE10hipError_tPvRmT3_T4_T5_T6_T7_T9_mT8_P12ihipStream_tbDpT10_ENKUlT_T0_E_clISt17integral_constantIbLb1EES16_EEDaS11_S12_EUlS11_E_NS1_11comp_targetILNS1_3genE3ELNS1_11target_archE908ELNS1_3gpuE7ELNS1_3repE0EEENS1_30default_config_static_selectorELNS0_4arch9wavefront6targetE0EEEvT1_
	.globl	_ZN7rocprim17ROCPRIM_400000_NS6detail17trampoline_kernelINS0_14default_configENS1_25partition_config_selectorILNS1_17partition_subalgoE6EjNS0_10empty_typeEbEEZZNS1_14partition_implILS5_6ELb0ES3_mN6thrust23THRUST_200600_302600_NS6detail15normal_iteratorINSA_10device_ptrIjEEEEPS6_SG_NS0_5tupleIJSF_S6_EEENSH_IJSG_SG_EEES6_PlJ7is_evenIjEEEE10hipError_tPvRmT3_T4_T5_T6_T7_T9_mT8_P12ihipStream_tbDpT10_ENKUlT_T0_E_clISt17integral_constantIbLb1EES16_EEDaS11_S12_EUlS11_E_NS1_11comp_targetILNS1_3genE3ELNS1_11target_archE908ELNS1_3gpuE7ELNS1_3repE0EEENS1_30default_config_static_selectorELNS0_4arch9wavefront6targetE0EEEvT1_
	.p2align	8
	.type	_ZN7rocprim17ROCPRIM_400000_NS6detail17trampoline_kernelINS0_14default_configENS1_25partition_config_selectorILNS1_17partition_subalgoE6EjNS0_10empty_typeEbEEZZNS1_14partition_implILS5_6ELb0ES3_mN6thrust23THRUST_200600_302600_NS6detail15normal_iteratorINSA_10device_ptrIjEEEEPS6_SG_NS0_5tupleIJSF_S6_EEENSH_IJSG_SG_EEES6_PlJ7is_evenIjEEEE10hipError_tPvRmT3_T4_T5_T6_T7_T9_mT8_P12ihipStream_tbDpT10_ENKUlT_T0_E_clISt17integral_constantIbLb1EES16_EEDaS11_S12_EUlS11_E_NS1_11comp_targetILNS1_3genE3ELNS1_11target_archE908ELNS1_3gpuE7ELNS1_3repE0EEENS1_30default_config_static_selectorELNS0_4arch9wavefront6targetE0EEEvT1_,@function
_ZN7rocprim17ROCPRIM_400000_NS6detail17trampoline_kernelINS0_14default_configENS1_25partition_config_selectorILNS1_17partition_subalgoE6EjNS0_10empty_typeEbEEZZNS1_14partition_implILS5_6ELb0ES3_mN6thrust23THRUST_200600_302600_NS6detail15normal_iteratorINSA_10device_ptrIjEEEEPS6_SG_NS0_5tupleIJSF_S6_EEENSH_IJSG_SG_EEES6_PlJ7is_evenIjEEEE10hipError_tPvRmT3_T4_T5_T6_T7_T9_mT8_P12ihipStream_tbDpT10_ENKUlT_T0_E_clISt17integral_constantIbLb1EES16_EEDaS11_S12_EUlS11_E_NS1_11comp_targetILNS1_3genE3ELNS1_11target_archE908ELNS1_3gpuE7ELNS1_3repE0EEENS1_30default_config_static_selectorELNS0_4arch9wavefront6targetE0EEEvT1_: ; @_ZN7rocprim17ROCPRIM_400000_NS6detail17trampoline_kernelINS0_14default_configENS1_25partition_config_selectorILNS1_17partition_subalgoE6EjNS0_10empty_typeEbEEZZNS1_14partition_implILS5_6ELb0ES3_mN6thrust23THRUST_200600_302600_NS6detail15normal_iteratorINSA_10device_ptrIjEEEEPS6_SG_NS0_5tupleIJSF_S6_EEENSH_IJSG_SG_EEES6_PlJ7is_evenIjEEEE10hipError_tPvRmT3_T4_T5_T6_T7_T9_mT8_P12ihipStream_tbDpT10_ENKUlT_T0_E_clISt17integral_constantIbLb1EES16_EEDaS11_S12_EUlS11_E_NS1_11comp_targetILNS1_3genE3ELNS1_11target_archE908ELNS1_3gpuE7ELNS1_3repE0EEENS1_30default_config_static_selectorELNS0_4arch9wavefront6targetE0EEEvT1_
; %bb.0:
	.section	.rodata,"a",@progbits
	.p2align	6, 0x0
	.amdhsa_kernel _ZN7rocprim17ROCPRIM_400000_NS6detail17trampoline_kernelINS0_14default_configENS1_25partition_config_selectorILNS1_17partition_subalgoE6EjNS0_10empty_typeEbEEZZNS1_14partition_implILS5_6ELb0ES3_mN6thrust23THRUST_200600_302600_NS6detail15normal_iteratorINSA_10device_ptrIjEEEEPS6_SG_NS0_5tupleIJSF_S6_EEENSH_IJSG_SG_EEES6_PlJ7is_evenIjEEEE10hipError_tPvRmT3_T4_T5_T6_T7_T9_mT8_P12ihipStream_tbDpT10_ENKUlT_T0_E_clISt17integral_constantIbLb1EES16_EEDaS11_S12_EUlS11_E_NS1_11comp_targetILNS1_3genE3ELNS1_11target_archE908ELNS1_3gpuE7ELNS1_3repE0EEENS1_30default_config_static_selectorELNS0_4arch9wavefront6targetE0EEEvT1_
		.amdhsa_group_segment_fixed_size 0
		.amdhsa_private_segment_fixed_size 0
		.amdhsa_kernarg_size 128
		.amdhsa_user_sgpr_count 15
		.amdhsa_user_sgpr_dispatch_ptr 0
		.amdhsa_user_sgpr_queue_ptr 0
		.amdhsa_user_sgpr_kernarg_segment_ptr 1
		.amdhsa_user_sgpr_dispatch_id 0
		.amdhsa_user_sgpr_private_segment_size 0
		.amdhsa_wavefront_size32 1
		.amdhsa_uses_dynamic_stack 0
		.amdhsa_enable_private_segment 0
		.amdhsa_system_sgpr_workgroup_id_x 1
		.amdhsa_system_sgpr_workgroup_id_y 0
		.amdhsa_system_sgpr_workgroup_id_z 0
		.amdhsa_system_sgpr_workgroup_info 0
		.amdhsa_system_vgpr_workitem_id 0
		.amdhsa_next_free_vgpr 1
		.amdhsa_next_free_sgpr 1
		.amdhsa_reserve_vcc 0
		.amdhsa_float_round_mode_32 0
		.amdhsa_float_round_mode_16_64 0
		.amdhsa_float_denorm_mode_32 3
		.amdhsa_float_denorm_mode_16_64 3
		.amdhsa_dx10_clamp 1
		.amdhsa_ieee_mode 1
		.amdhsa_fp16_overflow 0
		.amdhsa_workgroup_processor_mode 1
		.amdhsa_memory_ordered 1
		.amdhsa_forward_progress 0
		.amdhsa_shared_vgpr_count 0
		.amdhsa_exception_fp_ieee_invalid_op 0
		.amdhsa_exception_fp_denorm_src 0
		.amdhsa_exception_fp_ieee_div_zero 0
		.amdhsa_exception_fp_ieee_overflow 0
		.amdhsa_exception_fp_ieee_underflow 0
		.amdhsa_exception_fp_ieee_inexact 0
		.amdhsa_exception_int_div_zero 0
	.end_amdhsa_kernel
	.section	.text._ZN7rocprim17ROCPRIM_400000_NS6detail17trampoline_kernelINS0_14default_configENS1_25partition_config_selectorILNS1_17partition_subalgoE6EjNS0_10empty_typeEbEEZZNS1_14partition_implILS5_6ELb0ES3_mN6thrust23THRUST_200600_302600_NS6detail15normal_iteratorINSA_10device_ptrIjEEEEPS6_SG_NS0_5tupleIJSF_S6_EEENSH_IJSG_SG_EEES6_PlJ7is_evenIjEEEE10hipError_tPvRmT3_T4_T5_T6_T7_T9_mT8_P12ihipStream_tbDpT10_ENKUlT_T0_E_clISt17integral_constantIbLb1EES16_EEDaS11_S12_EUlS11_E_NS1_11comp_targetILNS1_3genE3ELNS1_11target_archE908ELNS1_3gpuE7ELNS1_3repE0EEENS1_30default_config_static_selectorELNS0_4arch9wavefront6targetE0EEEvT1_,"axG",@progbits,_ZN7rocprim17ROCPRIM_400000_NS6detail17trampoline_kernelINS0_14default_configENS1_25partition_config_selectorILNS1_17partition_subalgoE6EjNS0_10empty_typeEbEEZZNS1_14partition_implILS5_6ELb0ES3_mN6thrust23THRUST_200600_302600_NS6detail15normal_iteratorINSA_10device_ptrIjEEEEPS6_SG_NS0_5tupleIJSF_S6_EEENSH_IJSG_SG_EEES6_PlJ7is_evenIjEEEE10hipError_tPvRmT3_T4_T5_T6_T7_T9_mT8_P12ihipStream_tbDpT10_ENKUlT_T0_E_clISt17integral_constantIbLb1EES16_EEDaS11_S12_EUlS11_E_NS1_11comp_targetILNS1_3genE3ELNS1_11target_archE908ELNS1_3gpuE7ELNS1_3repE0EEENS1_30default_config_static_selectorELNS0_4arch9wavefront6targetE0EEEvT1_,comdat
.Lfunc_end307:
	.size	_ZN7rocprim17ROCPRIM_400000_NS6detail17trampoline_kernelINS0_14default_configENS1_25partition_config_selectorILNS1_17partition_subalgoE6EjNS0_10empty_typeEbEEZZNS1_14partition_implILS5_6ELb0ES3_mN6thrust23THRUST_200600_302600_NS6detail15normal_iteratorINSA_10device_ptrIjEEEEPS6_SG_NS0_5tupleIJSF_S6_EEENSH_IJSG_SG_EEES6_PlJ7is_evenIjEEEE10hipError_tPvRmT3_T4_T5_T6_T7_T9_mT8_P12ihipStream_tbDpT10_ENKUlT_T0_E_clISt17integral_constantIbLb1EES16_EEDaS11_S12_EUlS11_E_NS1_11comp_targetILNS1_3genE3ELNS1_11target_archE908ELNS1_3gpuE7ELNS1_3repE0EEENS1_30default_config_static_selectorELNS0_4arch9wavefront6targetE0EEEvT1_, .Lfunc_end307-_ZN7rocprim17ROCPRIM_400000_NS6detail17trampoline_kernelINS0_14default_configENS1_25partition_config_selectorILNS1_17partition_subalgoE6EjNS0_10empty_typeEbEEZZNS1_14partition_implILS5_6ELb0ES3_mN6thrust23THRUST_200600_302600_NS6detail15normal_iteratorINSA_10device_ptrIjEEEEPS6_SG_NS0_5tupleIJSF_S6_EEENSH_IJSG_SG_EEES6_PlJ7is_evenIjEEEE10hipError_tPvRmT3_T4_T5_T6_T7_T9_mT8_P12ihipStream_tbDpT10_ENKUlT_T0_E_clISt17integral_constantIbLb1EES16_EEDaS11_S12_EUlS11_E_NS1_11comp_targetILNS1_3genE3ELNS1_11target_archE908ELNS1_3gpuE7ELNS1_3repE0EEENS1_30default_config_static_selectorELNS0_4arch9wavefront6targetE0EEEvT1_
                                        ; -- End function
	.section	.AMDGPU.csdata,"",@progbits
; Kernel info:
; codeLenInByte = 0
; NumSgprs: 0
; NumVgprs: 0
; ScratchSize: 0
; MemoryBound: 0
; FloatMode: 240
; IeeeMode: 1
; LDSByteSize: 0 bytes/workgroup (compile time only)
; SGPRBlocks: 0
; VGPRBlocks: 0
; NumSGPRsForWavesPerEU: 1
; NumVGPRsForWavesPerEU: 1
; Occupancy: 16
; WaveLimiterHint : 0
; COMPUTE_PGM_RSRC2:SCRATCH_EN: 0
; COMPUTE_PGM_RSRC2:USER_SGPR: 15
; COMPUTE_PGM_RSRC2:TRAP_HANDLER: 0
; COMPUTE_PGM_RSRC2:TGID_X_EN: 1
; COMPUTE_PGM_RSRC2:TGID_Y_EN: 0
; COMPUTE_PGM_RSRC2:TGID_Z_EN: 0
; COMPUTE_PGM_RSRC2:TIDIG_COMP_CNT: 0
	.section	.text._ZN7rocprim17ROCPRIM_400000_NS6detail17trampoline_kernelINS0_14default_configENS1_25partition_config_selectorILNS1_17partition_subalgoE6EjNS0_10empty_typeEbEEZZNS1_14partition_implILS5_6ELb0ES3_mN6thrust23THRUST_200600_302600_NS6detail15normal_iteratorINSA_10device_ptrIjEEEEPS6_SG_NS0_5tupleIJSF_S6_EEENSH_IJSG_SG_EEES6_PlJ7is_evenIjEEEE10hipError_tPvRmT3_T4_T5_T6_T7_T9_mT8_P12ihipStream_tbDpT10_ENKUlT_T0_E_clISt17integral_constantIbLb1EES16_EEDaS11_S12_EUlS11_E_NS1_11comp_targetILNS1_3genE2ELNS1_11target_archE906ELNS1_3gpuE6ELNS1_3repE0EEENS1_30default_config_static_selectorELNS0_4arch9wavefront6targetE0EEEvT1_,"axG",@progbits,_ZN7rocprim17ROCPRIM_400000_NS6detail17trampoline_kernelINS0_14default_configENS1_25partition_config_selectorILNS1_17partition_subalgoE6EjNS0_10empty_typeEbEEZZNS1_14partition_implILS5_6ELb0ES3_mN6thrust23THRUST_200600_302600_NS6detail15normal_iteratorINSA_10device_ptrIjEEEEPS6_SG_NS0_5tupleIJSF_S6_EEENSH_IJSG_SG_EEES6_PlJ7is_evenIjEEEE10hipError_tPvRmT3_T4_T5_T6_T7_T9_mT8_P12ihipStream_tbDpT10_ENKUlT_T0_E_clISt17integral_constantIbLb1EES16_EEDaS11_S12_EUlS11_E_NS1_11comp_targetILNS1_3genE2ELNS1_11target_archE906ELNS1_3gpuE6ELNS1_3repE0EEENS1_30default_config_static_selectorELNS0_4arch9wavefront6targetE0EEEvT1_,comdat
	.protected	_ZN7rocprim17ROCPRIM_400000_NS6detail17trampoline_kernelINS0_14default_configENS1_25partition_config_selectorILNS1_17partition_subalgoE6EjNS0_10empty_typeEbEEZZNS1_14partition_implILS5_6ELb0ES3_mN6thrust23THRUST_200600_302600_NS6detail15normal_iteratorINSA_10device_ptrIjEEEEPS6_SG_NS0_5tupleIJSF_S6_EEENSH_IJSG_SG_EEES6_PlJ7is_evenIjEEEE10hipError_tPvRmT3_T4_T5_T6_T7_T9_mT8_P12ihipStream_tbDpT10_ENKUlT_T0_E_clISt17integral_constantIbLb1EES16_EEDaS11_S12_EUlS11_E_NS1_11comp_targetILNS1_3genE2ELNS1_11target_archE906ELNS1_3gpuE6ELNS1_3repE0EEENS1_30default_config_static_selectorELNS0_4arch9wavefront6targetE0EEEvT1_ ; -- Begin function _ZN7rocprim17ROCPRIM_400000_NS6detail17trampoline_kernelINS0_14default_configENS1_25partition_config_selectorILNS1_17partition_subalgoE6EjNS0_10empty_typeEbEEZZNS1_14partition_implILS5_6ELb0ES3_mN6thrust23THRUST_200600_302600_NS6detail15normal_iteratorINSA_10device_ptrIjEEEEPS6_SG_NS0_5tupleIJSF_S6_EEENSH_IJSG_SG_EEES6_PlJ7is_evenIjEEEE10hipError_tPvRmT3_T4_T5_T6_T7_T9_mT8_P12ihipStream_tbDpT10_ENKUlT_T0_E_clISt17integral_constantIbLb1EES16_EEDaS11_S12_EUlS11_E_NS1_11comp_targetILNS1_3genE2ELNS1_11target_archE906ELNS1_3gpuE6ELNS1_3repE0EEENS1_30default_config_static_selectorELNS0_4arch9wavefront6targetE0EEEvT1_
	.globl	_ZN7rocprim17ROCPRIM_400000_NS6detail17trampoline_kernelINS0_14default_configENS1_25partition_config_selectorILNS1_17partition_subalgoE6EjNS0_10empty_typeEbEEZZNS1_14partition_implILS5_6ELb0ES3_mN6thrust23THRUST_200600_302600_NS6detail15normal_iteratorINSA_10device_ptrIjEEEEPS6_SG_NS0_5tupleIJSF_S6_EEENSH_IJSG_SG_EEES6_PlJ7is_evenIjEEEE10hipError_tPvRmT3_T4_T5_T6_T7_T9_mT8_P12ihipStream_tbDpT10_ENKUlT_T0_E_clISt17integral_constantIbLb1EES16_EEDaS11_S12_EUlS11_E_NS1_11comp_targetILNS1_3genE2ELNS1_11target_archE906ELNS1_3gpuE6ELNS1_3repE0EEENS1_30default_config_static_selectorELNS0_4arch9wavefront6targetE0EEEvT1_
	.p2align	8
	.type	_ZN7rocprim17ROCPRIM_400000_NS6detail17trampoline_kernelINS0_14default_configENS1_25partition_config_selectorILNS1_17partition_subalgoE6EjNS0_10empty_typeEbEEZZNS1_14partition_implILS5_6ELb0ES3_mN6thrust23THRUST_200600_302600_NS6detail15normal_iteratorINSA_10device_ptrIjEEEEPS6_SG_NS0_5tupleIJSF_S6_EEENSH_IJSG_SG_EEES6_PlJ7is_evenIjEEEE10hipError_tPvRmT3_T4_T5_T6_T7_T9_mT8_P12ihipStream_tbDpT10_ENKUlT_T0_E_clISt17integral_constantIbLb1EES16_EEDaS11_S12_EUlS11_E_NS1_11comp_targetILNS1_3genE2ELNS1_11target_archE906ELNS1_3gpuE6ELNS1_3repE0EEENS1_30default_config_static_selectorELNS0_4arch9wavefront6targetE0EEEvT1_,@function
_ZN7rocprim17ROCPRIM_400000_NS6detail17trampoline_kernelINS0_14default_configENS1_25partition_config_selectorILNS1_17partition_subalgoE6EjNS0_10empty_typeEbEEZZNS1_14partition_implILS5_6ELb0ES3_mN6thrust23THRUST_200600_302600_NS6detail15normal_iteratorINSA_10device_ptrIjEEEEPS6_SG_NS0_5tupleIJSF_S6_EEENSH_IJSG_SG_EEES6_PlJ7is_evenIjEEEE10hipError_tPvRmT3_T4_T5_T6_T7_T9_mT8_P12ihipStream_tbDpT10_ENKUlT_T0_E_clISt17integral_constantIbLb1EES16_EEDaS11_S12_EUlS11_E_NS1_11comp_targetILNS1_3genE2ELNS1_11target_archE906ELNS1_3gpuE6ELNS1_3repE0EEENS1_30default_config_static_selectorELNS0_4arch9wavefront6targetE0EEEvT1_: ; @_ZN7rocprim17ROCPRIM_400000_NS6detail17trampoline_kernelINS0_14default_configENS1_25partition_config_selectorILNS1_17partition_subalgoE6EjNS0_10empty_typeEbEEZZNS1_14partition_implILS5_6ELb0ES3_mN6thrust23THRUST_200600_302600_NS6detail15normal_iteratorINSA_10device_ptrIjEEEEPS6_SG_NS0_5tupleIJSF_S6_EEENSH_IJSG_SG_EEES6_PlJ7is_evenIjEEEE10hipError_tPvRmT3_T4_T5_T6_T7_T9_mT8_P12ihipStream_tbDpT10_ENKUlT_T0_E_clISt17integral_constantIbLb1EES16_EEDaS11_S12_EUlS11_E_NS1_11comp_targetILNS1_3genE2ELNS1_11target_archE906ELNS1_3gpuE6ELNS1_3repE0EEENS1_30default_config_static_selectorELNS0_4arch9wavefront6targetE0EEEvT1_
; %bb.0:
	.section	.rodata,"a",@progbits
	.p2align	6, 0x0
	.amdhsa_kernel _ZN7rocprim17ROCPRIM_400000_NS6detail17trampoline_kernelINS0_14default_configENS1_25partition_config_selectorILNS1_17partition_subalgoE6EjNS0_10empty_typeEbEEZZNS1_14partition_implILS5_6ELb0ES3_mN6thrust23THRUST_200600_302600_NS6detail15normal_iteratorINSA_10device_ptrIjEEEEPS6_SG_NS0_5tupleIJSF_S6_EEENSH_IJSG_SG_EEES6_PlJ7is_evenIjEEEE10hipError_tPvRmT3_T4_T5_T6_T7_T9_mT8_P12ihipStream_tbDpT10_ENKUlT_T0_E_clISt17integral_constantIbLb1EES16_EEDaS11_S12_EUlS11_E_NS1_11comp_targetILNS1_3genE2ELNS1_11target_archE906ELNS1_3gpuE6ELNS1_3repE0EEENS1_30default_config_static_selectorELNS0_4arch9wavefront6targetE0EEEvT1_
		.amdhsa_group_segment_fixed_size 0
		.amdhsa_private_segment_fixed_size 0
		.amdhsa_kernarg_size 128
		.amdhsa_user_sgpr_count 15
		.amdhsa_user_sgpr_dispatch_ptr 0
		.amdhsa_user_sgpr_queue_ptr 0
		.amdhsa_user_sgpr_kernarg_segment_ptr 1
		.amdhsa_user_sgpr_dispatch_id 0
		.amdhsa_user_sgpr_private_segment_size 0
		.amdhsa_wavefront_size32 1
		.amdhsa_uses_dynamic_stack 0
		.amdhsa_enable_private_segment 0
		.amdhsa_system_sgpr_workgroup_id_x 1
		.amdhsa_system_sgpr_workgroup_id_y 0
		.amdhsa_system_sgpr_workgroup_id_z 0
		.amdhsa_system_sgpr_workgroup_info 0
		.amdhsa_system_vgpr_workitem_id 0
		.amdhsa_next_free_vgpr 1
		.amdhsa_next_free_sgpr 1
		.amdhsa_reserve_vcc 0
		.amdhsa_float_round_mode_32 0
		.amdhsa_float_round_mode_16_64 0
		.amdhsa_float_denorm_mode_32 3
		.amdhsa_float_denorm_mode_16_64 3
		.amdhsa_dx10_clamp 1
		.amdhsa_ieee_mode 1
		.amdhsa_fp16_overflow 0
		.amdhsa_workgroup_processor_mode 1
		.amdhsa_memory_ordered 1
		.amdhsa_forward_progress 0
		.amdhsa_shared_vgpr_count 0
		.amdhsa_exception_fp_ieee_invalid_op 0
		.amdhsa_exception_fp_denorm_src 0
		.amdhsa_exception_fp_ieee_div_zero 0
		.amdhsa_exception_fp_ieee_overflow 0
		.amdhsa_exception_fp_ieee_underflow 0
		.amdhsa_exception_fp_ieee_inexact 0
		.amdhsa_exception_int_div_zero 0
	.end_amdhsa_kernel
	.section	.text._ZN7rocprim17ROCPRIM_400000_NS6detail17trampoline_kernelINS0_14default_configENS1_25partition_config_selectorILNS1_17partition_subalgoE6EjNS0_10empty_typeEbEEZZNS1_14partition_implILS5_6ELb0ES3_mN6thrust23THRUST_200600_302600_NS6detail15normal_iteratorINSA_10device_ptrIjEEEEPS6_SG_NS0_5tupleIJSF_S6_EEENSH_IJSG_SG_EEES6_PlJ7is_evenIjEEEE10hipError_tPvRmT3_T4_T5_T6_T7_T9_mT8_P12ihipStream_tbDpT10_ENKUlT_T0_E_clISt17integral_constantIbLb1EES16_EEDaS11_S12_EUlS11_E_NS1_11comp_targetILNS1_3genE2ELNS1_11target_archE906ELNS1_3gpuE6ELNS1_3repE0EEENS1_30default_config_static_selectorELNS0_4arch9wavefront6targetE0EEEvT1_,"axG",@progbits,_ZN7rocprim17ROCPRIM_400000_NS6detail17trampoline_kernelINS0_14default_configENS1_25partition_config_selectorILNS1_17partition_subalgoE6EjNS0_10empty_typeEbEEZZNS1_14partition_implILS5_6ELb0ES3_mN6thrust23THRUST_200600_302600_NS6detail15normal_iteratorINSA_10device_ptrIjEEEEPS6_SG_NS0_5tupleIJSF_S6_EEENSH_IJSG_SG_EEES6_PlJ7is_evenIjEEEE10hipError_tPvRmT3_T4_T5_T6_T7_T9_mT8_P12ihipStream_tbDpT10_ENKUlT_T0_E_clISt17integral_constantIbLb1EES16_EEDaS11_S12_EUlS11_E_NS1_11comp_targetILNS1_3genE2ELNS1_11target_archE906ELNS1_3gpuE6ELNS1_3repE0EEENS1_30default_config_static_selectorELNS0_4arch9wavefront6targetE0EEEvT1_,comdat
.Lfunc_end308:
	.size	_ZN7rocprim17ROCPRIM_400000_NS6detail17trampoline_kernelINS0_14default_configENS1_25partition_config_selectorILNS1_17partition_subalgoE6EjNS0_10empty_typeEbEEZZNS1_14partition_implILS5_6ELb0ES3_mN6thrust23THRUST_200600_302600_NS6detail15normal_iteratorINSA_10device_ptrIjEEEEPS6_SG_NS0_5tupleIJSF_S6_EEENSH_IJSG_SG_EEES6_PlJ7is_evenIjEEEE10hipError_tPvRmT3_T4_T5_T6_T7_T9_mT8_P12ihipStream_tbDpT10_ENKUlT_T0_E_clISt17integral_constantIbLb1EES16_EEDaS11_S12_EUlS11_E_NS1_11comp_targetILNS1_3genE2ELNS1_11target_archE906ELNS1_3gpuE6ELNS1_3repE0EEENS1_30default_config_static_selectorELNS0_4arch9wavefront6targetE0EEEvT1_, .Lfunc_end308-_ZN7rocprim17ROCPRIM_400000_NS6detail17trampoline_kernelINS0_14default_configENS1_25partition_config_selectorILNS1_17partition_subalgoE6EjNS0_10empty_typeEbEEZZNS1_14partition_implILS5_6ELb0ES3_mN6thrust23THRUST_200600_302600_NS6detail15normal_iteratorINSA_10device_ptrIjEEEEPS6_SG_NS0_5tupleIJSF_S6_EEENSH_IJSG_SG_EEES6_PlJ7is_evenIjEEEE10hipError_tPvRmT3_T4_T5_T6_T7_T9_mT8_P12ihipStream_tbDpT10_ENKUlT_T0_E_clISt17integral_constantIbLb1EES16_EEDaS11_S12_EUlS11_E_NS1_11comp_targetILNS1_3genE2ELNS1_11target_archE906ELNS1_3gpuE6ELNS1_3repE0EEENS1_30default_config_static_selectorELNS0_4arch9wavefront6targetE0EEEvT1_
                                        ; -- End function
	.section	.AMDGPU.csdata,"",@progbits
; Kernel info:
; codeLenInByte = 0
; NumSgprs: 0
; NumVgprs: 0
; ScratchSize: 0
; MemoryBound: 0
; FloatMode: 240
; IeeeMode: 1
; LDSByteSize: 0 bytes/workgroup (compile time only)
; SGPRBlocks: 0
; VGPRBlocks: 0
; NumSGPRsForWavesPerEU: 1
; NumVGPRsForWavesPerEU: 1
; Occupancy: 15
; WaveLimiterHint : 0
; COMPUTE_PGM_RSRC2:SCRATCH_EN: 0
; COMPUTE_PGM_RSRC2:USER_SGPR: 15
; COMPUTE_PGM_RSRC2:TRAP_HANDLER: 0
; COMPUTE_PGM_RSRC2:TGID_X_EN: 1
; COMPUTE_PGM_RSRC2:TGID_Y_EN: 0
; COMPUTE_PGM_RSRC2:TGID_Z_EN: 0
; COMPUTE_PGM_RSRC2:TIDIG_COMP_CNT: 0
	.section	.text._ZN7rocprim17ROCPRIM_400000_NS6detail17trampoline_kernelINS0_14default_configENS1_25partition_config_selectorILNS1_17partition_subalgoE6EjNS0_10empty_typeEbEEZZNS1_14partition_implILS5_6ELb0ES3_mN6thrust23THRUST_200600_302600_NS6detail15normal_iteratorINSA_10device_ptrIjEEEEPS6_SG_NS0_5tupleIJSF_S6_EEENSH_IJSG_SG_EEES6_PlJ7is_evenIjEEEE10hipError_tPvRmT3_T4_T5_T6_T7_T9_mT8_P12ihipStream_tbDpT10_ENKUlT_T0_E_clISt17integral_constantIbLb1EES16_EEDaS11_S12_EUlS11_E_NS1_11comp_targetILNS1_3genE10ELNS1_11target_archE1200ELNS1_3gpuE4ELNS1_3repE0EEENS1_30default_config_static_selectorELNS0_4arch9wavefront6targetE0EEEvT1_,"axG",@progbits,_ZN7rocprim17ROCPRIM_400000_NS6detail17trampoline_kernelINS0_14default_configENS1_25partition_config_selectorILNS1_17partition_subalgoE6EjNS0_10empty_typeEbEEZZNS1_14partition_implILS5_6ELb0ES3_mN6thrust23THRUST_200600_302600_NS6detail15normal_iteratorINSA_10device_ptrIjEEEEPS6_SG_NS0_5tupleIJSF_S6_EEENSH_IJSG_SG_EEES6_PlJ7is_evenIjEEEE10hipError_tPvRmT3_T4_T5_T6_T7_T9_mT8_P12ihipStream_tbDpT10_ENKUlT_T0_E_clISt17integral_constantIbLb1EES16_EEDaS11_S12_EUlS11_E_NS1_11comp_targetILNS1_3genE10ELNS1_11target_archE1200ELNS1_3gpuE4ELNS1_3repE0EEENS1_30default_config_static_selectorELNS0_4arch9wavefront6targetE0EEEvT1_,comdat
	.protected	_ZN7rocprim17ROCPRIM_400000_NS6detail17trampoline_kernelINS0_14default_configENS1_25partition_config_selectorILNS1_17partition_subalgoE6EjNS0_10empty_typeEbEEZZNS1_14partition_implILS5_6ELb0ES3_mN6thrust23THRUST_200600_302600_NS6detail15normal_iteratorINSA_10device_ptrIjEEEEPS6_SG_NS0_5tupleIJSF_S6_EEENSH_IJSG_SG_EEES6_PlJ7is_evenIjEEEE10hipError_tPvRmT3_T4_T5_T6_T7_T9_mT8_P12ihipStream_tbDpT10_ENKUlT_T0_E_clISt17integral_constantIbLb1EES16_EEDaS11_S12_EUlS11_E_NS1_11comp_targetILNS1_3genE10ELNS1_11target_archE1200ELNS1_3gpuE4ELNS1_3repE0EEENS1_30default_config_static_selectorELNS0_4arch9wavefront6targetE0EEEvT1_ ; -- Begin function _ZN7rocprim17ROCPRIM_400000_NS6detail17trampoline_kernelINS0_14default_configENS1_25partition_config_selectorILNS1_17partition_subalgoE6EjNS0_10empty_typeEbEEZZNS1_14partition_implILS5_6ELb0ES3_mN6thrust23THRUST_200600_302600_NS6detail15normal_iteratorINSA_10device_ptrIjEEEEPS6_SG_NS0_5tupleIJSF_S6_EEENSH_IJSG_SG_EEES6_PlJ7is_evenIjEEEE10hipError_tPvRmT3_T4_T5_T6_T7_T9_mT8_P12ihipStream_tbDpT10_ENKUlT_T0_E_clISt17integral_constantIbLb1EES16_EEDaS11_S12_EUlS11_E_NS1_11comp_targetILNS1_3genE10ELNS1_11target_archE1200ELNS1_3gpuE4ELNS1_3repE0EEENS1_30default_config_static_selectorELNS0_4arch9wavefront6targetE0EEEvT1_
	.globl	_ZN7rocprim17ROCPRIM_400000_NS6detail17trampoline_kernelINS0_14default_configENS1_25partition_config_selectorILNS1_17partition_subalgoE6EjNS0_10empty_typeEbEEZZNS1_14partition_implILS5_6ELb0ES3_mN6thrust23THRUST_200600_302600_NS6detail15normal_iteratorINSA_10device_ptrIjEEEEPS6_SG_NS0_5tupleIJSF_S6_EEENSH_IJSG_SG_EEES6_PlJ7is_evenIjEEEE10hipError_tPvRmT3_T4_T5_T6_T7_T9_mT8_P12ihipStream_tbDpT10_ENKUlT_T0_E_clISt17integral_constantIbLb1EES16_EEDaS11_S12_EUlS11_E_NS1_11comp_targetILNS1_3genE10ELNS1_11target_archE1200ELNS1_3gpuE4ELNS1_3repE0EEENS1_30default_config_static_selectorELNS0_4arch9wavefront6targetE0EEEvT1_
	.p2align	8
	.type	_ZN7rocprim17ROCPRIM_400000_NS6detail17trampoline_kernelINS0_14default_configENS1_25partition_config_selectorILNS1_17partition_subalgoE6EjNS0_10empty_typeEbEEZZNS1_14partition_implILS5_6ELb0ES3_mN6thrust23THRUST_200600_302600_NS6detail15normal_iteratorINSA_10device_ptrIjEEEEPS6_SG_NS0_5tupleIJSF_S6_EEENSH_IJSG_SG_EEES6_PlJ7is_evenIjEEEE10hipError_tPvRmT3_T4_T5_T6_T7_T9_mT8_P12ihipStream_tbDpT10_ENKUlT_T0_E_clISt17integral_constantIbLb1EES16_EEDaS11_S12_EUlS11_E_NS1_11comp_targetILNS1_3genE10ELNS1_11target_archE1200ELNS1_3gpuE4ELNS1_3repE0EEENS1_30default_config_static_selectorELNS0_4arch9wavefront6targetE0EEEvT1_,@function
_ZN7rocprim17ROCPRIM_400000_NS6detail17trampoline_kernelINS0_14default_configENS1_25partition_config_selectorILNS1_17partition_subalgoE6EjNS0_10empty_typeEbEEZZNS1_14partition_implILS5_6ELb0ES3_mN6thrust23THRUST_200600_302600_NS6detail15normal_iteratorINSA_10device_ptrIjEEEEPS6_SG_NS0_5tupleIJSF_S6_EEENSH_IJSG_SG_EEES6_PlJ7is_evenIjEEEE10hipError_tPvRmT3_T4_T5_T6_T7_T9_mT8_P12ihipStream_tbDpT10_ENKUlT_T0_E_clISt17integral_constantIbLb1EES16_EEDaS11_S12_EUlS11_E_NS1_11comp_targetILNS1_3genE10ELNS1_11target_archE1200ELNS1_3gpuE4ELNS1_3repE0EEENS1_30default_config_static_selectorELNS0_4arch9wavefront6targetE0EEEvT1_: ; @_ZN7rocprim17ROCPRIM_400000_NS6detail17trampoline_kernelINS0_14default_configENS1_25partition_config_selectorILNS1_17partition_subalgoE6EjNS0_10empty_typeEbEEZZNS1_14partition_implILS5_6ELb0ES3_mN6thrust23THRUST_200600_302600_NS6detail15normal_iteratorINSA_10device_ptrIjEEEEPS6_SG_NS0_5tupleIJSF_S6_EEENSH_IJSG_SG_EEES6_PlJ7is_evenIjEEEE10hipError_tPvRmT3_T4_T5_T6_T7_T9_mT8_P12ihipStream_tbDpT10_ENKUlT_T0_E_clISt17integral_constantIbLb1EES16_EEDaS11_S12_EUlS11_E_NS1_11comp_targetILNS1_3genE10ELNS1_11target_archE1200ELNS1_3gpuE4ELNS1_3repE0EEENS1_30default_config_static_selectorELNS0_4arch9wavefront6targetE0EEEvT1_
; %bb.0:
	.section	.rodata,"a",@progbits
	.p2align	6, 0x0
	.amdhsa_kernel _ZN7rocprim17ROCPRIM_400000_NS6detail17trampoline_kernelINS0_14default_configENS1_25partition_config_selectorILNS1_17partition_subalgoE6EjNS0_10empty_typeEbEEZZNS1_14partition_implILS5_6ELb0ES3_mN6thrust23THRUST_200600_302600_NS6detail15normal_iteratorINSA_10device_ptrIjEEEEPS6_SG_NS0_5tupleIJSF_S6_EEENSH_IJSG_SG_EEES6_PlJ7is_evenIjEEEE10hipError_tPvRmT3_T4_T5_T6_T7_T9_mT8_P12ihipStream_tbDpT10_ENKUlT_T0_E_clISt17integral_constantIbLb1EES16_EEDaS11_S12_EUlS11_E_NS1_11comp_targetILNS1_3genE10ELNS1_11target_archE1200ELNS1_3gpuE4ELNS1_3repE0EEENS1_30default_config_static_selectorELNS0_4arch9wavefront6targetE0EEEvT1_
		.amdhsa_group_segment_fixed_size 0
		.amdhsa_private_segment_fixed_size 0
		.amdhsa_kernarg_size 128
		.amdhsa_user_sgpr_count 15
		.amdhsa_user_sgpr_dispatch_ptr 0
		.amdhsa_user_sgpr_queue_ptr 0
		.amdhsa_user_sgpr_kernarg_segment_ptr 1
		.amdhsa_user_sgpr_dispatch_id 0
		.amdhsa_user_sgpr_private_segment_size 0
		.amdhsa_wavefront_size32 1
		.amdhsa_uses_dynamic_stack 0
		.amdhsa_enable_private_segment 0
		.amdhsa_system_sgpr_workgroup_id_x 1
		.amdhsa_system_sgpr_workgroup_id_y 0
		.amdhsa_system_sgpr_workgroup_id_z 0
		.amdhsa_system_sgpr_workgroup_info 0
		.amdhsa_system_vgpr_workitem_id 0
		.amdhsa_next_free_vgpr 1
		.amdhsa_next_free_sgpr 1
		.amdhsa_reserve_vcc 0
		.amdhsa_float_round_mode_32 0
		.amdhsa_float_round_mode_16_64 0
		.amdhsa_float_denorm_mode_32 3
		.amdhsa_float_denorm_mode_16_64 3
		.amdhsa_dx10_clamp 1
		.amdhsa_ieee_mode 1
		.amdhsa_fp16_overflow 0
		.amdhsa_workgroup_processor_mode 1
		.amdhsa_memory_ordered 1
		.amdhsa_forward_progress 0
		.amdhsa_shared_vgpr_count 0
		.amdhsa_exception_fp_ieee_invalid_op 0
		.amdhsa_exception_fp_denorm_src 0
		.amdhsa_exception_fp_ieee_div_zero 0
		.amdhsa_exception_fp_ieee_overflow 0
		.amdhsa_exception_fp_ieee_underflow 0
		.amdhsa_exception_fp_ieee_inexact 0
		.amdhsa_exception_int_div_zero 0
	.end_amdhsa_kernel
	.section	.text._ZN7rocprim17ROCPRIM_400000_NS6detail17trampoline_kernelINS0_14default_configENS1_25partition_config_selectorILNS1_17partition_subalgoE6EjNS0_10empty_typeEbEEZZNS1_14partition_implILS5_6ELb0ES3_mN6thrust23THRUST_200600_302600_NS6detail15normal_iteratorINSA_10device_ptrIjEEEEPS6_SG_NS0_5tupleIJSF_S6_EEENSH_IJSG_SG_EEES6_PlJ7is_evenIjEEEE10hipError_tPvRmT3_T4_T5_T6_T7_T9_mT8_P12ihipStream_tbDpT10_ENKUlT_T0_E_clISt17integral_constantIbLb1EES16_EEDaS11_S12_EUlS11_E_NS1_11comp_targetILNS1_3genE10ELNS1_11target_archE1200ELNS1_3gpuE4ELNS1_3repE0EEENS1_30default_config_static_selectorELNS0_4arch9wavefront6targetE0EEEvT1_,"axG",@progbits,_ZN7rocprim17ROCPRIM_400000_NS6detail17trampoline_kernelINS0_14default_configENS1_25partition_config_selectorILNS1_17partition_subalgoE6EjNS0_10empty_typeEbEEZZNS1_14partition_implILS5_6ELb0ES3_mN6thrust23THRUST_200600_302600_NS6detail15normal_iteratorINSA_10device_ptrIjEEEEPS6_SG_NS0_5tupleIJSF_S6_EEENSH_IJSG_SG_EEES6_PlJ7is_evenIjEEEE10hipError_tPvRmT3_T4_T5_T6_T7_T9_mT8_P12ihipStream_tbDpT10_ENKUlT_T0_E_clISt17integral_constantIbLb1EES16_EEDaS11_S12_EUlS11_E_NS1_11comp_targetILNS1_3genE10ELNS1_11target_archE1200ELNS1_3gpuE4ELNS1_3repE0EEENS1_30default_config_static_selectorELNS0_4arch9wavefront6targetE0EEEvT1_,comdat
.Lfunc_end309:
	.size	_ZN7rocprim17ROCPRIM_400000_NS6detail17trampoline_kernelINS0_14default_configENS1_25partition_config_selectorILNS1_17partition_subalgoE6EjNS0_10empty_typeEbEEZZNS1_14partition_implILS5_6ELb0ES3_mN6thrust23THRUST_200600_302600_NS6detail15normal_iteratorINSA_10device_ptrIjEEEEPS6_SG_NS0_5tupleIJSF_S6_EEENSH_IJSG_SG_EEES6_PlJ7is_evenIjEEEE10hipError_tPvRmT3_T4_T5_T6_T7_T9_mT8_P12ihipStream_tbDpT10_ENKUlT_T0_E_clISt17integral_constantIbLb1EES16_EEDaS11_S12_EUlS11_E_NS1_11comp_targetILNS1_3genE10ELNS1_11target_archE1200ELNS1_3gpuE4ELNS1_3repE0EEENS1_30default_config_static_selectorELNS0_4arch9wavefront6targetE0EEEvT1_, .Lfunc_end309-_ZN7rocprim17ROCPRIM_400000_NS6detail17trampoline_kernelINS0_14default_configENS1_25partition_config_selectorILNS1_17partition_subalgoE6EjNS0_10empty_typeEbEEZZNS1_14partition_implILS5_6ELb0ES3_mN6thrust23THRUST_200600_302600_NS6detail15normal_iteratorINSA_10device_ptrIjEEEEPS6_SG_NS0_5tupleIJSF_S6_EEENSH_IJSG_SG_EEES6_PlJ7is_evenIjEEEE10hipError_tPvRmT3_T4_T5_T6_T7_T9_mT8_P12ihipStream_tbDpT10_ENKUlT_T0_E_clISt17integral_constantIbLb1EES16_EEDaS11_S12_EUlS11_E_NS1_11comp_targetILNS1_3genE10ELNS1_11target_archE1200ELNS1_3gpuE4ELNS1_3repE0EEENS1_30default_config_static_selectorELNS0_4arch9wavefront6targetE0EEEvT1_
                                        ; -- End function
	.section	.AMDGPU.csdata,"",@progbits
; Kernel info:
; codeLenInByte = 0
; NumSgprs: 0
; NumVgprs: 0
; ScratchSize: 0
; MemoryBound: 0
; FloatMode: 240
; IeeeMode: 1
; LDSByteSize: 0 bytes/workgroup (compile time only)
; SGPRBlocks: 0
; VGPRBlocks: 0
; NumSGPRsForWavesPerEU: 1
; NumVGPRsForWavesPerEU: 1
; Occupancy: 15
; WaveLimiterHint : 0
; COMPUTE_PGM_RSRC2:SCRATCH_EN: 0
; COMPUTE_PGM_RSRC2:USER_SGPR: 15
; COMPUTE_PGM_RSRC2:TRAP_HANDLER: 0
; COMPUTE_PGM_RSRC2:TGID_X_EN: 1
; COMPUTE_PGM_RSRC2:TGID_Y_EN: 0
; COMPUTE_PGM_RSRC2:TGID_Z_EN: 0
; COMPUTE_PGM_RSRC2:TIDIG_COMP_CNT: 0
	.section	.text._ZN7rocprim17ROCPRIM_400000_NS6detail17trampoline_kernelINS0_14default_configENS1_25partition_config_selectorILNS1_17partition_subalgoE6EjNS0_10empty_typeEbEEZZNS1_14partition_implILS5_6ELb0ES3_mN6thrust23THRUST_200600_302600_NS6detail15normal_iteratorINSA_10device_ptrIjEEEEPS6_SG_NS0_5tupleIJSF_S6_EEENSH_IJSG_SG_EEES6_PlJ7is_evenIjEEEE10hipError_tPvRmT3_T4_T5_T6_T7_T9_mT8_P12ihipStream_tbDpT10_ENKUlT_T0_E_clISt17integral_constantIbLb1EES16_EEDaS11_S12_EUlS11_E_NS1_11comp_targetILNS1_3genE9ELNS1_11target_archE1100ELNS1_3gpuE3ELNS1_3repE0EEENS1_30default_config_static_selectorELNS0_4arch9wavefront6targetE0EEEvT1_,"axG",@progbits,_ZN7rocprim17ROCPRIM_400000_NS6detail17trampoline_kernelINS0_14default_configENS1_25partition_config_selectorILNS1_17partition_subalgoE6EjNS0_10empty_typeEbEEZZNS1_14partition_implILS5_6ELb0ES3_mN6thrust23THRUST_200600_302600_NS6detail15normal_iteratorINSA_10device_ptrIjEEEEPS6_SG_NS0_5tupleIJSF_S6_EEENSH_IJSG_SG_EEES6_PlJ7is_evenIjEEEE10hipError_tPvRmT3_T4_T5_T6_T7_T9_mT8_P12ihipStream_tbDpT10_ENKUlT_T0_E_clISt17integral_constantIbLb1EES16_EEDaS11_S12_EUlS11_E_NS1_11comp_targetILNS1_3genE9ELNS1_11target_archE1100ELNS1_3gpuE3ELNS1_3repE0EEENS1_30default_config_static_selectorELNS0_4arch9wavefront6targetE0EEEvT1_,comdat
	.protected	_ZN7rocprim17ROCPRIM_400000_NS6detail17trampoline_kernelINS0_14default_configENS1_25partition_config_selectorILNS1_17partition_subalgoE6EjNS0_10empty_typeEbEEZZNS1_14partition_implILS5_6ELb0ES3_mN6thrust23THRUST_200600_302600_NS6detail15normal_iteratorINSA_10device_ptrIjEEEEPS6_SG_NS0_5tupleIJSF_S6_EEENSH_IJSG_SG_EEES6_PlJ7is_evenIjEEEE10hipError_tPvRmT3_T4_T5_T6_T7_T9_mT8_P12ihipStream_tbDpT10_ENKUlT_T0_E_clISt17integral_constantIbLb1EES16_EEDaS11_S12_EUlS11_E_NS1_11comp_targetILNS1_3genE9ELNS1_11target_archE1100ELNS1_3gpuE3ELNS1_3repE0EEENS1_30default_config_static_selectorELNS0_4arch9wavefront6targetE0EEEvT1_ ; -- Begin function _ZN7rocprim17ROCPRIM_400000_NS6detail17trampoline_kernelINS0_14default_configENS1_25partition_config_selectorILNS1_17partition_subalgoE6EjNS0_10empty_typeEbEEZZNS1_14partition_implILS5_6ELb0ES3_mN6thrust23THRUST_200600_302600_NS6detail15normal_iteratorINSA_10device_ptrIjEEEEPS6_SG_NS0_5tupleIJSF_S6_EEENSH_IJSG_SG_EEES6_PlJ7is_evenIjEEEE10hipError_tPvRmT3_T4_T5_T6_T7_T9_mT8_P12ihipStream_tbDpT10_ENKUlT_T0_E_clISt17integral_constantIbLb1EES16_EEDaS11_S12_EUlS11_E_NS1_11comp_targetILNS1_3genE9ELNS1_11target_archE1100ELNS1_3gpuE3ELNS1_3repE0EEENS1_30default_config_static_selectorELNS0_4arch9wavefront6targetE0EEEvT1_
	.globl	_ZN7rocprim17ROCPRIM_400000_NS6detail17trampoline_kernelINS0_14default_configENS1_25partition_config_selectorILNS1_17partition_subalgoE6EjNS0_10empty_typeEbEEZZNS1_14partition_implILS5_6ELb0ES3_mN6thrust23THRUST_200600_302600_NS6detail15normal_iteratorINSA_10device_ptrIjEEEEPS6_SG_NS0_5tupleIJSF_S6_EEENSH_IJSG_SG_EEES6_PlJ7is_evenIjEEEE10hipError_tPvRmT3_T4_T5_T6_T7_T9_mT8_P12ihipStream_tbDpT10_ENKUlT_T0_E_clISt17integral_constantIbLb1EES16_EEDaS11_S12_EUlS11_E_NS1_11comp_targetILNS1_3genE9ELNS1_11target_archE1100ELNS1_3gpuE3ELNS1_3repE0EEENS1_30default_config_static_selectorELNS0_4arch9wavefront6targetE0EEEvT1_
	.p2align	8
	.type	_ZN7rocprim17ROCPRIM_400000_NS6detail17trampoline_kernelINS0_14default_configENS1_25partition_config_selectorILNS1_17partition_subalgoE6EjNS0_10empty_typeEbEEZZNS1_14partition_implILS5_6ELb0ES3_mN6thrust23THRUST_200600_302600_NS6detail15normal_iteratorINSA_10device_ptrIjEEEEPS6_SG_NS0_5tupleIJSF_S6_EEENSH_IJSG_SG_EEES6_PlJ7is_evenIjEEEE10hipError_tPvRmT3_T4_T5_T6_T7_T9_mT8_P12ihipStream_tbDpT10_ENKUlT_T0_E_clISt17integral_constantIbLb1EES16_EEDaS11_S12_EUlS11_E_NS1_11comp_targetILNS1_3genE9ELNS1_11target_archE1100ELNS1_3gpuE3ELNS1_3repE0EEENS1_30default_config_static_selectorELNS0_4arch9wavefront6targetE0EEEvT1_,@function
_ZN7rocprim17ROCPRIM_400000_NS6detail17trampoline_kernelINS0_14default_configENS1_25partition_config_selectorILNS1_17partition_subalgoE6EjNS0_10empty_typeEbEEZZNS1_14partition_implILS5_6ELb0ES3_mN6thrust23THRUST_200600_302600_NS6detail15normal_iteratorINSA_10device_ptrIjEEEEPS6_SG_NS0_5tupleIJSF_S6_EEENSH_IJSG_SG_EEES6_PlJ7is_evenIjEEEE10hipError_tPvRmT3_T4_T5_T6_T7_T9_mT8_P12ihipStream_tbDpT10_ENKUlT_T0_E_clISt17integral_constantIbLb1EES16_EEDaS11_S12_EUlS11_E_NS1_11comp_targetILNS1_3genE9ELNS1_11target_archE1100ELNS1_3gpuE3ELNS1_3repE0EEENS1_30default_config_static_selectorELNS0_4arch9wavefront6targetE0EEEvT1_: ; @_ZN7rocprim17ROCPRIM_400000_NS6detail17trampoline_kernelINS0_14default_configENS1_25partition_config_selectorILNS1_17partition_subalgoE6EjNS0_10empty_typeEbEEZZNS1_14partition_implILS5_6ELb0ES3_mN6thrust23THRUST_200600_302600_NS6detail15normal_iteratorINSA_10device_ptrIjEEEEPS6_SG_NS0_5tupleIJSF_S6_EEENSH_IJSG_SG_EEES6_PlJ7is_evenIjEEEE10hipError_tPvRmT3_T4_T5_T6_T7_T9_mT8_P12ihipStream_tbDpT10_ENKUlT_T0_E_clISt17integral_constantIbLb1EES16_EEDaS11_S12_EUlS11_E_NS1_11comp_targetILNS1_3genE9ELNS1_11target_archE1100ELNS1_3gpuE3ELNS1_3repE0EEENS1_30default_config_static_selectorELNS0_4arch9wavefront6targetE0EEEvT1_
; %bb.0:
	s_clause 0x3
	s_load_b64 s[12:13], s[0:1], 0x28
	s_load_b128 s[4:7], s[0:1], 0x40
	s_load_b64 s[16:17], s[0:1], 0x50
	s_load_b64 s[14:15], s[0:1], 0x60
	v_cmp_eq_u32_e64 s2, 0, v0
	s_delay_alu instid0(VALU_DEP_1)
	s_and_saveexec_b32 s3, s2
	s_cbranch_execz .LBB310_4
; %bb.1:
	s_mov_b32 s9, exec_lo
	s_mov_b32 s8, exec_lo
	v_mbcnt_lo_u32_b32 v1, s9, 0
                                        ; implicit-def: $vgpr2
	s_delay_alu instid0(VALU_DEP_1)
	v_cmpx_eq_u32_e32 0, v1
	s_cbranch_execz .LBB310_3
; %bb.2:
	s_load_b64 s[10:11], s[0:1], 0x70
	s_bcnt1_i32_b32 s9, s9
	s_delay_alu instid0(SALU_CYCLE_1)
	v_dual_mov_b32 v2, 0 :: v_dual_mov_b32 v3, s9
	s_waitcnt lgkmcnt(0)
	global_atomic_add_u32 v2, v2, v3, s[10:11] glc
.LBB310_3:
	s_or_b32 exec_lo, exec_lo, s8
	s_waitcnt vmcnt(0)
	v_readfirstlane_b32 s8, v2
	s_delay_alu instid0(VALU_DEP_1)
	v_dual_mov_b32 v2, 0 :: v_dual_add_nc_u32 v1, s8, v1
	ds_store_b32 v2, v1
.LBB310_4:
	s_or_b32 exec_lo, exec_lo, s3
	v_dual_mov_b32 v2, 0 :: v_dual_lshlrev_b32 v17, 2, v0
	s_clause 0x1
	s_load_b128 s[8:11], s[0:1], 0x8
	s_load_b32 s0, s[0:1], 0x68
	s_waitcnt lgkmcnt(0)
	s_barrier
	buffer_gl0_inv
	ds_load_b32 v1, v2
	s_waitcnt lgkmcnt(0)
	s_barrier
	buffer_gl0_inv
	global_load_b64 v[49:50], v2, s[6:7]
	s_lshl_b64 s[6:7], s[10:11], 2
	s_mul_i32 s3, s0, 0x700
	s_add_u32 s1, s8, s6
	s_addc_u32 s18, s9, s7
	s_add_i32 s6, s3, s10
	v_readfirstlane_b32 s7, v1
	v_mul_lo_u32 v1, 0x700, v1
	s_add_i32 s19, s0, -1
	s_sub_i32 s0, s16, s6
	s_add_u32 s8, s10, s3
	s_addc_u32 s9, s11, 0
	s_cmp_eq_u32 s7, s19
	v_cmp_ge_u64_e64 s6, s[8:9], s[16:17]
	s_cselect_b32 s3, -1, 0
	v_lshlrev_b64 v[1:2], 2, v[1:2]
	s_delay_alu instid0(VALU_DEP_2) | instskip(NEXT) | instid1(VALU_DEP_1)
	s_and_b32 s6, s6, s3
	v_add_co_u32 v18, vcc_lo, s1, v1
	s_delay_alu instid0(VALU_DEP_2)
	v_add_co_ci_u32_e32 v19, vcc_lo, s18, v2, vcc_lo
	s_xor_b32 s6, s6, -1
	s_mov_b32 s1, -1
	s_and_b32 vcc_lo, exec_lo, s6
	s_cbranch_vccz .LBB310_6
; %bb.5:
	v_add_co_u32 v1, vcc_lo, v18, v17
	v_add_co_ci_u32_e32 v2, vcc_lo, 0, v19, vcc_lo
	s_mov_b32 s1, 0
	s_delay_alu instid0(VALU_DEP_2) | instskip(NEXT) | instid1(VALU_DEP_2)
	v_add_co_u32 v3, vcc_lo, 0x1000, v1
	v_add_co_ci_u32_e32 v4, vcc_lo, 0, v2, vcc_lo
	s_clause 0xd
	flat_load_b32 v5, v[1:2]
	flat_load_b32 v6, v[1:2] offset:512
	flat_load_b32 v7, v[1:2] offset:1024
	;; [unrolled: 1-line block ×7, first 2 shown]
	flat_load_b32 v2, v[3:4]
	flat_load_b32 v12, v[3:4] offset:512
	flat_load_b32 v13, v[3:4] offset:1024
	;; [unrolled: 1-line block ×5, first 2 shown]
	s_waitcnt vmcnt(12) lgkmcnt(12)
	ds_store_2addr_stride64_b32 v17, v5, v6 offset1:2
	s_waitcnt vmcnt(10) lgkmcnt(11)
	ds_store_2addr_stride64_b32 v17, v7, v8 offset0:4 offset1:6
	s_waitcnt vmcnt(8) lgkmcnt(10)
	ds_store_2addr_stride64_b32 v17, v9, v10 offset0:8 offset1:10
	;; [unrolled: 2-line block ×6, first 2 shown]
	s_waitcnt lgkmcnt(0)
	s_barrier
.LBB310_6:
	s_and_not1_b32 vcc_lo, exec_lo, s1
	s_addk_i32 s0, 0x700
	s_cbranch_vccnz .LBB310_36
; %bb.7:
	s_mov_b32 s1, exec_lo
                                        ; implicit-def: $vgpr1_vgpr2_vgpr3_vgpr4_vgpr5_vgpr6_vgpr7_vgpr8_vgpr9_vgpr10_vgpr11_vgpr12_vgpr13_vgpr14_vgpr15_vgpr16
	v_cmpx_gt_u32_e64 s0, v0
	s_cbranch_execz .LBB310_9
; %bb.8:
	v_add_co_u32 v1, vcc_lo, v18, v17
	v_add_co_ci_u32_e32 v2, vcc_lo, 0, v19, vcc_lo
	flat_load_b32 v1, v[1:2]
.LBB310_9:
	s_or_b32 exec_lo, exec_lo, s1
	v_or_b32_e32 v15, 0x80, v0
	s_mov_b32 s1, exec_lo
	s_delay_alu instid0(VALU_DEP_1)
	v_cmpx_gt_u32_e64 s0, v15
	s_cbranch_execz .LBB310_11
; %bb.10:
	v_add_co_u32 v15, vcc_lo, v18, v17
	v_add_co_ci_u32_e32 v16, vcc_lo, 0, v19, vcc_lo
	flat_load_b32 v2, v[15:16] offset:512
.LBB310_11:
	s_or_b32 exec_lo, exec_lo, s1
	v_or_b32_e32 v15, 0x100, v0
	s_mov_b32 s1, exec_lo
	s_delay_alu instid0(VALU_DEP_1)
	v_cmpx_gt_u32_e64 s0, v15
	s_cbranch_execz .LBB310_13
; %bb.12:
	v_add_co_u32 v15, vcc_lo, v18, v17
	v_add_co_ci_u32_e32 v16, vcc_lo, 0, v19, vcc_lo
	flat_load_b32 v3, v[15:16] offset:1024
.LBB310_13:
	;; [unrolled: 11-line block ×7, first 2 shown]
	s_or_b32 exec_lo, exec_lo, s1
	v_or_b32_e32 v15, 0x400, v0
	s_mov_b32 s1, exec_lo
	s_delay_alu instid0(VALU_DEP_1)
	v_cmpx_gt_u32_e64 s0, v15
	s_cbranch_execz .LBB310_25
; %bb.24:
	v_lshlrev_b32_e32 v9, 2, v15
	s_delay_alu instid0(VALU_DEP_1)
	v_add_co_u32 v15, vcc_lo, v18, v9
	v_add_co_ci_u32_e32 v16, vcc_lo, 0, v19, vcc_lo
	flat_load_b32 v9, v[15:16]
.LBB310_25:
	s_or_b32 exec_lo, exec_lo, s1
	v_or_b32_e32 v15, 0x480, v0
	s_mov_b32 s1, exec_lo
	s_delay_alu instid0(VALU_DEP_1)
	v_cmpx_gt_u32_e64 s0, v15
	s_cbranch_execz .LBB310_27
; %bb.26:
	v_lshlrev_b32_e32 v10, 2, v15
	s_delay_alu instid0(VALU_DEP_1)
	v_add_co_u32 v15, vcc_lo, v18, v10
	v_add_co_ci_u32_e32 v16, vcc_lo, 0, v19, vcc_lo
	flat_load_b32 v10, v[15:16]
.LBB310_27:
	;; [unrolled: 13-line block ×6, first 2 shown]
	s_or_b32 exec_lo, exec_lo, s1
	s_waitcnt vmcnt(0) lgkmcnt(0)
	ds_store_2addr_stride64_b32 v17, v1, v2 offset1:2
	ds_store_2addr_stride64_b32 v17, v3, v4 offset0:4 offset1:6
	ds_store_2addr_stride64_b32 v17, v5, v6 offset0:8 offset1:10
	;; [unrolled: 1-line block ×6, first 2 shown]
	s_waitcnt lgkmcnt(0)
	s_barrier
.LBB310_36:
	v_mul_u32_u24_e32 v12, 14, v0
	s_waitcnt vmcnt(0)
	buffer_gl0_inv
	s_and_not1_b32 vcc_lo, exec_lo, s6
	v_lshlrev_b32_e32 v63, 2, v12
	ds_load_2addr_b64 v[41:44], v63 offset1:1
	ds_load_2addr_b64 v[37:40], v63 offset0:2 offset1:3
	ds_load_2addr_b64 v[33:36], v63 offset0:4 offset1:5
	ds_load_b64 v[51:52], v63 offset:48
	s_waitcnt lgkmcnt(0)
	s_barrier
	buffer_gl0_inv
	v_xor_b32_e32 v13, -1, v41
	v_xor_b32_e32 v14, -1, v42
	;; [unrolled: 1-line block ×14, first 2 shown]
	s_cbranch_vccnz .LBB310_38
; %bb.37:
	v_and_b32_e32 v16, 1, v14
	v_and_b32_e32 v17, 1, v13
	;; [unrolled: 1-line block ×5, first 2 shown]
	v_lshlrev_b16 v16, 8, v16
	v_and_b32_e32 v26, 1, v6
	v_and_b32_e32 v18, 1, v15
	;; [unrolled: 1-line block ×4, first 2 shown]
	v_or_b32_e32 v16, v17, v16
	v_and_b32_e32 v17, 1, v4
	v_and_b32_e32 v24, 1, v3
	;; [unrolled: 1-line block ×3, first 2 shown]
	v_lshlrev_b16 v19, 8, v19
	v_lshlrev_b16 v21, 8, v21
	;; [unrolled: 1-line block ×5, first 2 shown]
	v_or_b32_e32 v18, v18, v19
	v_or_b32_e32 v19, v20, v21
	;; [unrolled: 1-line block ×5, first 2 shown]
	v_and_b32_e32 v16, 0xffff, v16
	v_lshlrev_b32_e32 v18, 16, v18
	v_and_b32_e32 v19, 0xffff, v19
	v_lshlrev_b32_e32 v20, 16, v20
	;; [unrolled: 2-line block ×3, first 2 shown]
	v_and_b32_e32 v56, 1, v1
	v_and_b32_e32 v55, 1, v2
	v_or_b32_e32 v61, v16, v18
	v_or_b32_e32 v58, v19, v20
	;; [unrolled: 1-line block ×3, first 2 shown]
	s_cbranch_execz .LBB310_39
	s_branch .LBB310_40
.LBB310_38:
                                        ; implicit-def: $vgpr55
                                        ; implicit-def: $vgpr56
                                        ; implicit-def: $vgpr57
                                        ; implicit-def: $vgpr58
                                        ; implicit-def: $vgpr61
.LBB310_39:
	v_or_b32_e32 v16, 1, v12
	v_cmp_gt_u32_e32 vcc_lo, s0, v12
	v_add_nc_u32_e32 v17, 2, v12
	v_add_nc_u32_e32 v18, 3, v12
	;; [unrolled: 1-line block ×4, first 2 shown]
	v_cndmask_b32_e64 v27, 0, 1, vcc_lo
	v_cmp_gt_u32_e32 vcc_lo, s0, v16
	v_add_nc_u32_e32 v21, 6, v12
	v_add_nc_u32_e32 v22, 7, v12
	v_add_nc_u32_e32 v23, 8, v12
	v_add_nc_u32_e32 v24, 9, v12
	v_cndmask_b32_e64 v16, 0, 1, vcc_lo
	v_cmp_gt_u32_e32 vcc_lo, s0, v17
	v_add_nc_u32_e32 v25, 10, v12
	v_add_nc_u32_e32 v26, 11, v12
	;; [unrolled: 1-line block ×3, first 2 shown]
	v_and_b32_e32 v14, v16, v14
	v_cndmask_b32_e64 v17, 0, 1, vcc_lo
	v_cmp_gt_u32_e32 vcc_lo, s0, v18
	v_add_nc_u32_e32 v12, 13, v12
	v_and_b32_e32 v13, v27, v13
	v_lshlrev_b16 v14, 8, v14
	v_and_b32_e32 v15, v17, v15
	v_cndmask_b32_e64 v16, 0, 1, vcc_lo
	v_cmp_gt_u32_e32 vcc_lo, s0, v19
	s_delay_alu instid0(VALU_DEP_4) | instskip(NEXT) | instid1(VALU_DEP_3)
	v_or_b32_e32 v13, v13, v14
	v_and_b32_e32 v7, v16, v7
	v_cndmask_b32_e64 v17, 0, 1, vcc_lo
	v_cmp_gt_u32_e32 vcc_lo, s0, v20
	s_delay_alu instid0(VALU_DEP_4) | instskip(NEXT) | instid1(VALU_DEP_4)
	v_and_b32_e32 v13, 0xffff, v13
	v_lshlrev_b16 v7, 8, v7
	s_delay_alu instid0(VALU_DEP_4) | instskip(SKIP_2) | instid1(VALU_DEP_4)
	v_and_b32_e32 v8, v17, v8
	v_cndmask_b32_e64 v18, 0, 1, vcc_lo
	v_cmp_gt_u32_e32 vcc_lo, s0, v21
	v_or_b32_e32 v7, v15, v7
	s_delay_alu instid0(VALU_DEP_3) | instskip(SKIP_2) | instid1(VALU_DEP_3)
	v_and_b32_e32 v9, v18, v9
	v_cndmask_b32_e64 v19, 0, 1, vcc_lo
	v_cmp_gt_u32_e32 vcc_lo, s0, v22
	v_lshlrev_b16 v9, 8, v9
	s_delay_alu instid0(VALU_DEP_3) | instskip(SKIP_2) | instid1(VALU_DEP_4)
	v_and_b32_e32 v10, v19, v10
	v_cndmask_b32_e64 v20, 0, 1, vcc_lo
	v_cmp_gt_u32_e32 vcc_lo, s0, v23
	v_or_b32_e32 v8, v8, v9
	s_delay_alu instid0(VALU_DEP_3) | instskip(SKIP_2) | instid1(VALU_DEP_3)
	v_and_b32_e32 v11, v20, v11
	v_cndmask_b32_e64 v16, 0, 1, vcc_lo
	v_cmp_gt_u32_e32 vcc_lo, s0, v24
	v_lshlrev_b16 v11, 8, v11
	s_delay_alu instid0(VALU_DEP_3) | instskip(SKIP_2) | instid1(VALU_DEP_4)
	;; [unrolled: 10-line block ×3, first 2 shown]
	v_and_b32_e32 v5, v18, v5
	v_cndmask_b32_e64 v19, 0, 1, vcc_lo
	v_cmp_gt_u32_e32 vcc_lo, s0, v28
	v_or_b32_e32 v3, v3, v4
	s_delay_alu instid0(VALU_DEP_3) | instskip(SKIP_2) | instid1(VALU_DEP_4)
	v_and_b32_e32 v6, v19, v6
	v_cndmask_b32_e64 v14, 0, 1, vcc_lo
	v_cmp_gt_u32_e32 vcc_lo, s0, v12
	v_and_b32_e32 v3, 0xffff, v3
	s_delay_alu instid0(VALU_DEP_4) | instskip(NEXT) | instid1(VALU_DEP_4)
	v_lshlrev_b16 v6, 8, v6
	v_and_b32_e32 v56, v14, v1
	v_cndmask_b32_e64 v12, 0, 1, vcc_lo
	s_delay_alu instid0(VALU_DEP_3)
	v_or_b32_e32 v4, v5, v6
	v_lshlrev_b32_e32 v5, 16, v7
	v_and_b32_e32 v6, 0xffff, v8
	v_lshlrev_b32_e32 v7, 16, v9
	v_and_b32_e32 v55, v12, v2
	v_lshlrev_b32_e32 v4, 16, v4
	v_or_b32_e32 v61, v13, v5
	s_delay_alu instid0(VALU_DEP_4) | instskip(NEXT) | instid1(VALU_DEP_3)
	v_or_b32_e32 v58, v6, v7
	v_or_b32_e32 v57, v3, v4
.LBB310_40:
	s_delay_alu instid0(VALU_DEP_3)
	v_dual_mov_b32 v2, 0 :: v_dual_and_b32 v65, 0xff, v61
	v_bfe_u32 v66, v61, 8, 8
	v_bfe_u32 v67, v61, 16, 8
	v_lshrrev_b32_e32 v62, 24, v61
	v_and_b32_e32 v68, 0xff, v58
	v_bfe_u32 v69, v58, 8, 8
	v_add_co_u32 v1, s0, v66, v65
	s_delay_alu instid0(VALU_DEP_1) | instskip(SKIP_1) | instid1(VALU_DEP_3)
	v_add_co_ci_u32_e64 v3, null, 0, 0, s0
	v_bfe_u32 v70, v58, 16, 8
	v_add_co_u32 v1, vcc_lo, v1, v67
	s_delay_alu instid0(VALU_DEP_3) | instskip(SKIP_1) | instid1(VALU_DEP_3)
	v_add_co_ci_u32_e32 v3, vcc_lo, 0, v3, vcc_lo
	v_lshrrev_b32_e32 v60, 24, v58
	v_add_co_u32 v1, vcc_lo, v1, v62
	s_delay_alu instid0(VALU_DEP_3) | instskip(SKIP_1) | instid1(VALU_DEP_3)
	v_add_co_ci_u32_e32 v3, vcc_lo, 0, v3, vcc_lo
	v_and_b32_e32 v71, 0xff, v57
	v_add_co_u32 v1, vcc_lo, v1, v68
	s_delay_alu instid0(VALU_DEP_3) | instskip(SKIP_1) | instid1(VALU_DEP_3)
	v_add_co_ci_u32_e32 v3, vcc_lo, 0, v3, vcc_lo
	v_bfe_u32 v72, v57, 8, 8
	v_add_co_u32 v1, vcc_lo, v1, v69
	s_delay_alu instid0(VALU_DEP_3) | instskip(SKIP_1) | instid1(VALU_DEP_3)
	v_add_co_ci_u32_e32 v3, vcc_lo, 0, v3, vcc_lo
	v_bfe_u32 v73, v57, 16, 8
	v_add_co_u32 v1, vcc_lo, v1, v70
	s_delay_alu instid0(VALU_DEP_3) | instskip(SKIP_1) | instid1(VALU_DEP_3)
	v_add_co_ci_u32_e32 v3, vcc_lo, 0, v3, vcc_lo
	v_lshrrev_b32_e32 v59, 24, v57
	v_add_co_u32 v1, vcc_lo, v1, v60
	s_delay_alu instid0(VALU_DEP_3) | instskip(SKIP_1) | instid1(VALU_DEP_3)
	v_add_co_ci_u32_e32 v3, vcc_lo, 0, v3, vcc_lo
	v_and_b32_e32 v64, 0xff, v56
	v_add_co_u32 v1, vcc_lo, v1, v71
	s_delay_alu instid0(VALU_DEP_3) | instskip(SKIP_1) | instid1(VALU_DEP_3)
	v_add_co_ci_u32_e32 v3, vcc_lo, 0, v3, vcc_lo
	v_mbcnt_lo_u32_b32 v74, -1, 0
	v_add_co_u32 v1, vcc_lo, v1, v72
	s_delay_alu instid0(VALU_DEP_3) | instskip(SKIP_1) | instid1(VALU_DEP_3)
	v_add_co_ci_u32_e32 v3, vcc_lo, 0, v3, vcc_lo
	v_and_b32_e32 v4, 0xff, v55
	v_add_co_u32 v1, vcc_lo, v1, v73
	s_delay_alu instid0(VALU_DEP_3) | instskip(SKIP_1) | instid1(VALU_DEP_3)
	v_add_co_ci_u32_e32 v3, vcc_lo, 0, v3, vcc_lo
	v_and_b32_e32 v75, 15, v74
	v_add_co_u32 v1, vcc_lo, v1, v59
	s_delay_alu instid0(VALU_DEP_3) | instskip(NEXT) | instid1(VALU_DEP_3)
	v_add_co_ci_u32_e32 v3, vcc_lo, 0, v3, vcc_lo
	v_cmp_ne_u32_e64 s0, 0, v75
	s_delay_alu instid0(VALU_DEP_3) | instskip(NEXT) | instid1(VALU_DEP_3)
	v_add_co_u32 v1, vcc_lo, v1, v64
	v_add_co_ci_u32_e32 v3, vcc_lo, 0, v3, vcc_lo
	s_cmp_lg_u32 s7, 0
	s_delay_alu instid0(VALU_DEP_2) | instskip(NEXT) | instid1(VALU_DEP_2)
	v_add_co_u32 v53, vcc_lo, v1, v4
	v_add_co_ci_u32_e32 v54, vcc_lo, 0, v3, vcc_lo
	s_mov_b32 s1, -1
	s_cbranch_scc0 .LBB310_105
; %bb.41:
	s_delay_alu instid0(VALU_DEP_2)
	v_mov_b32_e32 v3, v53
	v_mov_b32_dpp v1, v53 row_shr:1 row_mask:0xf bank_mask:0xf
	v_mov_b32_dpp v6, v2 row_shr:1 row_mask:0xf bank_mask:0xf
	v_dual_mov_b32 v5, v53 :: v_dual_mov_b32 v4, v54
	s_and_saveexec_b32 s1, s0
; %bb.42:
	s_delay_alu instid0(VALU_DEP_3) | instskip(SKIP_1) | instid1(VALU_DEP_2)
	v_add_co_u32 v5, vcc_lo, v53, v1
	v_add_co_ci_u32_e32 v2, vcc_lo, 0, v54, vcc_lo
	v_add_co_u32 v1, vcc_lo, 0, v5
	s_delay_alu instid0(VALU_DEP_2) | instskip(NEXT) | instid1(VALU_DEP_1)
	v_add_co_ci_u32_e32 v2, vcc_lo, v6, v2, vcc_lo
	v_dual_mov_b32 v4, v2 :: v_dual_mov_b32 v3, v1
; %bb.43:
	s_or_b32 exec_lo, exec_lo, s1
	v_mov_b32_dpp v1, v5 row_shr:2 row_mask:0xf bank_mask:0xf
	v_mov_b32_dpp v6, v2 row_shr:2 row_mask:0xf bank_mask:0xf
	s_mov_b32 s1, exec_lo
	v_cmpx_lt_u32_e32 1, v75
; %bb.44:
	s_delay_alu instid0(VALU_DEP_3) | instskip(SKIP_1) | instid1(VALU_DEP_2)
	v_add_co_u32 v5, vcc_lo, v3, v1
	v_add_co_ci_u32_e32 v2, vcc_lo, 0, v4, vcc_lo
	v_add_co_u32 v1, vcc_lo, 0, v5
	s_delay_alu instid0(VALU_DEP_2) | instskip(NEXT) | instid1(VALU_DEP_1)
	v_add_co_ci_u32_e32 v2, vcc_lo, v6, v2, vcc_lo
	v_dual_mov_b32 v4, v2 :: v_dual_mov_b32 v3, v1
; %bb.45:
	s_or_b32 exec_lo, exec_lo, s1
	v_mov_b32_dpp v1, v5 row_shr:4 row_mask:0xf bank_mask:0xf
	v_mov_b32_dpp v6, v2 row_shr:4 row_mask:0xf bank_mask:0xf
	s_mov_b32 s1, exec_lo
	v_cmpx_lt_u32_e32 3, v75
	;; [unrolled: 14-line block ×3, first 2 shown]
; %bb.48:
	s_delay_alu instid0(VALU_DEP_3) | instskip(SKIP_1) | instid1(VALU_DEP_2)
	v_add_co_u32 v5, vcc_lo, v3, v6
	v_add_co_ci_u32_e32 v2, vcc_lo, 0, v4, vcc_lo
	v_add_co_u32 v3, vcc_lo, 0, v5
	s_delay_alu instid0(VALU_DEP_2) | instskip(NEXT) | instid1(VALU_DEP_1)
	v_add_co_ci_u32_e32 v4, vcc_lo, v1, v2, vcc_lo
	v_mov_b32_e32 v2, v4
; %bb.49:
	s_or_b32 exec_lo, exec_lo, s1
	ds_swizzle_b32 v1, v5 offset:swizzle(BROADCAST,32,15)
	ds_swizzle_b32 v6, v2 offset:swizzle(BROADCAST,32,15)
	v_and_b32_e32 v7, 16, v74
	s_mov_b32 s1, exec_lo
	s_delay_alu instid0(VALU_DEP_1)
	v_cmpx_ne_u32_e32 0, v7
	s_cbranch_execz .LBB310_51
; %bb.50:
	s_waitcnt lgkmcnt(1)
	v_add_co_u32 v5, vcc_lo, v3, v1
	v_add_co_ci_u32_e32 v2, vcc_lo, 0, v4, vcc_lo
	s_delay_alu instid0(VALU_DEP_2) | instskip(SKIP_1) | instid1(VALU_DEP_2)
	v_add_co_u32 v1, vcc_lo, 0, v5
	s_waitcnt lgkmcnt(0)
	v_add_co_ci_u32_e32 v2, vcc_lo, v6, v2, vcc_lo
	s_delay_alu instid0(VALU_DEP_1)
	v_dual_mov_b32 v4, v2 :: v_dual_mov_b32 v3, v1
.LBB310_51:
	s_or_b32 exec_lo, exec_lo, s1
	s_waitcnt lgkmcnt(0)
	v_or_b32_e32 v6, 31, v0
	v_lshrrev_b32_e32 v1, 5, v0
	s_mov_b32 s1, exec_lo
	s_delay_alu instid0(VALU_DEP_2)
	v_cmpx_eq_u32_e64 v6, v0
	s_cbranch_execz .LBB310_53
; %bb.52:
	s_delay_alu instid0(VALU_DEP_2)
	v_lshlrev_b32_e32 v6, 3, v1
	ds_store_b64 v6, v[3:4]
.LBB310_53:
	s_or_b32 exec_lo, exec_lo, s1
	s_delay_alu instid0(SALU_CYCLE_1)
	s_mov_b32 s1, exec_lo
	s_waitcnt lgkmcnt(0)
	s_barrier
	buffer_gl0_inv
	v_cmpx_gt_u32_e32 4, v0
	s_cbranch_execz .LBB310_59
; %bb.54:
	v_lshlrev_b32_e32 v6, 3, v0
	s_mov_b32 s8, exec_lo
	ds_load_b64 v[3:4], v6
	s_waitcnt lgkmcnt(0)
	v_dual_mov_b32 v8, v3 :: v_dual_and_b32 v7, 3, v74
	v_mov_b32_dpp v10, v3 row_shr:1 row_mask:0xf bank_mask:0xf
	v_mov_b32_dpp v9, v4 row_shr:1 row_mask:0xf bank_mask:0xf
	s_delay_alu instid0(VALU_DEP_3)
	v_cmpx_ne_u32_e32 0, v7
; %bb.55:
	s_delay_alu instid0(VALU_DEP_3) | instskip(SKIP_1) | instid1(VALU_DEP_2)
	v_add_co_u32 v8, vcc_lo, v3, v10
	v_add_co_ci_u32_e32 v4, vcc_lo, 0, v4, vcc_lo
	v_add_co_u32 v3, vcc_lo, 0, v8
	s_delay_alu instid0(VALU_DEP_2)
	v_add_co_ci_u32_e32 v4, vcc_lo, v9, v4, vcc_lo
; %bb.56:
	s_or_b32 exec_lo, exec_lo, s8
	v_mov_b32_dpp v9, v8 row_shr:2 row_mask:0xf bank_mask:0xf
	s_delay_alu instid0(VALU_DEP_2)
	v_mov_b32_dpp v8, v4 row_shr:2 row_mask:0xf bank_mask:0xf
	s_mov_b32 s8, exec_lo
	v_cmpx_lt_u32_e32 1, v7
; %bb.57:
	s_delay_alu instid0(VALU_DEP_3) | instskip(SKIP_1) | instid1(VALU_DEP_2)
	v_add_co_u32 v3, vcc_lo, v3, v9
	v_add_co_ci_u32_e32 v4, vcc_lo, 0, v4, vcc_lo
	v_add_co_u32 v3, vcc_lo, v3, 0
	s_delay_alu instid0(VALU_DEP_2)
	v_add_co_ci_u32_e32 v4, vcc_lo, v4, v8, vcc_lo
; %bb.58:
	s_or_b32 exec_lo, exec_lo, s8
	ds_store_b64 v6, v[3:4]
.LBB310_59:
	s_or_b32 exec_lo, exec_lo, s1
	v_cmp_gt_u32_e32 vcc_lo, 32, v0
	s_mov_b32 s8, exec_lo
	s_waitcnt lgkmcnt(0)
	s_barrier
	buffer_gl0_inv
                                        ; implicit-def: $vgpr9_vgpr10
	v_cmpx_lt_u32_e32 31, v0
	s_cbranch_execz .LBB310_61
; %bb.60:
	v_lshl_add_u32 v1, v1, 3, -8
	ds_load_b64 v[9:10], v1
	s_waitcnt lgkmcnt(0)
	v_add_co_u32 v5, s1, v5, v9
	s_delay_alu instid0(VALU_DEP_1)
	v_add_co_ci_u32_e64 v2, s1, v2, v10, s1
.LBB310_61:
	s_or_b32 exec_lo, exec_lo, s8
	v_add_nc_u32_e32 v1, -1, v74
	s_delay_alu instid0(VALU_DEP_1) | instskip(NEXT) | instid1(VALU_DEP_1)
	v_cmp_gt_i32_e64 s1, 0, v1
	v_cndmask_b32_e64 v1, v1, v74, s1
	v_cmp_eq_u32_e64 s1, 0, v74
	s_delay_alu instid0(VALU_DEP_2)
	v_lshlrev_b32_e32 v1, 2, v1
	ds_bpermute_b32 v15, v1, v5
	ds_bpermute_b32 v16, v1, v2
	s_and_saveexec_b32 s8, vcc_lo
	s_cbranch_execz .LBB310_104
; %bb.62:
	v_mov_b32_e32 v4, 0
	ds_load_b64 v[1:2], v4 offset:24
	s_and_saveexec_b32 s9, s1
	s_cbranch_execz .LBB310_64
; %bb.63:
	s_add_i32 s10, s7, 32
	s_mov_b32 s11, 0
	s_delay_alu instid0(SALU_CYCLE_1) | instskip(NEXT) | instid1(SALU_CYCLE_1)
	s_lshl_b64 s[10:11], s[10:11], 4
	s_add_u32 s10, s14, s10
	s_addc_u32 s11, s15, s11
	v_mov_b32_e32 v5, s10
	v_dual_mov_b32 v3, 1 :: v_dual_mov_b32 v6, s11
	s_waitcnt lgkmcnt(0)
	;;#ASMSTART
	global_store_dwordx4 v[5:6], v[1:4] off	
s_waitcnt vmcnt(0)
	;;#ASMEND
.LBB310_64:
	s_or_b32 exec_lo, exec_lo, s9
	v_xad_u32 v11, v74, -1, s7
	s_mov_b32 s10, 0
	s_mov_b32 s9, exec_lo
	s_delay_alu instid0(VALU_DEP_1) | instskip(NEXT) | instid1(VALU_DEP_1)
	v_add_nc_u32_e32 v3, 32, v11
	v_lshlrev_b64 v[3:4], 4, v[3:4]
	s_delay_alu instid0(VALU_DEP_1) | instskip(NEXT) | instid1(VALU_DEP_2)
	v_add_co_u32 v3, vcc_lo, s14, v3
	v_add_co_ci_u32_e32 v4, vcc_lo, s15, v4, vcc_lo
	;;#ASMSTART
	global_load_dwordx4 v[5:8], v[3:4] off glc	
s_waitcnt vmcnt(0)
	;;#ASMEND
	v_and_b32_e32 v8, 0xff, v6
	v_and_b32_e32 v12, 0xff00, v6
	v_or3_b32 v5, v5, 0, 0
	v_and_b32_e32 v13, 0xff000000, v6
	v_and_b32_e32 v6, 0xff0000, v6
	s_delay_alu instid0(VALU_DEP_4) | instskip(SKIP_2) | instid1(VALU_DEP_3)
	v_or3_b32 v8, 0, v8, v12
	v_and_b32_e32 v12, 0xff, v7
	v_or3_b32 v5, v5, 0, 0
	v_or3_b32 v6, v8, v6, v13
	s_delay_alu instid0(VALU_DEP_3)
	v_cmpx_eq_u16_e32 0, v12
	s_cbranch_execz .LBB310_70
; %bb.65:
	s_mov_b32 s11, 1
	.p2align	6
.LBB310_66:                             ; =>This Loop Header: Depth=1
                                        ;     Child Loop BB310_67 Depth 2
	s_delay_alu instid0(SALU_CYCLE_1)
	s_max_u32 s16, s11, 1
.LBB310_67:                             ;   Parent Loop BB310_66 Depth=1
                                        ; =>  This Inner Loop Header: Depth=2
	s_delay_alu instid0(SALU_CYCLE_1)
	s_add_i32 s16, s16, -1
	s_sleep 1
	s_cmp_eq_u32 s16, 0
	s_cbranch_scc0 .LBB310_67
; %bb.68:                               ;   in Loop: Header=BB310_66 Depth=1
	;;#ASMSTART
	global_load_dwordx4 v[5:8], v[3:4] off glc	
s_waitcnt vmcnt(0)
	;;#ASMEND
	v_and_b32_e32 v8, 0xff, v7
	s_cmp_lt_u32 s11, 32
	s_cselect_b32 s16, -1, 0
	s_delay_alu instid0(SALU_CYCLE_1) | instskip(NEXT) | instid1(VALU_DEP_1)
	s_cmp_lg_u32 s16, 0
	v_cmp_ne_u16_e32 vcc_lo, 0, v8
	s_addc_u32 s11, s11, 0
	s_or_b32 s10, vcc_lo, s10
	s_delay_alu instid0(SALU_CYCLE_1)
	s_and_not1_b32 exec_lo, exec_lo, s10
	s_cbranch_execnz .LBB310_66
; %bb.69:
	s_or_b32 exec_lo, exec_lo, s10
.LBB310_70:
	s_delay_alu instid0(SALU_CYCLE_1)
	s_or_b32 exec_lo, exec_lo, s9
	v_cmp_ne_u32_e32 vcc_lo, 31, v74
	v_and_b32_e32 v4, 0xff, v7
	v_lshlrev_b32_e64 v18, v74, -1
	s_mov_b32 s9, exec_lo
	v_add_co_ci_u32_e32 v3, vcc_lo, 0, v74, vcc_lo
	s_delay_alu instid0(VALU_DEP_3) | instskip(NEXT) | instid1(VALU_DEP_2)
	v_cmp_eq_u16_e32 vcc_lo, 2, v4
	v_dual_mov_b32 v4, v5 :: v_dual_lshlrev_b32 v17, 2, v3
	v_and_or_b32 v3, vcc_lo, v18, 0x80000000
	ds_bpermute_b32 v12, v17, v5
	ds_bpermute_b32 v8, v17, v6
	v_ctz_i32_b32_e32 v3, v3
	s_delay_alu instid0(VALU_DEP_1)
	v_cmpx_lt_u32_e64 v74, v3
	s_cbranch_execz .LBB310_72
; %bb.71:
	s_waitcnt lgkmcnt(1)
	v_add_co_u32 v4, vcc_lo, v5, v12
	v_add_co_ci_u32_e32 v6, vcc_lo, 0, v6, vcc_lo
	s_delay_alu instid0(VALU_DEP_2) | instskip(SKIP_1) | instid1(VALU_DEP_2)
	v_add_co_u32 v5, vcc_lo, 0, v4
	s_waitcnt lgkmcnt(0)
	v_add_co_ci_u32_e32 v6, vcc_lo, v8, v6, vcc_lo
.LBB310_72:
	s_or_b32 exec_lo, exec_lo, s9
	v_cmp_gt_u32_e32 vcc_lo, 30, v74
	v_add_nc_u32_e32 v20, 2, v74
	s_mov_b32 s9, exec_lo
	s_waitcnt lgkmcnt(0)
	v_cndmask_b32_e64 v8, 0, 1, vcc_lo
	s_delay_alu instid0(VALU_DEP_1) | instskip(NEXT) | instid1(VALU_DEP_1)
	v_lshlrev_b32_e32 v8, 1, v8
	v_add_lshl_u32 v19, v8, v74, 2
	ds_bpermute_b32 v12, v19, v4
	ds_bpermute_b32 v8, v19, v6
	v_cmpx_le_u32_e64 v20, v3
	s_cbranch_execz .LBB310_74
; %bb.73:
	s_waitcnt lgkmcnt(1)
	v_add_co_u32 v4, vcc_lo, v5, v12
	v_add_co_ci_u32_e32 v6, vcc_lo, 0, v6, vcc_lo
	s_delay_alu instid0(VALU_DEP_2) | instskip(SKIP_1) | instid1(VALU_DEP_2)
	v_add_co_u32 v5, vcc_lo, 0, v4
	s_waitcnt lgkmcnt(0)
	v_add_co_ci_u32_e32 v6, vcc_lo, v8, v6, vcc_lo
.LBB310_74:
	s_or_b32 exec_lo, exec_lo, s9
	v_cmp_gt_u32_e32 vcc_lo, 28, v74
	v_add_nc_u32_e32 v22, 4, v74
	s_mov_b32 s9, exec_lo
	s_waitcnt lgkmcnt(0)
	v_cndmask_b32_e64 v8, 0, 1, vcc_lo
	s_delay_alu instid0(VALU_DEP_1) | instskip(NEXT) | instid1(VALU_DEP_1)
	v_lshlrev_b32_e32 v8, 2, v8
	v_add_lshl_u32 v21, v8, v74, 2
	ds_bpermute_b32 v12, v21, v4
	ds_bpermute_b32 v8, v21, v6
	v_cmpx_le_u32_e64 v22, v3
	;; [unrolled: 22-line block ×4, first 2 shown]
	s_cbranch_execz .LBB310_80
; %bb.79:
	s_waitcnt lgkmcnt(1)
	v_add_co_u32 v3, vcc_lo, v5, v8
	v_add_co_ci_u32_e32 v6, vcc_lo, 0, v6, vcc_lo
	s_delay_alu instid0(VALU_DEP_2) | instskip(SKIP_1) | instid1(VALU_DEP_2)
	v_add_co_u32 v5, vcc_lo, v3, 0
	s_waitcnt lgkmcnt(0)
	v_add_co_ci_u32_e32 v6, vcc_lo, v6, v4, vcc_lo
.LBB310_80:
	s_or_b32 exec_lo, exec_lo, s9
	v_mov_b32_e32 v12, 0
	s_branch .LBB310_82
.LBB310_81:                             ;   in Loop: Header=BB310_82 Depth=1
	s_or_b32 exec_lo, exec_lo, s9
	v_add_co_u32 v5, vcc_lo, v5, v3
	v_subrev_nc_u32_e32 v11, 32, v11
	v_add_co_ci_u32_e32 v6, vcc_lo, v6, v4, vcc_lo
.LBB310_82:                             ; =>This Loop Header: Depth=1
                                        ;     Child Loop BB310_85 Depth 2
                                        ;       Child Loop BB310_86 Depth 3
	v_and_b32_e32 v3, 0xff, v7
	s_delay_alu instid0(VALU_DEP_1) | instskip(SKIP_2) | instid1(VALU_DEP_1)
	v_cmp_ne_u16_e32 vcc_lo, 2, v3
	v_cndmask_b32_e64 v3, 0, 1, vcc_lo
	;;#ASMSTART
	;;#ASMEND
	v_cmp_ne_u32_e32 vcc_lo, 0, v3
	s_waitcnt lgkmcnt(0)
	v_dual_mov_b32 v3, v5 :: v_dual_mov_b32 v4, v6
	s_cmp_lg_u32 vcc_lo, exec_lo
	s_cbranch_scc1 .LBB310_99
; %bb.83:                               ;   in Loop: Header=BB310_82 Depth=1
	v_lshlrev_b64 v[5:6], 4, v[11:12]
	s_mov_b32 s9, exec_lo
	s_delay_alu instid0(VALU_DEP_1) | instskip(NEXT) | instid1(VALU_DEP_2)
	v_add_co_u32 v13, vcc_lo, s14, v5
	v_add_co_ci_u32_e32 v14, vcc_lo, s15, v6, vcc_lo
	;;#ASMSTART
	global_load_dwordx4 v[5:8], v[13:14] off glc	
s_waitcnt vmcnt(0)
	;;#ASMEND
	v_and_b32_e32 v8, 0xff, v6
	v_and_b32_e32 v27, 0xff00, v6
	v_or3_b32 v5, v5, 0, 0
	v_and_b32_e32 v28, 0xff000000, v6
	v_and_b32_e32 v6, 0xff0000, v6
	s_delay_alu instid0(VALU_DEP_4) | instskip(SKIP_2) | instid1(VALU_DEP_3)
	v_or3_b32 v8, 0, v8, v27
	v_and_b32_e32 v27, 0xff, v7
	v_or3_b32 v5, v5, 0, 0
	v_or3_b32 v6, v8, v6, v28
	s_delay_alu instid0(VALU_DEP_3)
	v_cmpx_eq_u16_e32 0, v27
	s_cbranch_execz .LBB310_89
; %bb.84:                               ;   in Loop: Header=BB310_82 Depth=1
	s_mov_b32 s11, 1
	s_mov_b32 s10, 0
	.p2align	6
.LBB310_85:                             ;   Parent Loop BB310_82 Depth=1
                                        ; =>  This Loop Header: Depth=2
                                        ;       Child Loop BB310_86 Depth 3
	s_max_u32 s16, s11, 1
.LBB310_86:                             ;   Parent Loop BB310_82 Depth=1
                                        ;     Parent Loop BB310_85 Depth=2
                                        ; =>    This Inner Loop Header: Depth=3
	s_delay_alu instid0(SALU_CYCLE_1)
	s_add_i32 s16, s16, -1
	s_sleep 1
	s_cmp_eq_u32 s16, 0
	s_cbranch_scc0 .LBB310_86
; %bb.87:                               ;   in Loop: Header=BB310_85 Depth=2
	;;#ASMSTART
	global_load_dwordx4 v[5:8], v[13:14] off glc	
s_waitcnt vmcnt(0)
	;;#ASMEND
	v_and_b32_e32 v8, 0xff, v7
	s_cmp_lt_u32 s11, 32
	s_cselect_b32 s16, -1, 0
	s_delay_alu instid0(SALU_CYCLE_1) | instskip(NEXT) | instid1(VALU_DEP_1)
	s_cmp_lg_u32 s16, 0
	v_cmp_ne_u16_e32 vcc_lo, 0, v8
	s_addc_u32 s11, s11, 0
	s_or_b32 s10, vcc_lo, s10
	s_delay_alu instid0(SALU_CYCLE_1)
	s_and_not1_b32 exec_lo, exec_lo, s10
	s_cbranch_execnz .LBB310_85
; %bb.88:                               ;   in Loop: Header=BB310_82 Depth=1
	s_or_b32 exec_lo, exec_lo, s10
.LBB310_89:                             ;   in Loop: Header=BB310_82 Depth=1
	s_delay_alu instid0(SALU_CYCLE_1)
	s_or_b32 exec_lo, exec_lo, s9
	v_dual_mov_b32 v13, v5 :: v_dual_and_b32 v8, 0xff, v7
	ds_bpermute_b32 v27, v17, v5
	ds_bpermute_b32 v14, v17, v6
	s_mov_b32 s9, exec_lo
	v_cmp_eq_u16_e32 vcc_lo, 2, v8
	v_and_or_b32 v8, vcc_lo, v18, 0x80000000
	s_delay_alu instid0(VALU_DEP_1) | instskip(NEXT) | instid1(VALU_DEP_1)
	v_ctz_i32_b32_e32 v8, v8
	v_cmpx_lt_u32_e64 v74, v8
	s_cbranch_execz .LBB310_91
; %bb.90:                               ;   in Loop: Header=BB310_82 Depth=1
	s_waitcnt lgkmcnt(1)
	v_add_co_u32 v13, vcc_lo, v5, v27
	v_add_co_ci_u32_e32 v6, vcc_lo, 0, v6, vcc_lo
	s_delay_alu instid0(VALU_DEP_2) | instskip(SKIP_1) | instid1(VALU_DEP_2)
	v_add_co_u32 v5, vcc_lo, 0, v13
	s_waitcnt lgkmcnt(0)
	v_add_co_ci_u32_e32 v6, vcc_lo, v14, v6, vcc_lo
.LBB310_91:                             ;   in Loop: Header=BB310_82 Depth=1
	s_or_b32 exec_lo, exec_lo, s9
	s_waitcnt lgkmcnt(1)
	ds_bpermute_b32 v27, v19, v13
	s_waitcnt lgkmcnt(1)
	ds_bpermute_b32 v14, v19, v6
	s_mov_b32 s9, exec_lo
	v_cmpx_le_u32_e64 v20, v8
	s_cbranch_execz .LBB310_93
; %bb.92:                               ;   in Loop: Header=BB310_82 Depth=1
	s_waitcnt lgkmcnt(1)
	v_add_co_u32 v13, vcc_lo, v5, v27
	v_add_co_ci_u32_e32 v6, vcc_lo, 0, v6, vcc_lo
	s_delay_alu instid0(VALU_DEP_2) | instskip(SKIP_1) | instid1(VALU_DEP_2)
	v_add_co_u32 v5, vcc_lo, 0, v13
	s_waitcnt lgkmcnt(0)
	v_add_co_ci_u32_e32 v6, vcc_lo, v14, v6, vcc_lo
.LBB310_93:                             ;   in Loop: Header=BB310_82 Depth=1
	s_or_b32 exec_lo, exec_lo, s9
	s_waitcnt lgkmcnt(1)
	ds_bpermute_b32 v27, v21, v13
	s_waitcnt lgkmcnt(1)
	ds_bpermute_b32 v14, v21, v6
	s_mov_b32 s9, exec_lo
	v_cmpx_le_u32_e64 v22, v8
	;; [unrolled: 17-line block ×3, first 2 shown]
	s_cbranch_execz .LBB310_97
; %bb.96:                               ;   in Loop: Header=BB310_82 Depth=1
	s_waitcnt lgkmcnt(1)
	v_add_co_u32 v13, vcc_lo, v5, v27
	v_add_co_ci_u32_e32 v6, vcc_lo, 0, v6, vcc_lo
	s_delay_alu instid0(VALU_DEP_2) | instskip(SKIP_1) | instid1(VALU_DEP_2)
	v_add_co_u32 v5, vcc_lo, 0, v13
	s_waitcnt lgkmcnt(0)
	v_add_co_ci_u32_e32 v6, vcc_lo, v14, v6, vcc_lo
.LBB310_97:                             ;   in Loop: Header=BB310_82 Depth=1
	s_or_b32 exec_lo, exec_lo, s9
	s_waitcnt lgkmcnt(0)
	ds_bpermute_b32 v14, v25, v13
	ds_bpermute_b32 v13, v25, v6
	s_mov_b32 s9, exec_lo
	v_cmpx_le_u32_e64 v26, v8
	s_cbranch_execz .LBB310_81
; %bb.98:                               ;   in Loop: Header=BB310_82 Depth=1
	s_waitcnt lgkmcnt(1)
	v_add_co_u32 v5, vcc_lo, v5, v14
	v_add_co_ci_u32_e32 v6, vcc_lo, 0, v6, vcc_lo
	s_delay_alu instid0(VALU_DEP_2) | instskip(SKIP_1) | instid1(VALU_DEP_2)
	v_add_co_u32 v5, vcc_lo, v5, 0
	s_waitcnt lgkmcnt(0)
	v_add_co_ci_u32_e32 v6, vcc_lo, v6, v13, vcc_lo
	s_branch .LBB310_81
.LBB310_99:                             ;   in Loop: Header=BB310_82 Depth=1
                                        ; implicit-def: $vgpr5_vgpr6
	s_cbranch_execz .LBB310_82
; %bb.100:
	s_and_saveexec_b32 s9, s1
	s_cbranch_execz .LBB310_102
; %bb.101:
	s_add_i32 s10, s7, 32
	s_mov_b32 s11, 0
	v_add_co_u32 v5, vcc_lo, v3, v1
	s_lshl_b64 s[10:11], s[10:11], 4
	v_dual_mov_b32 v7, 2 :: v_dual_mov_b32 v8, 0
	s_add_u32 s10, s14, s10
	s_addc_u32 s11, s15, s11
	v_add_co_ci_u32_e32 v6, vcc_lo, v4, v2, vcc_lo
	v_dual_mov_b32 v12, s11 :: v_dual_mov_b32 v11, s10
	;;#ASMSTART
	global_store_dwordx4 v[11:12], v[5:8] off	
s_waitcnt vmcnt(0)
	;;#ASMEND
	ds_store_b128 v8, v[1:4] offset:7168
.LBB310_102:
	s_or_b32 exec_lo, exec_lo, s9
	s_delay_alu instid0(SALU_CYCLE_1)
	s_and_b32 exec_lo, exec_lo, s2
	s_cbranch_execz .LBB310_104
; %bb.103:
	v_mov_b32_e32 v1, 0
	ds_store_b64 v1, v[3:4] offset:24
.LBB310_104:
	s_or_b32 exec_lo, exec_lo, s8
	v_mov_b32_e32 v21, 0
	s_waitcnt lgkmcnt(0)
	s_barrier
	buffer_gl0_inv
	v_cndmask_b32_e64 v3, v15, v9, s1
	ds_load_b64 v[1:2], v21 offset:24
	v_cndmask_b32_e64 v4, v16, v10, s1
	s_waitcnt lgkmcnt(0)
	s_barrier
	v_cndmask_b32_e64 v3, v3, 0, s2
	buffer_gl0_inv
	v_cndmask_b32_e64 v4, v4, 0, s2
	ds_load_b128 v[45:48], v21 offset:7168
	v_add_co_u32 v1, vcc_lo, v1, v3
	v_add_co_ci_u32_e32 v2, vcc_lo, v2, v4, vcc_lo
	s_delay_alu instid0(VALU_DEP_2) | instskip(NEXT) | instid1(VALU_DEP_2)
	v_add_co_u32 v3, vcc_lo, v1, v65
	v_add_co_ci_u32_e32 v4, vcc_lo, 0, v2, vcc_lo
	s_delay_alu instid0(VALU_DEP_2) | instskip(NEXT) | instid1(VALU_DEP_2)
	;; [unrolled: 3-line block ×13, first 2 shown]
	v_add_co_u32 v27, vcc_lo, v25, v64
	v_add_co_ci_u32_e32 v28, vcc_lo, 0, v26, vcc_lo
	s_branch .LBB310_129
.LBB310_105:
                                        ; implicit-def: $vgpr47_vgpr48
                                        ; implicit-def: $vgpr1_vgpr2_vgpr3_vgpr4_vgpr5_vgpr6_vgpr7_vgpr8_vgpr9_vgpr10_vgpr11_vgpr12_vgpr13_vgpr14_vgpr15_vgpr16_vgpr17_vgpr18_vgpr19_vgpr20_vgpr21_vgpr22_vgpr23_vgpr24_vgpr25_vgpr26_vgpr27_vgpr28_vgpr29_vgpr30_vgpr31_vgpr32
	s_and_b32 vcc_lo, exec_lo, s1
	s_cbranch_vccz .LBB310_129
; %bb.106:
	v_dual_mov_b32 v2, 0 :: v_dual_mov_b32 v3, v53
	v_mov_b32_dpp v4, v53 row_shr:1 row_mask:0xf bank_mask:0xf
	s_delay_alu instid0(VALU_DEP_2)
	v_mov_b32_dpp v1, v2 row_shr:1 row_mask:0xf bank_mask:0xf
	s_and_saveexec_b32 s1, s0
; %bb.107:
	s_delay_alu instid0(VALU_DEP_2) | instskip(SKIP_1) | instid1(VALU_DEP_2)
	v_add_co_u32 v3, vcc_lo, v53, v4
	v_add_co_ci_u32_e32 v2, vcc_lo, 0, v54, vcc_lo
	v_add_co_u32 v53, vcc_lo, 0, v3
	s_delay_alu instid0(VALU_DEP_2) | instskip(NEXT) | instid1(VALU_DEP_1)
	v_add_co_ci_u32_e32 v54, vcc_lo, v1, v2, vcc_lo
	v_mov_b32_e32 v2, v54
; %bb.108:
	s_or_b32 exec_lo, exec_lo, s1
	v_mov_b32_dpp v1, v3 row_shr:2 row_mask:0xf bank_mask:0xf
	s_delay_alu instid0(VALU_DEP_2)
	v_mov_b32_dpp v4, v2 row_shr:2 row_mask:0xf bank_mask:0xf
	s_mov_b32 s0, exec_lo
	v_cmpx_lt_u32_e32 1, v75
; %bb.109:
	s_delay_alu instid0(VALU_DEP_3) | instskip(SKIP_1) | instid1(VALU_DEP_2)
	v_add_co_u32 v3, vcc_lo, v53, v1
	v_add_co_ci_u32_e32 v2, vcc_lo, 0, v54, vcc_lo
	v_add_co_u32 v1, vcc_lo, 0, v3
	s_delay_alu instid0(VALU_DEP_2) | instskip(NEXT) | instid1(VALU_DEP_1)
	v_add_co_ci_u32_e32 v2, vcc_lo, v4, v2, vcc_lo
	v_dual_mov_b32 v54, v2 :: v_dual_mov_b32 v53, v1
; %bb.110:
	s_or_b32 exec_lo, exec_lo, s0
	v_mov_b32_dpp v1, v3 row_shr:4 row_mask:0xf bank_mask:0xf
	v_mov_b32_dpp v4, v2 row_shr:4 row_mask:0xf bank_mask:0xf
	s_mov_b32 s0, exec_lo
	v_cmpx_lt_u32_e32 3, v75
; %bb.111:
	s_delay_alu instid0(VALU_DEP_3) | instskip(SKIP_1) | instid1(VALU_DEP_2)
	v_add_co_u32 v3, vcc_lo, v53, v1
	v_add_co_ci_u32_e32 v2, vcc_lo, 0, v54, vcc_lo
	v_add_co_u32 v1, vcc_lo, 0, v3
	s_delay_alu instid0(VALU_DEP_2) | instskip(NEXT) | instid1(VALU_DEP_1)
	v_add_co_ci_u32_e32 v2, vcc_lo, v4, v2, vcc_lo
	v_dual_mov_b32 v54, v2 :: v_dual_mov_b32 v53, v1
; %bb.112:
	s_or_b32 exec_lo, exec_lo, s0
	v_mov_b32_dpp v4, v3 row_shr:8 row_mask:0xf bank_mask:0xf
	v_mov_b32_dpp v1, v2 row_shr:8 row_mask:0xf bank_mask:0xf
	s_mov_b32 s0, exec_lo
	v_cmpx_lt_u32_e32 7, v75
; %bb.113:
	s_delay_alu instid0(VALU_DEP_3) | instskip(SKIP_1) | instid1(VALU_DEP_2)
	v_add_co_u32 v3, vcc_lo, v53, v4
	v_add_co_ci_u32_e32 v2, vcc_lo, 0, v54, vcc_lo
	v_add_co_u32 v53, vcc_lo, 0, v3
	s_delay_alu instid0(VALU_DEP_2) | instskip(NEXT) | instid1(VALU_DEP_1)
	v_add_co_ci_u32_e32 v54, vcc_lo, v1, v2, vcc_lo
	v_mov_b32_e32 v2, v54
; %bb.114:
	s_or_b32 exec_lo, exec_lo, s0
	ds_swizzle_b32 v3, v3 offset:swizzle(BROADCAST,32,15)
	ds_swizzle_b32 v1, v2 offset:swizzle(BROADCAST,32,15)
	v_and_b32_e32 v2, 16, v74
	s_mov_b32 s0, exec_lo
	s_delay_alu instid0(VALU_DEP_1)
	v_cmpx_ne_u32_e32 0, v2
	s_cbranch_execz .LBB310_116
; %bb.115:
	s_waitcnt lgkmcnt(1)
	v_add_co_u32 v2, vcc_lo, v53, v3
	v_add_co_ci_u32_e32 v3, vcc_lo, 0, v54, vcc_lo
	s_delay_alu instid0(VALU_DEP_2) | instskip(SKIP_1) | instid1(VALU_DEP_2)
	v_add_co_u32 v53, vcc_lo, v2, 0
	s_waitcnt lgkmcnt(0)
	v_add_co_ci_u32_e32 v54, vcc_lo, v3, v1, vcc_lo
.LBB310_116:
	s_or_b32 exec_lo, exec_lo, s0
	s_waitcnt lgkmcnt(0)
	v_or_b32_e32 v1, 31, v0
	v_lshrrev_b32_e32 v3, 5, v0
	s_mov_b32 s0, exec_lo
	s_delay_alu instid0(VALU_DEP_2)
	v_cmpx_eq_u32_e64 v1, v0
	s_cbranch_execz .LBB310_118
; %bb.117:
	s_delay_alu instid0(VALU_DEP_2)
	v_lshlrev_b32_e32 v1, 3, v3
	ds_store_b64 v1, v[53:54]
.LBB310_118:
	s_or_b32 exec_lo, exec_lo, s0
	s_delay_alu instid0(SALU_CYCLE_1)
	s_mov_b32 s0, exec_lo
	s_waitcnt lgkmcnt(0)
	s_barrier
	buffer_gl0_inv
	v_cmpx_gt_u32_e32 4, v0
	s_cbranch_execz .LBB310_124
; %bb.119:
	v_mad_i32_i24 v1, 0xffffffd0, v0, v63
	s_mov_b32 s1, exec_lo
	ds_load_b64 v[1:2], v1
	s_waitcnt lgkmcnt(0)
	v_dual_mov_b32 v5, v1 :: v_dual_and_b32 v4, 3, v74
	v_mov_b32_dpp v7, v1 row_shr:1 row_mask:0xf bank_mask:0xf
	v_mov_b32_dpp v6, v2 row_shr:1 row_mask:0xf bank_mask:0xf
	s_delay_alu instid0(VALU_DEP_3)
	v_cmpx_ne_u32_e32 0, v4
; %bb.120:
	s_delay_alu instid0(VALU_DEP_3) | instskip(SKIP_1) | instid1(VALU_DEP_2)
	v_add_co_u32 v5, vcc_lo, v1, v7
	v_add_co_ci_u32_e32 v2, vcc_lo, 0, v2, vcc_lo
	v_add_co_u32 v1, vcc_lo, 0, v5
	s_delay_alu instid0(VALU_DEP_2)
	v_add_co_ci_u32_e32 v2, vcc_lo, v6, v2, vcc_lo
; %bb.121:
	s_or_b32 exec_lo, exec_lo, s1
	v_mul_i32_i24_e32 v6, 0xffffffd0, v0
	v_mov_b32_dpp v7, v5 row_shr:2 row_mask:0xf bank_mask:0xf
	s_delay_alu instid0(VALU_DEP_3)
	v_mov_b32_dpp v5, v2 row_shr:2 row_mask:0xf bank_mask:0xf
	s_mov_b32 s1, exec_lo
	v_cmpx_lt_u32_e32 1, v4
; %bb.122:
	s_delay_alu instid0(VALU_DEP_3) | instskip(SKIP_1) | instid1(VALU_DEP_2)
	v_add_co_u32 v1, vcc_lo, v1, v7
	v_add_co_ci_u32_e32 v2, vcc_lo, 0, v2, vcc_lo
	v_add_co_u32 v1, vcc_lo, v1, 0
	s_delay_alu instid0(VALU_DEP_2)
	v_add_co_ci_u32_e32 v2, vcc_lo, v2, v5, vcc_lo
; %bb.123:
	s_or_b32 exec_lo, exec_lo, s1
	v_add_nc_u32_e32 v4, v63, v6
	ds_store_b64 v4, v[1:2]
.LBB310_124:
	s_or_b32 exec_lo, exec_lo, s0
	v_mov_b32_e32 v1, 0
	v_mov_b32_e32 v2, 0
	s_mov_b32 s0, exec_lo
	s_waitcnt lgkmcnt(0)
	s_barrier
	buffer_gl0_inv
	v_cmpx_lt_u32_e32 31, v0
	s_cbranch_execz .LBB310_126
; %bb.125:
	v_lshl_add_u32 v1, v3, 3, -8
	ds_load_b64 v[1:2], v1
.LBB310_126:
	s_or_b32 exec_lo, exec_lo, s0
	v_dual_mov_b32 v48, 0 :: v_dual_add_nc_u32 v3, -1, v74
	s_delay_alu instid0(VALU_DEP_1) | instskip(SKIP_2) | instid1(VALU_DEP_1)
	v_cmp_gt_i32_e32 vcc_lo, 0, v3
	ds_load_b64 v[45:46], v48 offset:24
	v_cndmask_b32_e32 v3, v3, v74, vcc_lo
	v_lshlrev_b32_e32 v4, 2, v3
	s_waitcnt lgkmcnt(1)
	v_add_co_u32 v3, vcc_lo, v1, v53
	v_add_co_ci_u32_e32 v5, vcc_lo, v2, v54, vcc_lo
	ds_bpermute_b32 v3, v4, v3
	ds_bpermute_b32 v4, v4, v5
	s_and_saveexec_b32 s0, s2
	s_cbranch_execz .LBB310_128
; %bb.127:
	s_add_u32 s8, s14, 0x200
	s_addc_u32 s9, s15, 0
	v_mov_b32_e32 v5, s8
	v_dual_mov_b32 v47, 2 :: v_dual_mov_b32 v6, s9
	s_waitcnt lgkmcnt(2)
	;;#ASMSTART
	global_store_dwordx4 v[5:6], v[45:48] off	
s_waitcnt vmcnt(0)
	;;#ASMEND
.LBB310_128:
	s_or_b32 exec_lo, exec_lo, s0
	v_cmp_eq_u32_e32 vcc_lo, 0, v74
	v_mov_b32_e32 v47, 0
	v_mov_b32_e32 v48, 0
	s_waitcnt lgkmcnt(0)
	s_barrier
	v_dual_cndmask_b32 v1, v3, v1 :: v_dual_cndmask_b32 v2, v4, v2
	buffer_gl0_inv
	v_cndmask_b32_e64 v1, v1, 0, s2
	v_cndmask_b32_e64 v2, v2, 0, s2
	s_delay_alu instid0(VALU_DEP_2) | instskip(NEXT) | instid1(VALU_DEP_2)
	v_add_co_u32 v3, vcc_lo, v1, v65
	v_add_co_ci_u32_e32 v4, vcc_lo, 0, v2, vcc_lo
	s_delay_alu instid0(VALU_DEP_2) | instskip(NEXT) | instid1(VALU_DEP_2)
	v_add_co_u32 v5, vcc_lo, v3, v66
	v_add_co_ci_u32_e32 v6, vcc_lo, 0, v4, vcc_lo
	;; [unrolled: 3-line block ×13, first 2 shown]
.LBB310_129:
	s_waitcnt lgkmcnt(0)
	v_cmp_gt_u64_e32 vcc_lo, 0x81, v[45:46]
	v_lshrrev_b32_e32 v53, 16, v58
	v_lshrrev_b32_e32 v54, 8, v58
	;; [unrolled: 1-line block ×6, first 2 shown]
	s_mov_b32 s0, -1
	s_cbranch_vccnz .LBB310_133
; %bb.130:
	s_and_b32 vcc_lo, exec_lo, s0
	s_cbranch_vccnz .LBB310_176
.LBB310_131:
	s_and_b32 s0, s2, s3
	s_delay_alu instid0(SALU_CYCLE_1)
	s_and_saveexec_b32 s1, s0
	s_cbranch_execnz .LBB310_208
.LBB310_132:
	s_nop 0
	s_sendmsg sendmsg(MSG_DEALLOC_VGPRS)
	s_endpgm
.LBB310_133:
	v_add_co_u32 v29, vcc_lo, v47, v45
	v_add_co_ci_u32_e32 v30, vcc_lo, v48, v46, vcc_lo
	v_lshlrev_b64 v[65:66], 2, v[49:50]
	s_delay_alu instid0(VALU_DEP_2) | instskip(NEXT) | instid1(VALU_DEP_2)
	v_cmp_lt_u64_e32 vcc_lo, v[1:2], v[29:30]
	v_add_co_u32 v65, s0, s12, v65
	s_delay_alu instid0(VALU_DEP_1) | instskip(SKIP_1) | instid1(SALU_CYCLE_1)
	v_add_co_ci_u32_e64 v66, s0, s13, v66, s0
	s_or_b32 s1, s6, vcc_lo
	s_and_saveexec_b32 s0, s1
	s_cbranch_execz .LBB310_136
; %bb.134:
	v_and_b32_e32 v67, 1, v61
	s_delay_alu instid0(VALU_DEP_1)
	v_cmp_eq_u32_e32 vcc_lo, 1, v67
	s_and_b32 exec_lo, exec_lo, vcc_lo
	s_cbranch_execz .LBB310_136
; %bb.135:
	v_lshlrev_b64 v[67:68], 2, v[1:2]
	s_delay_alu instid0(VALU_DEP_1) | instskip(NEXT) | instid1(VALU_DEP_2)
	v_add_co_u32 v67, vcc_lo, v65, v67
	v_add_co_ci_u32_e32 v68, vcc_lo, v66, v68, vcc_lo
	global_store_b32 v[67:68], v41, off
.LBB310_136:
	s_or_b32 exec_lo, exec_lo, s0
	v_cmp_lt_u64_e32 vcc_lo, v[3:4], v[29:30]
	s_or_b32 s1, s6, vcc_lo
	s_delay_alu instid0(SALU_CYCLE_1)
	s_and_saveexec_b32 s0, s1
	s_cbranch_execz .LBB310_139
; %bb.137:
	v_and_b32_e32 v2, 1, v64
	s_delay_alu instid0(VALU_DEP_1)
	v_cmp_eq_u32_e32 vcc_lo, 1, v2
	s_and_b32 exec_lo, exec_lo, vcc_lo
	s_cbranch_execz .LBB310_139
; %bb.138:
	v_lshlrev_b64 v[67:68], 2, v[3:4]
	s_delay_alu instid0(VALU_DEP_1) | instskip(NEXT) | instid1(VALU_DEP_2)
	v_add_co_u32 v67, vcc_lo, v65, v67
	v_add_co_ci_u32_e32 v68, vcc_lo, v66, v68, vcc_lo
	global_store_b32 v[67:68], v42, off
.LBB310_139:
	s_or_b32 exec_lo, exec_lo, s0
	v_cmp_lt_u64_e32 vcc_lo, v[5:6], v[29:30]
	s_or_b32 s1, s6, vcc_lo
	s_delay_alu instid0(SALU_CYCLE_1)
	;; [unrolled: 19-line block ×13, first 2 shown]
	s_and_saveexec_b32 s0, s1
	s_cbranch_execz .LBB310_175
; %bb.173:
	v_and_b32_e32 v2, 1, v55
	s_delay_alu instid0(VALU_DEP_1)
	v_cmp_eq_u32_e32 vcc_lo, 1, v2
	s_and_b32 exec_lo, exec_lo, vcc_lo
	s_cbranch_execz .LBB310_175
; %bb.174:
	v_lshlrev_b64 v[28:29], 2, v[27:28]
	s_delay_alu instid0(VALU_DEP_1) | instskip(NEXT) | instid1(VALU_DEP_2)
	v_add_co_u32 v28, vcc_lo, v65, v28
	v_add_co_ci_u32_e32 v29, vcc_lo, v66, v29, vcc_lo
	global_store_b32 v[28:29], v52, off
.LBB310_175:
	s_or_b32 exec_lo, exec_lo, s0
	s_branch .LBB310_131
.LBB310_176:
	v_and_b32_e32 v2, 1, v61
	s_mov_b32 s0, exec_lo
	s_delay_alu instid0(VALU_DEP_1)
	v_cmpx_eq_u32_e32 1, v2
	s_cbranch_execz .LBB310_178
; %bb.177:
	v_sub_nc_u32_e32 v1, v1, v47
	s_delay_alu instid0(VALU_DEP_1)
	v_lshlrev_b32_e32 v1, 2, v1
	ds_store_b32 v1, v41
.LBB310_178:
	s_or_b32 exec_lo, exec_lo, s0
	v_and_b32_e32 v1, 1, v64
	s_mov_b32 s0, exec_lo
	s_delay_alu instid0(VALU_DEP_1)
	v_cmpx_eq_u32_e32 1, v1
	s_cbranch_execz .LBB310_180
; %bb.179:
	v_sub_nc_u32_e32 v1, v3, v47
	s_delay_alu instid0(VALU_DEP_1)
	v_lshlrev_b32_e32 v1, 2, v1
	ds_store_b32 v1, v42
.LBB310_180:
	s_or_b32 exec_lo, exec_lo, s0
	;; [unrolled: 12-line block ×14, first 2 shown]
	v_mov_b32_e32 v1, 0
	s_mov_b32 s1, exec_lo
	s_waitcnt lgkmcnt(0)
	s_waitcnt_vscnt null, 0x0
	s_barrier
	buffer_gl0_inv
	v_cmpx_gt_u64_e64 v[45:46], v[0:1]
	s_cbranch_execz .LBB310_207
; %bb.205:
	v_lshlrev_b64 v[2:3], 2, v[47:48]
	v_lshlrev_b64 v[4:5], 2, v[49:50]
	s_mov_b32 s6, 0
	s_delay_alu instid0(VALU_DEP_2) | instskip(NEXT) | instid1(VALU_DEP_3)
	v_add_co_u32 v6, vcc_lo, s12, v2
	v_add_co_ci_u32_e32 v7, vcc_lo, s13, v3, vcc_lo
	v_dual_mov_b32 v3, v1 :: v_dual_mov_b32 v2, v0
	s_delay_alu instid0(VALU_DEP_3) | instskip(NEXT) | instid1(VALU_DEP_3)
	v_add_co_u32 v4, vcc_lo, v6, v4
	v_add_co_ci_u32_e32 v5, vcc_lo, v7, v5, vcc_lo
	v_or_b32_e32 v0, 0x80, v0
	.p2align	6
.LBB310_206:                            ; =>This Inner Loop Header: Depth=1
	s_delay_alu instid0(VALU_DEP_4) | instskip(NEXT) | instid1(VALU_DEP_2)
	v_lshlrev_b32_e32 v6, 2, v2
	v_cmp_le_u64_e32 vcc_lo, v[45:46], v[0:1]
	ds_load_b32 v8, v6
	v_lshlrev_b64 v[6:7], 2, v[2:3]
	v_dual_mov_b32 v3, v1 :: v_dual_mov_b32 v2, v0
	v_add_nc_u32_e32 v0, 0x80, v0
	s_or_b32 s6, vcc_lo, s6
	s_delay_alu instid0(VALU_DEP_3) | instskip(NEXT) | instid1(VALU_DEP_1)
	v_add_co_u32 v6, s0, v4, v6
	v_add_co_ci_u32_e64 v7, s0, v5, v7, s0
	s_waitcnt lgkmcnt(0)
	global_store_b32 v[6:7], v8, off
	s_and_not1_b32 exec_lo, exec_lo, s6
	s_cbranch_execnz .LBB310_206
.LBB310_207:
	s_or_b32 exec_lo, exec_lo, s1
	s_and_b32 s0, s2, s3
	s_delay_alu instid0(SALU_CYCLE_1)
	s_and_saveexec_b32 s1, s0
	s_cbranch_execz .LBB310_132
.LBB310_208:
	v_add_co_u32 v0, vcc_lo, v47, v45
	v_add_co_ci_u32_e32 v1, vcc_lo, v48, v46, vcc_lo
	v_mov_b32_e32 v2, 0
	s_delay_alu instid0(VALU_DEP_3) | instskip(NEXT) | instid1(VALU_DEP_3)
	v_add_co_u32 v0, vcc_lo, v0, v49
	v_add_co_ci_u32_e32 v1, vcc_lo, v1, v50, vcc_lo
	global_store_b64 v2, v[0:1], s[4:5]
	s_nop 0
	s_sendmsg sendmsg(MSG_DEALLOC_VGPRS)
	s_endpgm
	.section	.rodata,"a",@progbits
	.p2align	6, 0x0
	.amdhsa_kernel _ZN7rocprim17ROCPRIM_400000_NS6detail17trampoline_kernelINS0_14default_configENS1_25partition_config_selectorILNS1_17partition_subalgoE6EjNS0_10empty_typeEbEEZZNS1_14partition_implILS5_6ELb0ES3_mN6thrust23THRUST_200600_302600_NS6detail15normal_iteratorINSA_10device_ptrIjEEEEPS6_SG_NS0_5tupleIJSF_S6_EEENSH_IJSG_SG_EEES6_PlJ7is_evenIjEEEE10hipError_tPvRmT3_T4_T5_T6_T7_T9_mT8_P12ihipStream_tbDpT10_ENKUlT_T0_E_clISt17integral_constantIbLb1EES16_EEDaS11_S12_EUlS11_E_NS1_11comp_targetILNS1_3genE9ELNS1_11target_archE1100ELNS1_3gpuE3ELNS1_3repE0EEENS1_30default_config_static_selectorELNS0_4arch9wavefront6targetE0EEEvT1_
		.amdhsa_group_segment_fixed_size 7184
		.amdhsa_private_segment_fixed_size 0
		.amdhsa_kernarg_size 128
		.amdhsa_user_sgpr_count 15
		.amdhsa_user_sgpr_dispatch_ptr 0
		.amdhsa_user_sgpr_queue_ptr 0
		.amdhsa_user_sgpr_kernarg_segment_ptr 1
		.amdhsa_user_sgpr_dispatch_id 0
		.amdhsa_user_sgpr_private_segment_size 0
		.amdhsa_wavefront_size32 1
		.amdhsa_uses_dynamic_stack 0
		.amdhsa_enable_private_segment 0
		.amdhsa_system_sgpr_workgroup_id_x 1
		.amdhsa_system_sgpr_workgroup_id_y 0
		.amdhsa_system_sgpr_workgroup_id_z 0
		.amdhsa_system_sgpr_workgroup_info 0
		.amdhsa_system_vgpr_workitem_id 0
		.amdhsa_next_free_vgpr 76
		.amdhsa_next_free_sgpr 20
		.amdhsa_reserve_vcc 1
		.amdhsa_float_round_mode_32 0
		.amdhsa_float_round_mode_16_64 0
		.amdhsa_float_denorm_mode_32 3
		.amdhsa_float_denorm_mode_16_64 3
		.amdhsa_dx10_clamp 1
		.amdhsa_ieee_mode 1
		.amdhsa_fp16_overflow 0
		.amdhsa_workgroup_processor_mode 1
		.amdhsa_memory_ordered 1
		.amdhsa_forward_progress 0
		.amdhsa_shared_vgpr_count 0
		.amdhsa_exception_fp_ieee_invalid_op 0
		.amdhsa_exception_fp_denorm_src 0
		.amdhsa_exception_fp_ieee_div_zero 0
		.amdhsa_exception_fp_ieee_overflow 0
		.amdhsa_exception_fp_ieee_underflow 0
		.amdhsa_exception_fp_ieee_inexact 0
		.amdhsa_exception_int_div_zero 0
	.end_amdhsa_kernel
	.section	.text._ZN7rocprim17ROCPRIM_400000_NS6detail17trampoline_kernelINS0_14default_configENS1_25partition_config_selectorILNS1_17partition_subalgoE6EjNS0_10empty_typeEbEEZZNS1_14partition_implILS5_6ELb0ES3_mN6thrust23THRUST_200600_302600_NS6detail15normal_iteratorINSA_10device_ptrIjEEEEPS6_SG_NS0_5tupleIJSF_S6_EEENSH_IJSG_SG_EEES6_PlJ7is_evenIjEEEE10hipError_tPvRmT3_T4_T5_T6_T7_T9_mT8_P12ihipStream_tbDpT10_ENKUlT_T0_E_clISt17integral_constantIbLb1EES16_EEDaS11_S12_EUlS11_E_NS1_11comp_targetILNS1_3genE9ELNS1_11target_archE1100ELNS1_3gpuE3ELNS1_3repE0EEENS1_30default_config_static_selectorELNS0_4arch9wavefront6targetE0EEEvT1_,"axG",@progbits,_ZN7rocprim17ROCPRIM_400000_NS6detail17trampoline_kernelINS0_14default_configENS1_25partition_config_selectorILNS1_17partition_subalgoE6EjNS0_10empty_typeEbEEZZNS1_14partition_implILS5_6ELb0ES3_mN6thrust23THRUST_200600_302600_NS6detail15normal_iteratorINSA_10device_ptrIjEEEEPS6_SG_NS0_5tupleIJSF_S6_EEENSH_IJSG_SG_EEES6_PlJ7is_evenIjEEEE10hipError_tPvRmT3_T4_T5_T6_T7_T9_mT8_P12ihipStream_tbDpT10_ENKUlT_T0_E_clISt17integral_constantIbLb1EES16_EEDaS11_S12_EUlS11_E_NS1_11comp_targetILNS1_3genE9ELNS1_11target_archE1100ELNS1_3gpuE3ELNS1_3repE0EEENS1_30default_config_static_selectorELNS0_4arch9wavefront6targetE0EEEvT1_,comdat
.Lfunc_end310:
	.size	_ZN7rocprim17ROCPRIM_400000_NS6detail17trampoline_kernelINS0_14default_configENS1_25partition_config_selectorILNS1_17partition_subalgoE6EjNS0_10empty_typeEbEEZZNS1_14partition_implILS5_6ELb0ES3_mN6thrust23THRUST_200600_302600_NS6detail15normal_iteratorINSA_10device_ptrIjEEEEPS6_SG_NS0_5tupleIJSF_S6_EEENSH_IJSG_SG_EEES6_PlJ7is_evenIjEEEE10hipError_tPvRmT3_T4_T5_T6_T7_T9_mT8_P12ihipStream_tbDpT10_ENKUlT_T0_E_clISt17integral_constantIbLb1EES16_EEDaS11_S12_EUlS11_E_NS1_11comp_targetILNS1_3genE9ELNS1_11target_archE1100ELNS1_3gpuE3ELNS1_3repE0EEENS1_30default_config_static_selectorELNS0_4arch9wavefront6targetE0EEEvT1_, .Lfunc_end310-_ZN7rocprim17ROCPRIM_400000_NS6detail17trampoline_kernelINS0_14default_configENS1_25partition_config_selectorILNS1_17partition_subalgoE6EjNS0_10empty_typeEbEEZZNS1_14partition_implILS5_6ELb0ES3_mN6thrust23THRUST_200600_302600_NS6detail15normal_iteratorINSA_10device_ptrIjEEEEPS6_SG_NS0_5tupleIJSF_S6_EEENSH_IJSG_SG_EEES6_PlJ7is_evenIjEEEE10hipError_tPvRmT3_T4_T5_T6_T7_T9_mT8_P12ihipStream_tbDpT10_ENKUlT_T0_E_clISt17integral_constantIbLb1EES16_EEDaS11_S12_EUlS11_E_NS1_11comp_targetILNS1_3genE9ELNS1_11target_archE1100ELNS1_3gpuE3ELNS1_3repE0EEENS1_30default_config_static_selectorELNS0_4arch9wavefront6targetE0EEEvT1_
                                        ; -- End function
	.section	.AMDGPU.csdata,"",@progbits
; Kernel info:
; codeLenInByte = 8684
; NumSgprs: 22
; NumVgprs: 76
; ScratchSize: 0
; MemoryBound: 0
; FloatMode: 240
; IeeeMode: 1
; LDSByteSize: 7184 bytes/workgroup (compile time only)
; SGPRBlocks: 2
; VGPRBlocks: 9
; NumSGPRsForWavesPerEU: 22
; NumVGPRsForWavesPerEU: 76
; Occupancy: 16
; WaveLimiterHint : 1
; COMPUTE_PGM_RSRC2:SCRATCH_EN: 0
; COMPUTE_PGM_RSRC2:USER_SGPR: 15
; COMPUTE_PGM_RSRC2:TRAP_HANDLER: 0
; COMPUTE_PGM_RSRC2:TGID_X_EN: 1
; COMPUTE_PGM_RSRC2:TGID_Y_EN: 0
; COMPUTE_PGM_RSRC2:TGID_Z_EN: 0
; COMPUTE_PGM_RSRC2:TIDIG_COMP_CNT: 0
	.section	.text._ZN7rocprim17ROCPRIM_400000_NS6detail17trampoline_kernelINS0_14default_configENS1_25partition_config_selectorILNS1_17partition_subalgoE6EjNS0_10empty_typeEbEEZZNS1_14partition_implILS5_6ELb0ES3_mN6thrust23THRUST_200600_302600_NS6detail15normal_iteratorINSA_10device_ptrIjEEEEPS6_SG_NS0_5tupleIJSF_S6_EEENSH_IJSG_SG_EEES6_PlJ7is_evenIjEEEE10hipError_tPvRmT3_T4_T5_T6_T7_T9_mT8_P12ihipStream_tbDpT10_ENKUlT_T0_E_clISt17integral_constantIbLb1EES16_EEDaS11_S12_EUlS11_E_NS1_11comp_targetILNS1_3genE8ELNS1_11target_archE1030ELNS1_3gpuE2ELNS1_3repE0EEENS1_30default_config_static_selectorELNS0_4arch9wavefront6targetE0EEEvT1_,"axG",@progbits,_ZN7rocprim17ROCPRIM_400000_NS6detail17trampoline_kernelINS0_14default_configENS1_25partition_config_selectorILNS1_17partition_subalgoE6EjNS0_10empty_typeEbEEZZNS1_14partition_implILS5_6ELb0ES3_mN6thrust23THRUST_200600_302600_NS6detail15normal_iteratorINSA_10device_ptrIjEEEEPS6_SG_NS0_5tupleIJSF_S6_EEENSH_IJSG_SG_EEES6_PlJ7is_evenIjEEEE10hipError_tPvRmT3_T4_T5_T6_T7_T9_mT8_P12ihipStream_tbDpT10_ENKUlT_T0_E_clISt17integral_constantIbLb1EES16_EEDaS11_S12_EUlS11_E_NS1_11comp_targetILNS1_3genE8ELNS1_11target_archE1030ELNS1_3gpuE2ELNS1_3repE0EEENS1_30default_config_static_selectorELNS0_4arch9wavefront6targetE0EEEvT1_,comdat
	.protected	_ZN7rocprim17ROCPRIM_400000_NS6detail17trampoline_kernelINS0_14default_configENS1_25partition_config_selectorILNS1_17partition_subalgoE6EjNS0_10empty_typeEbEEZZNS1_14partition_implILS5_6ELb0ES3_mN6thrust23THRUST_200600_302600_NS6detail15normal_iteratorINSA_10device_ptrIjEEEEPS6_SG_NS0_5tupleIJSF_S6_EEENSH_IJSG_SG_EEES6_PlJ7is_evenIjEEEE10hipError_tPvRmT3_T4_T5_T6_T7_T9_mT8_P12ihipStream_tbDpT10_ENKUlT_T0_E_clISt17integral_constantIbLb1EES16_EEDaS11_S12_EUlS11_E_NS1_11comp_targetILNS1_3genE8ELNS1_11target_archE1030ELNS1_3gpuE2ELNS1_3repE0EEENS1_30default_config_static_selectorELNS0_4arch9wavefront6targetE0EEEvT1_ ; -- Begin function _ZN7rocprim17ROCPRIM_400000_NS6detail17trampoline_kernelINS0_14default_configENS1_25partition_config_selectorILNS1_17partition_subalgoE6EjNS0_10empty_typeEbEEZZNS1_14partition_implILS5_6ELb0ES3_mN6thrust23THRUST_200600_302600_NS6detail15normal_iteratorINSA_10device_ptrIjEEEEPS6_SG_NS0_5tupleIJSF_S6_EEENSH_IJSG_SG_EEES6_PlJ7is_evenIjEEEE10hipError_tPvRmT3_T4_T5_T6_T7_T9_mT8_P12ihipStream_tbDpT10_ENKUlT_T0_E_clISt17integral_constantIbLb1EES16_EEDaS11_S12_EUlS11_E_NS1_11comp_targetILNS1_3genE8ELNS1_11target_archE1030ELNS1_3gpuE2ELNS1_3repE0EEENS1_30default_config_static_selectorELNS0_4arch9wavefront6targetE0EEEvT1_
	.globl	_ZN7rocprim17ROCPRIM_400000_NS6detail17trampoline_kernelINS0_14default_configENS1_25partition_config_selectorILNS1_17partition_subalgoE6EjNS0_10empty_typeEbEEZZNS1_14partition_implILS5_6ELb0ES3_mN6thrust23THRUST_200600_302600_NS6detail15normal_iteratorINSA_10device_ptrIjEEEEPS6_SG_NS0_5tupleIJSF_S6_EEENSH_IJSG_SG_EEES6_PlJ7is_evenIjEEEE10hipError_tPvRmT3_T4_T5_T6_T7_T9_mT8_P12ihipStream_tbDpT10_ENKUlT_T0_E_clISt17integral_constantIbLb1EES16_EEDaS11_S12_EUlS11_E_NS1_11comp_targetILNS1_3genE8ELNS1_11target_archE1030ELNS1_3gpuE2ELNS1_3repE0EEENS1_30default_config_static_selectorELNS0_4arch9wavefront6targetE0EEEvT1_
	.p2align	8
	.type	_ZN7rocprim17ROCPRIM_400000_NS6detail17trampoline_kernelINS0_14default_configENS1_25partition_config_selectorILNS1_17partition_subalgoE6EjNS0_10empty_typeEbEEZZNS1_14partition_implILS5_6ELb0ES3_mN6thrust23THRUST_200600_302600_NS6detail15normal_iteratorINSA_10device_ptrIjEEEEPS6_SG_NS0_5tupleIJSF_S6_EEENSH_IJSG_SG_EEES6_PlJ7is_evenIjEEEE10hipError_tPvRmT3_T4_T5_T6_T7_T9_mT8_P12ihipStream_tbDpT10_ENKUlT_T0_E_clISt17integral_constantIbLb1EES16_EEDaS11_S12_EUlS11_E_NS1_11comp_targetILNS1_3genE8ELNS1_11target_archE1030ELNS1_3gpuE2ELNS1_3repE0EEENS1_30default_config_static_selectorELNS0_4arch9wavefront6targetE0EEEvT1_,@function
_ZN7rocprim17ROCPRIM_400000_NS6detail17trampoline_kernelINS0_14default_configENS1_25partition_config_selectorILNS1_17partition_subalgoE6EjNS0_10empty_typeEbEEZZNS1_14partition_implILS5_6ELb0ES3_mN6thrust23THRUST_200600_302600_NS6detail15normal_iteratorINSA_10device_ptrIjEEEEPS6_SG_NS0_5tupleIJSF_S6_EEENSH_IJSG_SG_EEES6_PlJ7is_evenIjEEEE10hipError_tPvRmT3_T4_T5_T6_T7_T9_mT8_P12ihipStream_tbDpT10_ENKUlT_T0_E_clISt17integral_constantIbLb1EES16_EEDaS11_S12_EUlS11_E_NS1_11comp_targetILNS1_3genE8ELNS1_11target_archE1030ELNS1_3gpuE2ELNS1_3repE0EEENS1_30default_config_static_selectorELNS0_4arch9wavefront6targetE0EEEvT1_: ; @_ZN7rocprim17ROCPRIM_400000_NS6detail17trampoline_kernelINS0_14default_configENS1_25partition_config_selectorILNS1_17partition_subalgoE6EjNS0_10empty_typeEbEEZZNS1_14partition_implILS5_6ELb0ES3_mN6thrust23THRUST_200600_302600_NS6detail15normal_iteratorINSA_10device_ptrIjEEEEPS6_SG_NS0_5tupleIJSF_S6_EEENSH_IJSG_SG_EEES6_PlJ7is_evenIjEEEE10hipError_tPvRmT3_T4_T5_T6_T7_T9_mT8_P12ihipStream_tbDpT10_ENKUlT_T0_E_clISt17integral_constantIbLb1EES16_EEDaS11_S12_EUlS11_E_NS1_11comp_targetILNS1_3genE8ELNS1_11target_archE1030ELNS1_3gpuE2ELNS1_3repE0EEENS1_30default_config_static_selectorELNS0_4arch9wavefront6targetE0EEEvT1_
; %bb.0:
	.section	.rodata,"a",@progbits
	.p2align	6, 0x0
	.amdhsa_kernel _ZN7rocprim17ROCPRIM_400000_NS6detail17trampoline_kernelINS0_14default_configENS1_25partition_config_selectorILNS1_17partition_subalgoE6EjNS0_10empty_typeEbEEZZNS1_14partition_implILS5_6ELb0ES3_mN6thrust23THRUST_200600_302600_NS6detail15normal_iteratorINSA_10device_ptrIjEEEEPS6_SG_NS0_5tupleIJSF_S6_EEENSH_IJSG_SG_EEES6_PlJ7is_evenIjEEEE10hipError_tPvRmT3_T4_T5_T6_T7_T9_mT8_P12ihipStream_tbDpT10_ENKUlT_T0_E_clISt17integral_constantIbLb1EES16_EEDaS11_S12_EUlS11_E_NS1_11comp_targetILNS1_3genE8ELNS1_11target_archE1030ELNS1_3gpuE2ELNS1_3repE0EEENS1_30default_config_static_selectorELNS0_4arch9wavefront6targetE0EEEvT1_
		.amdhsa_group_segment_fixed_size 0
		.amdhsa_private_segment_fixed_size 0
		.amdhsa_kernarg_size 128
		.amdhsa_user_sgpr_count 15
		.amdhsa_user_sgpr_dispatch_ptr 0
		.amdhsa_user_sgpr_queue_ptr 0
		.amdhsa_user_sgpr_kernarg_segment_ptr 1
		.amdhsa_user_sgpr_dispatch_id 0
		.amdhsa_user_sgpr_private_segment_size 0
		.amdhsa_wavefront_size32 1
		.amdhsa_uses_dynamic_stack 0
		.amdhsa_enable_private_segment 0
		.amdhsa_system_sgpr_workgroup_id_x 1
		.amdhsa_system_sgpr_workgroup_id_y 0
		.amdhsa_system_sgpr_workgroup_id_z 0
		.amdhsa_system_sgpr_workgroup_info 0
		.amdhsa_system_vgpr_workitem_id 0
		.amdhsa_next_free_vgpr 1
		.amdhsa_next_free_sgpr 1
		.amdhsa_reserve_vcc 0
		.amdhsa_float_round_mode_32 0
		.amdhsa_float_round_mode_16_64 0
		.amdhsa_float_denorm_mode_32 3
		.amdhsa_float_denorm_mode_16_64 3
		.amdhsa_dx10_clamp 1
		.amdhsa_ieee_mode 1
		.amdhsa_fp16_overflow 0
		.amdhsa_workgroup_processor_mode 1
		.amdhsa_memory_ordered 1
		.amdhsa_forward_progress 0
		.amdhsa_shared_vgpr_count 0
		.amdhsa_exception_fp_ieee_invalid_op 0
		.amdhsa_exception_fp_denorm_src 0
		.amdhsa_exception_fp_ieee_div_zero 0
		.amdhsa_exception_fp_ieee_overflow 0
		.amdhsa_exception_fp_ieee_underflow 0
		.amdhsa_exception_fp_ieee_inexact 0
		.amdhsa_exception_int_div_zero 0
	.end_amdhsa_kernel
	.section	.text._ZN7rocprim17ROCPRIM_400000_NS6detail17trampoline_kernelINS0_14default_configENS1_25partition_config_selectorILNS1_17partition_subalgoE6EjNS0_10empty_typeEbEEZZNS1_14partition_implILS5_6ELb0ES3_mN6thrust23THRUST_200600_302600_NS6detail15normal_iteratorINSA_10device_ptrIjEEEEPS6_SG_NS0_5tupleIJSF_S6_EEENSH_IJSG_SG_EEES6_PlJ7is_evenIjEEEE10hipError_tPvRmT3_T4_T5_T6_T7_T9_mT8_P12ihipStream_tbDpT10_ENKUlT_T0_E_clISt17integral_constantIbLb1EES16_EEDaS11_S12_EUlS11_E_NS1_11comp_targetILNS1_3genE8ELNS1_11target_archE1030ELNS1_3gpuE2ELNS1_3repE0EEENS1_30default_config_static_selectorELNS0_4arch9wavefront6targetE0EEEvT1_,"axG",@progbits,_ZN7rocprim17ROCPRIM_400000_NS6detail17trampoline_kernelINS0_14default_configENS1_25partition_config_selectorILNS1_17partition_subalgoE6EjNS0_10empty_typeEbEEZZNS1_14partition_implILS5_6ELb0ES3_mN6thrust23THRUST_200600_302600_NS6detail15normal_iteratorINSA_10device_ptrIjEEEEPS6_SG_NS0_5tupleIJSF_S6_EEENSH_IJSG_SG_EEES6_PlJ7is_evenIjEEEE10hipError_tPvRmT3_T4_T5_T6_T7_T9_mT8_P12ihipStream_tbDpT10_ENKUlT_T0_E_clISt17integral_constantIbLb1EES16_EEDaS11_S12_EUlS11_E_NS1_11comp_targetILNS1_3genE8ELNS1_11target_archE1030ELNS1_3gpuE2ELNS1_3repE0EEENS1_30default_config_static_selectorELNS0_4arch9wavefront6targetE0EEEvT1_,comdat
.Lfunc_end311:
	.size	_ZN7rocprim17ROCPRIM_400000_NS6detail17trampoline_kernelINS0_14default_configENS1_25partition_config_selectorILNS1_17partition_subalgoE6EjNS0_10empty_typeEbEEZZNS1_14partition_implILS5_6ELb0ES3_mN6thrust23THRUST_200600_302600_NS6detail15normal_iteratorINSA_10device_ptrIjEEEEPS6_SG_NS0_5tupleIJSF_S6_EEENSH_IJSG_SG_EEES6_PlJ7is_evenIjEEEE10hipError_tPvRmT3_T4_T5_T6_T7_T9_mT8_P12ihipStream_tbDpT10_ENKUlT_T0_E_clISt17integral_constantIbLb1EES16_EEDaS11_S12_EUlS11_E_NS1_11comp_targetILNS1_3genE8ELNS1_11target_archE1030ELNS1_3gpuE2ELNS1_3repE0EEENS1_30default_config_static_selectorELNS0_4arch9wavefront6targetE0EEEvT1_, .Lfunc_end311-_ZN7rocprim17ROCPRIM_400000_NS6detail17trampoline_kernelINS0_14default_configENS1_25partition_config_selectorILNS1_17partition_subalgoE6EjNS0_10empty_typeEbEEZZNS1_14partition_implILS5_6ELb0ES3_mN6thrust23THRUST_200600_302600_NS6detail15normal_iteratorINSA_10device_ptrIjEEEEPS6_SG_NS0_5tupleIJSF_S6_EEENSH_IJSG_SG_EEES6_PlJ7is_evenIjEEEE10hipError_tPvRmT3_T4_T5_T6_T7_T9_mT8_P12ihipStream_tbDpT10_ENKUlT_T0_E_clISt17integral_constantIbLb1EES16_EEDaS11_S12_EUlS11_E_NS1_11comp_targetILNS1_3genE8ELNS1_11target_archE1030ELNS1_3gpuE2ELNS1_3repE0EEENS1_30default_config_static_selectorELNS0_4arch9wavefront6targetE0EEEvT1_
                                        ; -- End function
	.section	.AMDGPU.csdata,"",@progbits
; Kernel info:
; codeLenInByte = 0
; NumSgprs: 0
; NumVgprs: 0
; ScratchSize: 0
; MemoryBound: 0
; FloatMode: 240
; IeeeMode: 1
; LDSByteSize: 0 bytes/workgroup (compile time only)
; SGPRBlocks: 0
; VGPRBlocks: 0
; NumSGPRsForWavesPerEU: 1
; NumVGPRsForWavesPerEU: 1
; Occupancy: 16
; WaveLimiterHint : 0
; COMPUTE_PGM_RSRC2:SCRATCH_EN: 0
; COMPUTE_PGM_RSRC2:USER_SGPR: 15
; COMPUTE_PGM_RSRC2:TRAP_HANDLER: 0
; COMPUTE_PGM_RSRC2:TGID_X_EN: 1
; COMPUTE_PGM_RSRC2:TGID_Y_EN: 0
; COMPUTE_PGM_RSRC2:TGID_Z_EN: 0
; COMPUTE_PGM_RSRC2:TIDIG_COMP_CNT: 0
	.section	.text._ZN7rocprim17ROCPRIM_400000_NS6detail17trampoline_kernelINS0_14default_configENS1_25partition_config_selectorILNS1_17partition_subalgoE6EjNS0_10empty_typeEbEEZZNS1_14partition_implILS5_6ELb0ES3_mN6thrust23THRUST_200600_302600_NS6detail15normal_iteratorINSA_10device_ptrIjEEEEPS6_SG_NS0_5tupleIJSF_S6_EEENSH_IJSG_SG_EEES6_PlJ7is_evenIjEEEE10hipError_tPvRmT3_T4_T5_T6_T7_T9_mT8_P12ihipStream_tbDpT10_ENKUlT_T0_E_clISt17integral_constantIbLb1EES15_IbLb0EEEEDaS11_S12_EUlS11_E_NS1_11comp_targetILNS1_3genE0ELNS1_11target_archE4294967295ELNS1_3gpuE0ELNS1_3repE0EEENS1_30default_config_static_selectorELNS0_4arch9wavefront6targetE0EEEvT1_,"axG",@progbits,_ZN7rocprim17ROCPRIM_400000_NS6detail17trampoline_kernelINS0_14default_configENS1_25partition_config_selectorILNS1_17partition_subalgoE6EjNS0_10empty_typeEbEEZZNS1_14partition_implILS5_6ELb0ES3_mN6thrust23THRUST_200600_302600_NS6detail15normal_iteratorINSA_10device_ptrIjEEEEPS6_SG_NS0_5tupleIJSF_S6_EEENSH_IJSG_SG_EEES6_PlJ7is_evenIjEEEE10hipError_tPvRmT3_T4_T5_T6_T7_T9_mT8_P12ihipStream_tbDpT10_ENKUlT_T0_E_clISt17integral_constantIbLb1EES15_IbLb0EEEEDaS11_S12_EUlS11_E_NS1_11comp_targetILNS1_3genE0ELNS1_11target_archE4294967295ELNS1_3gpuE0ELNS1_3repE0EEENS1_30default_config_static_selectorELNS0_4arch9wavefront6targetE0EEEvT1_,comdat
	.protected	_ZN7rocprim17ROCPRIM_400000_NS6detail17trampoline_kernelINS0_14default_configENS1_25partition_config_selectorILNS1_17partition_subalgoE6EjNS0_10empty_typeEbEEZZNS1_14partition_implILS5_6ELb0ES3_mN6thrust23THRUST_200600_302600_NS6detail15normal_iteratorINSA_10device_ptrIjEEEEPS6_SG_NS0_5tupleIJSF_S6_EEENSH_IJSG_SG_EEES6_PlJ7is_evenIjEEEE10hipError_tPvRmT3_T4_T5_T6_T7_T9_mT8_P12ihipStream_tbDpT10_ENKUlT_T0_E_clISt17integral_constantIbLb1EES15_IbLb0EEEEDaS11_S12_EUlS11_E_NS1_11comp_targetILNS1_3genE0ELNS1_11target_archE4294967295ELNS1_3gpuE0ELNS1_3repE0EEENS1_30default_config_static_selectorELNS0_4arch9wavefront6targetE0EEEvT1_ ; -- Begin function _ZN7rocprim17ROCPRIM_400000_NS6detail17trampoline_kernelINS0_14default_configENS1_25partition_config_selectorILNS1_17partition_subalgoE6EjNS0_10empty_typeEbEEZZNS1_14partition_implILS5_6ELb0ES3_mN6thrust23THRUST_200600_302600_NS6detail15normal_iteratorINSA_10device_ptrIjEEEEPS6_SG_NS0_5tupleIJSF_S6_EEENSH_IJSG_SG_EEES6_PlJ7is_evenIjEEEE10hipError_tPvRmT3_T4_T5_T6_T7_T9_mT8_P12ihipStream_tbDpT10_ENKUlT_T0_E_clISt17integral_constantIbLb1EES15_IbLb0EEEEDaS11_S12_EUlS11_E_NS1_11comp_targetILNS1_3genE0ELNS1_11target_archE4294967295ELNS1_3gpuE0ELNS1_3repE0EEENS1_30default_config_static_selectorELNS0_4arch9wavefront6targetE0EEEvT1_
	.globl	_ZN7rocprim17ROCPRIM_400000_NS6detail17trampoline_kernelINS0_14default_configENS1_25partition_config_selectorILNS1_17partition_subalgoE6EjNS0_10empty_typeEbEEZZNS1_14partition_implILS5_6ELb0ES3_mN6thrust23THRUST_200600_302600_NS6detail15normal_iteratorINSA_10device_ptrIjEEEEPS6_SG_NS0_5tupleIJSF_S6_EEENSH_IJSG_SG_EEES6_PlJ7is_evenIjEEEE10hipError_tPvRmT3_T4_T5_T6_T7_T9_mT8_P12ihipStream_tbDpT10_ENKUlT_T0_E_clISt17integral_constantIbLb1EES15_IbLb0EEEEDaS11_S12_EUlS11_E_NS1_11comp_targetILNS1_3genE0ELNS1_11target_archE4294967295ELNS1_3gpuE0ELNS1_3repE0EEENS1_30default_config_static_selectorELNS0_4arch9wavefront6targetE0EEEvT1_
	.p2align	8
	.type	_ZN7rocprim17ROCPRIM_400000_NS6detail17trampoline_kernelINS0_14default_configENS1_25partition_config_selectorILNS1_17partition_subalgoE6EjNS0_10empty_typeEbEEZZNS1_14partition_implILS5_6ELb0ES3_mN6thrust23THRUST_200600_302600_NS6detail15normal_iteratorINSA_10device_ptrIjEEEEPS6_SG_NS0_5tupleIJSF_S6_EEENSH_IJSG_SG_EEES6_PlJ7is_evenIjEEEE10hipError_tPvRmT3_T4_T5_T6_T7_T9_mT8_P12ihipStream_tbDpT10_ENKUlT_T0_E_clISt17integral_constantIbLb1EES15_IbLb0EEEEDaS11_S12_EUlS11_E_NS1_11comp_targetILNS1_3genE0ELNS1_11target_archE4294967295ELNS1_3gpuE0ELNS1_3repE0EEENS1_30default_config_static_selectorELNS0_4arch9wavefront6targetE0EEEvT1_,@function
_ZN7rocprim17ROCPRIM_400000_NS6detail17trampoline_kernelINS0_14default_configENS1_25partition_config_selectorILNS1_17partition_subalgoE6EjNS0_10empty_typeEbEEZZNS1_14partition_implILS5_6ELb0ES3_mN6thrust23THRUST_200600_302600_NS6detail15normal_iteratorINSA_10device_ptrIjEEEEPS6_SG_NS0_5tupleIJSF_S6_EEENSH_IJSG_SG_EEES6_PlJ7is_evenIjEEEE10hipError_tPvRmT3_T4_T5_T6_T7_T9_mT8_P12ihipStream_tbDpT10_ENKUlT_T0_E_clISt17integral_constantIbLb1EES15_IbLb0EEEEDaS11_S12_EUlS11_E_NS1_11comp_targetILNS1_3genE0ELNS1_11target_archE4294967295ELNS1_3gpuE0ELNS1_3repE0EEENS1_30default_config_static_selectorELNS0_4arch9wavefront6targetE0EEEvT1_: ; @_ZN7rocprim17ROCPRIM_400000_NS6detail17trampoline_kernelINS0_14default_configENS1_25partition_config_selectorILNS1_17partition_subalgoE6EjNS0_10empty_typeEbEEZZNS1_14partition_implILS5_6ELb0ES3_mN6thrust23THRUST_200600_302600_NS6detail15normal_iteratorINSA_10device_ptrIjEEEEPS6_SG_NS0_5tupleIJSF_S6_EEENSH_IJSG_SG_EEES6_PlJ7is_evenIjEEEE10hipError_tPvRmT3_T4_T5_T6_T7_T9_mT8_P12ihipStream_tbDpT10_ENKUlT_T0_E_clISt17integral_constantIbLb1EES15_IbLb0EEEEDaS11_S12_EUlS11_E_NS1_11comp_targetILNS1_3genE0ELNS1_11target_archE4294967295ELNS1_3gpuE0ELNS1_3repE0EEENS1_30default_config_static_selectorELNS0_4arch9wavefront6targetE0EEEvT1_
; %bb.0:
	.section	.rodata,"a",@progbits
	.p2align	6, 0x0
	.amdhsa_kernel _ZN7rocprim17ROCPRIM_400000_NS6detail17trampoline_kernelINS0_14default_configENS1_25partition_config_selectorILNS1_17partition_subalgoE6EjNS0_10empty_typeEbEEZZNS1_14partition_implILS5_6ELb0ES3_mN6thrust23THRUST_200600_302600_NS6detail15normal_iteratorINSA_10device_ptrIjEEEEPS6_SG_NS0_5tupleIJSF_S6_EEENSH_IJSG_SG_EEES6_PlJ7is_evenIjEEEE10hipError_tPvRmT3_T4_T5_T6_T7_T9_mT8_P12ihipStream_tbDpT10_ENKUlT_T0_E_clISt17integral_constantIbLb1EES15_IbLb0EEEEDaS11_S12_EUlS11_E_NS1_11comp_targetILNS1_3genE0ELNS1_11target_archE4294967295ELNS1_3gpuE0ELNS1_3repE0EEENS1_30default_config_static_selectorELNS0_4arch9wavefront6targetE0EEEvT1_
		.amdhsa_group_segment_fixed_size 0
		.amdhsa_private_segment_fixed_size 0
		.amdhsa_kernarg_size 112
		.amdhsa_user_sgpr_count 15
		.amdhsa_user_sgpr_dispatch_ptr 0
		.amdhsa_user_sgpr_queue_ptr 0
		.amdhsa_user_sgpr_kernarg_segment_ptr 1
		.amdhsa_user_sgpr_dispatch_id 0
		.amdhsa_user_sgpr_private_segment_size 0
		.amdhsa_wavefront_size32 1
		.amdhsa_uses_dynamic_stack 0
		.amdhsa_enable_private_segment 0
		.amdhsa_system_sgpr_workgroup_id_x 1
		.amdhsa_system_sgpr_workgroup_id_y 0
		.amdhsa_system_sgpr_workgroup_id_z 0
		.amdhsa_system_sgpr_workgroup_info 0
		.amdhsa_system_vgpr_workitem_id 0
		.amdhsa_next_free_vgpr 1
		.amdhsa_next_free_sgpr 1
		.amdhsa_reserve_vcc 0
		.amdhsa_float_round_mode_32 0
		.amdhsa_float_round_mode_16_64 0
		.amdhsa_float_denorm_mode_32 3
		.amdhsa_float_denorm_mode_16_64 3
		.amdhsa_dx10_clamp 1
		.amdhsa_ieee_mode 1
		.amdhsa_fp16_overflow 0
		.amdhsa_workgroup_processor_mode 1
		.amdhsa_memory_ordered 1
		.amdhsa_forward_progress 0
		.amdhsa_shared_vgpr_count 0
		.amdhsa_exception_fp_ieee_invalid_op 0
		.amdhsa_exception_fp_denorm_src 0
		.amdhsa_exception_fp_ieee_div_zero 0
		.amdhsa_exception_fp_ieee_overflow 0
		.amdhsa_exception_fp_ieee_underflow 0
		.amdhsa_exception_fp_ieee_inexact 0
		.amdhsa_exception_int_div_zero 0
	.end_amdhsa_kernel
	.section	.text._ZN7rocprim17ROCPRIM_400000_NS6detail17trampoline_kernelINS0_14default_configENS1_25partition_config_selectorILNS1_17partition_subalgoE6EjNS0_10empty_typeEbEEZZNS1_14partition_implILS5_6ELb0ES3_mN6thrust23THRUST_200600_302600_NS6detail15normal_iteratorINSA_10device_ptrIjEEEEPS6_SG_NS0_5tupleIJSF_S6_EEENSH_IJSG_SG_EEES6_PlJ7is_evenIjEEEE10hipError_tPvRmT3_T4_T5_T6_T7_T9_mT8_P12ihipStream_tbDpT10_ENKUlT_T0_E_clISt17integral_constantIbLb1EES15_IbLb0EEEEDaS11_S12_EUlS11_E_NS1_11comp_targetILNS1_3genE0ELNS1_11target_archE4294967295ELNS1_3gpuE0ELNS1_3repE0EEENS1_30default_config_static_selectorELNS0_4arch9wavefront6targetE0EEEvT1_,"axG",@progbits,_ZN7rocprim17ROCPRIM_400000_NS6detail17trampoline_kernelINS0_14default_configENS1_25partition_config_selectorILNS1_17partition_subalgoE6EjNS0_10empty_typeEbEEZZNS1_14partition_implILS5_6ELb0ES3_mN6thrust23THRUST_200600_302600_NS6detail15normal_iteratorINSA_10device_ptrIjEEEEPS6_SG_NS0_5tupleIJSF_S6_EEENSH_IJSG_SG_EEES6_PlJ7is_evenIjEEEE10hipError_tPvRmT3_T4_T5_T6_T7_T9_mT8_P12ihipStream_tbDpT10_ENKUlT_T0_E_clISt17integral_constantIbLb1EES15_IbLb0EEEEDaS11_S12_EUlS11_E_NS1_11comp_targetILNS1_3genE0ELNS1_11target_archE4294967295ELNS1_3gpuE0ELNS1_3repE0EEENS1_30default_config_static_selectorELNS0_4arch9wavefront6targetE0EEEvT1_,comdat
.Lfunc_end312:
	.size	_ZN7rocprim17ROCPRIM_400000_NS6detail17trampoline_kernelINS0_14default_configENS1_25partition_config_selectorILNS1_17partition_subalgoE6EjNS0_10empty_typeEbEEZZNS1_14partition_implILS5_6ELb0ES3_mN6thrust23THRUST_200600_302600_NS6detail15normal_iteratorINSA_10device_ptrIjEEEEPS6_SG_NS0_5tupleIJSF_S6_EEENSH_IJSG_SG_EEES6_PlJ7is_evenIjEEEE10hipError_tPvRmT3_T4_T5_T6_T7_T9_mT8_P12ihipStream_tbDpT10_ENKUlT_T0_E_clISt17integral_constantIbLb1EES15_IbLb0EEEEDaS11_S12_EUlS11_E_NS1_11comp_targetILNS1_3genE0ELNS1_11target_archE4294967295ELNS1_3gpuE0ELNS1_3repE0EEENS1_30default_config_static_selectorELNS0_4arch9wavefront6targetE0EEEvT1_, .Lfunc_end312-_ZN7rocprim17ROCPRIM_400000_NS6detail17trampoline_kernelINS0_14default_configENS1_25partition_config_selectorILNS1_17partition_subalgoE6EjNS0_10empty_typeEbEEZZNS1_14partition_implILS5_6ELb0ES3_mN6thrust23THRUST_200600_302600_NS6detail15normal_iteratorINSA_10device_ptrIjEEEEPS6_SG_NS0_5tupleIJSF_S6_EEENSH_IJSG_SG_EEES6_PlJ7is_evenIjEEEE10hipError_tPvRmT3_T4_T5_T6_T7_T9_mT8_P12ihipStream_tbDpT10_ENKUlT_T0_E_clISt17integral_constantIbLb1EES15_IbLb0EEEEDaS11_S12_EUlS11_E_NS1_11comp_targetILNS1_3genE0ELNS1_11target_archE4294967295ELNS1_3gpuE0ELNS1_3repE0EEENS1_30default_config_static_selectorELNS0_4arch9wavefront6targetE0EEEvT1_
                                        ; -- End function
	.section	.AMDGPU.csdata,"",@progbits
; Kernel info:
; codeLenInByte = 0
; NumSgprs: 0
; NumVgprs: 0
; ScratchSize: 0
; MemoryBound: 0
; FloatMode: 240
; IeeeMode: 1
; LDSByteSize: 0 bytes/workgroup (compile time only)
; SGPRBlocks: 0
; VGPRBlocks: 0
; NumSGPRsForWavesPerEU: 1
; NumVGPRsForWavesPerEU: 1
; Occupancy: 16
; WaveLimiterHint : 0
; COMPUTE_PGM_RSRC2:SCRATCH_EN: 0
; COMPUTE_PGM_RSRC2:USER_SGPR: 15
; COMPUTE_PGM_RSRC2:TRAP_HANDLER: 0
; COMPUTE_PGM_RSRC2:TGID_X_EN: 1
; COMPUTE_PGM_RSRC2:TGID_Y_EN: 0
; COMPUTE_PGM_RSRC2:TGID_Z_EN: 0
; COMPUTE_PGM_RSRC2:TIDIG_COMP_CNT: 0
	.section	.text._ZN7rocprim17ROCPRIM_400000_NS6detail17trampoline_kernelINS0_14default_configENS1_25partition_config_selectorILNS1_17partition_subalgoE6EjNS0_10empty_typeEbEEZZNS1_14partition_implILS5_6ELb0ES3_mN6thrust23THRUST_200600_302600_NS6detail15normal_iteratorINSA_10device_ptrIjEEEEPS6_SG_NS0_5tupleIJSF_S6_EEENSH_IJSG_SG_EEES6_PlJ7is_evenIjEEEE10hipError_tPvRmT3_T4_T5_T6_T7_T9_mT8_P12ihipStream_tbDpT10_ENKUlT_T0_E_clISt17integral_constantIbLb1EES15_IbLb0EEEEDaS11_S12_EUlS11_E_NS1_11comp_targetILNS1_3genE5ELNS1_11target_archE942ELNS1_3gpuE9ELNS1_3repE0EEENS1_30default_config_static_selectorELNS0_4arch9wavefront6targetE0EEEvT1_,"axG",@progbits,_ZN7rocprim17ROCPRIM_400000_NS6detail17trampoline_kernelINS0_14default_configENS1_25partition_config_selectorILNS1_17partition_subalgoE6EjNS0_10empty_typeEbEEZZNS1_14partition_implILS5_6ELb0ES3_mN6thrust23THRUST_200600_302600_NS6detail15normal_iteratorINSA_10device_ptrIjEEEEPS6_SG_NS0_5tupleIJSF_S6_EEENSH_IJSG_SG_EEES6_PlJ7is_evenIjEEEE10hipError_tPvRmT3_T4_T5_T6_T7_T9_mT8_P12ihipStream_tbDpT10_ENKUlT_T0_E_clISt17integral_constantIbLb1EES15_IbLb0EEEEDaS11_S12_EUlS11_E_NS1_11comp_targetILNS1_3genE5ELNS1_11target_archE942ELNS1_3gpuE9ELNS1_3repE0EEENS1_30default_config_static_selectorELNS0_4arch9wavefront6targetE0EEEvT1_,comdat
	.protected	_ZN7rocprim17ROCPRIM_400000_NS6detail17trampoline_kernelINS0_14default_configENS1_25partition_config_selectorILNS1_17partition_subalgoE6EjNS0_10empty_typeEbEEZZNS1_14partition_implILS5_6ELb0ES3_mN6thrust23THRUST_200600_302600_NS6detail15normal_iteratorINSA_10device_ptrIjEEEEPS6_SG_NS0_5tupleIJSF_S6_EEENSH_IJSG_SG_EEES6_PlJ7is_evenIjEEEE10hipError_tPvRmT3_T4_T5_T6_T7_T9_mT8_P12ihipStream_tbDpT10_ENKUlT_T0_E_clISt17integral_constantIbLb1EES15_IbLb0EEEEDaS11_S12_EUlS11_E_NS1_11comp_targetILNS1_3genE5ELNS1_11target_archE942ELNS1_3gpuE9ELNS1_3repE0EEENS1_30default_config_static_selectorELNS0_4arch9wavefront6targetE0EEEvT1_ ; -- Begin function _ZN7rocprim17ROCPRIM_400000_NS6detail17trampoline_kernelINS0_14default_configENS1_25partition_config_selectorILNS1_17partition_subalgoE6EjNS0_10empty_typeEbEEZZNS1_14partition_implILS5_6ELb0ES3_mN6thrust23THRUST_200600_302600_NS6detail15normal_iteratorINSA_10device_ptrIjEEEEPS6_SG_NS0_5tupleIJSF_S6_EEENSH_IJSG_SG_EEES6_PlJ7is_evenIjEEEE10hipError_tPvRmT3_T4_T5_T6_T7_T9_mT8_P12ihipStream_tbDpT10_ENKUlT_T0_E_clISt17integral_constantIbLb1EES15_IbLb0EEEEDaS11_S12_EUlS11_E_NS1_11comp_targetILNS1_3genE5ELNS1_11target_archE942ELNS1_3gpuE9ELNS1_3repE0EEENS1_30default_config_static_selectorELNS0_4arch9wavefront6targetE0EEEvT1_
	.globl	_ZN7rocprim17ROCPRIM_400000_NS6detail17trampoline_kernelINS0_14default_configENS1_25partition_config_selectorILNS1_17partition_subalgoE6EjNS0_10empty_typeEbEEZZNS1_14partition_implILS5_6ELb0ES3_mN6thrust23THRUST_200600_302600_NS6detail15normal_iteratorINSA_10device_ptrIjEEEEPS6_SG_NS0_5tupleIJSF_S6_EEENSH_IJSG_SG_EEES6_PlJ7is_evenIjEEEE10hipError_tPvRmT3_T4_T5_T6_T7_T9_mT8_P12ihipStream_tbDpT10_ENKUlT_T0_E_clISt17integral_constantIbLb1EES15_IbLb0EEEEDaS11_S12_EUlS11_E_NS1_11comp_targetILNS1_3genE5ELNS1_11target_archE942ELNS1_3gpuE9ELNS1_3repE0EEENS1_30default_config_static_selectorELNS0_4arch9wavefront6targetE0EEEvT1_
	.p2align	8
	.type	_ZN7rocprim17ROCPRIM_400000_NS6detail17trampoline_kernelINS0_14default_configENS1_25partition_config_selectorILNS1_17partition_subalgoE6EjNS0_10empty_typeEbEEZZNS1_14partition_implILS5_6ELb0ES3_mN6thrust23THRUST_200600_302600_NS6detail15normal_iteratorINSA_10device_ptrIjEEEEPS6_SG_NS0_5tupleIJSF_S6_EEENSH_IJSG_SG_EEES6_PlJ7is_evenIjEEEE10hipError_tPvRmT3_T4_T5_T6_T7_T9_mT8_P12ihipStream_tbDpT10_ENKUlT_T0_E_clISt17integral_constantIbLb1EES15_IbLb0EEEEDaS11_S12_EUlS11_E_NS1_11comp_targetILNS1_3genE5ELNS1_11target_archE942ELNS1_3gpuE9ELNS1_3repE0EEENS1_30default_config_static_selectorELNS0_4arch9wavefront6targetE0EEEvT1_,@function
_ZN7rocprim17ROCPRIM_400000_NS6detail17trampoline_kernelINS0_14default_configENS1_25partition_config_selectorILNS1_17partition_subalgoE6EjNS0_10empty_typeEbEEZZNS1_14partition_implILS5_6ELb0ES3_mN6thrust23THRUST_200600_302600_NS6detail15normal_iteratorINSA_10device_ptrIjEEEEPS6_SG_NS0_5tupleIJSF_S6_EEENSH_IJSG_SG_EEES6_PlJ7is_evenIjEEEE10hipError_tPvRmT3_T4_T5_T6_T7_T9_mT8_P12ihipStream_tbDpT10_ENKUlT_T0_E_clISt17integral_constantIbLb1EES15_IbLb0EEEEDaS11_S12_EUlS11_E_NS1_11comp_targetILNS1_3genE5ELNS1_11target_archE942ELNS1_3gpuE9ELNS1_3repE0EEENS1_30default_config_static_selectorELNS0_4arch9wavefront6targetE0EEEvT1_: ; @_ZN7rocprim17ROCPRIM_400000_NS6detail17trampoline_kernelINS0_14default_configENS1_25partition_config_selectorILNS1_17partition_subalgoE6EjNS0_10empty_typeEbEEZZNS1_14partition_implILS5_6ELb0ES3_mN6thrust23THRUST_200600_302600_NS6detail15normal_iteratorINSA_10device_ptrIjEEEEPS6_SG_NS0_5tupleIJSF_S6_EEENSH_IJSG_SG_EEES6_PlJ7is_evenIjEEEE10hipError_tPvRmT3_T4_T5_T6_T7_T9_mT8_P12ihipStream_tbDpT10_ENKUlT_T0_E_clISt17integral_constantIbLb1EES15_IbLb0EEEEDaS11_S12_EUlS11_E_NS1_11comp_targetILNS1_3genE5ELNS1_11target_archE942ELNS1_3gpuE9ELNS1_3repE0EEENS1_30default_config_static_selectorELNS0_4arch9wavefront6targetE0EEEvT1_
; %bb.0:
	.section	.rodata,"a",@progbits
	.p2align	6, 0x0
	.amdhsa_kernel _ZN7rocprim17ROCPRIM_400000_NS6detail17trampoline_kernelINS0_14default_configENS1_25partition_config_selectorILNS1_17partition_subalgoE6EjNS0_10empty_typeEbEEZZNS1_14partition_implILS5_6ELb0ES3_mN6thrust23THRUST_200600_302600_NS6detail15normal_iteratorINSA_10device_ptrIjEEEEPS6_SG_NS0_5tupleIJSF_S6_EEENSH_IJSG_SG_EEES6_PlJ7is_evenIjEEEE10hipError_tPvRmT3_T4_T5_T6_T7_T9_mT8_P12ihipStream_tbDpT10_ENKUlT_T0_E_clISt17integral_constantIbLb1EES15_IbLb0EEEEDaS11_S12_EUlS11_E_NS1_11comp_targetILNS1_3genE5ELNS1_11target_archE942ELNS1_3gpuE9ELNS1_3repE0EEENS1_30default_config_static_selectorELNS0_4arch9wavefront6targetE0EEEvT1_
		.amdhsa_group_segment_fixed_size 0
		.amdhsa_private_segment_fixed_size 0
		.amdhsa_kernarg_size 112
		.amdhsa_user_sgpr_count 15
		.amdhsa_user_sgpr_dispatch_ptr 0
		.amdhsa_user_sgpr_queue_ptr 0
		.amdhsa_user_sgpr_kernarg_segment_ptr 1
		.amdhsa_user_sgpr_dispatch_id 0
		.amdhsa_user_sgpr_private_segment_size 0
		.amdhsa_wavefront_size32 1
		.amdhsa_uses_dynamic_stack 0
		.amdhsa_enable_private_segment 0
		.amdhsa_system_sgpr_workgroup_id_x 1
		.amdhsa_system_sgpr_workgroup_id_y 0
		.amdhsa_system_sgpr_workgroup_id_z 0
		.amdhsa_system_sgpr_workgroup_info 0
		.amdhsa_system_vgpr_workitem_id 0
		.amdhsa_next_free_vgpr 1
		.amdhsa_next_free_sgpr 1
		.amdhsa_reserve_vcc 0
		.amdhsa_float_round_mode_32 0
		.amdhsa_float_round_mode_16_64 0
		.amdhsa_float_denorm_mode_32 3
		.amdhsa_float_denorm_mode_16_64 3
		.amdhsa_dx10_clamp 1
		.amdhsa_ieee_mode 1
		.amdhsa_fp16_overflow 0
		.amdhsa_workgroup_processor_mode 1
		.amdhsa_memory_ordered 1
		.amdhsa_forward_progress 0
		.amdhsa_shared_vgpr_count 0
		.amdhsa_exception_fp_ieee_invalid_op 0
		.amdhsa_exception_fp_denorm_src 0
		.amdhsa_exception_fp_ieee_div_zero 0
		.amdhsa_exception_fp_ieee_overflow 0
		.amdhsa_exception_fp_ieee_underflow 0
		.amdhsa_exception_fp_ieee_inexact 0
		.amdhsa_exception_int_div_zero 0
	.end_amdhsa_kernel
	.section	.text._ZN7rocprim17ROCPRIM_400000_NS6detail17trampoline_kernelINS0_14default_configENS1_25partition_config_selectorILNS1_17partition_subalgoE6EjNS0_10empty_typeEbEEZZNS1_14partition_implILS5_6ELb0ES3_mN6thrust23THRUST_200600_302600_NS6detail15normal_iteratorINSA_10device_ptrIjEEEEPS6_SG_NS0_5tupleIJSF_S6_EEENSH_IJSG_SG_EEES6_PlJ7is_evenIjEEEE10hipError_tPvRmT3_T4_T5_T6_T7_T9_mT8_P12ihipStream_tbDpT10_ENKUlT_T0_E_clISt17integral_constantIbLb1EES15_IbLb0EEEEDaS11_S12_EUlS11_E_NS1_11comp_targetILNS1_3genE5ELNS1_11target_archE942ELNS1_3gpuE9ELNS1_3repE0EEENS1_30default_config_static_selectorELNS0_4arch9wavefront6targetE0EEEvT1_,"axG",@progbits,_ZN7rocprim17ROCPRIM_400000_NS6detail17trampoline_kernelINS0_14default_configENS1_25partition_config_selectorILNS1_17partition_subalgoE6EjNS0_10empty_typeEbEEZZNS1_14partition_implILS5_6ELb0ES3_mN6thrust23THRUST_200600_302600_NS6detail15normal_iteratorINSA_10device_ptrIjEEEEPS6_SG_NS0_5tupleIJSF_S6_EEENSH_IJSG_SG_EEES6_PlJ7is_evenIjEEEE10hipError_tPvRmT3_T4_T5_T6_T7_T9_mT8_P12ihipStream_tbDpT10_ENKUlT_T0_E_clISt17integral_constantIbLb1EES15_IbLb0EEEEDaS11_S12_EUlS11_E_NS1_11comp_targetILNS1_3genE5ELNS1_11target_archE942ELNS1_3gpuE9ELNS1_3repE0EEENS1_30default_config_static_selectorELNS0_4arch9wavefront6targetE0EEEvT1_,comdat
.Lfunc_end313:
	.size	_ZN7rocprim17ROCPRIM_400000_NS6detail17trampoline_kernelINS0_14default_configENS1_25partition_config_selectorILNS1_17partition_subalgoE6EjNS0_10empty_typeEbEEZZNS1_14partition_implILS5_6ELb0ES3_mN6thrust23THRUST_200600_302600_NS6detail15normal_iteratorINSA_10device_ptrIjEEEEPS6_SG_NS0_5tupleIJSF_S6_EEENSH_IJSG_SG_EEES6_PlJ7is_evenIjEEEE10hipError_tPvRmT3_T4_T5_T6_T7_T9_mT8_P12ihipStream_tbDpT10_ENKUlT_T0_E_clISt17integral_constantIbLb1EES15_IbLb0EEEEDaS11_S12_EUlS11_E_NS1_11comp_targetILNS1_3genE5ELNS1_11target_archE942ELNS1_3gpuE9ELNS1_3repE0EEENS1_30default_config_static_selectorELNS0_4arch9wavefront6targetE0EEEvT1_, .Lfunc_end313-_ZN7rocprim17ROCPRIM_400000_NS6detail17trampoline_kernelINS0_14default_configENS1_25partition_config_selectorILNS1_17partition_subalgoE6EjNS0_10empty_typeEbEEZZNS1_14partition_implILS5_6ELb0ES3_mN6thrust23THRUST_200600_302600_NS6detail15normal_iteratorINSA_10device_ptrIjEEEEPS6_SG_NS0_5tupleIJSF_S6_EEENSH_IJSG_SG_EEES6_PlJ7is_evenIjEEEE10hipError_tPvRmT3_T4_T5_T6_T7_T9_mT8_P12ihipStream_tbDpT10_ENKUlT_T0_E_clISt17integral_constantIbLb1EES15_IbLb0EEEEDaS11_S12_EUlS11_E_NS1_11comp_targetILNS1_3genE5ELNS1_11target_archE942ELNS1_3gpuE9ELNS1_3repE0EEENS1_30default_config_static_selectorELNS0_4arch9wavefront6targetE0EEEvT1_
                                        ; -- End function
	.section	.AMDGPU.csdata,"",@progbits
; Kernel info:
; codeLenInByte = 0
; NumSgprs: 0
; NumVgprs: 0
; ScratchSize: 0
; MemoryBound: 0
; FloatMode: 240
; IeeeMode: 1
; LDSByteSize: 0 bytes/workgroup (compile time only)
; SGPRBlocks: 0
; VGPRBlocks: 0
; NumSGPRsForWavesPerEU: 1
; NumVGPRsForWavesPerEU: 1
; Occupancy: 16
; WaveLimiterHint : 0
; COMPUTE_PGM_RSRC2:SCRATCH_EN: 0
; COMPUTE_PGM_RSRC2:USER_SGPR: 15
; COMPUTE_PGM_RSRC2:TRAP_HANDLER: 0
; COMPUTE_PGM_RSRC2:TGID_X_EN: 1
; COMPUTE_PGM_RSRC2:TGID_Y_EN: 0
; COMPUTE_PGM_RSRC2:TGID_Z_EN: 0
; COMPUTE_PGM_RSRC2:TIDIG_COMP_CNT: 0
	.section	.text._ZN7rocprim17ROCPRIM_400000_NS6detail17trampoline_kernelINS0_14default_configENS1_25partition_config_selectorILNS1_17partition_subalgoE6EjNS0_10empty_typeEbEEZZNS1_14partition_implILS5_6ELb0ES3_mN6thrust23THRUST_200600_302600_NS6detail15normal_iteratorINSA_10device_ptrIjEEEEPS6_SG_NS0_5tupleIJSF_S6_EEENSH_IJSG_SG_EEES6_PlJ7is_evenIjEEEE10hipError_tPvRmT3_T4_T5_T6_T7_T9_mT8_P12ihipStream_tbDpT10_ENKUlT_T0_E_clISt17integral_constantIbLb1EES15_IbLb0EEEEDaS11_S12_EUlS11_E_NS1_11comp_targetILNS1_3genE4ELNS1_11target_archE910ELNS1_3gpuE8ELNS1_3repE0EEENS1_30default_config_static_selectorELNS0_4arch9wavefront6targetE0EEEvT1_,"axG",@progbits,_ZN7rocprim17ROCPRIM_400000_NS6detail17trampoline_kernelINS0_14default_configENS1_25partition_config_selectorILNS1_17partition_subalgoE6EjNS0_10empty_typeEbEEZZNS1_14partition_implILS5_6ELb0ES3_mN6thrust23THRUST_200600_302600_NS6detail15normal_iteratorINSA_10device_ptrIjEEEEPS6_SG_NS0_5tupleIJSF_S6_EEENSH_IJSG_SG_EEES6_PlJ7is_evenIjEEEE10hipError_tPvRmT3_T4_T5_T6_T7_T9_mT8_P12ihipStream_tbDpT10_ENKUlT_T0_E_clISt17integral_constantIbLb1EES15_IbLb0EEEEDaS11_S12_EUlS11_E_NS1_11comp_targetILNS1_3genE4ELNS1_11target_archE910ELNS1_3gpuE8ELNS1_3repE0EEENS1_30default_config_static_selectorELNS0_4arch9wavefront6targetE0EEEvT1_,comdat
	.protected	_ZN7rocprim17ROCPRIM_400000_NS6detail17trampoline_kernelINS0_14default_configENS1_25partition_config_selectorILNS1_17partition_subalgoE6EjNS0_10empty_typeEbEEZZNS1_14partition_implILS5_6ELb0ES3_mN6thrust23THRUST_200600_302600_NS6detail15normal_iteratorINSA_10device_ptrIjEEEEPS6_SG_NS0_5tupleIJSF_S6_EEENSH_IJSG_SG_EEES6_PlJ7is_evenIjEEEE10hipError_tPvRmT3_T4_T5_T6_T7_T9_mT8_P12ihipStream_tbDpT10_ENKUlT_T0_E_clISt17integral_constantIbLb1EES15_IbLb0EEEEDaS11_S12_EUlS11_E_NS1_11comp_targetILNS1_3genE4ELNS1_11target_archE910ELNS1_3gpuE8ELNS1_3repE0EEENS1_30default_config_static_selectorELNS0_4arch9wavefront6targetE0EEEvT1_ ; -- Begin function _ZN7rocprim17ROCPRIM_400000_NS6detail17trampoline_kernelINS0_14default_configENS1_25partition_config_selectorILNS1_17partition_subalgoE6EjNS0_10empty_typeEbEEZZNS1_14partition_implILS5_6ELb0ES3_mN6thrust23THRUST_200600_302600_NS6detail15normal_iteratorINSA_10device_ptrIjEEEEPS6_SG_NS0_5tupleIJSF_S6_EEENSH_IJSG_SG_EEES6_PlJ7is_evenIjEEEE10hipError_tPvRmT3_T4_T5_T6_T7_T9_mT8_P12ihipStream_tbDpT10_ENKUlT_T0_E_clISt17integral_constantIbLb1EES15_IbLb0EEEEDaS11_S12_EUlS11_E_NS1_11comp_targetILNS1_3genE4ELNS1_11target_archE910ELNS1_3gpuE8ELNS1_3repE0EEENS1_30default_config_static_selectorELNS0_4arch9wavefront6targetE0EEEvT1_
	.globl	_ZN7rocprim17ROCPRIM_400000_NS6detail17trampoline_kernelINS0_14default_configENS1_25partition_config_selectorILNS1_17partition_subalgoE6EjNS0_10empty_typeEbEEZZNS1_14partition_implILS5_6ELb0ES3_mN6thrust23THRUST_200600_302600_NS6detail15normal_iteratorINSA_10device_ptrIjEEEEPS6_SG_NS0_5tupleIJSF_S6_EEENSH_IJSG_SG_EEES6_PlJ7is_evenIjEEEE10hipError_tPvRmT3_T4_T5_T6_T7_T9_mT8_P12ihipStream_tbDpT10_ENKUlT_T0_E_clISt17integral_constantIbLb1EES15_IbLb0EEEEDaS11_S12_EUlS11_E_NS1_11comp_targetILNS1_3genE4ELNS1_11target_archE910ELNS1_3gpuE8ELNS1_3repE0EEENS1_30default_config_static_selectorELNS0_4arch9wavefront6targetE0EEEvT1_
	.p2align	8
	.type	_ZN7rocprim17ROCPRIM_400000_NS6detail17trampoline_kernelINS0_14default_configENS1_25partition_config_selectorILNS1_17partition_subalgoE6EjNS0_10empty_typeEbEEZZNS1_14partition_implILS5_6ELb0ES3_mN6thrust23THRUST_200600_302600_NS6detail15normal_iteratorINSA_10device_ptrIjEEEEPS6_SG_NS0_5tupleIJSF_S6_EEENSH_IJSG_SG_EEES6_PlJ7is_evenIjEEEE10hipError_tPvRmT3_T4_T5_T6_T7_T9_mT8_P12ihipStream_tbDpT10_ENKUlT_T0_E_clISt17integral_constantIbLb1EES15_IbLb0EEEEDaS11_S12_EUlS11_E_NS1_11comp_targetILNS1_3genE4ELNS1_11target_archE910ELNS1_3gpuE8ELNS1_3repE0EEENS1_30default_config_static_selectorELNS0_4arch9wavefront6targetE0EEEvT1_,@function
_ZN7rocprim17ROCPRIM_400000_NS6detail17trampoline_kernelINS0_14default_configENS1_25partition_config_selectorILNS1_17partition_subalgoE6EjNS0_10empty_typeEbEEZZNS1_14partition_implILS5_6ELb0ES3_mN6thrust23THRUST_200600_302600_NS6detail15normal_iteratorINSA_10device_ptrIjEEEEPS6_SG_NS0_5tupleIJSF_S6_EEENSH_IJSG_SG_EEES6_PlJ7is_evenIjEEEE10hipError_tPvRmT3_T4_T5_T6_T7_T9_mT8_P12ihipStream_tbDpT10_ENKUlT_T0_E_clISt17integral_constantIbLb1EES15_IbLb0EEEEDaS11_S12_EUlS11_E_NS1_11comp_targetILNS1_3genE4ELNS1_11target_archE910ELNS1_3gpuE8ELNS1_3repE0EEENS1_30default_config_static_selectorELNS0_4arch9wavefront6targetE0EEEvT1_: ; @_ZN7rocprim17ROCPRIM_400000_NS6detail17trampoline_kernelINS0_14default_configENS1_25partition_config_selectorILNS1_17partition_subalgoE6EjNS0_10empty_typeEbEEZZNS1_14partition_implILS5_6ELb0ES3_mN6thrust23THRUST_200600_302600_NS6detail15normal_iteratorINSA_10device_ptrIjEEEEPS6_SG_NS0_5tupleIJSF_S6_EEENSH_IJSG_SG_EEES6_PlJ7is_evenIjEEEE10hipError_tPvRmT3_T4_T5_T6_T7_T9_mT8_P12ihipStream_tbDpT10_ENKUlT_T0_E_clISt17integral_constantIbLb1EES15_IbLb0EEEEDaS11_S12_EUlS11_E_NS1_11comp_targetILNS1_3genE4ELNS1_11target_archE910ELNS1_3gpuE8ELNS1_3repE0EEENS1_30default_config_static_selectorELNS0_4arch9wavefront6targetE0EEEvT1_
; %bb.0:
	.section	.rodata,"a",@progbits
	.p2align	6, 0x0
	.amdhsa_kernel _ZN7rocprim17ROCPRIM_400000_NS6detail17trampoline_kernelINS0_14default_configENS1_25partition_config_selectorILNS1_17partition_subalgoE6EjNS0_10empty_typeEbEEZZNS1_14partition_implILS5_6ELb0ES3_mN6thrust23THRUST_200600_302600_NS6detail15normal_iteratorINSA_10device_ptrIjEEEEPS6_SG_NS0_5tupleIJSF_S6_EEENSH_IJSG_SG_EEES6_PlJ7is_evenIjEEEE10hipError_tPvRmT3_T4_T5_T6_T7_T9_mT8_P12ihipStream_tbDpT10_ENKUlT_T0_E_clISt17integral_constantIbLb1EES15_IbLb0EEEEDaS11_S12_EUlS11_E_NS1_11comp_targetILNS1_3genE4ELNS1_11target_archE910ELNS1_3gpuE8ELNS1_3repE0EEENS1_30default_config_static_selectorELNS0_4arch9wavefront6targetE0EEEvT1_
		.amdhsa_group_segment_fixed_size 0
		.amdhsa_private_segment_fixed_size 0
		.amdhsa_kernarg_size 112
		.amdhsa_user_sgpr_count 15
		.amdhsa_user_sgpr_dispatch_ptr 0
		.amdhsa_user_sgpr_queue_ptr 0
		.amdhsa_user_sgpr_kernarg_segment_ptr 1
		.amdhsa_user_sgpr_dispatch_id 0
		.amdhsa_user_sgpr_private_segment_size 0
		.amdhsa_wavefront_size32 1
		.amdhsa_uses_dynamic_stack 0
		.amdhsa_enable_private_segment 0
		.amdhsa_system_sgpr_workgroup_id_x 1
		.amdhsa_system_sgpr_workgroup_id_y 0
		.amdhsa_system_sgpr_workgroup_id_z 0
		.amdhsa_system_sgpr_workgroup_info 0
		.amdhsa_system_vgpr_workitem_id 0
		.amdhsa_next_free_vgpr 1
		.amdhsa_next_free_sgpr 1
		.amdhsa_reserve_vcc 0
		.amdhsa_float_round_mode_32 0
		.amdhsa_float_round_mode_16_64 0
		.amdhsa_float_denorm_mode_32 3
		.amdhsa_float_denorm_mode_16_64 3
		.amdhsa_dx10_clamp 1
		.amdhsa_ieee_mode 1
		.amdhsa_fp16_overflow 0
		.amdhsa_workgroup_processor_mode 1
		.amdhsa_memory_ordered 1
		.amdhsa_forward_progress 0
		.amdhsa_shared_vgpr_count 0
		.amdhsa_exception_fp_ieee_invalid_op 0
		.amdhsa_exception_fp_denorm_src 0
		.amdhsa_exception_fp_ieee_div_zero 0
		.amdhsa_exception_fp_ieee_overflow 0
		.amdhsa_exception_fp_ieee_underflow 0
		.amdhsa_exception_fp_ieee_inexact 0
		.amdhsa_exception_int_div_zero 0
	.end_amdhsa_kernel
	.section	.text._ZN7rocprim17ROCPRIM_400000_NS6detail17trampoline_kernelINS0_14default_configENS1_25partition_config_selectorILNS1_17partition_subalgoE6EjNS0_10empty_typeEbEEZZNS1_14partition_implILS5_6ELb0ES3_mN6thrust23THRUST_200600_302600_NS6detail15normal_iteratorINSA_10device_ptrIjEEEEPS6_SG_NS0_5tupleIJSF_S6_EEENSH_IJSG_SG_EEES6_PlJ7is_evenIjEEEE10hipError_tPvRmT3_T4_T5_T6_T7_T9_mT8_P12ihipStream_tbDpT10_ENKUlT_T0_E_clISt17integral_constantIbLb1EES15_IbLb0EEEEDaS11_S12_EUlS11_E_NS1_11comp_targetILNS1_3genE4ELNS1_11target_archE910ELNS1_3gpuE8ELNS1_3repE0EEENS1_30default_config_static_selectorELNS0_4arch9wavefront6targetE0EEEvT1_,"axG",@progbits,_ZN7rocprim17ROCPRIM_400000_NS6detail17trampoline_kernelINS0_14default_configENS1_25partition_config_selectorILNS1_17partition_subalgoE6EjNS0_10empty_typeEbEEZZNS1_14partition_implILS5_6ELb0ES3_mN6thrust23THRUST_200600_302600_NS6detail15normal_iteratorINSA_10device_ptrIjEEEEPS6_SG_NS0_5tupleIJSF_S6_EEENSH_IJSG_SG_EEES6_PlJ7is_evenIjEEEE10hipError_tPvRmT3_T4_T5_T6_T7_T9_mT8_P12ihipStream_tbDpT10_ENKUlT_T0_E_clISt17integral_constantIbLb1EES15_IbLb0EEEEDaS11_S12_EUlS11_E_NS1_11comp_targetILNS1_3genE4ELNS1_11target_archE910ELNS1_3gpuE8ELNS1_3repE0EEENS1_30default_config_static_selectorELNS0_4arch9wavefront6targetE0EEEvT1_,comdat
.Lfunc_end314:
	.size	_ZN7rocprim17ROCPRIM_400000_NS6detail17trampoline_kernelINS0_14default_configENS1_25partition_config_selectorILNS1_17partition_subalgoE6EjNS0_10empty_typeEbEEZZNS1_14partition_implILS5_6ELb0ES3_mN6thrust23THRUST_200600_302600_NS6detail15normal_iteratorINSA_10device_ptrIjEEEEPS6_SG_NS0_5tupleIJSF_S6_EEENSH_IJSG_SG_EEES6_PlJ7is_evenIjEEEE10hipError_tPvRmT3_T4_T5_T6_T7_T9_mT8_P12ihipStream_tbDpT10_ENKUlT_T0_E_clISt17integral_constantIbLb1EES15_IbLb0EEEEDaS11_S12_EUlS11_E_NS1_11comp_targetILNS1_3genE4ELNS1_11target_archE910ELNS1_3gpuE8ELNS1_3repE0EEENS1_30default_config_static_selectorELNS0_4arch9wavefront6targetE0EEEvT1_, .Lfunc_end314-_ZN7rocprim17ROCPRIM_400000_NS6detail17trampoline_kernelINS0_14default_configENS1_25partition_config_selectorILNS1_17partition_subalgoE6EjNS0_10empty_typeEbEEZZNS1_14partition_implILS5_6ELb0ES3_mN6thrust23THRUST_200600_302600_NS6detail15normal_iteratorINSA_10device_ptrIjEEEEPS6_SG_NS0_5tupleIJSF_S6_EEENSH_IJSG_SG_EEES6_PlJ7is_evenIjEEEE10hipError_tPvRmT3_T4_T5_T6_T7_T9_mT8_P12ihipStream_tbDpT10_ENKUlT_T0_E_clISt17integral_constantIbLb1EES15_IbLb0EEEEDaS11_S12_EUlS11_E_NS1_11comp_targetILNS1_3genE4ELNS1_11target_archE910ELNS1_3gpuE8ELNS1_3repE0EEENS1_30default_config_static_selectorELNS0_4arch9wavefront6targetE0EEEvT1_
                                        ; -- End function
	.section	.AMDGPU.csdata,"",@progbits
; Kernel info:
; codeLenInByte = 0
; NumSgprs: 0
; NumVgprs: 0
; ScratchSize: 0
; MemoryBound: 0
; FloatMode: 240
; IeeeMode: 1
; LDSByteSize: 0 bytes/workgroup (compile time only)
; SGPRBlocks: 0
; VGPRBlocks: 0
; NumSGPRsForWavesPerEU: 1
; NumVGPRsForWavesPerEU: 1
; Occupancy: 16
; WaveLimiterHint : 0
; COMPUTE_PGM_RSRC2:SCRATCH_EN: 0
; COMPUTE_PGM_RSRC2:USER_SGPR: 15
; COMPUTE_PGM_RSRC2:TRAP_HANDLER: 0
; COMPUTE_PGM_RSRC2:TGID_X_EN: 1
; COMPUTE_PGM_RSRC2:TGID_Y_EN: 0
; COMPUTE_PGM_RSRC2:TGID_Z_EN: 0
; COMPUTE_PGM_RSRC2:TIDIG_COMP_CNT: 0
	.section	.text._ZN7rocprim17ROCPRIM_400000_NS6detail17trampoline_kernelINS0_14default_configENS1_25partition_config_selectorILNS1_17partition_subalgoE6EjNS0_10empty_typeEbEEZZNS1_14partition_implILS5_6ELb0ES3_mN6thrust23THRUST_200600_302600_NS6detail15normal_iteratorINSA_10device_ptrIjEEEEPS6_SG_NS0_5tupleIJSF_S6_EEENSH_IJSG_SG_EEES6_PlJ7is_evenIjEEEE10hipError_tPvRmT3_T4_T5_T6_T7_T9_mT8_P12ihipStream_tbDpT10_ENKUlT_T0_E_clISt17integral_constantIbLb1EES15_IbLb0EEEEDaS11_S12_EUlS11_E_NS1_11comp_targetILNS1_3genE3ELNS1_11target_archE908ELNS1_3gpuE7ELNS1_3repE0EEENS1_30default_config_static_selectorELNS0_4arch9wavefront6targetE0EEEvT1_,"axG",@progbits,_ZN7rocprim17ROCPRIM_400000_NS6detail17trampoline_kernelINS0_14default_configENS1_25partition_config_selectorILNS1_17partition_subalgoE6EjNS0_10empty_typeEbEEZZNS1_14partition_implILS5_6ELb0ES3_mN6thrust23THRUST_200600_302600_NS6detail15normal_iteratorINSA_10device_ptrIjEEEEPS6_SG_NS0_5tupleIJSF_S6_EEENSH_IJSG_SG_EEES6_PlJ7is_evenIjEEEE10hipError_tPvRmT3_T4_T5_T6_T7_T9_mT8_P12ihipStream_tbDpT10_ENKUlT_T0_E_clISt17integral_constantIbLb1EES15_IbLb0EEEEDaS11_S12_EUlS11_E_NS1_11comp_targetILNS1_3genE3ELNS1_11target_archE908ELNS1_3gpuE7ELNS1_3repE0EEENS1_30default_config_static_selectorELNS0_4arch9wavefront6targetE0EEEvT1_,comdat
	.protected	_ZN7rocprim17ROCPRIM_400000_NS6detail17trampoline_kernelINS0_14default_configENS1_25partition_config_selectorILNS1_17partition_subalgoE6EjNS0_10empty_typeEbEEZZNS1_14partition_implILS5_6ELb0ES3_mN6thrust23THRUST_200600_302600_NS6detail15normal_iteratorINSA_10device_ptrIjEEEEPS6_SG_NS0_5tupleIJSF_S6_EEENSH_IJSG_SG_EEES6_PlJ7is_evenIjEEEE10hipError_tPvRmT3_T4_T5_T6_T7_T9_mT8_P12ihipStream_tbDpT10_ENKUlT_T0_E_clISt17integral_constantIbLb1EES15_IbLb0EEEEDaS11_S12_EUlS11_E_NS1_11comp_targetILNS1_3genE3ELNS1_11target_archE908ELNS1_3gpuE7ELNS1_3repE0EEENS1_30default_config_static_selectorELNS0_4arch9wavefront6targetE0EEEvT1_ ; -- Begin function _ZN7rocprim17ROCPRIM_400000_NS6detail17trampoline_kernelINS0_14default_configENS1_25partition_config_selectorILNS1_17partition_subalgoE6EjNS0_10empty_typeEbEEZZNS1_14partition_implILS5_6ELb0ES3_mN6thrust23THRUST_200600_302600_NS6detail15normal_iteratorINSA_10device_ptrIjEEEEPS6_SG_NS0_5tupleIJSF_S6_EEENSH_IJSG_SG_EEES6_PlJ7is_evenIjEEEE10hipError_tPvRmT3_T4_T5_T6_T7_T9_mT8_P12ihipStream_tbDpT10_ENKUlT_T0_E_clISt17integral_constantIbLb1EES15_IbLb0EEEEDaS11_S12_EUlS11_E_NS1_11comp_targetILNS1_3genE3ELNS1_11target_archE908ELNS1_3gpuE7ELNS1_3repE0EEENS1_30default_config_static_selectorELNS0_4arch9wavefront6targetE0EEEvT1_
	.globl	_ZN7rocprim17ROCPRIM_400000_NS6detail17trampoline_kernelINS0_14default_configENS1_25partition_config_selectorILNS1_17partition_subalgoE6EjNS0_10empty_typeEbEEZZNS1_14partition_implILS5_6ELb0ES3_mN6thrust23THRUST_200600_302600_NS6detail15normal_iteratorINSA_10device_ptrIjEEEEPS6_SG_NS0_5tupleIJSF_S6_EEENSH_IJSG_SG_EEES6_PlJ7is_evenIjEEEE10hipError_tPvRmT3_T4_T5_T6_T7_T9_mT8_P12ihipStream_tbDpT10_ENKUlT_T0_E_clISt17integral_constantIbLb1EES15_IbLb0EEEEDaS11_S12_EUlS11_E_NS1_11comp_targetILNS1_3genE3ELNS1_11target_archE908ELNS1_3gpuE7ELNS1_3repE0EEENS1_30default_config_static_selectorELNS0_4arch9wavefront6targetE0EEEvT1_
	.p2align	8
	.type	_ZN7rocprim17ROCPRIM_400000_NS6detail17trampoline_kernelINS0_14default_configENS1_25partition_config_selectorILNS1_17partition_subalgoE6EjNS0_10empty_typeEbEEZZNS1_14partition_implILS5_6ELb0ES3_mN6thrust23THRUST_200600_302600_NS6detail15normal_iteratorINSA_10device_ptrIjEEEEPS6_SG_NS0_5tupleIJSF_S6_EEENSH_IJSG_SG_EEES6_PlJ7is_evenIjEEEE10hipError_tPvRmT3_T4_T5_T6_T7_T9_mT8_P12ihipStream_tbDpT10_ENKUlT_T0_E_clISt17integral_constantIbLb1EES15_IbLb0EEEEDaS11_S12_EUlS11_E_NS1_11comp_targetILNS1_3genE3ELNS1_11target_archE908ELNS1_3gpuE7ELNS1_3repE0EEENS1_30default_config_static_selectorELNS0_4arch9wavefront6targetE0EEEvT1_,@function
_ZN7rocprim17ROCPRIM_400000_NS6detail17trampoline_kernelINS0_14default_configENS1_25partition_config_selectorILNS1_17partition_subalgoE6EjNS0_10empty_typeEbEEZZNS1_14partition_implILS5_6ELb0ES3_mN6thrust23THRUST_200600_302600_NS6detail15normal_iteratorINSA_10device_ptrIjEEEEPS6_SG_NS0_5tupleIJSF_S6_EEENSH_IJSG_SG_EEES6_PlJ7is_evenIjEEEE10hipError_tPvRmT3_T4_T5_T6_T7_T9_mT8_P12ihipStream_tbDpT10_ENKUlT_T0_E_clISt17integral_constantIbLb1EES15_IbLb0EEEEDaS11_S12_EUlS11_E_NS1_11comp_targetILNS1_3genE3ELNS1_11target_archE908ELNS1_3gpuE7ELNS1_3repE0EEENS1_30default_config_static_selectorELNS0_4arch9wavefront6targetE0EEEvT1_: ; @_ZN7rocprim17ROCPRIM_400000_NS6detail17trampoline_kernelINS0_14default_configENS1_25partition_config_selectorILNS1_17partition_subalgoE6EjNS0_10empty_typeEbEEZZNS1_14partition_implILS5_6ELb0ES3_mN6thrust23THRUST_200600_302600_NS6detail15normal_iteratorINSA_10device_ptrIjEEEEPS6_SG_NS0_5tupleIJSF_S6_EEENSH_IJSG_SG_EEES6_PlJ7is_evenIjEEEE10hipError_tPvRmT3_T4_T5_T6_T7_T9_mT8_P12ihipStream_tbDpT10_ENKUlT_T0_E_clISt17integral_constantIbLb1EES15_IbLb0EEEEDaS11_S12_EUlS11_E_NS1_11comp_targetILNS1_3genE3ELNS1_11target_archE908ELNS1_3gpuE7ELNS1_3repE0EEENS1_30default_config_static_selectorELNS0_4arch9wavefront6targetE0EEEvT1_
; %bb.0:
	.section	.rodata,"a",@progbits
	.p2align	6, 0x0
	.amdhsa_kernel _ZN7rocprim17ROCPRIM_400000_NS6detail17trampoline_kernelINS0_14default_configENS1_25partition_config_selectorILNS1_17partition_subalgoE6EjNS0_10empty_typeEbEEZZNS1_14partition_implILS5_6ELb0ES3_mN6thrust23THRUST_200600_302600_NS6detail15normal_iteratorINSA_10device_ptrIjEEEEPS6_SG_NS0_5tupleIJSF_S6_EEENSH_IJSG_SG_EEES6_PlJ7is_evenIjEEEE10hipError_tPvRmT3_T4_T5_T6_T7_T9_mT8_P12ihipStream_tbDpT10_ENKUlT_T0_E_clISt17integral_constantIbLb1EES15_IbLb0EEEEDaS11_S12_EUlS11_E_NS1_11comp_targetILNS1_3genE3ELNS1_11target_archE908ELNS1_3gpuE7ELNS1_3repE0EEENS1_30default_config_static_selectorELNS0_4arch9wavefront6targetE0EEEvT1_
		.amdhsa_group_segment_fixed_size 0
		.amdhsa_private_segment_fixed_size 0
		.amdhsa_kernarg_size 112
		.amdhsa_user_sgpr_count 15
		.amdhsa_user_sgpr_dispatch_ptr 0
		.amdhsa_user_sgpr_queue_ptr 0
		.amdhsa_user_sgpr_kernarg_segment_ptr 1
		.amdhsa_user_sgpr_dispatch_id 0
		.amdhsa_user_sgpr_private_segment_size 0
		.amdhsa_wavefront_size32 1
		.amdhsa_uses_dynamic_stack 0
		.amdhsa_enable_private_segment 0
		.amdhsa_system_sgpr_workgroup_id_x 1
		.amdhsa_system_sgpr_workgroup_id_y 0
		.amdhsa_system_sgpr_workgroup_id_z 0
		.amdhsa_system_sgpr_workgroup_info 0
		.amdhsa_system_vgpr_workitem_id 0
		.amdhsa_next_free_vgpr 1
		.amdhsa_next_free_sgpr 1
		.amdhsa_reserve_vcc 0
		.amdhsa_float_round_mode_32 0
		.amdhsa_float_round_mode_16_64 0
		.amdhsa_float_denorm_mode_32 3
		.amdhsa_float_denorm_mode_16_64 3
		.amdhsa_dx10_clamp 1
		.amdhsa_ieee_mode 1
		.amdhsa_fp16_overflow 0
		.amdhsa_workgroup_processor_mode 1
		.amdhsa_memory_ordered 1
		.amdhsa_forward_progress 0
		.amdhsa_shared_vgpr_count 0
		.amdhsa_exception_fp_ieee_invalid_op 0
		.amdhsa_exception_fp_denorm_src 0
		.amdhsa_exception_fp_ieee_div_zero 0
		.amdhsa_exception_fp_ieee_overflow 0
		.amdhsa_exception_fp_ieee_underflow 0
		.amdhsa_exception_fp_ieee_inexact 0
		.amdhsa_exception_int_div_zero 0
	.end_amdhsa_kernel
	.section	.text._ZN7rocprim17ROCPRIM_400000_NS6detail17trampoline_kernelINS0_14default_configENS1_25partition_config_selectorILNS1_17partition_subalgoE6EjNS0_10empty_typeEbEEZZNS1_14partition_implILS5_6ELb0ES3_mN6thrust23THRUST_200600_302600_NS6detail15normal_iteratorINSA_10device_ptrIjEEEEPS6_SG_NS0_5tupleIJSF_S6_EEENSH_IJSG_SG_EEES6_PlJ7is_evenIjEEEE10hipError_tPvRmT3_T4_T5_T6_T7_T9_mT8_P12ihipStream_tbDpT10_ENKUlT_T0_E_clISt17integral_constantIbLb1EES15_IbLb0EEEEDaS11_S12_EUlS11_E_NS1_11comp_targetILNS1_3genE3ELNS1_11target_archE908ELNS1_3gpuE7ELNS1_3repE0EEENS1_30default_config_static_selectorELNS0_4arch9wavefront6targetE0EEEvT1_,"axG",@progbits,_ZN7rocprim17ROCPRIM_400000_NS6detail17trampoline_kernelINS0_14default_configENS1_25partition_config_selectorILNS1_17partition_subalgoE6EjNS0_10empty_typeEbEEZZNS1_14partition_implILS5_6ELb0ES3_mN6thrust23THRUST_200600_302600_NS6detail15normal_iteratorINSA_10device_ptrIjEEEEPS6_SG_NS0_5tupleIJSF_S6_EEENSH_IJSG_SG_EEES6_PlJ7is_evenIjEEEE10hipError_tPvRmT3_T4_T5_T6_T7_T9_mT8_P12ihipStream_tbDpT10_ENKUlT_T0_E_clISt17integral_constantIbLb1EES15_IbLb0EEEEDaS11_S12_EUlS11_E_NS1_11comp_targetILNS1_3genE3ELNS1_11target_archE908ELNS1_3gpuE7ELNS1_3repE0EEENS1_30default_config_static_selectorELNS0_4arch9wavefront6targetE0EEEvT1_,comdat
.Lfunc_end315:
	.size	_ZN7rocprim17ROCPRIM_400000_NS6detail17trampoline_kernelINS0_14default_configENS1_25partition_config_selectorILNS1_17partition_subalgoE6EjNS0_10empty_typeEbEEZZNS1_14partition_implILS5_6ELb0ES3_mN6thrust23THRUST_200600_302600_NS6detail15normal_iteratorINSA_10device_ptrIjEEEEPS6_SG_NS0_5tupleIJSF_S6_EEENSH_IJSG_SG_EEES6_PlJ7is_evenIjEEEE10hipError_tPvRmT3_T4_T5_T6_T7_T9_mT8_P12ihipStream_tbDpT10_ENKUlT_T0_E_clISt17integral_constantIbLb1EES15_IbLb0EEEEDaS11_S12_EUlS11_E_NS1_11comp_targetILNS1_3genE3ELNS1_11target_archE908ELNS1_3gpuE7ELNS1_3repE0EEENS1_30default_config_static_selectorELNS0_4arch9wavefront6targetE0EEEvT1_, .Lfunc_end315-_ZN7rocprim17ROCPRIM_400000_NS6detail17trampoline_kernelINS0_14default_configENS1_25partition_config_selectorILNS1_17partition_subalgoE6EjNS0_10empty_typeEbEEZZNS1_14partition_implILS5_6ELb0ES3_mN6thrust23THRUST_200600_302600_NS6detail15normal_iteratorINSA_10device_ptrIjEEEEPS6_SG_NS0_5tupleIJSF_S6_EEENSH_IJSG_SG_EEES6_PlJ7is_evenIjEEEE10hipError_tPvRmT3_T4_T5_T6_T7_T9_mT8_P12ihipStream_tbDpT10_ENKUlT_T0_E_clISt17integral_constantIbLb1EES15_IbLb0EEEEDaS11_S12_EUlS11_E_NS1_11comp_targetILNS1_3genE3ELNS1_11target_archE908ELNS1_3gpuE7ELNS1_3repE0EEENS1_30default_config_static_selectorELNS0_4arch9wavefront6targetE0EEEvT1_
                                        ; -- End function
	.section	.AMDGPU.csdata,"",@progbits
; Kernel info:
; codeLenInByte = 0
; NumSgprs: 0
; NumVgprs: 0
; ScratchSize: 0
; MemoryBound: 0
; FloatMode: 240
; IeeeMode: 1
; LDSByteSize: 0 bytes/workgroup (compile time only)
; SGPRBlocks: 0
; VGPRBlocks: 0
; NumSGPRsForWavesPerEU: 1
; NumVGPRsForWavesPerEU: 1
; Occupancy: 16
; WaveLimiterHint : 0
; COMPUTE_PGM_RSRC2:SCRATCH_EN: 0
; COMPUTE_PGM_RSRC2:USER_SGPR: 15
; COMPUTE_PGM_RSRC2:TRAP_HANDLER: 0
; COMPUTE_PGM_RSRC2:TGID_X_EN: 1
; COMPUTE_PGM_RSRC2:TGID_Y_EN: 0
; COMPUTE_PGM_RSRC2:TGID_Z_EN: 0
; COMPUTE_PGM_RSRC2:TIDIG_COMP_CNT: 0
	.section	.text._ZN7rocprim17ROCPRIM_400000_NS6detail17trampoline_kernelINS0_14default_configENS1_25partition_config_selectorILNS1_17partition_subalgoE6EjNS0_10empty_typeEbEEZZNS1_14partition_implILS5_6ELb0ES3_mN6thrust23THRUST_200600_302600_NS6detail15normal_iteratorINSA_10device_ptrIjEEEEPS6_SG_NS0_5tupleIJSF_S6_EEENSH_IJSG_SG_EEES6_PlJ7is_evenIjEEEE10hipError_tPvRmT3_T4_T5_T6_T7_T9_mT8_P12ihipStream_tbDpT10_ENKUlT_T0_E_clISt17integral_constantIbLb1EES15_IbLb0EEEEDaS11_S12_EUlS11_E_NS1_11comp_targetILNS1_3genE2ELNS1_11target_archE906ELNS1_3gpuE6ELNS1_3repE0EEENS1_30default_config_static_selectorELNS0_4arch9wavefront6targetE0EEEvT1_,"axG",@progbits,_ZN7rocprim17ROCPRIM_400000_NS6detail17trampoline_kernelINS0_14default_configENS1_25partition_config_selectorILNS1_17partition_subalgoE6EjNS0_10empty_typeEbEEZZNS1_14partition_implILS5_6ELb0ES3_mN6thrust23THRUST_200600_302600_NS6detail15normal_iteratorINSA_10device_ptrIjEEEEPS6_SG_NS0_5tupleIJSF_S6_EEENSH_IJSG_SG_EEES6_PlJ7is_evenIjEEEE10hipError_tPvRmT3_T4_T5_T6_T7_T9_mT8_P12ihipStream_tbDpT10_ENKUlT_T0_E_clISt17integral_constantIbLb1EES15_IbLb0EEEEDaS11_S12_EUlS11_E_NS1_11comp_targetILNS1_3genE2ELNS1_11target_archE906ELNS1_3gpuE6ELNS1_3repE0EEENS1_30default_config_static_selectorELNS0_4arch9wavefront6targetE0EEEvT1_,comdat
	.protected	_ZN7rocprim17ROCPRIM_400000_NS6detail17trampoline_kernelINS0_14default_configENS1_25partition_config_selectorILNS1_17partition_subalgoE6EjNS0_10empty_typeEbEEZZNS1_14partition_implILS5_6ELb0ES3_mN6thrust23THRUST_200600_302600_NS6detail15normal_iteratorINSA_10device_ptrIjEEEEPS6_SG_NS0_5tupleIJSF_S6_EEENSH_IJSG_SG_EEES6_PlJ7is_evenIjEEEE10hipError_tPvRmT3_T4_T5_T6_T7_T9_mT8_P12ihipStream_tbDpT10_ENKUlT_T0_E_clISt17integral_constantIbLb1EES15_IbLb0EEEEDaS11_S12_EUlS11_E_NS1_11comp_targetILNS1_3genE2ELNS1_11target_archE906ELNS1_3gpuE6ELNS1_3repE0EEENS1_30default_config_static_selectorELNS0_4arch9wavefront6targetE0EEEvT1_ ; -- Begin function _ZN7rocprim17ROCPRIM_400000_NS6detail17trampoline_kernelINS0_14default_configENS1_25partition_config_selectorILNS1_17partition_subalgoE6EjNS0_10empty_typeEbEEZZNS1_14partition_implILS5_6ELb0ES3_mN6thrust23THRUST_200600_302600_NS6detail15normal_iteratorINSA_10device_ptrIjEEEEPS6_SG_NS0_5tupleIJSF_S6_EEENSH_IJSG_SG_EEES6_PlJ7is_evenIjEEEE10hipError_tPvRmT3_T4_T5_T6_T7_T9_mT8_P12ihipStream_tbDpT10_ENKUlT_T0_E_clISt17integral_constantIbLb1EES15_IbLb0EEEEDaS11_S12_EUlS11_E_NS1_11comp_targetILNS1_3genE2ELNS1_11target_archE906ELNS1_3gpuE6ELNS1_3repE0EEENS1_30default_config_static_selectorELNS0_4arch9wavefront6targetE0EEEvT1_
	.globl	_ZN7rocprim17ROCPRIM_400000_NS6detail17trampoline_kernelINS0_14default_configENS1_25partition_config_selectorILNS1_17partition_subalgoE6EjNS0_10empty_typeEbEEZZNS1_14partition_implILS5_6ELb0ES3_mN6thrust23THRUST_200600_302600_NS6detail15normal_iteratorINSA_10device_ptrIjEEEEPS6_SG_NS0_5tupleIJSF_S6_EEENSH_IJSG_SG_EEES6_PlJ7is_evenIjEEEE10hipError_tPvRmT3_T4_T5_T6_T7_T9_mT8_P12ihipStream_tbDpT10_ENKUlT_T0_E_clISt17integral_constantIbLb1EES15_IbLb0EEEEDaS11_S12_EUlS11_E_NS1_11comp_targetILNS1_3genE2ELNS1_11target_archE906ELNS1_3gpuE6ELNS1_3repE0EEENS1_30default_config_static_selectorELNS0_4arch9wavefront6targetE0EEEvT1_
	.p2align	8
	.type	_ZN7rocprim17ROCPRIM_400000_NS6detail17trampoline_kernelINS0_14default_configENS1_25partition_config_selectorILNS1_17partition_subalgoE6EjNS0_10empty_typeEbEEZZNS1_14partition_implILS5_6ELb0ES3_mN6thrust23THRUST_200600_302600_NS6detail15normal_iteratorINSA_10device_ptrIjEEEEPS6_SG_NS0_5tupleIJSF_S6_EEENSH_IJSG_SG_EEES6_PlJ7is_evenIjEEEE10hipError_tPvRmT3_T4_T5_T6_T7_T9_mT8_P12ihipStream_tbDpT10_ENKUlT_T0_E_clISt17integral_constantIbLb1EES15_IbLb0EEEEDaS11_S12_EUlS11_E_NS1_11comp_targetILNS1_3genE2ELNS1_11target_archE906ELNS1_3gpuE6ELNS1_3repE0EEENS1_30default_config_static_selectorELNS0_4arch9wavefront6targetE0EEEvT1_,@function
_ZN7rocprim17ROCPRIM_400000_NS6detail17trampoline_kernelINS0_14default_configENS1_25partition_config_selectorILNS1_17partition_subalgoE6EjNS0_10empty_typeEbEEZZNS1_14partition_implILS5_6ELb0ES3_mN6thrust23THRUST_200600_302600_NS6detail15normal_iteratorINSA_10device_ptrIjEEEEPS6_SG_NS0_5tupleIJSF_S6_EEENSH_IJSG_SG_EEES6_PlJ7is_evenIjEEEE10hipError_tPvRmT3_T4_T5_T6_T7_T9_mT8_P12ihipStream_tbDpT10_ENKUlT_T0_E_clISt17integral_constantIbLb1EES15_IbLb0EEEEDaS11_S12_EUlS11_E_NS1_11comp_targetILNS1_3genE2ELNS1_11target_archE906ELNS1_3gpuE6ELNS1_3repE0EEENS1_30default_config_static_selectorELNS0_4arch9wavefront6targetE0EEEvT1_: ; @_ZN7rocprim17ROCPRIM_400000_NS6detail17trampoline_kernelINS0_14default_configENS1_25partition_config_selectorILNS1_17partition_subalgoE6EjNS0_10empty_typeEbEEZZNS1_14partition_implILS5_6ELb0ES3_mN6thrust23THRUST_200600_302600_NS6detail15normal_iteratorINSA_10device_ptrIjEEEEPS6_SG_NS0_5tupleIJSF_S6_EEENSH_IJSG_SG_EEES6_PlJ7is_evenIjEEEE10hipError_tPvRmT3_T4_T5_T6_T7_T9_mT8_P12ihipStream_tbDpT10_ENKUlT_T0_E_clISt17integral_constantIbLb1EES15_IbLb0EEEEDaS11_S12_EUlS11_E_NS1_11comp_targetILNS1_3genE2ELNS1_11target_archE906ELNS1_3gpuE6ELNS1_3repE0EEENS1_30default_config_static_selectorELNS0_4arch9wavefront6targetE0EEEvT1_
; %bb.0:
	.section	.rodata,"a",@progbits
	.p2align	6, 0x0
	.amdhsa_kernel _ZN7rocprim17ROCPRIM_400000_NS6detail17trampoline_kernelINS0_14default_configENS1_25partition_config_selectorILNS1_17partition_subalgoE6EjNS0_10empty_typeEbEEZZNS1_14partition_implILS5_6ELb0ES3_mN6thrust23THRUST_200600_302600_NS6detail15normal_iteratorINSA_10device_ptrIjEEEEPS6_SG_NS0_5tupleIJSF_S6_EEENSH_IJSG_SG_EEES6_PlJ7is_evenIjEEEE10hipError_tPvRmT3_T4_T5_T6_T7_T9_mT8_P12ihipStream_tbDpT10_ENKUlT_T0_E_clISt17integral_constantIbLb1EES15_IbLb0EEEEDaS11_S12_EUlS11_E_NS1_11comp_targetILNS1_3genE2ELNS1_11target_archE906ELNS1_3gpuE6ELNS1_3repE0EEENS1_30default_config_static_selectorELNS0_4arch9wavefront6targetE0EEEvT1_
		.amdhsa_group_segment_fixed_size 0
		.amdhsa_private_segment_fixed_size 0
		.amdhsa_kernarg_size 112
		.amdhsa_user_sgpr_count 15
		.amdhsa_user_sgpr_dispatch_ptr 0
		.amdhsa_user_sgpr_queue_ptr 0
		.amdhsa_user_sgpr_kernarg_segment_ptr 1
		.amdhsa_user_sgpr_dispatch_id 0
		.amdhsa_user_sgpr_private_segment_size 0
		.amdhsa_wavefront_size32 1
		.amdhsa_uses_dynamic_stack 0
		.amdhsa_enable_private_segment 0
		.amdhsa_system_sgpr_workgroup_id_x 1
		.amdhsa_system_sgpr_workgroup_id_y 0
		.amdhsa_system_sgpr_workgroup_id_z 0
		.amdhsa_system_sgpr_workgroup_info 0
		.amdhsa_system_vgpr_workitem_id 0
		.amdhsa_next_free_vgpr 1
		.amdhsa_next_free_sgpr 1
		.amdhsa_reserve_vcc 0
		.amdhsa_float_round_mode_32 0
		.amdhsa_float_round_mode_16_64 0
		.amdhsa_float_denorm_mode_32 3
		.amdhsa_float_denorm_mode_16_64 3
		.amdhsa_dx10_clamp 1
		.amdhsa_ieee_mode 1
		.amdhsa_fp16_overflow 0
		.amdhsa_workgroup_processor_mode 1
		.amdhsa_memory_ordered 1
		.amdhsa_forward_progress 0
		.amdhsa_shared_vgpr_count 0
		.amdhsa_exception_fp_ieee_invalid_op 0
		.amdhsa_exception_fp_denorm_src 0
		.amdhsa_exception_fp_ieee_div_zero 0
		.amdhsa_exception_fp_ieee_overflow 0
		.amdhsa_exception_fp_ieee_underflow 0
		.amdhsa_exception_fp_ieee_inexact 0
		.amdhsa_exception_int_div_zero 0
	.end_amdhsa_kernel
	.section	.text._ZN7rocprim17ROCPRIM_400000_NS6detail17trampoline_kernelINS0_14default_configENS1_25partition_config_selectorILNS1_17partition_subalgoE6EjNS0_10empty_typeEbEEZZNS1_14partition_implILS5_6ELb0ES3_mN6thrust23THRUST_200600_302600_NS6detail15normal_iteratorINSA_10device_ptrIjEEEEPS6_SG_NS0_5tupleIJSF_S6_EEENSH_IJSG_SG_EEES6_PlJ7is_evenIjEEEE10hipError_tPvRmT3_T4_T5_T6_T7_T9_mT8_P12ihipStream_tbDpT10_ENKUlT_T0_E_clISt17integral_constantIbLb1EES15_IbLb0EEEEDaS11_S12_EUlS11_E_NS1_11comp_targetILNS1_3genE2ELNS1_11target_archE906ELNS1_3gpuE6ELNS1_3repE0EEENS1_30default_config_static_selectorELNS0_4arch9wavefront6targetE0EEEvT1_,"axG",@progbits,_ZN7rocprim17ROCPRIM_400000_NS6detail17trampoline_kernelINS0_14default_configENS1_25partition_config_selectorILNS1_17partition_subalgoE6EjNS0_10empty_typeEbEEZZNS1_14partition_implILS5_6ELb0ES3_mN6thrust23THRUST_200600_302600_NS6detail15normal_iteratorINSA_10device_ptrIjEEEEPS6_SG_NS0_5tupleIJSF_S6_EEENSH_IJSG_SG_EEES6_PlJ7is_evenIjEEEE10hipError_tPvRmT3_T4_T5_T6_T7_T9_mT8_P12ihipStream_tbDpT10_ENKUlT_T0_E_clISt17integral_constantIbLb1EES15_IbLb0EEEEDaS11_S12_EUlS11_E_NS1_11comp_targetILNS1_3genE2ELNS1_11target_archE906ELNS1_3gpuE6ELNS1_3repE0EEENS1_30default_config_static_selectorELNS0_4arch9wavefront6targetE0EEEvT1_,comdat
.Lfunc_end316:
	.size	_ZN7rocprim17ROCPRIM_400000_NS6detail17trampoline_kernelINS0_14default_configENS1_25partition_config_selectorILNS1_17partition_subalgoE6EjNS0_10empty_typeEbEEZZNS1_14partition_implILS5_6ELb0ES3_mN6thrust23THRUST_200600_302600_NS6detail15normal_iteratorINSA_10device_ptrIjEEEEPS6_SG_NS0_5tupleIJSF_S6_EEENSH_IJSG_SG_EEES6_PlJ7is_evenIjEEEE10hipError_tPvRmT3_T4_T5_T6_T7_T9_mT8_P12ihipStream_tbDpT10_ENKUlT_T0_E_clISt17integral_constantIbLb1EES15_IbLb0EEEEDaS11_S12_EUlS11_E_NS1_11comp_targetILNS1_3genE2ELNS1_11target_archE906ELNS1_3gpuE6ELNS1_3repE0EEENS1_30default_config_static_selectorELNS0_4arch9wavefront6targetE0EEEvT1_, .Lfunc_end316-_ZN7rocprim17ROCPRIM_400000_NS6detail17trampoline_kernelINS0_14default_configENS1_25partition_config_selectorILNS1_17partition_subalgoE6EjNS0_10empty_typeEbEEZZNS1_14partition_implILS5_6ELb0ES3_mN6thrust23THRUST_200600_302600_NS6detail15normal_iteratorINSA_10device_ptrIjEEEEPS6_SG_NS0_5tupleIJSF_S6_EEENSH_IJSG_SG_EEES6_PlJ7is_evenIjEEEE10hipError_tPvRmT3_T4_T5_T6_T7_T9_mT8_P12ihipStream_tbDpT10_ENKUlT_T0_E_clISt17integral_constantIbLb1EES15_IbLb0EEEEDaS11_S12_EUlS11_E_NS1_11comp_targetILNS1_3genE2ELNS1_11target_archE906ELNS1_3gpuE6ELNS1_3repE0EEENS1_30default_config_static_selectorELNS0_4arch9wavefront6targetE0EEEvT1_
                                        ; -- End function
	.section	.AMDGPU.csdata,"",@progbits
; Kernel info:
; codeLenInByte = 0
; NumSgprs: 0
; NumVgprs: 0
; ScratchSize: 0
; MemoryBound: 0
; FloatMode: 240
; IeeeMode: 1
; LDSByteSize: 0 bytes/workgroup (compile time only)
; SGPRBlocks: 0
; VGPRBlocks: 0
; NumSGPRsForWavesPerEU: 1
; NumVGPRsForWavesPerEU: 1
; Occupancy: 15
; WaveLimiterHint : 0
; COMPUTE_PGM_RSRC2:SCRATCH_EN: 0
; COMPUTE_PGM_RSRC2:USER_SGPR: 15
; COMPUTE_PGM_RSRC2:TRAP_HANDLER: 0
; COMPUTE_PGM_RSRC2:TGID_X_EN: 1
; COMPUTE_PGM_RSRC2:TGID_Y_EN: 0
; COMPUTE_PGM_RSRC2:TGID_Z_EN: 0
; COMPUTE_PGM_RSRC2:TIDIG_COMP_CNT: 0
	.section	.text._ZN7rocprim17ROCPRIM_400000_NS6detail17trampoline_kernelINS0_14default_configENS1_25partition_config_selectorILNS1_17partition_subalgoE6EjNS0_10empty_typeEbEEZZNS1_14partition_implILS5_6ELb0ES3_mN6thrust23THRUST_200600_302600_NS6detail15normal_iteratorINSA_10device_ptrIjEEEEPS6_SG_NS0_5tupleIJSF_S6_EEENSH_IJSG_SG_EEES6_PlJ7is_evenIjEEEE10hipError_tPvRmT3_T4_T5_T6_T7_T9_mT8_P12ihipStream_tbDpT10_ENKUlT_T0_E_clISt17integral_constantIbLb1EES15_IbLb0EEEEDaS11_S12_EUlS11_E_NS1_11comp_targetILNS1_3genE10ELNS1_11target_archE1200ELNS1_3gpuE4ELNS1_3repE0EEENS1_30default_config_static_selectorELNS0_4arch9wavefront6targetE0EEEvT1_,"axG",@progbits,_ZN7rocprim17ROCPRIM_400000_NS6detail17trampoline_kernelINS0_14default_configENS1_25partition_config_selectorILNS1_17partition_subalgoE6EjNS0_10empty_typeEbEEZZNS1_14partition_implILS5_6ELb0ES3_mN6thrust23THRUST_200600_302600_NS6detail15normal_iteratorINSA_10device_ptrIjEEEEPS6_SG_NS0_5tupleIJSF_S6_EEENSH_IJSG_SG_EEES6_PlJ7is_evenIjEEEE10hipError_tPvRmT3_T4_T5_T6_T7_T9_mT8_P12ihipStream_tbDpT10_ENKUlT_T0_E_clISt17integral_constantIbLb1EES15_IbLb0EEEEDaS11_S12_EUlS11_E_NS1_11comp_targetILNS1_3genE10ELNS1_11target_archE1200ELNS1_3gpuE4ELNS1_3repE0EEENS1_30default_config_static_selectorELNS0_4arch9wavefront6targetE0EEEvT1_,comdat
	.protected	_ZN7rocprim17ROCPRIM_400000_NS6detail17trampoline_kernelINS0_14default_configENS1_25partition_config_selectorILNS1_17partition_subalgoE6EjNS0_10empty_typeEbEEZZNS1_14partition_implILS5_6ELb0ES3_mN6thrust23THRUST_200600_302600_NS6detail15normal_iteratorINSA_10device_ptrIjEEEEPS6_SG_NS0_5tupleIJSF_S6_EEENSH_IJSG_SG_EEES6_PlJ7is_evenIjEEEE10hipError_tPvRmT3_T4_T5_T6_T7_T9_mT8_P12ihipStream_tbDpT10_ENKUlT_T0_E_clISt17integral_constantIbLb1EES15_IbLb0EEEEDaS11_S12_EUlS11_E_NS1_11comp_targetILNS1_3genE10ELNS1_11target_archE1200ELNS1_3gpuE4ELNS1_3repE0EEENS1_30default_config_static_selectorELNS0_4arch9wavefront6targetE0EEEvT1_ ; -- Begin function _ZN7rocprim17ROCPRIM_400000_NS6detail17trampoline_kernelINS0_14default_configENS1_25partition_config_selectorILNS1_17partition_subalgoE6EjNS0_10empty_typeEbEEZZNS1_14partition_implILS5_6ELb0ES3_mN6thrust23THRUST_200600_302600_NS6detail15normal_iteratorINSA_10device_ptrIjEEEEPS6_SG_NS0_5tupleIJSF_S6_EEENSH_IJSG_SG_EEES6_PlJ7is_evenIjEEEE10hipError_tPvRmT3_T4_T5_T6_T7_T9_mT8_P12ihipStream_tbDpT10_ENKUlT_T0_E_clISt17integral_constantIbLb1EES15_IbLb0EEEEDaS11_S12_EUlS11_E_NS1_11comp_targetILNS1_3genE10ELNS1_11target_archE1200ELNS1_3gpuE4ELNS1_3repE0EEENS1_30default_config_static_selectorELNS0_4arch9wavefront6targetE0EEEvT1_
	.globl	_ZN7rocprim17ROCPRIM_400000_NS6detail17trampoline_kernelINS0_14default_configENS1_25partition_config_selectorILNS1_17partition_subalgoE6EjNS0_10empty_typeEbEEZZNS1_14partition_implILS5_6ELb0ES3_mN6thrust23THRUST_200600_302600_NS6detail15normal_iteratorINSA_10device_ptrIjEEEEPS6_SG_NS0_5tupleIJSF_S6_EEENSH_IJSG_SG_EEES6_PlJ7is_evenIjEEEE10hipError_tPvRmT3_T4_T5_T6_T7_T9_mT8_P12ihipStream_tbDpT10_ENKUlT_T0_E_clISt17integral_constantIbLb1EES15_IbLb0EEEEDaS11_S12_EUlS11_E_NS1_11comp_targetILNS1_3genE10ELNS1_11target_archE1200ELNS1_3gpuE4ELNS1_3repE0EEENS1_30default_config_static_selectorELNS0_4arch9wavefront6targetE0EEEvT1_
	.p2align	8
	.type	_ZN7rocprim17ROCPRIM_400000_NS6detail17trampoline_kernelINS0_14default_configENS1_25partition_config_selectorILNS1_17partition_subalgoE6EjNS0_10empty_typeEbEEZZNS1_14partition_implILS5_6ELb0ES3_mN6thrust23THRUST_200600_302600_NS6detail15normal_iteratorINSA_10device_ptrIjEEEEPS6_SG_NS0_5tupleIJSF_S6_EEENSH_IJSG_SG_EEES6_PlJ7is_evenIjEEEE10hipError_tPvRmT3_T4_T5_T6_T7_T9_mT8_P12ihipStream_tbDpT10_ENKUlT_T0_E_clISt17integral_constantIbLb1EES15_IbLb0EEEEDaS11_S12_EUlS11_E_NS1_11comp_targetILNS1_3genE10ELNS1_11target_archE1200ELNS1_3gpuE4ELNS1_3repE0EEENS1_30default_config_static_selectorELNS0_4arch9wavefront6targetE0EEEvT1_,@function
_ZN7rocprim17ROCPRIM_400000_NS6detail17trampoline_kernelINS0_14default_configENS1_25partition_config_selectorILNS1_17partition_subalgoE6EjNS0_10empty_typeEbEEZZNS1_14partition_implILS5_6ELb0ES3_mN6thrust23THRUST_200600_302600_NS6detail15normal_iteratorINSA_10device_ptrIjEEEEPS6_SG_NS0_5tupleIJSF_S6_EEENSH_IJSG_SG_EEES6_PlJ7is_evenIjEEEE10hipError_tPvRmT3_T4_T5_T6_T7_T9_mT8_P12ihipStream_tbDpT10_ENKUlT_T0_E_clISt17integral_constantIbLb1EES15_IbLb0EEEEDaS11_S12_EUlS11_E_NS1_11comp_targetILNS1_3genE10ELNS1_11target_archE1200ELNS1_3gpuE4ELNS1_3repE0EEENS1_30default_config_static_selectorELNS0_4arch9wavefront6targetE0EEEvT1_: ; @_ZN7rocprim17ROCPRIM_400000_NS6detail17trampoline_kernelINS0_14default_configENS1_25partition_config_selectorILNS1_17partition_subalgoE6EjNS0_10empty_typeEbEEZZNS1_14partition_implILS5_6ELb0ES3_mN6thrust23THRUST_200600_302600_NS6detail15normal_iteratorINSA_10device_ptrIjEEEEPS6_SG_NS0_5tupleIJSF_S6_EEENSH_IJSG_SG_EEES6_PlJ7is_evenIjEEEE10hipError_tPvRmT3_T4_T5_T6_T7_T9_mT8_P12ihipStream_tbDpT10_ENKUlT_T0_E_clISt17integral_constantIbLb1EES15_IbLb0EEEEDaS11_S12_EUlS11_E_NS1_11comp_targetILNS1_3genE10ELNS1_11target_archE1200ELNS1_3gpuE4ELNS1_3repE0EEENS1_30default_config_static_selectorELNS0_4arch9wavefront6targetE0EEEvT1_
; %bb.0:
	.section	.rodata,"a",@progbits
	.p2align	6, 0x0
	.amdhsa_kernel _ZN7rocprim17ROCPRIM_400000_NS6detail17trampoline_kernelINS0_14default_configENS1_25partition_config_selectorILNS1_17partition_subalgoE6EjNS0_10empty_typeEbEEZZNS1_14partition_implILS5_6ELb0ES3_mN6thrust23THRUST_200600_302600_NS6detail15normal_iteratorINSA_10device_ptrIjEEEEPS6_SG_NS0_5tupleIJSF_S6_EEENSH_IJSG_SG_EEES6_PlJ7is_evenIjEEEE10hipError_tPvRmT3_T4_T5_T6_T7_T9_mT8_P12ihipStream_tbDpT10_ENKUlT_T0_E_clISt17integral_constantIbLb1EES15_IbLb0EEEEDaS11_S12_EUlS11_E_NS1_11comp_targetILNS1_3genE10ELNS1_11target_archE1200ELNS1_3gpuE4ELNS1_3repE0EEENS1_30default_config_static_selectorELNS0_4arch9wavefront6targetE0EEEvT1_
		.amdhsa_group_segment_fixed_size 0
		.amdhsa_private_segment_fixed_size 0
		.amdhsa_kernarg_size 112
		.amdhsa_user_sgpr_count 15
		.amdhsa_user_sgpr_dispatch_ptr 0
		.amdhsa_user_sgpr_queue_ptr 0
		.amdhsa_user_sgpr_kernarg_segment_ptr 1
		.amdhsa_user_sgpr_dispatch_id 0
		.amdhsa_user_sgpr_private_segment_size 0
		.amdhsa_wavefront_size32 1
		.amdhsa_uses_dynamic_stack 0
		.amdhsa_enable_private_segment 0
		.amdhsa_system_sgpr_workgroup_id_x 1
		.amdhsa_system_sgpr_workgroup_id_y 0
		.amdhsa_system_sgpr_workgroup_id_z 0
		.amdhsa_system_sgpr_workgroup_info 0
		.amdhsa_system_vgpr_workitem_id 0
		.amdhsa_next_free_vgpr 1
		.amdhsa_next_free_sgpr 1
		.amdhsa_reserve_vcc 0
		.amdhsa_float_round_mode_32 0
		.amdhsa_float_round_mode_16_64 0
		.amdhsa_float_denorm_mode_32 3
		.amdhsa_float_denorm_mode_16_64 3
		.amdhsa_dx10_clamp 1
		.amdhsa_ieee_mode 1
		.amdhsa_fp16_overflow 0
		.amdhsa_workgroup_processor_mode 1
		.amdhsa_memory_ordered 1
		.amdhsa_forward_progress 0
		.amdhsa_shared_vgpr_count 0
		.amdhsa_exception_fp_ieee_invalid_op 0
		.amdhsa_exception_fp_denorm_src 0
		.amdhsa_exception_fp_ieee_div_zero 0
		.amdhsa_exception_fp_ieee_overflow 0
		.amdhsa_exception_fp_ieee_underflow 0
		.amdhsa_exception_fp_ieee_inexact 0
		.amdhsa_exception_int_div_zero 0
	.end_amdhsa_kernel
	.section	.text._ZN7rocprim17ROCPRIM_400000_NS6detail17trampoline_kernelINS0_14default_configENS1_25partition_config_selectorILNS1_17partition_subalgoE6EjNS0_10empty_typeEbEEZZNS1_14partition_implILS5_6ELb0ES3_mN6thrust23THRUST_200600_302600_NS6detail15normal_iteratorINSA_10device_ptrIjEEEEPS6_SG_NS0_5tupleIJSF_S6_EEENSH_IJSG_SG_EEES6_PlJ7is_evenIjEEEE10hipError_tPvRmT3_T4_T5_T6_T7_T9_mT8_P12ihipStream_tbDpT10_ENKUlT_T0_E_clISt17integral_constantIbLb1EES15_IbLb0EEEEDaS11_S12_EUlS11_E_NS1_11comp_targetILNS1_3genE10ELNS1_11target_archE1200ELNS1_3gpuE4ELNS1_3repE0EEENS1_30default_config_static_selectorELNS0_4arch9wavefront6targetE0EEEvT1_,"axG",@progbits,_ZN7rocprim17ROCPRIM_400000_NS6detail17trampoline_kernelINS0_14default_configENS1_25partition_config_selectorILNS1_17partition_subalgoE6EjNS0_10empty_typeEbEEZZNS1_14partition_implILS5_6ELb0ES3_mN6thrust23THRUST_200600_302600_NS6detail15normal_iteratorINSA_10device_ptrIjEEEEPS6_SG_NS0_5tupleIJSF_S6_EEENSH_IJSG_SG_EEES6_PlJ7is_evenIjEEEE10hipError_tPvRmT3_T4_T5_T6_T7_T9_mT8_P12ihipStream_tbDpT10_ENKUlT_T0_E_clISt17integral_constantIbLb1EES15_IbLb0EEEEDaS11_S12_EUlS11_E_NS1_11comp_targetILNS1_3genE10ELNS1_11target_archE1200ELNS1_3gpuE4ELNS1_3repE0EEENS1_30default_config_static_selectorELNS0_4arch9wavefront6targetE0EEEvT1_,comdat
.Lfunc_end317:
	.size	_ZN7rocprim17ROCPRIM_400000_NS6detail17trampoline_kernelINS0_14default_configENS1_25partition_config_selectorILNS1_17partition_subalgoE6EjNS0_10empty_typeEbEEZZNS1_14partition_implILS5_6ELb0ES3_mN6thrust23THRUST_200600_302600_NS6detail15normal_iteratorINSA_10device_ptrIjEEEEPS6_SG_NS0_5tupleIJSF_S6_EEENSH_IJSG_SG_EEES6_PlJ7is_evenIjEEEE10hipError_tPvRmT3_T4_T5_T6_T7_T9_mT8_P12ihipStream_tbDpT10_ENKUlT_T0_E_clISt17integral_constantIbLb1EES15_IbLb0EEEEDaS11_S12_EUlS11_E_NS1_11comp_targetILNS1_3genE10ELNS1_11target_archE1200ELNS1_3gpuE4ELNS1_3repE0EEENS1_30default_config_static_selectorELNS0_4arch9wavefront6targetE0EEEvT1_, .Lfunc_end317-_ZN7rocprim17ROCPRIM_400000_NS6detail17trampoline_kernelINS0_14default_configENS1_25partition_config_selectorILNS1_17partition_subalgoE6EjNS0_10empty_typeEbEEZZNS1_14partition_implILS5_6ELb0ES3_mN6thrust23THRUST_200600_302600_NS6detail15normal_iteratorINSA_10device_ptrIjEEEEPS6_SG_NS0_5tupleIJSF_S6_EEENSH_IJSG_SG_EEES6_PlJ7is_evenIjEEEE10hipError_tPvRmT3_T4_T5_T6_T7_T9_mT8_P12ihipStream_tbDpT10_ENKUlT_T0_E_clISt17integral_constantIbLb1EES15_IbLb0EEEEDaS11_S12_EUlS11_E_NS1_11comp_targetILNS1_3genE10ELNS1_11target_archE1200ELNS1_3gpuE4ELNS1_3repE0EEENS1_30default_config_static_selectorELNS0_4arch9wavefront6targetE0EEEvT1_
                                        ; -- End function
	.section	.AMDGPU.csdata,"",@progbits
; Kernel info:
; codeLenInByte = 0
; NumSgprs: 0
; NumVgprs: 0
; ScratchSize: 0
; MemoryBound: 0
; FloatMode: 240
; IeeeMode: 1
; LDSByteSize: 0 bytes/workgroup (compile time only)
; SGPRBlocks: 0
; VGPRBlocks: 0
; NumSGPRsForWavesPerEU: 1
; NumVGPRsForWavesPerEU: 1
; Occupancy: 15
; WaveLimiterHint : 0
; COMPUTE_PGM_RSRC2:SCRATCH_EN: 0
; COMPUTE_PGM_RSRC2:USER_SGPR: 15
; COMPUTE_PGM_RSRC2:TRAP_HANDLER: 0
; COMPUTE_PGM_RSRC2:TGID_X_EN: 1
; COMPUTE_PGM_RSRC2:TGID_Y_EN: 0
; COMPUTE_PGM_RSRC2:TGID_Z_EN: 0
; COMPUTE_PGM_RSRC2:TIDIG_COMP_CNT: 0
	.section	.text._ZN7rocprim17ROCPRIM_400000_NS6detail17trampoline_kernelINS0_14default_configENS1_25partition_config_selectorILNS1_17partition_subalgoE6EjNS0_10empty_typeEbEEZZNS1_14partition_implILS5_6ELb0ES3_mN6thrust23THRUST_200600_302600_NS6detail15normal_iteratorINSA_10device_ptrIjEEEEPS6_SG_NS0_5tupleIJSF_S6_EEENSH_IJSG_SG_EEES6_PlJ7is_evenIjEEEE10hipError_tPvRmT3_T4_T5_T6_T7_T9_mT8_P12ihipStream_tbDpT10_ENKUlT_T0_E_clISt17integral_constantIbLb1EES15_IbLb0EEEEDaS11_S12_EUlS11_E_NS1_11comp_targetILNS1_3genE9ELNS1_11target_archE1100ELNS1_3gpuE3ELNS1_3repE0EEENS1_30default_config_static_selectorELNS0_4arch9wavefront6targetE0EEEvT1_,"axG",@progbits,_ZN7rocprim17ROCPRIM_400000_NS6detail17trampoline_kernelINS0_14default_configENS1_25partition_config_selectorILNS1_17partition_subalgoE6EjNS0_10empty_typeEbEEZZNS1_14partition_implILS5_6ELb0ES3_mN6thrust23THRUST_200600_302600_NS6detail15normal_iteratorINSA_10device_ptrIjEEEEPS6_SG_NS0_5tupleIJSF_S6_EEENSH_IJSG_SG_EEES6_PlJ7is_evenIjEEEE10hipError_tPvRmT3_T4_T5_T6_T7_T9_mT8_P12ihipStream_tbDpT10_ENKUlT_T0_E_clISt17integral_constantIbLb1EES15_IbLb0EEEEDaS11_S12_EUlS11_E_NS1_11comp_targetILNS1_3genE9ELNS1_11target_archE1100ELNS1_3gpuE3ELNS1_3repE0EEENS1_30default_config_static_selectorELNS0_4arch9wavefront6targetE0EEEvT1_,comdat
	.protected	_ZN7rocprim17ROCPRIM_400000_NS6detail17trampoline_kernelINS0_14default_configENS1_25partition_config_selectorILNS1_17partition_subalgoE6EjNS0_10empty_typeEbEEZZNS1_14partition_implILS5_6ELb0ES3_mN6thrust23THRUST_200600_302600_NS6detail15normal_iteratorINSA_10device_ptrIjEEEEPS6_SG_NS0_5tupleIJSF_S6_EEENSH_IJSG_SG_EEES6_PlJ7is_evenIjEEEE10hipError_tPvRmT3_T4_T5_T6_T7_T9_mT8_P12ihipStream_tbDpT10_ENKUlT_T0_E_clISt17integral_constantIbLb1EES15_IbLb0EEEEDaS11_S12_EUlS11_E_NS1_11comp_targetILNS1_3genE9ELNS1_11target_archE1100ELNS1_3gpuE3ELNS1_3repE0EEENS1_30default_config_static_selectorELNS0_4arch9wavefront6targetE0EEEvT1_ ; -- Begin function _ZN7rocprim17ROCPRIM_400000_NS6detail17trampoline_kernelINS0_14default_configENS1_25partition_config_selectorILNS1_17partition_subalgoE6EjNS0_10empty_typeEbEEZZNS1_14partition_implILS5_6ELb0ES3_mN6thrust23THRUST_200600_302600_NS6detail15normal_iteratorINSA_10device_ptrIjEEEEPS6_SG_NS0_5tupleIJSF_S6_EEENSH_IJSG_SG_EEES6_PlJ7is_evenIjEEEE10hipError_tPvRmT3_T4_T5_T6_T7_T9_mT8_P12ihipStream_tbDpT10_ENKUlT_T0_E_clISt17integral_constantIbLb1EES15_IbLb0EEEEDaS11_S12_EUlS11_E_NS1_11comp_targetILNS1_3genE9ELNS1_11target_archE1100ELNS1_3gpuE3ELNS1_3repE0EEENS1_30default_config_static_selectorELNS0_4arch9wavefront6targetE0EEEvT1_
	.globl	_ZN7rocprim17ROCPRIM_400000_NS6detail17trampoline_kernelINS0_14default_configENS1_25partition_config_selectorILNS1_17partition_subalgoE6EjNS0_10empty_typeEbEEZZNS1_14partition_implILS5_6ELb0ES3_mN6thrust23THRUST_200600_302600_NS6detail15normal_iteratorINSA_10device_ptrIjEEEEPS6_SG_NS0_5tupleIJSF_S6_EEENSH_IJSG_SG_EEES6_PlJ7is_evenIjEEEE10hipError_tPvRmT3_T4_T5_T6_T7_T9_mT8_P12ihipStream_tbDpT10_ENKUlT_T0_E_clISt17integral_constantIbLb1EES15_IbLb0EEEEDaS11_S12_EUlS11_E_NS1_11comp_targetILNS1_3genE9ELNS1_11target_archE1100ELNS1_3gpuE3ELNS1_3repE0EEENS1_30default_config_static_selectorELNS0_4arch9wavefront6targetE0EEEvT1_
	.p2align	8
	.type	_ZN7rocprim17ROCPRIM_400000_NS6detail17trampoline_kernelINS0_14default_configENS1_25partition_config_selectorILNS1_17partition_subalgoE6EjNS0_10empty_typeEbEEZZNS1_14partition_implILS5_6ELb0ES3_mN6thrust23THRUST_200600_302600_NS6detail15normal_iteratorINSA_10device_ptrIjEEEEPS6_SG_NS0_5tupleIJSF_S6_EEENSH_IJSG_SG_EEES6_PlJ7is_evenIjEEEE10hipError_tPvRmT3_T4_T5_T6_T7_T9_mT8_P12ihipStream_tbDpT10_ENKUlT_T0_E_clISt17integral_constantIbLb1EES15_IbLb0EEEEDaS11_S12_EUlS11_E_NS1_11comp_targetILNS1_3genE9ELNS1_11target_archE1100ELNS1_3gpuE3ELNS1_3repE0EEENS1_30default_config_static_selectorELNS0_4arch9wavefront6targetE0EEEvT1_,@function
_ZN7rocprim17ROCPRIM_400000_NS6detail17trampoline_kernelINS0_14default_configENS1_25partition_config_selectorILNS1_17partition_subalgoE6EjNS0_10empty_typeEbEEZZNS1_14partition_implILS5_6ELb0ES3_mN6thrust23THRUST_200600_302600_NS6detail15normal_iteratorINSA_10device_ptrIjEEEEPS6_SG_NS0_5tupleIJSF_S6_EEENSH_IJSG_SG_EEES6_PlJ7is_evenIjEEEE10hipError_tPvRmT3_T4_T5_T6_T7_T9_mT8_P12ihipStream_tbDpT10_ENKUlT_T0_E_clISt17integral_constantIbLb1EES15_IbLb0EEEEDaS11_S12_EUlS11_E_NS1_11comp_targetILNS1_3genE9ELNS1_11target_archE1100ELNS1_3gpuE3ELNS1_3repE0EEENS1_30default_config_static_selectorELNS0_4arch9wavefront6targetE0EEEvT1_: ; @_ZN7rocprim17ROCPRIM_400000_NS6detail17trampoline_kernelINS0_14default_configENS1_25partition_config_selectorILNS1_17partition_subalgoE6EjNS0_10empty_typeEbEEZZNS1_14partition_implILS5_6ELb0ES3_mN6thrust23THRUST_200600_302600_NS6detail15normal_iteratorINSA_10device_ptrIjEEEEPS6_SG_NS0_5tupleIJSF_S6_EEENSH_IJSG_SG_EEES6_PlJ7is_evenIjEEEE10hipError_tPvRmT3_T4_T5_T6_T7_T9_mT8_P12ihipStream_tbDpT10_ENKUlT_T0_E_clISt17integral_constantIbLb1EES15_IbLb0EEEEDaS11_S12_EUlS11_E_NS1_11comp_targetILNS1_3genE9ELNS1_11target_archE1100ELNS1_3gpuE3ELNS1_3repE0EEENS1_30default_config_static_selectorELNS0_4arch9wavefront6targetE0EEEvT1_
; %bb.0:
	s_clause 0x3
	s_load_b128 s[8:11], s[0:1], 0x8
	s_load_b128 s[4:7], s[0:1], 0x40
	s_load_b32 s14, s[0:1], 0x68
	s_load_b64 s[12:13], s[0:1], 0x50
	v_lshlrev_b32_e32 v17, 2, v0
	s_waitcnt lgkmcnt(0)
	s_lshl_b64 s[16:17], s[10:11], 2
	s_load_b64 s[2:3], s[6:7], 0x0
	s_mul_i32 s6, s14, 0x700
	s_add_u32 s8, s8, s16
	s_addc_u32 s9, s9, s17
	s_add_i32 s7, s6, s10
	s_add_i32 s16, s14, -1
	s_sub_i32 s14, s12, s7
	s_add_u32 s6, s10, s6
	s_addc_u32 s7, s11, 0
	s_cmp_eq_u32 s15, s16
	v_cmp_ge_u64_e64 s11, s[6:7], s[12:13]
	s_cselect_b32 s10, -1, 0
	s_mov_b32 s7, 0
	s_mul_i32 s6, s15, 0x700
	s_mov_b32 s16, -1
	s_lshl_b64 s[6:7], s[6:7], 2
	s_and_b32 s11, s10, s11
	s_delay_alu instid0(SALU_CYCLE_1)
	s_xor_b32 s11, s11, -1
	s_add_u32 s12, s8, s6
	s_addc_u32 s13, s9, s7
	s_and_b32 vcc_lo, exec_lo, s11
	s_cbranch_vccz .LBB318_2
; %bb.1:
	v_add_co_u32 v1, s6, s12, v17
	s_delay_alu instid0(VALU_DEP_1) | instskip(SKIP_1) | instid1(VALU_DEP_2)
	v_add_co_ci_u32_e64 v2, null, s13, 0, s6
	s_mov_b32 s16, 0
	v_add_co_u32 v3, vcc_lo, 0x1000, v1
	s_delay_alu instid0(VALU_DEP_2)
	v_add_co_ci_u32_e32 v4, vcc_lo, 0, v2, vcc_lo
	s_clause 0xd
	flat_load_b32 v5, v[1:2]
	flat_load_b32 v6, v[1:2] offset:512
	flat_load_b32 v7, v[1:2] offset:1024
	;; [unrolled: 1-line block ×7, first 2 shown]
	flat_load_b32 v2, v[3:4]
	flat_load_b32 v12, v[3:4] offset:512
	flat_load_b32 v13, v[3:4] offset:1024
	flat_load_b32 v14, v[3:4] offset:1536
	flat_load_b32 v15, v[3:4] offset:2048
	flat_load_b32 v3, v[3:4] offset:2560
	s_waitcnt vmcnt(12) lgkmcnt(0)
	ds_store_2addr_stride64_b32 v17, v5, v6 offset1:2
	s_waitcnt vmcnt(10)
	ds_store_2addr_stride64_b32 v17, v7, v8 offset0:4 offset1:6
	s_waitcnt vmcnt(8)
	ds_store_2addr_stride64_b32 v17, v9, v10 offset0:8 offset1:10
	;; [unrolled: 2-line block ×6, first 2 shown]
	s_waitcnt lgkmcnt(0)
	s_barrier
.LBB318_2:
	s_clause 0x1
	s_load_b64 s[6:7], s[0:1], 0x28
	s_load_b64 s[8:9], s[0:1], 0x60
	s_and_not1_b32 vcc_lo, exec_lo, s16
	s_add_i32 s0, s14, 0x700
	s_cbranch_vccnz .LBB318_32
; %bb.3:
	s_mov_b32 s1, exec_lo
                                        ; implicit-def: $vgpr1_vgpr2_vgpr3_vgpr4_vgpr5_vgpr6_vgpr7_vgpr8_vgpr9_vgpr10_vgpr11_vgpr12_vgpr13_vgpr14_vgpr15_vgpr16
	v_cmpx_gt_u32_e64 s0, v0
	s_cbranch_execz .LBB318_5
; %bb.4:
	v_add_co_u32 v1, s14, s12, v17
	s_delay_alu instid0(VALU_DEP_1)
	v_add_co_ci_u32_e64 v2, null, s13, 0, s14
	flat_load_b32 v1, v[1:2]
.LBB318_5:
	s_or_b32 exec_lo, exec_lo, s1
	v_or_b32_e32 v15, 0x80, v0
	s_mov_b32 s1, exec_lo
	s_delay_alu instid0(VALU_DEP_1)
	v_cmpx_gt_u32_e64 s0, v15
	s_cbranch_execz .LBB318_7
; %bb.6:
	v_add_co_u32 v15, s14, s12, v17
	s_delay_alu instid0(VALU_DEP_1)
	v_add_co_ci_u32_e64 v16, null, s13, 0, s14
	flat_load_b32 v2, v[15:16] offset:512
.LBB318_7:
	s_or_b32 exec_lo, exec_lo, s1
	v_or_b32_e32 v15, 0x100, v0
	s_mov_b32 s1, exec_lo
	s_delay_alu instid0(VALU_DEP_1)
	v_cmpx_gt_u32_e64 s0, v15
	s_cbranch_execz .LBB318_9
; %bb.8:
	v_add_co_u32 v15, s14, s12, v17
	s_delay_alu instid0(VALU_DEP_1)
	v_add_co_ci_u32_e64 v16, null, s13, 0, s14
	flat_load_b32 v3, v[15:16] offset:1024
.LBB318_9:
	;; [unrolled: 12-line block ×7, first 2 shown]
	s_or_b32 exec_lo, exec_lo, s1
	v_or_b32_e32 v15, 0x400, v0
	s_mov_b32 s1, exec_lo
	s_delay_alu instid0(VALU_DEP_1)
	v_cmpx_gt_u32_e64 s0, v15
	s_cbranch_execz .LBB318_21
; %bb.20:
	v_lshlrev_b32_e32 v9, 2, v15
	s_delay_alu instid0(VALU_DEP_1) | instskip(NEXT) | instid1(VALU_DEP_1)
	v_add_co_u32 v15, s14, s12, v9
	v_add_co_ci_u32_e64 v16, null, s13, 0, s14
	flat_load_b32 v9, v[15:16]
.LBB318_21:
	s_or_b32 exec_lo, exec_lo, s1
	v_or_b32_e32 v15, 0x480, v0
	s_mov_b32 s1, exec_lo
	s_delay_alu instid0(VALU_DEP_1)
	v_cmpx_gt_u32_e64 s0, v15
	s_cbranch_execz .LBB318_23
; %bb.22:
	v_lshlrev_b32_e32 v10, 2, v15
	s_delay_alu instid0(VALU_DEP_1) | instskip(NEXT) | instid1(VALU_DEP_1)
	v_add_co_u32 v15, s14, s12, v10
	v_add_co_ci_u32_e64 v16, null, s13, 0, s14
	flat_load_b32 v10, v[15:16]
.LBB318_23:
	;; [unrolled: 13-line block ×6, first 2 shown]
	s_or_b32 exec_lo, exec_lo, s1
	s_waitcnt vmcnt(0) lgkmcnt(0)
	ds_store_2addr_stride64_b32 v17, v1, v2 offset1:2
	ds_store_2addr_stride64_b32 v17, v3, v4 offset0:4 offset1:6
	ds_store_2addr_stride64_b32 v17, v5, v6 offset0:8 offset1:10
	;; [unrolled: 1-line block ×6, first 2 shown]
	s_waitcnt lgkmcnt(0)
	s_barrier
.LBB318_32:
	v_mul_u32_u24_e32 v12, 14, v0
	s_waitcnt lgkmcnt(0)
	buffer_gl0_inv
	s_and_not1_b32 vcc_lo, exec_lo, s11
	v_lshlrev_b32_e32 v61, 2, v12
	ds_load_2addr_b64 v[41:44], v61 offset1:1
	ds_load_2addr_b64 v[37:40], v61 offset0:2 offset1:3
	ds_load_2addr_b64 v[33:36], v61 offset0:4 offset1:5
	ds_load_b64 v[49:50], v61 offset:48
	s_waitcnt lgkmcnt(0)
	s_barrier
	buffer_gl0_inv
	v_xor_b32_e32 v13, -1, v41
	v_xor_b32_e32 v14, -1, v42
	;; [unrolled: 1-line block ×14, first 2 shown]
	s_cbranch_vccnz .LBB318_34
; %bb.33:
	v_and_b32_e32 v16, 1, v14
	v_and_b32_e32 v17, 1, v13
	;; [unrolled: 1-line block ×5, first 2 shown]
	v_lshlrev_b16 v16, 8, v16
	v_and_b32_e32 v26, 1, v6
	v_and_b32_e32 v18, 1, v15
	;; [unrolled: 1-line block ×4, first 2 shown]
	v_or_b32_e32 v16, v17, v16
	v_and_b32_e32 v17, 1, v4
	v_and_b32_e32 v24, 1, v3
	;; [unrolled: 1-line block ×3, first 2 shown]
	v_lshlrev_b16 v19, 8, v19
	v_lshlrev_b16 v21, 8, v21
	;; [unrolled: 1-line block ×5, first 2 shown]
	v_or_b32_e32 v18, v18, v19
	v_or_b32_e32 v19, v20, v21
	;; [unrolled: 1-line block ×5, first 2 shown]
	v_and_b32_e32 v16, 0xffff, v16
	v_lshlrev_b32_e32 v18, 16, v18
	v_and_b32_e32 v19, 0xffff, v19
	v_lshlrev_b32_e32 v20, 16, v20
	;; [unrolled: 2-line block ×3, first 2 shown]
	v_and_b32_e32 v54, 1, v1
	v_and_b32_e32 v53, 1, v2
	v_or_b32_e32 v59, v16, v18
	v_or_b32_e32 v56, v19, v20
	;; [unrolled: 1-line block ×3, first 2 shown]
	s_cbranch_execz .LBB318_35
	s_branch .LBB318_36
.LBB318_34:
                                        ; implicit-def: $vgpr53
                                        ; implicit-def: $vgpr54
                                        ; implicit-def: $vgpr55
                                        ; implicit-def: $vgpr56
                                        ; implicit-def: $vgpr59
.LBB318_35:
	v_or_b32_e32 v16, 1, v12
	v_cmp_gt_u32_e32 vcc_lo, s0, v12
	v_add_nc_u32_e32 v17, 2, v12
	v_add_nc_u32_e32 v18, 3, v12
	;; [unrolled: 1-line block ×4, first 2 shown]
	v_cndmask_b32_e64 v27, 0, 1, vcc_lo
	v_cmp_gt_u32_e32 vcc_lo, s0, v16
	v_add_nc_u32_e32 v21, 6, v12
	v_add_nc_u32_e32 v22, 7, v12
	;; [unrolled: 1-line block ×4, first 2 shown]
	v_cndmask_b32_e64 v16, 0, 1, vcc_lo
	v_cmp_gt_u32_e32 vcc_lo, s0, v17
	v_add_nc_u32_e32 v25, 10, v12
	v_add_nc_u32_e32 v26, 11, v12
	;; [unrolled: 1-line block ×3, first 2 shown]
	v_and_b32_e32 v14, v16, v14
	v_cndmask_b32_e64 v17, 0, 1, vcc_lo
	v_cmp_gt_u32_e32 vcc_lo, s0, v18
	v_add_nc_u32_e32 v12, 13, v12
	v_and_b32_e32 v13, v27, v13
	v_lshlrev_b16 v14, 8, v14
	v_and_b32_e32 v15, v17, v15
	v_cndmask_b32_e64 v16, 0, 1, vcc_lo
	v_cmp_gt_u32_e32 vcc_lo, s0, v19
	s_delay_alu instid0(VALU_DEP_4) | instskip(NEXT) | instid1(VALU_DEP_3)
	v_or_b32_e32 v13, v13, v14
	v_and_b32_e32 v7, v16, v7
	v_cndmask_b32_e64 v17, 0, 1, vcc_lo
	v_cmp_gt_u32_e32 vcc_lo, s0, v20
	s_delay_alu instid0(VALU_DEP_4) | instskip(NEXT) | instid1(VALU_DEP_4)
	v_and_b32_e32 v13, 0xffff, v13
	v_lshlrev_b16 v7, 8, v7
	s_delay_alu instid0(VALU_DEP_4) | instskip(SKIP_2) | instid1(VALU_DEP_4)
	v_and_b32_e32 v8, v17, v8
	v_cndmask_b32_e64 v18, 0, 1, vcc_lo
	v_cmp_gt_u32_e32 vcc_lo, s0, v21
	v_or_b32_e32 v7, v15, v7
	s_delay_alu instid0(VALU_DEP_3) | instskip(SKIP_2) | instid1(VALU_DEP_3)
	v_and_b32_e32 v9, v18, v9
	v_cndmask_b32_e64 v19, 0, 1, vcc_lo
	v_cmp_gt_u32_e32 vcc_lo, s0, v22
	v_lshlrev_b16 v9, 8, v9
	s_delay_alu instid0(VALU_DEP_3) | instskip(SKIP_2) | instid1(VALU_DEP_4)
	v_and_b32_e32 v10, v19, v10
	v_cndmask_b32_e64 v20, 0, 1, vcc_lo
	v_cmp_gt_u32_e32 vcc_lo, s0, v23
	v_or_b32_e32 v8, v8, v9
	s_delay_alu instid0(VALU_DEP_3) | instskip(SKIP_2) | instid1(VALU_DEP_3)
	v_and_b32_e32 v11, v20, v11
	v_cndmask_b32_e64 v16, 0, 1, vcc_lo
	v_cmp_gt_u32_e32 vcc_lo, s0, v24
	v_lshlrev_b16 v11, 8, v11
	s_delay_alu instid0(VALU_DEP_3) | instskip(SKIP_2) | instid1(VALU_DEP_4)
	;; [unrolled: 10-line block ×3, first 2 shown]
	v_and_b32_e32 v5, v18, v5
	v_cndmask_b32_e64 v19, 0, 1, vcc_lo
	v_cmp_gt_u32_e32 vcc_lo, s0, v28
	v_or_b32_e32 v3, v3, v4
	s_delay_alu instid0(VALU_DEP_3) | instskip(SKIP_2) | instid1(VALU_DEP_4)
	v_and_b32_e32 v6, v19, v6
	v_cndmask_b32_e64 v14, 0, 1, vcc_lo
	v_cmp_gt_u32_e32 vcc_lo, s0, v12
	v_and_b32_e32 v3, 0xffff, v3
	s_delay_alu instid0(VALU_DEP_4) | instskip(NEXT) | instid1(VALU_DEP_4)
	v_lshlrev_b16 v6, 8, v6
	v_and_b32_e32 v54, v14, v1
	v_cndmask_b32_e64 v12, 0, 1, vcc_lo
	s_delay_alu instid0(VALU_DEP_3)
	v_or_b32_e32 v4, v5, v6
	v_lshlrev_b32_e32 v5, 16, v7
	v_and_b32_e32 v6, 0xffff, v8
	v_lshlrev_b32_e32 v7, 16, v9
	v_and_b32_e32 v53, v12, v2
	v_lshlrev_b32_e32 v4, 16, v4
	v_or_b32_e32 v59, v13, v5
	s_delay_alu instid0(VALU_DEP_4) | instskip(NEXT) | instid1(VALU_DEP_3)
	v_or_b32_e32 v56, v6, v7
	v_or_b32_e32 v55, v3, v4
.LBB318_36:
	s_delay_alu instid0(VALU_DEP_3)
	v_dual_mov_b32 v2, 0 :: v_dual_and_b32 v63, 0xff, v59
	v_bfe_u32 v64, v59, 8, 8
	v_bfe_u32 v65, v59, 16, 8
	v_lshrrev_b32_e32 v60, 24, v59
	v_and_b32_e32 v66, 0xff, v56
	v_bfe_u32 v67, v56, 8, 8
	v_add_co_u32 v1, s0, v64, v63
	s_delay_alu instid0(VALU_DEP_1) | instskip(SKIP_1) | instid1(VALU_DEP_3)
	v_add_co_ci_u32_e64 v3, null, 0, 0, s0
	v_bfe_u32 v68, v56, 16, 8
	v_add_co_u32 v1, vcc_lo, v1, v65
	s_delay_alu instid0(VALU_DEP_3) | instskip(SKIP_1) | instid1(VALU_DEP_3)
	v_add_co_ci_u32_e32 v3, vcc_lo, 0, v3, vcc_lo
	v_lshrrev_b32_e32 v58, 24, v56
	v_add_co_u32 v1, vcc_lo, v1, v60
	s_delay_alu instid0(VALU_DEP_3) | instskip(SKIP_1) | instid1(VALU_DEP_3)
	v_add_co_ci_u32_e32 v3, vcc_lo, 0, v3, vcc_lo
	v_and_b32_e32 v69, 0xff, v55
	v_add_co_u32 v1, vcc_lo, v1, v66
	s_delay_alu instid0(VALU_DEP_3) | instskip(SKIP_1) | instid1(VALU_DEP_3)
	v_add_co_ci_u32_e32 v3, vcc_lo, 0, v3, vcc_lo
	v_bfe_u32 v70, v55, 8, 8
	v_add_co_u32 v1, vcc_lo, v1, v67
	s_delay_alu instid0(VALU_DEP_3) | instskip(SKIP_1) | instid1(VALU_DEP_3)
	v_add_co_ci_u32_e32 v3, vcc_lo, 0, v3, vcc_lo
	v_bfe_u32 v71, v55, 16, 8
	v_add_co_u32 v1, vcc_lo, v1, v68
	s_delay_alu instid0(VALU_DEP_3) | instskip(SKIP_1) | instid1(VALU_DEP_3)
	v_add_co_ci_u32_e32 v3, vcc_lo, 0, v3, vcc_lo
	v_lshrrev_b32_e32 v57, 24, v55
	v_add_co_u32 v1, vcc_lo, v1, v58
	s_delay_alu instid0(VALU_DEP_3) | instskip(SKIP_1) | instid1(VALU_DEP_3)
	v_add_co_ci_u32_e32 v3, vcc_lo, 0, v3, vcc_lo
	v_and_b32_e32 v62, 0xff, v54
	v_add_co_u32 v1, vcc_lo, v1, v69
	s_delay_alu instid0(VALU_DEP_3) | instskip(SKIP_1) | instid1(VALU_DEP_3)
	v_add_co_ci_u32_e32 v3, vcc_lo, 0, v3, vcc_lo
	v_mbcnt_lo_u32_b32 v72, -1, 0
	v_add_co_u32 v1, vcc_lo, v1, v70
	s_delay_alu instid0(VALU_DEP_3) | instskip(SKIP_1) | instid1(VALU_DEP_3)
	v_add_co_ci_u32_e32 v3, vcc_lo, 0, v3, vcc_lo
	v_and_b32_e32 v4, 0xff, v53
	v_add_co_u32 v1, vcc_lo, v1, v71
	s_delay_alu instid0(VALU_DEP_3) | instskip(SKIP_1) | instid1(VALU_DEP_3)
	v_add_co_ci_u32_e32 v3, vcc_lo, 0, v3, vcc_lo
	v_and_b32_e32 v73, 15, v72
	v_add_co_u32 v1, vcc_lo, v1, v57
	s_delay_alu instid0(VALU_DEP_3) | instskip(NEXT) | instid1(VALU_DEP_3)
	v_add_co_ci_u32_e32 v3, vcc_lo, 0, v3, vcc_lo
	v_cmp_ne_u32_e64 s0, 0, v73
	s_delay_alu instid0(VALU_DEP_3) | instskip(NEXT) | instid1(VALU_DEP_3)
	v_add_co_u32 v1, vcc_lo, v1, v62
	v_add_co_ci_u32_e32 v3, vcc_lo, 0, v3, vcc_lo
	s_cmp_lg_u32 s15, 0
	s_delay_alu instid0(VALU_DEP_2) | instskip(NEXT) | instid1(VALU_DEP_2)
	v_add_co_u32 v51, vcc_lo, v1, v4
	v_add_co_ci_u32_e32 v52, vcc_lo, 0, v3, vcc_lo
	s_mov_b32 s1, -1
	s_cbranch_scc0 .LBB318_101
; %bb.37:
	s_delay_alu instid0(VALU_DEP_2)
	v_mov_b32_e32 v3, v51
	v_mov_b32_dpp v1, v51 row_shr:1 row_mask:0xf bank_mask:0xf
	v_mov_b32_dpp v6, v2 row_shr:1 row_mask:0xf bank_mask:0xf
	v_dual_mov_b32 v5, v51 :: v_dual_mov_b32 v4, v52
	s_and_saveexec_b32 s1, s0
; %bb.38:
	s_delay_alu instid0(VALU_DEP_3) | instskip(SKIP_1) | instid1(VALU_DEP_2)
	v_add_co_u32 v5, vcc_lo, v51, v1
	v_add_co_ci_u32_e32 v2, vcc_lo, 0, v52, vcc_lo
	v_add_co_u32 v1, vcc_lo, 0, v5
	s_delay_alu instid0(VALU_DEP_2) | instskip(NEXT) | instid1(VALU_DEP_1)
	v_add_co_ci_u32_e32 v2, vcc_lo, v6, v2, vcc_lo
	v_dual_mov_b32 v4, v2 :: v_dual_mov_b32 v3, v1
; %bb.39:
	s_or_b32 exec_lo, exec_lo, s1
	v_mov_b32_dpp v1, v5 row_shr:2 row_mask:0xf bank_mask:0xf
	v_mov_b32_dpp v6, v2 row_shr:2 row_mask:0xf bank_mask:0xf
	s_mov_b32 s1, exec_lo
	v_cmpx_lt_u32_e32 1, v73
; %bb.40:
	s_delay_alu instid0(VALU_DEP_3) | instskip(SKIP_1) | instid1(VALU_DEP_2)
	v_add_co_u32 v5, vcc_lo, v3, v1
	v_add_co_ci_u32_e32 v2, vcc_lo, 0, v4, vcc_lo
	v_add_co_u32 v1, vcc_lo, 0, v5
	s_delay_alu instid0(VALU_DEP_2) | instskip(NEXT) | instid1(VALU_DEP_1)
	v_add_co_ci_u32_e32 v2, vcc_lo, v6, v2, vcc_lo
	v_dual_mov_b32 v4, v2 :: v_dual_mov_b32 v3, v1
; %bb.41:
	s_or_b32 exec_lo, exec_lo, s1
	v_mov_b32_dpp v1, v5 row_shr:4 row_mask:0xf bank_mask:0xf
	v_mov_b32_dpp v6, v2 row_shr:4 row_mask:0xf bank_mask:0xf
	s_mov_b32 s1, exec_lo
	v_cmpx_lt_u32_e32 3, v73
	;; [unrolled: 14-line block ×3, first 2 shown]
; %bb.44:
	s_delay_alu instid0(VALU_DEP_3) | instskip(SKIP_1) | instid1(VALU_DEP_2)
	v_add_co_u32 v5, vcc_lo, v3, v6
	v_add_co_ci_u32_e32 v2, vcc_lo, 0, v4, vcc_lo
	v_add_co_u32 v3, vcc_lo, 0, v5
	s_delay_alu instid0(VALU_DEP_2) | instskip(NEXT) | instid1(VALU_DEP_1)
	v_add_co_ci_u32_e32 v4, vcc_lo, v1, v2, vcc_lo
	v_mov_b32_e32 v2, v4
; %bb.45:
	s_or_b32 exec_lo, exec_lo, s1
	ds_swizzle_b32 v1, v5 offset:swizzle(BROADCAST,32,15)
	ds_swizzle_b32 v6, v2 offset:swizzle(BROADCAST,32,15)
	v_and_b32_e32 v7, 16, v72
	s_mov_b32 s1, exec_lo
	s_delay_alu instid0(VALU_DEP_1)
	v_cmpx_ne_u32_e32 0, v7
	s_cbranch_execz .LBB318_47
; %bb.46:
	s_waitcnt lgkmcnt(1)
	v_add_co_u32 v5, vcc_lo, v3, v1
	v_add_co_ci_u32_e32 v2, vcc_lo, 0, v4, vcc_lo
	s_delay_alu instid0(VALU_DEP_2) | instskip(SKIP_1) | instid1(VALU_DEP_2)
	v_add_co_u32 v1, vcc_lo, 0, v5
	s_waitcnt lgkmcnt(0)
	v_add_co_ci_u32_e32 v2, vcc_lo, v6, v2, vcc_lo
	s_delay_alu instid0(VALU_DEP_1)
	v_dual_mov_b32 v4, v2 :: v_dual_mov_b32 v3, v1
.LBB318_47:
	s_or_b32 exec_lo, exec_lo, s1
	s_waitcnt lgkmcnt(0)
	v_or_b32_e32 v6, 31, v0
	v_lshrrev_b32_e32 v1, 5, v0
	s_mov_b32 s1, exec_lo
	s_delay_alu instid0(VALU_DEP_2)
	v_cmpx_eq_u32_e64 v6, v0
	s_cbranch_execz .LBB318_49
; %bb.48:
	s_delay_alu instid0(VALU_DEP_2)
	v_lshlrev_b32_e32 v6, 3, v1
	ds_store_b64 v6, v[3:4]
.LBB318_49:
	s_or_b32 exec_lo, exec_lo, s1
	s_delay_alu instid0(SALU_CYCLE_1)
	s_mov_b32 s1, exec_lo
	s_waitcnt lgkmcnt(0)
	s_barrier
	buffer_gl0_inv
	v_cmpx_gt_u32_e32 4, v0
	s_cbranch_execz .LBB318_55
; %bb.50:
	v_lshlrev_b32_e32 v6, 3, v0
	s_mov_b32 s12, exec_lo
	ds_load_b64 v[3:4], v6
	s_waitcnt lgkmcnt(0)
	v_dual_mov_b32 v8, v3 :: v_dual_and_b32 v7, 3, v72
	v_mov_b32_dpp v10, v3 row_shr:1 row_mask:0xf bank_mask:0xf
	v_mov_b32_dpp v9, v4 row_shr:1 row_mask:0xf bank_mask:0xf
	s_delay_alu instid0(VALU_DEP_3)
	v_cmpx_ne_u32_e32 0, v7
; %bb.51:
	s_delay_alu instid0(VALU_DEP_3) | instskip(SKIP_1) | instid1(VALU_DEP_2)
	v_add_co_u32 v8, vcc_lo, v3, v10
	v_add_co_ci_u32_e32 v4, vcc_lo, 0, v4, vcc_lo
	v_add_co_u32 v3, vcc_lo, 0, v8
	s_delay_alu instid0(VALU_DEP_2)
	v_add_co_ci_u32_e32 v4, vcc_lo, v9, v4, vcc_lo
; %bb.52:
	s_or_b32 exec_lo, exec_lo, s12
	v_mov_b32_dpp v9, v8 row_shr:2 row_mask:0xf bank_mask:0xf
	s_delay_alu instid0(VALU_DEP_2)
	v_mov_b32_dpp v8, v4 row_shr:2 row_mask:0xf bank_mask:0xf
	s_mov_b32 s12, exec_lo
	v_cmpx_lt_u32_e32 1, v7
; %bb.53:
	s_delay_alu instid0(VALU_DEP_3) | instskip(SKIP_1) | instid1(VALU_DEP_2)
	v_add_co_u32 v3, vcc_lo, v3, v9
	v_add_co_ci_u32_e32 v4, vcc_lo, 0, v4, vcc_lo
	v_add_co_u32 v3, vcc_lo, v3, 0
	s_delay_alu instid0(VALU_DEP_2)
	v_add_co_ci_u32_e32 v4, vcc_lo, v4, v8, vcc_lo
; %bb.54:
	s_or_b32 exec_lo, exec_lo, s12
	ds_store_b64 v6, v[3:4]
.LBB318_55:
	s_or_b32 exec_lo, exec_lo, s1
	v_cmp_gt_u32_e32 vcc_lo, 32, v0
	s_mov_b32 s12, exec_lo
	s_waitcnt lgkmcnt(0)
	s_barrier
	buffer_gl0_inv
                                        ; implicit-def: $vgpr9_vgpr10
	v_cmpx_lt_u32_e32 31, v0
	s_cbranch_execz .LBB318_57
; %bb.56:
	v_lshl_add_u32 v1, v1, 3, -8
	ds_load_b64 v[9:10], v1
	s_waitcnt lgkmcnt(0)
	v_add_co_u32 v5, s1, v5, v9
	s_delay_alu instid0(VALU_DEP_1)
	v_add_co_ci_u32_e64 v2, s1, v2, v10, s1
.LBB318_57:
	s_or_b32 exec_lo, exec_lo, s12
	v_add_nc_u32_e32 v1, -1, v72
	s_delay_alu instid0(VALU_DEP_1) | instskip(NEXT) | instid1(VALU_DEP_1)
	v_cmp_gt_i32_e64 s1, 0, v1
	v_cndmask_b32_e64 v1, v1, v72, s1
	v_cmp_eq_u32_e64 s1, 0, v72
	s_delay_alu instid0(VALU_DEP_2)
	v_lshlrev_b32_e32 v1, 2, v1
	ds_bpermute_b32 v15, v1, v5
	ds_bpermute_b32 v16, v1, v2
	s_and_saveexec_b32 s12, vcc_lo
	s_cbranch_execz .LBB318_100
; %bb.58:
	v_mov_b32_e32 v4, 0
	ds_load_b64 v[1:2], v4 offset:24
	s_and_saveexec_b32 s13, s1
	s_cbranch_execz .LBB318_60
; %bb.59:
	s_add_i32 s16, s15, 32
	s_mov_b32 s17, 0
	s_delay_alu instid0(SALU_CYCLE_1) | instskip(NEXT) | instid1(SALU_CYCLE_1)
	s_lshl_b64 s[16:17], s[16:17], 4
	s_add_u32 s16, s8, s16
	s_addc_u32 s17, s9, s17
	v_mov_b32_e32 v5, s16
	v_dual_mov_b32 v3, 1 :: v_dual_mov_b32 v6, s17
	s_waitcnt lgkmcnt(0)
	;;#ASMSTART
	global_store_dwordx4 v[5:6], v[1:4] off	
s_waitcnt vmcnt(0)
	;;#ASMEND
.LBB318_60:
	s_or_b32 exec_lo, exec_lo, s13
	v_xad_u32 v11, v72, -1, s15
	s_mov_b32 s14, 0
	s_mov_b32 s13, exec_lo
	s_delay_alu instid0(VALU_DEP_1) | instskip(NEXT) | instid1(VALU_DEP_1)
	v_add_nc_u32_e32 v3, 32, v11
	v_lshlrev_b64 v[3:4], 4, v[3:4]
	s_delay_alu instid0(VALU_DEP_1) | instskip(NEXT) | instid1(VALU_DEP_2)
	v_add_co_u32 v3, vcc_lo, s8, v3
	v_add_co_ci_u32_e32 v4, vcc_lo, s9, v4, vcc_lo
	;;#ASMSTART
	global_load_dwordx4 v[5:8], v[3:4] off glc	
s_waitcnt vmcnt(0)
	;;#ASMEND
	v_and_b32_e32 v8, 0xff, v6
	v_and_b32_e32 v12, 0xff00, v6
	v_or3_b32 v5, v5, 0, 0
	v_and_b32_e32 v13, 0xff000000, v6
	v_and_b32_e32 v6, 0xff0000, v6
	s_delay_alu instid0(VALU_DEP_4) | instskip(SKIP_2) | instid1(VALU_DEP_3)
	v_or3_b32 v8, 0, v8, v12
	v_and_b32_e32 v12, 0xff, v7
	v_or3_b32 v5, v5, 0, 0
	v_or3_b32 v6, v8, v6, v13
	s_delay_alu instid0(VALU_DEP_3)
	v_cmpx_eq_u16_e32 0, v12
	s_cbranch_execz .LBB318_66
; %bb.61:
	s_mov_b32 s16, 1
	.p2align	6
.LBB318_62:                             ; =>This Loop Header: Depth=1
                                        ;     Child Loop BB318_63 Depth 2
	s_delay_alu instid0(SALU_CYCLE_1)
	s_max_u32 s17, s16, 1
.LBB318_63:                             ;   Parent Loop BB318_62 Depth=1
                                        ; =>  This Inner Loop Header: Depth=2
	s_delay_alu instid0(SALU_CYCLE_1)
	s_add_i32 s17, s17, -1
	s_sleep 1
	s_cmp_eq_u32 s17, 0
	s_cbranch_scc0 .LBB318_63
; %bb.64:                               ;   in Loop: Header=BB318_62 Depth=1
	;;#ASMSTART
	global_load_dwordx4 v[5:8], v[3:4] off glc	
s_waitcnt vmcnt(0)
	;;#ASMEND
	v_and_b32_e32 v8, 0xff, v7
	s_cmp_lt_u32 s16, 32
	s_cselect_b32 s17, -1, 0
	s_delay_alu instid0(SALU_CYCLE_1) | instskip(NEXT) | instid1(VALU_DEP_1)
	s_cmp_lg_u32 s17, 0
	v_cmp_ne_u16_e32 vcc_lo, 0, v8
	s_addc_u32 s16, s16, 0
	s_or_b32 s14, vcc_lo, s14
	s_delay_alu instid0(SALU_CYCLE_1)
	s_and_not1_b32 exec_lo, exec_lo, s14
	s_cbranch_execnz .LBB318_62
; %bb.65:
	s_or_b32 exec_lo, exec_lo, s14
.LBB318_66:
	s_delay_alu instid0(SALU_CYCLE_1)
	s_or_b32 exec_lo, exec_lo, s13
	v_cmp_ne_u32_e32 vcc_lo, 31, v72
	v_and_b32_e32 v4, 0xff, v7
	v_lshlrev_b32_e64 v18, v72, -1
	s_mov_b32 s13, exec_lo
	v_add_co_ci_u32_e32 v3, vcc_lo, 0, v72, vcc_lo
	s_delay_alu instid0(VALU_DEP_3) | instskip(NEXT) | instid1(VALU_DEP_2)
	v_cmp_eq_u16_e32 vcc_lo, 2, v4
	v_dual_mov_b32 v4, v5 :: v_dual_lshlrev_b32 v17, 2, v3
	v_and_or_b32 v3, vcc_lo, v18, 0x80000000
	ds_bpermute_b32 v12, v17, v5
	ds_bpermute_b32 v8, v17, v6
	v_ctz_i32_b32_e32 v3, v3
	s_delay_alu instid0(VALU_DEP_1)
	v_cmpx_lt_u32_e64 v72, v3
	s_cbranch_execz .LBB318_68
; %bb.67:
	s_waitcnt lgkmcnt(1)
	v_add_co_u32 v4, vcc_lo, v5, v12
	v_add_co_ci_u32_e32 v6, vcc_lo, 0, v6, vcc_lo
	s_delay_alu instid0(VALU_DEP_2) | instskip(SKIP_1) | instid1(VALU_DEP_2)
	v_add_co_u32 v5, vcc_lo, 0, v4
	s_waitcnt lgkmcnt(0)
	v_add_co_ci_u32_e32 v6, vcc_lo, v8, v6, vcc_lo
.LBB318_68:
	s_or_b32 exec_lo, exec_lo, s13
	v_cmp_gt_u32_e32 vcc_lo, 30, v72
	v_add_nc_u32_e32 v20, 2, v72
	s_mov_b32 s13, exec_lo
	s_waitcnt lgkmcnt(0)
	v_cndmask_b32_e64 v8, 0, 1, vcc_lo
	s_delay_alu instid0(VALU_DEP_1) | instskip(NEXT) | instid1(VALU_DEP_1)
	v_lshlrev_b32_e32 v8, 1, v8
	v_add_lshl_u32 v19, v8, v72, 2
	ds_bpermute_b32 v12, v19, v4
	ds_bpermute_b32 v8, v19, v6
	v_cmpx_le_u32_e64 v20, v3
	s_cbranch_execz .LBB318_70
; %bb.69:
	s_waitcnt lgkmcnt(1)
	v_add_co_u32 v4, vcc_lo, v5, v12
	v_add_co_ci_u32_e32 v6, vcc_lo, 0, v6, vcc_lo
	s_delay_alu instid0(VALU_DEP_2) | instskip(SKIP_1) | instid1(VALU_DEP_2)
	v_add_co_u32 v5, vcc_lo, 0, v4
	s_waitcnt lgkmcnt(0)
	v_add_co_ci_u32_e32 v6, vcc_lo, v8, v6, vcc_lo
.LBB318_70:
	s_or_b32 exec_lo, exec_lo, s13
	v_cmp_gt_u32_e32 vcc_lo, 28, v72
	v_add_nc_u32_e32 v22, 4, v72
	s_mov_b32 s13, exec_lo
	s_waitcnt lgkmcnt(0)
	v_cndmask_b32_e64 v8, 0, 1, vcc_lo
	s_delay_alu instid0(VALU_DEP_1) | instskip(NEXT) | instid1(VALU_DEP_1)
	v_lshlrev_b32_e32 v8, 2, v8
	v_add_lshl_u32 v21, v8, v72, 2
	ds_bpermute_b32 v12, v21, v4
	ds_bpermute_b32 v8, v21, v6
	v_cmpx_le_u32_e64 v22, v3
	;; [unrolled: 22-line block ×4, first 2 shown]
	s_cbranch_execz .LBB318_76
; %bb.75:
	s_waitcnt lgkmcnt(1)
	v_add_co_u32 v3, vcc_lo, v5, v8
	v_add_co_ci_u32_e32 v6, vcc_lo, 0, v6, vcc_lo
	s_delay_alu instid0(VALU_DEP_2) | instskip(SKIP_1) | instid1(VALU_DEP_2)
	v_add_co_u32 v5, vcc_lo, v3, 0
	s_waitcnt lgkmcnt(0)
	v_add_co_ci_u32_e32 v6, vcc_lo, v6, v4, vcc_lo
.LBB318_76:
	s_or_b32 exec_lo, exec_lo, s13
	v_mov_b32_e32 v12, 0
	s_branch .LBB318_78
.LBB318_77:                             ;   in Loop: Header=BB318_78 Depth=1
	s_or_b32 exec_lo, exec_lo, s13
	v_add_co_u32 v5, vcc_lo, v5, v3
	v_subrev_nc_u32_e32 v11, 32, v11
	v_add_co_ci_u32_e32 v6, vcc_lo, v6, v4, vcc_lo
.LBB318_78:                             ; =>This Loop Header: Depth=1
                                        ;     Child Loop BB318_81 Depth 2
                                        ;       Child Loop BB318_82 Depth 3
	v_and_b32_e32 v3, 0xff, v7
	s_delay_alu instid0(VALU_DEP_1) | instskip(SKIP_2) | instid1(VALU_DEP_1)
	v_cmp_ne_u16_e32 vcc_lo, 2, v3
	v_cndmask_b32_e64 v3, 0, 1, vcc_lo
	;;#ASMSTART
	;;#ASMEND
	v_cmp_ne_u32_e32 vcc_lo, 0, v3
	s_waitcnt lgkmcnt(0)
	v_dual_mov_b32 v3, v5 :: v_dual_mov_b32 v4, v6
	s_cmp_lg_u32 vcc_lo, exec_lo
	s_cbranch_scc1 .LBB318_95
; %bb.79:                               ;   in Loop: Header=BB318_78 Depth=1
	v_lshlrev_b64 v[5:6], 4, v[11:12]
	s_mov_b32 s13, exec_lo
	s_delay_alu instid0(VALU_DEP_1) | instskip(NEXT) | instid1(VALU_DEP_2)
	v_add_co_u32 v13, vcc_lo, s8, v5
	v_add_co_ci_u32_e32 v14, vcc_lo, s9, v6, vcc_lo
	;;#ASMSTART
	global_load_dwordx4 v[5:8], v[13:14] off glc	
s_waitcnt vmcnt(0)
	;;#ASMEND
	v_and_b32_e32 v8, 0xff, v6
	v_and_b32_e32 v27, 0xff00, v6
	v_or3_b32 v5, v5, 0, 0
	v_and_b32_e32 v28, 0xff000000, v6
	v_and_b32_e32 v6, 0xff0000, v6
	s_delay_alu instid0(VALU_DEP_4) | instskip(SKIP_2) | instid1(VALU_DEP_3)
	v_or3_b32 v8, 0, v8, v27
	v_and_b32_e32 v27, 0xff, v7
	v_or3_b32 v5, v5, 0, 0
	v_or3_b32 v6, v8, v6, v28
	s_delay_alu instid0(VALU_DEP_3)
	v_cmpx_eq_u16_e32 0, v27
	s_cbranch_execz .LBB318_85
; %bb.80:                               ;   in Loop: Header=BB318_78 Depth=1
	s_mov_b32 s16, 1
	s_mov_b32 s14, 0
	.p2align	6
.LBB318_81:                             ;   Parent Loop BB318_78 Depth=1
                                        ; =>  This Loop Header: Depth=2
                                        ;       Child Loop BB318_82 Depth 3
	s_max_u32 s17, s16, 1
.LBB318_82:                             ;   Parent Loop BB318_78 Depth=1
                                        ;     Parent Loop BB318_81 Depth=2
                                        ; =>    This Inner Loop Header: Depth=3
	s_delay_alu instid0(SALU_CYCLE_1)
	s_add_i32 s17, s17, -1
	s_sleep 1
	s_cmp_eq_u32 s17, 0
	s_cbranch_scc0 .LBB318_82
; %bb.83:                               ;   in Loop: Header=BB318_81 Depth=2
	;;#ASMSTART
	global_load_dwordx4 v[5:8], v[13:14] off glc	
s_waitcnt vmcnt(0)
	;;#ASMEND
	v_and_b32_e32 v8, 0xff, v7
	s_cmp_lt_u32 s16, 32
	s_cselect_b32 s17, -1, 0
	s_delay_alu instid0(SALU_CYCLE_1) | instskip(NEXT) | instid1(VALU_DEP_1)
	s_cmp_lg_u32 s17, 0
	v_cmp_ne_u16_e32 vcc_lo, 0, v8
	s_addc_u32 s16, s16, 0
	s_or_b32 s14, vcc_lo, s14
	s_delay_alu instid0(SALU_CYCLE_1)
	s_and_not1_b32 exec_lo, exec_lo, s14
	s_cbranch_execnz .LBB318_81
; %bb.84:                               ;   in Loop: Header=BB318_78 Depth=1
	s_or_b32 exec_lo, exec_lo, s14
.LBB318_85:                             ;   in Loop: Header=BB318_78 Depth=1
	s_delay_alu instid0(SALU_CYCLE_1)
	s_or_b32 exec_lo, exec_lo, s13
	v_dual_mov_b32 v13, v5 :: v_dual_and_b32 v8, 0xff, v7
	ds_bpermute_b32 v27, v17, v5
	ds_bpermute_b32 v14, v17, v6
	s_mov_b32 s13, exec_lo
	v_cmp_eq_u16_e32 vcc_lo, 2, v8
	v_and_or_b32 v8, vcc_lo, v18, 0x80000000
	s_delay_alu instid0(VALU_DEP_1) | instskip(NEXT) | instid1(VALU_DEP_1)
	v_ctz_i32_b32_e32 v8, v8
	v_cmpx_lt_u32_e64 v72, v8
	s_cbranch_execz .LBB318_87
; %bb.86:                               ;   in Loop: Header=BB318_78 Depth=1
	s_waitcnt lgkmcnt(1)
	v_add_co_u32 v13, vcc_lo, v5, v27
	v_add_co_ci_u32_e32 v6, vcc_lo, 0, v6, vcc_lo
	s_delay_alu instid0(VALU_DEP_2) | instskip(SKIP_1) | instid1(VALU_DEP_2)
	v_add_co_u32 v5, vcc_lo, 0, v13
	s_waitcnt lgkmcnt(0)
	v_add_co_ci_u32_e32 v6, vcc_lo, v14, v6, vcc_lo
.LBB318_87:                             ;   in Loop: Header=BB318_78 Depth=1
	s_or_b32 exec_lo, exec_lo, s13
	s_waitcnt lgkmcnt(1)
	ds_bpermute_b32 v27, v19, v13
	s_waitcnt lgkmcnt(1)
	ds_bpermute_b32 v14, v19, v6
	s_mov_b32 s13, exec_lo
	v_cmpx_le_u32_e64 v20, v8
	s_cbranch_execz .LBB318_89
; %bb.88:                               ;   in Loop: Header=BB318_78 Depth=1
	s_waitcnt lgkmcnt(1)
	v_add_co_u32 v13, vcc_lo, v5, v27
	v_add_co_ci_u32_e32 v6, vcc_lo, 0, v6, vcc_lo
	s_delay_alu instid0(VALU_DEP_2) | instskip(SKIP_1) | instid1(VALU_DEP_2)
	v_add_co_u32 v5, vcc_lo, 0, v13
	s_waitcnt lgkmcnt(0)
	v_add_co_ci_u32_e32 v6, vcc_lo, v14, v6, vcc_lo
.LBB318_89:                             ;   in Loop: Header=BB318_78 Depth=1
	s_or_b32 exec_lo, exec_lo, s13
	s_waitcnt lgkmcnt(1)
	ds_bpermute_b32 v27, v21, v13
	s_waitcnt lgkmcnt(1)
	ds_bpermute_b32 v14, v21, v6
	s_mov_b32 s13, exec_lo
	v_cmpx_le_u32_e64 v22, v8
	;; [unrolled: 17-line block ×3, first 2 shown]
	s_cbranch_execz .LBB318_93
; %bb.92:                               ;   in Loop: Header=BB318_78 Depth=1
	s_waitcnt lgkmcnt(1)
	v_add_co_u32 v13, vcc_lo, v5, v27
	v_add_co_ci_u32_e32 v6, vcc_lo, 0, v6, vcc_lo
	s_delay_alu instid0(VALU_DEP_2) | instskip(SKIP_1) | instid1(VALU_DEP_2)
	v_add_co_u32 v5, vcc_lo, 0, v13
	s_waitcnt lgkmcnt(0)
	v_add_co_ci_u32_e32 v6, vcc_lo, v14, v6, vcc_lo
.LBB318_93:                             ;   in Loop: Header=BB318_78 Depth=1
	s_or_b32 exec_lo, exec_lo, s13
	s_waitcnt lgkmcnt(0)
	ds_bpermute_b32 v14, v25, v13
	ds_bpermute_b32 v13, v25, v6
	s_mov_b32 s13, exec_lo
	v_cmpx_le_u32_e64 v26, v8
	s_cbranch_execz .LBB318_77
; %bb.94:                               ;   in Loop: Header=BB318_78 Depth=1
	s_waitcnt lgkmcnt(1)
	v_add_co_u32 v5, vcc_lo, v5, v14
	v_add_co_ci_u32_e32 v6, vcc_lo, 0, v6, vcc_lo
	s_delay_alu instid0(VALU_DEP_2) | instskip(SKIP_1) | instid1(VALU_DEP_2)
	v_add_co_u32 v5, vcc_lo, v5, 0
	s_waitcnt lgkmcnt(0)
	v_add_co_ci_u32_e32 v6, vcc_lo, v6, v13, vcc_lo
	s_branch .LBB318_77
.LBB318_95:                             ;   in Loop: Header=BB318_78 Depth=1
                                        ; implicit-def: $vgpr5_vgpr6
	s_cbranch_execz .LBB318_78
; %bb.96:
	s_and_saveexec_b32 s13, s1
	s_cbranch_execz .LBB318_98
; %bb.97:
	s_add_i32 s14, s15, 32
	s_mov_b32 s15, 0
	v_add_co_u32 v5, vcc_lo, v3, v1
	s_lshl_b64 s[14:15], s[14:15], 4
	v_dual_mov_b32 v7, 2 :: v_dual_mov_b32 v8, 0
	s_add_u32 s14, s8, s14
	s_addc_u32 s15, s9, s15
	v_add_co_ci_u32_e32 v6, vcc_lo, v4, v2, vcc_lo
	v_dual_mov_b32 v11, s14 :: v_dual_mov_b32 v12, s15
	;;#ASMSTART
	global_store_dwordx4 v[11:12], v[5:8] off	
s_waitcnt vmcnt(0)
	;;#ASMEND
	ds_store_b128 v8, v[1:4] offset:7168
.LBB318_98:
	s_or_b32 exec_lo, exec_lo, s13
	v_cmp_eq_u32_e32 vcc_lo, 0, v0
	s_and_b32 exec_lo, exec_lo, vcc_lo
	s_cbranch_execz .LBB318_100
; %bb.99:
	v_mov_b32_e32 v1, 0
	ds_store_b64 v1, v[3:4] offset:24
.LBB318_100:
	s_or_b32 exec_lo, exec_lo, s12
	s_waitcnt lgkmcnt(0)
	v_cndmask_b32_e64 v4, v16, v10, s1
	v_cmp_ne_u32_e32 vcc_lo, 0, v0
	v_mov_b32_e32 v21, 0
	s_barrier
	buffer_gl0_inv
	v_cndmask_b32_e32 v4, 0, v4, vcc_lo
	ds_load_b64 v[1:2], v21 offset:24
	v_cndmask_b32_e64 v3, v15, v9, s1
	s_waitcnt lgkmcnt(0)
	s_barrier
	buffer_gl0_inv
	ds_load_b128 v[45:48], v21 offset:7168
	v_cndmask_b32_e32 v3, 0, v3, vcc_lo
	s_delay_alu instid0(VALU_DEP_1) | instskip(SKIP_1) | instid1(VALU_DEP_2)
	v_add_co_u32 v1, vcc_lo, v1, v3
	v_add_co_ci_u32_e32 v2, vcc_lo, v2, v4, vcc_lo
	v_add_co_u32 v3, vcc_lo, v1, v63
	s_delay_alu instid0(VALU_DEP_2) | instskip(NEXT) | instid1(VALU_DEP_2)
	v_add_co_ci_u32_e32 v4, vcc_lo, 0, v2, vcc_lo
	v_add_co_u32 v5, vcc_lo, v3, v64
	s_delay_alu instid0(VALU_DEP_2) | instskip(NEXT) | instid1(VALU_DEP_2)
	;; [unrolled: 3-line block ×12, first 2 shown]
	v_add_co_ci_u32_e32 v26, vcc_lo, 0, v24, vcc_lo
	v_add_co_u32 v27, vcc_lo, v25, v62
	s_delay_alu instid0(VALU_DEP_2)
	v_add_co_ci_u32_e32 v28, vcc_lo, 0, v26, vcc_lo
	s_branch .LBB318_125
.LBB318_101:
                                        ; implicit-def: $vgpr47_vgpr48
                                        ; implicit-def: $vgpr1_vgpr2_vgpr3_vgpr4_vgpr5_vgpr6_vgpr7_vgpr8_vgpr9_vgpr10_vgpr11_vgpr12_vgpr13_vgpr14_vgpr15_vgpr16_vgpr17_vgpr18_vgpr19_vgpr20_vgpr21_vgpr22_vgpr23_vgpr24_vgpr25_vgpr26_vgpr27_vgpr28_vgpr29_vgpr30_vgpr31_vgpr32
	s_and_b32 vcc_lo, exec_lo, s1
	s_cbranch_vccz .LBB318_125
; %bb.102:
	v_dual_mov_b32 v2, 0 :: v_dual_mov_b32 v3, v51
	v_mov_b32_dpp v4, v51 row_shr:1 row_mask:0xf bank_mask:0xf
	s_delay_alu instid0(VALU_DEP_2)
	v_mov_b32_dpp v1, v2 row_shr:1 row_mask:0xf bank_mask:0xf
	s_and_saveexec_b32 s1, s0
; %bb.103:
	s_delay_alu instid0(VALU_DEP_2) | instskip(SKIP_1) | instid1(VALU_DEP_2)
	v_add_co_u32 v3, vcc_lo, v51, v4
	v_add_co_ci_u32_e32 v2, vcc_lo, 0, v52, vcc_lo
	v_add_co_u32 v51, vcc_lo, 0, v3
	s_delay_alu instid0(VALU_DEP_2) | instskip(NEXT) | instid1(VALU_DEP_1)
	v_add_co_ci_u32_e32 v52, vcc_lo, v1, v2, vcc_lo
	v_mov_b32_e32 v2, v52
; %bb.104:
	s_or_b32 exec_lo, exec_lo, s1
	v_mov_b32_dpp v1, v3 row_shr:2 row_mask:0xf bank_mask:0xf
	s_delay_alu instid0(VALU_DEP_2)
	v_mov_b32_dpp v4, v2 row_shr:2 row_mask:0xf bank_mask:0xf
	s_mov_b32 s0, exec_lo
	v_cmpx_lt_u32_e32 1, v73
; %bb.105:
	s_delay_alu instid0(VALU_DEP_3) | instskip(SKIP_1) | instid1(VALU_DEP_2)
	v_add_co_u32 v3, vcc_lo, v51, v1
	v_add_co_ci_u32_e32 v2, vcc_lo, 0, v52, vcc_lo
	v_add_co_u32 v1, vcc_lo, 0, v3
	s_delay_alu instid0(VALU_DEP_2) | instskip(NEXT) | instid1(VALU_DEP_1)
	v_add_co_ci_u32_e32 v2, vcc_lo, v4, v2, vcc_lo
	v_dual_mov_b32 v52, v2 :: v_dual_mov_b32 v51, v1
; %bb.106:
	s_or_b32 exec_lo, exec_lo, s0
	v_mov_b32_dpp v1, v3 row_shr:4 row_mask:0xf bank_mask:0xf
	v_mov_b32_dpp v4, v2 row_shr:4 row_mask:0xf bank_mask:0xf
	s_mov_b32 s0, exec_lo
	v_cmpx_lt_u32_e32 3, v73
; %bb.107:
	s_delay_alu instid0(VALU_DEP_3) | instskip(SKIP_1) | instid1(VALU_DEP_2)
	v_add_co_u32 v3, vcc_lo, v51, v1
	v_add_co_ci_u32_e32 v2, vcc_lo, 0, v52, vcc_lo
	v_add_co_u32 v1, vcc_lo, 0, v3
	s_delay_alu instid0(VALU_DEP_2) | instskip(NEXT) | instid1(VALU_DEP_1)
	v_add_co_ci_u32_e32 v2, vcc_lo, v4, v2, vcc_lo
	v_dual_mov_b32 v52, v2 :: v_dual_mov_b32 v51, v1
; %bb.108:
	s_or_b32 exec_lo, exec_lo, s0
	v_mov_b32_dpp v4, v3 row_shr:8 row_mask:0xf bank_mask:0xf
	v_mov_b32_dpp v1, v2 row_shr:8 row_mask:0xf bank_mask:0xf
	s_mov_b32 s0, exec_lo
	v_cmpx_lt_u32_e32 7, v73
; %bb.109:
	s_delay_alu instid0(VALU_DEP_3) | instskip(SKIP_1) | instid1(VALU_DEP_2)
	v_add_co_u32 v3, vcc_lo, v51, v4
	v_add_co_ci_u32_e32 v2, vcc_lo, 0, v52, vcc_lo
	v_add_co_u32 v51, vcc_lo, 0, v3
	s_delay_alu instid0(VALU_DEP_2) | instskip(NEXT) | instid1(VALU_DEP_1)
	v_add_co_ci_u32_e32 v52, vcc_lo, v1, v2, vcc_lo
	v_mov_b32_e32 v2, v52
; %bb.110:
	s_or_b32 exec_lo, exec_lo, s0
	ds_swizzle_b32 v3, v3 offset:swizzle(BROADCAST,32,15)
	ds_swizzle_b32 v1, v2 offset:swizzle(BROADCAST,32,15)
	v_and_b32_e32 v2, 16, v72
	s_mov_b32 s0, exec_lo
	s_delay_alu instid0(VALU_DEP_1)
	v_cmpx_ne_u32_e32 0, v2
	s_cbranch_execz .LBB318_112
; %bb.111:
	s_waitcnt lgkmcnt(1)
	v_add_co_u32 v2, vcc_lo, v51, v3
	v_add_co_ci_u32_e32 v3, vcc_lo, 0, v52, vcc_lo
	s_delay_alu instid0(VALU_DEP_2) | instskip(SKIP_1) | instid1(VALU_DEP_2)
	v_add_co_u32 v51, vcc_lo, v2, 0
	s_waitcnt lgkmcnt(0)
	v_add_co_ci_u32_e32 v52, vcc_lo, v3, v1, vcc_lo
.LBB318_112:
	s_or_b32 exec_lo, exec_lo, s0
	s_waitcnt lgkmcnt(0)
	v_or_b32_e32 v1, 31, v0
	v_lshrrev_b32_e32 v3, 5, v0
	s_mov_b32 s0, exec_lo
	s_delay_alu instid0(VALU_DEP_2)
	v_cmpx_eq_u32_e64 v1, v0
	s_cbranch_execz .LBB318_114
; %bb.113:
	s_delay_alu instid0(VALU_DEP_2)
	v_lshlrev_b32_e32 v1, 3, v3
	ds_store_b64 v1, v[51:52]
.LBB318_114:
	s_or_b32 exec_lo, exec_lo, s0
	s_delay_alu instid0(SALU_CYCLE_1)
	s_mov_b32 s0, exec_lo
	s_waitcnt lgkmcnt(0)
	s_barrier
	buffer_gl0_inv
	v_cmpx_gt_u32_e32 4, v0
	s_cbranch_execz .LBB318_120
; %bb.115:
	v_mad_i32_i24 v1, 0xffffffd0, v0, v61
	s_mov_b32 s1, exec_lo
	ds_load_b64 v[1:2], v1
	s_waitcnt lgkmcnt(0)
	v_dual_mov_b32 v5, v1 :: v_dual_and_b32 v4, 3, v72
	v_mov_b32_dpp v7, v1 row_shr:1 row_mask:0xf bank_mask:0xf
	v_mov_b32_dpp v6, v2 row_shr:1 row_mask:0xf bank_mask:0xf
	s_delay_alu instid0(VALU_DEP_3)
	v_cmpx_ne_u32_e32 0, v4
; %bb.116:
	s_delay_alu instid0(VALU_DEP_3) | instskip(SKIP_1) | instid1(VALU_DEP_2)
	v_add_co_u32 v5, vcc_lo, v1, v7
	v_add_co_ci_u32_e32 v2, vcc_lo, 0, v2, vcc_lo
	v_add_co_u32 v1, vcc_lo, 0, v5
	s_delay_alu instid0(VALU_DEP_2)
	v_add_co_ci_u32_e32 v2, vcc_lo, v6, v2, vcc_lo
; %bb.117:
	s_or_b32 exec_lo, exec_lo, s1
	v_mul_i32_i24_e32 v6, 0xffffffd0, v0
	v_mov_b32_dpp v7, v5 row_shr:2 row_mask:0xf bank_mask:0xf
	s_delay_alu instid0(VALU_DEP_3)
	v_mov_b32_dpp v5, v2 row_shr:2 row_mask:0xf bank_mask:0xf
	s_mov_b32 s1, exec_lo
	v_cmpx_lt_u32_e32 1, v4
; %bb.118:
	s_delay_alu instid0(VALU_DEP_3) | instskip(SKIP_1) | instid1(VALU_DEP_2)
	v_add_co_u32 v1, vcc_lo, v1, v7
	v_add_co_ci_u32_e32 v2, vcc_lo, 0, v2, vcc_lo
	v_add_co_u32 v1, vcc_lo, v1, 0
	s_delay_alu instid0(VALU_DEP_2)
	v_add_co_ci_u32_e32 v2, vcc_lo, v2, v5, vcc_lo
; %bb.119:
	s_or_b32 exec_lo, exec_lo, s1
	v_add_nc_u32_e32 v4, v61, v6
	ds_store_b64 v4, v[1:2]
.LBB318_120:
	s_or_b32 exec_lo, exec_lo, s0
	v_mov_b32_e32 v1, 0
	v_mov_b32_e32 v2, 0
	s_mov_b32 s0, exec_lo
	s_waitcnt lgkmcnt(0)
	s_barrier
	buffer_gl0_inv
	v_cmpx_lt_u32_e32 31, v0
	s_cbranch_execz .LBB318_122
; %bb.121:
	v_lshl_add_u32 v1, v3, 3, -8
	ds_load_b64 v[1:2], v1
.LBB318_122:
	s_or_b32 exec_lo, exec_lo, s0
	v_dual_mov_b32 v48, 0 :: v_dual_add_nc_u32 v3, -1, v72
	s_delay_alu instid0(VALU_DEP_1) | instskip(SKIP_2) | instid1(VALU_DEP_1)
	v_cmp_gt_i32_e32 vcc_lo, 0, v3
	ds_load_b64 v[45:46], v48 offset:24
	v_cndmask_b32_e32 v3, v3, v72, vcc_lo
	v_lshlrev_b32_e32 v4, 2, v3
	s_waitcnt lgkmcnt(1)
	v_add_co_u32 v3, vcc_lo, v1, v51
	v_add_co_ci_u32_e32 v5, vcc_lo, v2, v52, vcc_lo
	v_cmp_eq_u32_e32 vcc_lo, 0, v0
	ds_bpermute_b32 v3, v4, v3
	ds_bpermute_b32 v4, v4, v5
	s_and_saveexec_b32 s0, vcc_lo
	s_cbranch_execz .LBB318_124
; %bb.123:
	s_add_u32 s8, s8, 0x200
	s_addc_u32 s9, s9, 0
	v_mov_b32_e32 v5, s8
	v_dual_mov_b32 v47, 2 :: v_dual_mov_b32 v6, s9
	s_waitcnt lgkmcnt(2)
	;;#ASMSTART
	global_store_dwordx4 v[5:6], v[45:48] off	
s_waitcnt vmcnt(0)
	;;#ASMEND
.LBB318_124:
	s_or_b32 exec_lo, exec_lo, s0
	v_cmp_eq_u32_e64 s0, 0, v72
	v_mov_b32_e32 v47, 0
	v_mov_b32_e32 v48, 0
	s_waitcnt lgkmcnt(0)
	s_barrier
	v_cndmask_b32_e64 v1, v3, v1, s0
	v_cndmask_b32_e64 v2, v4, v2, s0
	buffer_gl0_inv
	v_cndmask_b32_e64 v1, v1, 0, vcc_lo
	v_cndmask_b32_e64 v2, v2, 0, vcc_lo
	s_delay_alu instid0(VALU_DEP_2) | instskip(NEXT) | instid1(VALU_DEP_2)
	v_add_co_u32 v3, vcc_lo, v1, v63
	v_add_co_ci_u32_e32 v4, vcc_lo, 0, v2, vcc_lo
	s_delay_alu instid0(VALU_DEP_2) | instskip(NEXT) | instid1(VALU_DEP_2)
	v_add_co_u32 v5, vcc_lo, v3, v64
	v_add_co_ci_u32_e32 v6, vcc_lo, 0, v4, vcc_lo
	;; [unrolled: 3-line block ×13, first 2 shown]
.LBB318_125:
	s_waitcnt lgkmcnt(0)
	v_cmp_gt_u64_e32 vcc_lo, 0x81, v[45:46]
	v_lshrrev_b32_e32 v51, 16, v56
	v_lshrrev_b32_e32 v52, 8, v56
	;; [unrolled: 1-line block ×6, first 2 shown]
	s_mov_b32 s0, -1
	s_cbranch_vccnz .LBB318_129
; %bb.126:
	s_and_b32 vcc_lo, exec_lo, s0
	s_cbranch_vccnz .LBB318_172
.LBB318_127:
	v_cmp_eq_u32_e32 vcc_lo, 0, v0
	s_and_b32 s0, vcc_lo, s10
	s_delay_alu instid0(SALU_CYCLE_1)
	s_and_saveexec_b32 s1, s0
	s_cbranch_execnz .LBB318_204
.LBB318_128:
	s_nop 0
	s_sendmsg sendmsg(MSG_DEALLOC_VGPRS)
	s_endpgm
.LBB318_129:
	v_add_co_u32 v29, vcc_lo, v47, v45
	v_add_co_ci_u32_e32 v30, vcc_lo, v48, v46, vcc_lo
	s_lshl_b64 s[0:1], s[2:3], 2
	s_delay_alu instid0(SALU_CYCLE_1) | instskip(NEXT) | instid1(VALU_DEP_1)
	s_add_u32 s0, s6, s0
	v_cmp_lt_u64_e32 vcc_lo, v[1:2], v[29:30]
	s_addc_u32 s1, s7, s1
	s_or_b32 s9, s11, vcc_lo
	s_delay_alu instid0(SALU_CYCLE_1)
	s_and_saveexec_b32 s8, s9
	s_cbranch_execz .LBB318_132
; %bb.130:
	v_and_b32_e32 v63, 1, v59
	s_delay_alu instid0(VALU_DEP_1)
	v_cmp_eq_u32_e32 vcc_lo, 1, v63
	s_and_b32 exec_lo, exec_lo, vcc_lo
	s_cbranch_execz .LBB318_132
; %bb.131:
	v_lshlrev_b64 v[63:64], 2, v[1:2]
	s_delay_alu instid0(VALU_DEP_1) | instskip(NEXT) | instid1(VALU_DEP_2)
	v_add_co_u32 v63, vcc_lo, s0, v63
	v_add_co_ci_u32_e32 v64, vcc_lo, s1, v64, vcc_lo
	global_store_b32 v[63:64], v41, off
.LBB318_132:
	s_or_b32 exec_lo, exec_lo, s8
	v_cmp_lt_u64_e32 vcc_lo, v[3:4], v[29:30]
	s_or_b32 s9, s11, vcc_lo
	s_delay_alu instid0(SALU_CYCLE_1)
	s_and_saveexec_b32 s8, s9
	s_cbranch_execz .LBB318_135
; %bb.133:
	v_and_b32_e32 v2, 1, v62
	s_delay_alu instid0(VALU_DEP_1)
	v_cmp_eq_u32_e32 vcc_lo, 1, v2
	s_and_b32 exec_lo, exec_lo, vcc_lo
	s_cbranch_execz .LBB318_135
; %bb.134:
	v_lshlrev_b64 v[63:64], 2, v[3:4]
	s_delay_alu instid0(VALU_DEP_1) | instskip(NEXT) | instid1(VALU_DEP_2)
	v_add_co_u32 v63, vcc_lo, s0, v63
	v_add_co_ci_u32_e32 v64, vcc_lo, s1, v64, vcc_lo
	global_store_b32 v[63:64], v42, off
.LBB318_135:
	s_or_b32 exec_lo, exec_lo, s8
	v_cmp_lt_u64_e32 vcc_lo, v[5:6], v[29:30]
	;; [unrolled: 19-line block ×13, first 2 shown]
	s_or_b32 s9, s11, vcc_lo
	s_delay_alu instid0(SALU_CYCLE_1)
	s_and_saveexec_b32 s8, s9
	s_cbranch_execz .LBB318_171
; %bb.169:
	v_and_b32_e32 v2, 1, v53
	s_delay_alu instid0(VALU_DEP_1)
	v_cmp_eq_u32_e32 vcc_lo, 1, v2
	s_and_b32 exec_lo, exec_lo, vcc_lo
	s_cbranch_execz .LBB318_171
; %bb.170:
	v_lshlrev_b64 v[28:29], 2, v[27:28]
	s_delay_alu instid0(VALU_DEP_1) | instskip(NEXT) | instid1(VALU_DEP_2)
	v_add_co_u32 v28, vcc_lo, s0, v28
	v_add_co_ci_u32_e32 v29, vcc_lo, s1, v29, vcc_lo
	global_store_b32 v[28:29], v50, off
.LBB318_171:
	s_or_b32 exec_lo, exec_lo, s8
	s_branch .LBB318_127
.LBB318_172:
	v_and_b32_e32 v2, 1, v59
	s_mov_b32 s0, exec_lo
	s_delay_alu instid0(VALU_DEP_1)
	v_cmpx_eq_u32_e32 1, v2
	s_cbranch_execz .LBB318_174
; %bb.173:
	v_sub_nc_u32_e32 v1, v1, v47
	s_delay_alu instid0(VALU_DEP_1)
	v_lshlrev_b32_e32 v1, 2, v1
	ds_store_b32 v1, v41
.LBB318_174:
	s_or_b32 exec_lo, exec_lo, s0
	v_and_b32_e32 v1, 1, v62
	s_mov_b32 s0, exec_lo
	s_delay_alu instid0(VALU_DEP_1)
	v_cmpx_eq_u32_e32 1, v1
	s_cbranch_execz .LBB318_176
; %bb.175:
	v_sub_nc_u32_e32 v1, v3, v47
	s_delay_alu instid0(VALU_DEP_1)
	v_lshlrev_b32_e32 v1, 2, v1
	ds_store_b32 v1, v42
.LBB318_176:
	s_or_b32 exec_lo, exec_lo, s0
	;; [unrolled: 12-line block ×14, first 2 shown]
	v_mov_b32_e32 v3, 0
	s_mov_b32 s1, exec_lo
	s_waitcnt lgkmcnt(0)
	s_waitcnt_vscnt null, 0x0
	s_barrier
	buffer_gl0_inv
	v_mov_b32_e32 v1, v3
	s_delay_alu instid0(VALU_DEP_1)
	v_cmpx_gt_u64_e64 v[45:46], v[0:1]
	s_cbranch_execz .LBB318_203
; %bb.201:
	v_lshlrev_b64 v[4:5], 2, v[47:48]
	s_lshl_b64 s[8:9], s[2:3], 2
	v_or_b32_e32 v2, 0x80, v0
	s_delay_alu instid0(VALU_DEP_2) | instskip(NEXT) | instid1(VALU_DEP_3)
	v_add_co_u32 v4, vcc_lo, s6, v4
	v_add_co_ci_u32_e32 v5, vcc_lo, s7, v5, vcc_lo
	s_mov_b32 s6, 0
	s_delay_alu instid0(VALU_DEP_2) | instskip(NEXT) | instid1(VALU_DEP_2)
	v_add_co_u32 v6, vcc_lo, v4, s8
	v_add_co_ci_u32_e32 v7, vcc_lo, s9, v5, vcc_lo
	v_dual_mov_b32 v5, v1 :: v_dual_mov_b32 v4, v0
	.p2align	6
.LBB318_202:                            ; =>This Inner Loop Header: Depth=1
	s_delay_alu instid0(VALU_DEP_1) | instskip(NEXT) | instid1(VALU_DEP_2)
	v_lshlrev_b32_e32 v1, 2, v4
	v_lshlrev_b64 v[8:9], 2, v[4:5]
	v_dual_mov_b32 v5, v3 :: v_dual_mov_b32 v4, v2
	v_cmp_le_u64_e32 vcc_lo, v[45:46], v[2:3]
	v_add_nc_u32_e32 v2, 0x80, v2
	ds_load_b32 v1, v1
	v_add_co_u32 v8, s0, v6, v8
	s_delay_alu instid0(VALU_DEP_1)
	v_add_co_ci_u32_e64 v9, s0, v7, v9, s0
	s_or_b32 s6, vcc_lo, s6
	s_waitcnt lgkmcnt(0)
	global_store_b32 v[8:9], v1, off
	s_and_not1_b32 exec_lo, exec_lo, s6
	s_cbranch_execnz .LBB318_202
.LBB318_203:
	s_or_b32 exec_lo, exec_lo, s1
	v_cmp_eq_u32_e32 vcc_lo, 0, v0
	s_and_b32 s0, vcc_lo, s10
	s_delay_alu instid0(SALU_CYCLE_1)
	s_and_saveexec_b32 s1, s0
	s_cbranch_execz .LBB318_128
.LBB318_204:
	v_add_co_u32 v0, vcc_lo, v47, v45
	v_add_co_ci_u32_e32 v1, vcc_lo, v48, v46, vcc_lo
	v_mov_b32_e32 v2, 0
	s_delay_alu instid0(VALU_DEP_3) | instskip(NEXT) | instid1(VALU_DEP_3)
	v_add_co_u32 v0, vcc_lo, v0, s2
	v_add_co_ci_u32_e32 v1, vcc_lo, s3, v1, vcc_lo
	global_store_b64 v2, v[0:1], s[4:5]
	s_nop 0
	s_sendmsg sendmsg(MSG_DEALLOC_VGPRS)
	s_endpgm
	.section	.rodata,"a",@progbits
	.p2align	6, 0x0
	.amdhsa_kernel _ZN7rocprim17ROCPRIM_400000_NS6detail17trampoline_kernelINS0_14default_configENS1_25partition_config_selectorILNS1_17partition_subalgoE6EjNS0_10empty_typeEbEEZZNS1_14partition_implILS5_6ELb0ES3_mN6thrust23THRUST_200600_302600_NS6detail15normal_iteratorINSA_10device_ptrIjEEEEPS6_SG_NS0_5tupleIJSF_S6_EEENSH_IJSG_SG_EEES6_PlJ7is_evenIjEEEE10hipError_tPvRmT3_T4_T5_T6_T7_T9_mT8_P12ihipStream_tbDpT10_ENKUlT_T0_E_clISt17integral_constantIbLb1EES15_IbLb0EEEEDaS11_S12_EUlS11_E_NS1_11comp_targetILNS1_3genE9ELNS1_11target_archE1100ELNS1_3gpuE3ELNS1_3repE0EEENS1_30default_config_static_selectorELNS0_4arch9wavefront6targetE0EEEvT1_
		.amdhsa_group_segment_fixed_size 7184
		.amdhsa_private_segment_fixed_size 0
		.amdhsa_kernarg_size 112
		.amdhsa_user_sgpr_count 15
		.amdhsa_user_sgpr_dispatch_ptr 0
		.amdhsa_user_sgpr_queue_ptr 0
		.amdhsa_user_sgpr_kernarg_segment_ptr 1
		.amdhsa_user_sgpr_dispatch_id 0
		.amdhsa_user_sgpr_private_segment_size 0
		.amdhsa_wavefront_size32 1
		.amdhsa_uses_dynamic_stack 0
		.amdhsa_enable_private_segment 0
		.amdhsa_system_sgpr_workgroup_id_x 1
		.amdhsa_system_sgpr_workgroup_id_y 0
		.amdhsa_system_sgpr_workgroup_id_z 0
		.amdhsa_system_sgpr_workgroup_info 0
		.amdhsa_system_vgpr_workitem_id 0
		.amdhsa_next_free_vgpr 74
		.amdhsa_next_free_sgpr 18
		.amdhsa_reserve_vcc 1
		.amdhsa_float_round_mode_32 0
		.amdhsa_float_round_mode_16_64 0
		.amdhsa_float_denorm_mode_32 3
		.amdhsa_float_denorm_mode_16_64 3
		.amdhsa_dx10_clamp 1
		.amdhsa_ieee_mode 1
		.amdhsa_fp16_overflow 0
		.amdhsa_workgroup_processor_mode 1
		.amdhsa_memory_ordered 1
		.amdhsa_forward_progress 0
		.amdhsa_shared_vgpr_count 0
		.amdhsa_exception_fp_ieee_invalid_op 0
		.amdhsa_exception_fp_denorm_src 0
		.amdhsa_exception_fp_ieee_div_zero 0
		.amdhsa_exception_fp_ieee_overflow 0
		.amdhsa_exception_fp_ieee_underflow 0
		.amdhsa_exception_fp_ieee_inexact 0
		.amdhsa_exception_int_div_zero 0
	.end_amdhsa_kernel
	.section	.text._ZN7rocprim17ROCPRIM_400000_NS6detail17trampoline_kernelINS0_14default_configENS1_25partition_config_selectorILNS1_17partition_subalgoE6EjNS0_10empty_typeEbEEZZNS1_14partition_implILS5_6ELb0ES3_mN6thrust23THRUST_200600_302600_NS6detail15normal_iteratorINSA_10device_ptrIjEEEEPS6_SG_NS0_5tupleIJSF_S6_EEENSH_IJSG_SG_EEES6_PlJ7is_evenIjEEEE10hipError_tPvRmT3_T4_T5_T6_T7_T9_mT8_P12ihipStream_tbDpT10_ENKUlT_T0_E_clISt17integral_constantIbLb1EES15_IbLb0EEEEDaS11_S12_EUlS11_E_NS1_11comp_targetILNS1_3genE9ELNS1_11target_archE1100ELNS1_3gpuE3ELNS1_3repE0EEENS1_30default_config_static_selectorELNS0_4arch9wavefront6targetE0EEEvT1_,"axG",@progbits,_ZN7rocprim17ROCPRIM_400000_NS6detail17trampoline_kernelINS0_14default_configENS1_25partition_config_selectorILNS1_17partition_subalgoE6EjNS0_10empty_typeEbEEZZNS1_14partition_implILS5_6ELb0ES3_mN6thrust23THRUST_200600_302600_NS6detail15normal_iteratorINSA_10device_ptrIjEEEEPS6_SG_NS0_5tupleIJSF_S6_EEENSH_IJSG_SG_EEES6_PlJ7is_evenIjEEEE10hipError_tPvRmT3_T4_T5_T6_T7_T9_mT8_P12ihipStream_tbDpT10_ENKUlT_T0_E_clISt17integral_constantIbLb1EES15_IbLb0EEEEDaS11_S12_EUlS11_E_NS1_11comp_targetILNS1_3genE9ELNS1_11target_archE1100ELNS1_3gpuE3ELNS1_3repE0EEENS1_30default_config_static_selectorELNS0_4arch9wavefront6targetE0EEEvT1_,comdat
.Lfunc_end318:
	.size	_ZN7rocprim17ROCPRIM_400000_NS6detail17trampoline_kernelINS0_14default_configENS1_25partition_config_selectorILNS1_17partition_subalgoE6EjNS0_10empty_typeEbEEZZNS1_14partition_implILS5_6ELb0ES3_mN6thrust23THRUST_200600_302600_NS6detail15normal_iteratorINSA_10device_ptrIjEEEEPS6_SG_NS0_5tupleIJSF_S6_EEENSH_IJSG_SG_EEES6_PlJ7is_evenIjEEEE10hipError_tPvRmT3_T4_T5_T6_T7_T9_mT8_P12ihipStream_tbDpT10_ENKUlT_T0_E_clISt17integral_constantIbLb1EES15_IbLb0EEEEDaS11_S12_EUlS11_E_NS1_11comp_targetILNS1_3genE9ELNS1_11target_archE1100ELNS1_3gpuE3ELNS1_3repE0EEENS1_30default_config_static_selectorELNS0_4arch9wavefront6targetE0EEEvT1_, .Lfunc_end318-_ZN7rocprim17ROCPRIM_400000_NS6detail17trampoline_kernelINS0_14default_configENS1_25partition_config_selectorILNS1_17partition_subalgoE6EjNS0_10empty_typeEbEEZZNS1_14partition_implILS5_6ELb0ES3_mN6thrust23THRUST_200600_302600_NS6detail15normal_iteratorINSA_10device_ptrIjEEEEPS6_SG_NS0_5tupleIJSF_S6_EEENSH_IJSG_SG_EEES6_PlJ7is_evenIjEEEE10hipError_tPvRmT3_T4_T5_T6_T7_T9_mT8_P12ihipStream_tbDpT10_ENKUlT_T0_E_clISt17integral_constantIbLb1EES15_IbLb0EEEEDaS11_S12_EUlS11_E_NS1_11comp_targetILNS1_3genE9ELNS1_11target_archE1100ELNS1_3gpuE3ELNS1_3repE0EEENS1_30default_config_static_selectorELNS0_4arch9wavefront6targetE0EEEvT1_
                                        ; -- End function
	.section	.AMDGPU.csdata,"",@progbits
; Kernel info:
; codeLenInByte = 8624
; NumSgprs: 20
; NumVgprs: 74
; ScratchSize: 0
; MemoryBound: 0
; FloatMode: 240
; IeeeMode: 1
; LDSByteSize: 7184 bytes/workgroup (compile time only)
; SGPRBlocks: 2
; VGPRBlocks: 9
; NumSGPRsForWavesPerEU: 20
; NumVGPRsForWavesPerEU: 74
; Occupancy: 16
; WaveLimiterHint : 1
; COMPUTE_PGM_RSRC2:SCRATCH_EN: 0
; COMPUTE_PGM_RSRC2:USER_SGPR: 15
; COMPUTE_PGM_RSRC2:TRAP_HANDLER: 0
; COMPUTE_PGM_RSRC2:TGID_X_EN: 1
; COMPUTE_PGM_RSRC2:TGID_Y_EN: 0
; COMPUTE_PGM_RSRC2:TGID_Z_EN: 0
; COMPUTE_PGM_RSRC2:TIDIG_COMP_CNT: 0
	.section	.text._ZN7rocprim17ROCPRIM_400000_NS6detail17trampoline_kernelINS0_14default_configENS1_25partition_config_selectorILNS1_17partition_subalgoE6EjNS0_10empty_typeEbEEZZNS1_14partition_implILS5_6ELb0ES3_mN6thrust23THRUST_200600_302600_NS6detail15normal_iteratorINSA_10device_ptrIjEEEEPS6_SG_NS0_5tupleIJSF_S6_EEENSH_IJSG_SG_EEES6_PlJ7is_evenIjEEEE10hipError_tPvRmT3_T4_T5_T6_T7_T9_mT8_P12ihipStream_tbDpT10_ENKUlT_T0_E_clISt17integral_constantIbLb1EES15_IbLb0EEEEDaS11_S12_EUlS11_E_NS1_11comp_targetILNS1_3genE8ELNS1_11target_archE1030ELNS1_3gpuE2ELNS1_3repE0EEENS1_30default_config_static_selectorELNS0_4arch9wavefront6targetE0EEEvT1_,"axG",@progbits,_ZN7rocprim17ROCPRIM_400000_NS6detail17trampoline_kernelINS0_14default_configENS1_25partition_config_selectorILNS1_17partition_subalgoE6EjNS0_10empty_typeEbEEZZNS1_14partition_implILS5_6ELb0ES3_mN6thrust23THRUST_200600_302600_NS6detail15normal_iteratorINSA_10device_ptrIjEEEEPS6_SG_NS0_5tupleIJSF_S6_EEENSH_IJSG_SG_EEES6_PlJ7is_evenIjEEEE10hipError_tPvRmT3_T4_T5_T6_T7_T9_mT8_P12ihipStream_tbDpT10_ENKUlT_T0_E_clISt17integral_constantIbLb1EES15_IbLb0EEEEDaS11_S12_EUlS11_E_NS1_11comp_targetILNS1_3genE8ELNS1_11target_archE1030ELNS1_3gpuE2ELNS1_3repE0EEENS1_30default_config_static_selectorELNS0_4arch9wavefront6targetE0EEEvT1_,comdat
	.protected	_ZN7rocprim17ROCPRIM_400000_NS6detail17trampoline_kernelINS0_14default_configENS1_25partition_config_selectorILNS1_17partition_subalgoE6EjNS0_10empty_typeEbEEZZNS1_14partition_implILS5_6ELb0ES3_mN6thrust23THRUST_200600_302600_NS6detail15normal_iteratorINSA_10device_ptrIjEEEEPS6_SG_NS0_5tupleIJSF_S6_EEENSH_IJSG_SG_EEES6_PlJ7is_evenIjEEEE10hipError_tPvRmT3_T4_T5_T6_T7_T9_mT8_P12ihipStream_tbDpT10_ENKUlT_T0_E_clISt17integral_constantIbLb1EES15_IbLb0EEEEDaS11_S12_EUlS11_E_NS1_11comp_targetILNS1_3genE8ELNS1_11target_archE1030ELNS1_3gpuE2ELNS1_3repE0EEENS1_30default_config_static_selectorELNS0_4arch9wavefront6targetE0EEEvT1_ ; -- Begin function _ZN7rocprim17ROCPRIM_400000_NS6detail17trampoline_kernelINS0_14default_configENS1_25partition_config_selectorILNS1_17partition_subalgoE6EjNS0_10empty_typeEbEEZZNS1_14partition_implILS5_6ELb0ES3_mN6thrust23THRUST_200600_302600_NS6detail15normal_iteratorINSA_10device_ptrIjEEEEPS6_SG_NS0_5tupleIJSF_S6_EEENSH_IJSG_SG_EEES6_PlJ7is_evenIjEEEE10hipError_tPvRmT3_T4_T5_T6_T7_T9_mT8_P12ihipStream_tbDpT10_ENKUlT_T0_E_clISt17integral_constantIbLb1EES15_IbLb0EEEEDaS11_S12_EUlS11_E_NS1_11comp_targetILNS1_3genE8ELNS1_11target_archE1030ELNS1_3gpuE2ELNS1_3repE0EEENS1_30default_config_static_selectorELNS0_4arch9wavefront6targetE0EEEvT1_
	.globl	_ZN7rocprim17ROCPRIM_400000_NS6detail17trampoline_kernelINS0_14default_configENS1_25partition_config_selectorILNS1_17partition_subalgoE6EjNS0_10empty_typeEbEEZZNS1_14partition_implILS5_6ELb0ES3_mN6thrust23THRUST_200600_302600_NS6detail15normal_iteratorINSA_10device_ptrIjEEEEPS6_SG_NS0_5tupleIJSF_S6_EEENSH_IJSG_SG_EEES6_PlJ7is_evenIjEEEE10hipError_tPvRmT3_T4_T5_T6_T7_T9_mT8_P12ihipStream_tbDpT10_ENKUlT_T0_E_clISt17integral_constantIbLb1EES15_IbLb0EEEEDaS11_S12_EUlS11_E_NS1_11comp_targetILNS1_3genE8ELNS1_11target_archE1030ELNS1_3gpuE2ELNS1_3repE0EEENS1_30default_config_static_selectorELNS0_4arch9wavefront6targetE0EEEvT1_
	.p2align	8
	.type	_ZN7rocprim17ROCPRIM_400000_NS6detail17trampoline_kernelINS0_14default_configENS1_25partition_config_selectorILNS1_17partition_subalgoE6EjNS0_10empty_typeEbEEZZNS1_14partition_implILS5_6ELb0ES3_mN6thrust23THRUST_200600_302600_NS6detail15normal_iteratorINSA_10device_ptrIjEEEEPS6_SG_NS0_5tupleIJSF_S6_EEENSH_IJSG_SG_EEES6_PlJ7is_evenIjEEEE10hipError_tPvRmT3_T4_T5_T6_T7_T9_mT8_P12ihipStream_tbDpT10_ENKUlT_T0_E_clISt17integral_constantIbLb1EES15_IbLb0EEEEDaS11_S12_EUlS11_E_NS1_11comp_targetILNS1_3genE8ELNS1_11target_archE1030ELNS1_3gpuE2ELNS1_3repE0EEENS1_30default_config_static_selectorELNS0_4arch9wavefront6targetE0EEEvT1_,@function
_ZN7rocprim17ROCPRIM_400000_NS6detail17trampoline_kernelINS0_14default_configENS1_25partition_config_selectorILNS1_17partition_subalgoE6EjNS0_10empty_typeEbEEZZNS1_14partition_implILS5_6ELb0ES3_mN6thrust23THRUST_200600_302600_NS6detail15normal_iteratorINSA_10device_ptrIjEEEEPS6_SG_NS0_5tupleIJSF_S6_EEENSH_IJSG_SG_EEES6_PlJ7is_evenIjEEEE10hipError_tPvRmT3_T4_T5_T6_T7_T9_mT8_P12ihipStream_tbDpT10_ENKUlT_T0_E_clISt17integral_constantIbLb1EES15_IbLb0EEEEDaS11_S12_EUlS11_E_NS1_11comp_targetILNS1_3genE8ELNS1_11target_archE1030ELNS1_3gpuE2ELNS1_3repE0EEENS1_30default_config_static_selectorELNS0_4arch9wavefront6targetE0EEEvT1_: ; @_ZN7rocprim17ROCPRIM_400000_NS6detail17trampoline_kernelINS0_14default_configENS1_25partition_config_selectorILNS1_17partition_subalgoE6EjNS0_10empty_typeEbEEZZNS1_14partition_implILS5_6ELb0ES3_mN6thrust23THRUST_200600_302600_NS6detail15normal_iteratorINSA_10device_ptrIjEEEEPS6_SG_NS0_5tupleIJSF_S6_EEENSH_IJSG_SG_EEES6_PlJ7is_evenIjEEEE10hipError_tPvRmT3_T4_T5_T6_T7_T9_mT8_P12ihipStream_tbDpT10_ENKUlT_T0_E_clISt17integral_constantIbLb1EES15_IbLb0EEEEDaS11_S12_EUlS11_E_NS1_11comp_targetILNS1_3genE8ELNS1_11target_archE1030ELNS1_3gpuE2ELNS1_3repE0EEENS1_30default_config_static_selectorELNS0_4arch9wavefront6targetE0EEEvT1_
; %bb.0:
	.section	.rodata,"a",@progbits
	.p2align	6, 0x0
	.amdhsa_kernel _ZN7rocprim17ROCPRIM_400000_NS6detail17trampoline_kernelINS0_14default_configENS1_25partition_config_selectorILNS1_17partition_subalgoE6EjNS0_10empty_typeEbEEZZNS1_14partition_implILS5_6ELb0ES3_mN6thrust23THRUST_200600_302600_NS6detail15normal_iteratorINSA_10device_ptrIjEEEEPS6_SG_NS0_5tupleIJSF_S6_EEENSH_IJSG_SG_EEES6_PlJ7is_evenIjEEEE10hipError_tPvRmT3_T4_T5_T6_T7_T9_mT8_P12ihipStream_tbDpT10_ENKUlT_T0_E_clISt17integral_constantIbLb1EES15_IbLb0EEEEDaS11_S12_EUlS11_E_NS1_11comp_targetILNS1_3genE8ELNS1_11target_archE1030ELNS1_3gpuE2ELNS1_3repE0EEENS1_30default_config_static_selectorELNS0_4arch9wavefront6targetE0EEEvT1_
		.amdhsa_group_segment_fixed_size 0
		.amdhsa_private_segment_fixed_size 0
		.amdhsa_kernarg_size 112
		.amdhsa_user_sgpr_count 15
		.amdhsa_user_sgpr_dispatch_ptr 0
		.amdhsa_user_sgpr_queue_ptr 0
		.amdhsa_user_sgpr_kernarg_segment_ptr 1
		.amdhsa_user_sgpr_dispatch_id 0
		.amdhsa_user_sgpr_private_segment_size 0
		.amdhsa_wavefront_size32 1
		.amdhsa_uses_dynamic_stack 0
		.amdhsa_enable_private_segment 0
		.amdhsa_system_sgpr_workgroup_id_x 1
		.amdhsa_system_sgpr_workgroup_id_y 0
		.amdhsa_system_sgpr_workgroup_id_z 0
		.amdhsa_system_sgpr_workgroup_info 0
		.amdhsa_system_vgpr_workitem_id 0
		.amdhsa_next_free_vgpr 1
		.amdhsa_next_free_sgpr 1
		.amdhsa_reserve_vcc 0
		.amdhsa_float_round_mode_32 0
		.amdhsa_float_round_mode_16_64 0
		.amdhsa_float_denorm_mode_32 3
		.amdhsa_float_denorm_mode_16_64 3
		.amdhsa_dx10_clamp 1
		.amdhsa_ieee_mode 1
		.amdhsa_fp16_overflow 0
		.amdhsa_workgroup_processor_mode 1
		.amdhsa_memory_ordered 1
		.amdhsa_forward_progress 0
		.amdhsa_shared_vgpr_count 0
		.amdhsa_exception_fp_ieee_invalid_op 0
		.amdhsa_exception_fp_denorm_src 0
		.amdhsa_exception_fp_ieee_div_zero 0
		.amdhsa_exception_fp_ieee_overflow 0
		.amdhsa_exception_fp_ieee_underflow 0
		.amdhsa_exception_fp_ieee_inexact 0
		.amdhsa_exception_int_div_zero 0
	.end_amdhsa_kernel
	.section	.text._ZN7rocprim17ROCPRIM_400000_NS6detail17trampoline_kernelINS0_14default_configENS1_25partition_config_selectorILNS1_17partition_subalgoE6EjNS0_10empty_typeEbEEZZNS1_14partition_implILS5_6ELb0ES3_mN6thrust23THRUST_200600_302600_NS6detail15normal_iteratorINSA_10device_ptrIjEEEEPS6_SG_NS0_5tupleIJSF_S6_EEENSH_IJSG_SG_EEES6_PlJ7is_evenIjEEEE10hipError_tPvRmT3_T4_T5_T6_T7_T9_mT8_P12ihipStream_tbDpT10_ENKUlT_T0_E_clISt17integral_constantIbLb1EES15_IbLb0EEEEDaS11_S12_EUlS11_E_NS1_11comp_targetILNS1_3genE8ELNS1_11target_archE1030ELNS1_3gpuE2ELNS1_3repE0EEENS1_30default_config_static_selectorELNS0_4arch9wavefront6targetE0EEEvT1_,"axG",@progbits,_ZN7rocprim17ROCPRIM_400000_NS6detail17trampoline_kernelINS0_14default_configENS1_25partition_config_selectorILNS1_17partition_subalgoE6EjNS0_10empty_typeEbEEZZNS1_14partition_implILS5_6ELb0ES3_mN6thrust23THRUST_200600_302600_NS6detail15normal_iteratorINSA_10device_ptrIjEEEEPS6_SG_NS0_5tupleIJSF_S6_EEENSH_IJSG_SG_EEES6_PlJ7is_evenIjEEEE10hipError_tPvRmT3_T4_T5_T6_T7_T9_mT8_P12ihipStream_tbDpT10_ENKUlT_T0_E_clISt17integral_constantIbLb1EES15_IbLb0EEEEDaS11_S12_EUlS11_E_NS1_11comp_targetILNS1_3genE8ELNS1_11target_archE1030ELNS1_3gpuE2ELNS1_3repE0EEENS1_30default_config_static_selectorELNS0_4arch9wavefront6targetE0EEEvT1_,comdat
.Lfunc_end319:
	.size	_ZN7rocprim17ROCPRIM_400000_NS6detail17trampoline_kernelINS0_14default_configENS1_25partition_config_selectorILNS1_17partition_subalgoE6EjNS0_10empty_typeEbEEZZNS1_14partition_implILS5_6ELb0ES3_mN6thrust23THRUST_200600_302600_NS6detail15normal_iteratorINSA_10device_ptrIjEEEEPS6_SG_NS0_5tupleIJSF_S6_EEENSH_IJSG_SG_EEES6_PlJ7is_evenIjEEEE10hipError_tPvRmT3_T4_T5_T6_T7_T9_mT8_P12ihipStream_tbDpT10_ENKUlT_T0_E_clISt17integral_constantIbLb1EES15_IbLb0EEEEDaS11_S12_EUlS11_E_NS1_11comp_targetILNS1_3genE8ELNS1_11target_archE1030ELNS1_3gpuE2ELNS1_3repE0EEENS1_30default_config_static_selectorELNS0_4arch9wavefront6targetE0EEEvT1_, .Lfunc_end319-_ZN7rocprim17ROCPRIM_400000_NS6detail17trampoline_kernelINS0_14default_configENS1_25partition_config_selectorILNS1_17partition_subalgoE6EjNS0_10empty_typeEbEEZZNS1_14partition_implILS5_6ELb0ES3_mN6thrust23THRUST_200600_302600_NS6detail15normal_iteratorINSA_10device_ptrIjEEEEPS6_SG_NS0_5tupleIJSF_S6_EEENSH_IJSG_SG_EEES6_PlJ7is_evenIjEEEE10hipError_tPvRmT3_T4_T5_T6_T7_T9_mT8_P12ihipStream_tbDpT10_ENKUlT_T0_E_clISt17integral_constantIbLb1EES15_IbLb0EEEEDaS11_S12_EUlS11_E_NS1_11comp_targetILNS1_3genE8ELNS1_11target_archE1030ELNS1_3gpuE2ELNS1_3repE0EEENS1_30default_config_static_selectorELNS0_4arch9wavefront6targetE0EEEvT1_
                                        ; -- End function
	.section	.AMDGPU.csdata,"",@progbits
; Kernel info:
; codeLenInByte = 0
; NumSgprs: 0
; NumVgprs: 0
; ScratchSize: 0
; MemoryBound: 0
; FloatMode: 240
; IeeeMode: 1
; LDSByteSize: 0 bytes/workgroup (compile time only)
; SGPRBlocks: 0
; VGPRBlocks: 0
; NumSGPRsForWavesPerEU: 1
; NumVGPRsForWavesPerEU: 1
; Occupancy: 16
; WaveLimiterHint : 0
; COMPUTE_PGM_RSRC2:SCRATCH_EN: 0
; COMPUTE_PGM_RSRC2:USER_SGPR: 15
; COMPUTE_PGM_RSRC2:TRAP_HANDLER: 0
; COMPUTE_PGM_RSRC2:TGID_X_EN: 1
; COMPUTE_PGM_RSRC2:TGID_Y_EN: 0
; COMPUTE_PGM_RSRC2:TGID_Z_EN: 0
; COMPUTE_PGM_RSRC2:TIDIG_COMP_CNT: 0
	.section	.text._ZN7rocprim17ROCPRIM_400000_NS6detail17trampoline_kernelINS0_14default_configENS1_25partition_config_selectorILNS1_17partition_subalgoE6EjNS0_10empty_typeEbEEZZNS1_14partition_implILS5_6ELb0ES3_mN6thrust23THRUST_200600_302600_NS6detail15normal_iteratorINSA_10device_ptrIjEEEEPS6_SG_NS0_5tupleIJSF_S6_EEENSH_IJSG_SG_EEES6_PlJ7is_evenIjEEEE10hipError_tPvRmT3_T4_T5_T6_T7_T9_mT8_P12ihipStream_tbDpT10_ENKUlT_T0_E_clISt17integral_constantIbLb0EES15_IbLb1EEEEDaS11_S12_EUlS11_E_NS1_11comp_targetILNS1_3genE0ELNS1_11target_archE4294967295ELNS1_3gpuE0ELNS1_3repE0EEENS1_30default_config_static_selectorELNS0_4arch9wavefront6targetE0EEEvT1_,"axG",@progbits,_ZN7rocprim17ROCPRIM_400000_NS6detail17trampoline_kernelINS0_14default_configENS1_25partition_config_selectorILNS1_17partition_subalgoE6EjNS0_10empty_typeEbEEZZNS1_14partition_implILS5_6ELb0ES3_mN6thrust23THRUST_200600_302600_NS6detail15normal_iteratorINSA_10device_ptrIjEEEEPS6_SG_NS0_5tupleIJSF_S6_EEENSH_IJSG_SG_EEES6_PlJ7is_evenIjEEEE10hipError_tPvRmT3_T4_T5_T6_T7_T9_mT8_P12ihipStream_tbDpT10_ENKUlT_T0_E_clISt17integral_constantIbLb0EES15_IbLb1EEEEDaS11_S12_EUlS11_E_NS1_11comp_targetILNS1_3genE0ELNS1_11target_archE4294967295ELNS1_3gpuE0ELNS1_3repE0EEENS1_30default_config_static_selectorELNS0_4arch9wavefront6targetE0EEEvT1_,comdat
	.protected	_ZN7rocprim17ROCPRIM_400000_NS6detail17trampoline_kernelINS0_14default_configENS1_25partition_config_selectorILNS1_17partition_subalgoE6EjNS0_10empty_typeEbEEZZNS1_14partition_implILS5_6ELb0ES3_mN6thrust23THRUST_200600_302600_NS6detail15normal_iteratorINSA_10device_ptrIjEEEEPS6_SG_NS0_5tupleIJSF_S6_EEENSH_IJSG_SG_EEES6_PlJ7is_evenIjEEEE10hipError_tPvRmT3_T4_T5_T6_T7_T9_mT8_P12ihipStream_tbDpT10_ENKUlT_T0_E_clISt17integral_constantIbLb0EES15_IbLb1EEEEDaS11_S12_EUlS11_E_NS1_11comp_targetILNS1_3genE0ELNS1_11target_archE4294967295ELNS1_3gpuE0ELNS1_3repE0EEENS1_30default_config_static_selectorELNS0_4arch9wavefront6targetE0EEEvT1_ ; -- Begin function _ZN7rocprim17ROCPRIM_400000_NS6detail17trampoline_kernelINS0_14default_configENS1_25partition_config_selectorILNS1_17partition_subalgoE6EjNS0_10empty_typeEbEEZZNS1_14partition_implILS5_6ELb0ES3_mN6thrust23THRUST_200600_302600_NS6detail15normal_iteratorINSA_10device_ptrIjEEEEPS6_SG_NS0_5tupleIJSF_S6_EEENSH_IJSG_SG_EEES6_PlJ7is_evenIjEEEE10hipError_tPvRmT3_T4_T5_T6_T7_T9_mT8_P12ihipStream_tbDpT10_ENKUlT_T0_E_clISt17integral_constantIbLb0EES15_IbLb1EEEEDaS11_S12_EUlS11_E_NS1_11comp_targetILNS1_3genE0ELNS1_11target_archE4294967295ELNS1_3gpuE0ELNS1_3repE0EEENS1_30default_config_static_selectorELNS0_4arch9wavefront6targetE0EEEvT1_
	.globl	_ZN7rocprim17ROCPRIM_400000_NS6detail17trampoline_kernelINS0_14default_configENS1_25partition_config_selectorILNS1_17partition_subalgoE6EjNS0_10empty_typeEbEEZZNS1_14partition_implILS5_6ELb0ES3_mN6thrust23THRUST_200600_302600_NS6detail15normal_iteratorINSA_10device_ptrIjEEEEPS6_SG_NS0_5tupleIJSF_S6_EEENSH_IJSG_SG_EEES6_PlJ7is_evenIjEEEE10hipError_tPvRmT3_T4_T5_T6_T7_T9_mT8_P12ihipStream_tbDpT10_ENKUlT_T0_E_clISt17integral_constantIbLb0EES15_IbLb1EEEEDaS11_S12_EUlS11_E_NS1_11comp_targetILNS1_3genE0ELNS1_11target_archE4294967295ELNS1_3gpuE0ELNS1_3repE0EEENS1_30default_config_static_selectorELNS0_4arch9wavefront6targetE0EEEvT1_
	.p2align	8
	.type	_ZN7rocprim17ROCPRIM_400000_NS6detail17trampoline_kernelINS0_14default_configENS1_25partition_config_selectorILNS1_17partition_subalgoE6EjNS0_10empty_typeEbEEZZNS1_14partition_implILS5_6ELb0ES3_mN6thrust23THRUST_200600_302600_NS6detail15normal_iteratorINSA_10device_ptrIjEEEEPS6_SG_NS0_5tupleIJSF_S6_EEENSH_IJSG_SG_EEES6_PlJ7is_evenIjEEEE10hipError_tPvRmT3_T4_T5_T6_T7_T9_mT8_P12ihipStream_tbDpT10_ENKUlT_T0_E_clISt17integral_constantIbLb0EES15_IbLb1EEEEDaS11_S12_EUlS11_E_NS1_11comp_targetILNS1_3genE0ELNS1_11target_archE4294967295ELNS1_3gpuE0ELNS1_3repE0EEENS1_30default_config_static_selectorELNS0_4arch9wavefront6targetE0EEEvT1_,@function
_ZN7rocprim17ROCPRIM_400000_NS6detail17trampoline_kernelINS0_14default_configENS1_25partition_config_selectorILNS1_17partition_subalgoE6EjNS0_10empty_typeEbEEZZNS1_14partition_implILS5_6ELb0ES3_mN6thrust23THRUST_200600_302600_NS6detail15normal_iteratorINSA_10device_ptrIjEEEEPS6_SG_NS0_5tupleIJSF_S6_EEENSH_IJSG_SG_EEES6_PlJ7is_evenIjEEEE10hipError_tPvRmT3_T4_T5_T6_T7_T9_mT8_P12ihipStream_tbDpT10_ENKUlT_T0_E_clISt17integral_constantIbLb0EES15_IbLb1EEEEDaS11_S12_EUlS11_E_NS1_11comp_targetILNS1_3genE0ELNS1_11target_archE4294967295ELNS1_3gpuE0ELNS1_3repE0EEENS1_30default_config_static_selectorELNS0_4arch9wavefront6targetE0EEEvT1_: ; @_ZN7rocprim17ROCPRIM_400000_NS6detail17trampoline_kernelINS0_14default_configENS1_25partition_config_selectorILNS1_17partition_subalgoE6EjNS0_10empty_typeEbEEZZNS1_14partition_implILS5_6ELb0ES3_mN6thrust23THRUST_200600_302600_NS6detail15normal_iteratorINSA_10device_ptrIjEEEEPS6_SG_NS0_5tupleIJSF_S6_EEENSH_IJSG_SG_EEES6_PlJ7is_evenIjEEEE10hipError_tPvRmT3_T4_T5_T6_T7_T9_mT8_P12ihipStream_tbDpT10_ENKUlT_T0_E_clISt17integral_constantIbLb0EES15_IbLb1EEEEDaS11_S12_EUlS11_E_NS1_11comp_targetILNS1_3genE0ELNS1_11target_archE4294967295ELNS1_3gpuE0ELNS1_3repE0EEENS1_30default_config_static_selectorELNS0_4arch9wavefront6targetE0EEEvT1_
; %bb.0:
	.section	.rodata,"a",@progbits
	.p2align	6, 0x0
	.amdhsa_kernel _ZN7rocprim17ROCPRIM_400000_NS6detail17trampoline_kernelINS0_14default_configENS1_25partition_config_selectorILNS1_17partition_subalgoE6EjNS0_10empty_typeEbEEZZNS1_14partition_implILS5_6ELb0ES3_mN6thrust23THRUST_200600_302600_NS6detail15normal_iteratorINSA_10device_ptrIjEEEEPS6_SG_NS0_5tupleIJSF_S6_EEENSH_IJSG_SG_EEES6_PlJ7is_evenIjEEEE10hipError_tPvRmT3_T4_T5_T6_T7_T9_mT8_P12ihipStream_tbDpT10_ENKUlT_T0_E_clISt17integral_constantIbLb0EES15_IbLb1EEEEDaS11_S12_EUlS11_E_NS1_11comp_targetILNS1_3genE0ELNS1_11target_archE4294967295ELNS1_3gpuE0ELNS1_3repE0EEENS1_30default_config_static_selectorELNS0_4arch9wavefront6targetE0EEEvT1_
		.amdhsa_group_segment_fixed_size 0
		.amdhsa_private_segment_fixed_size 0
		.amdhsa_kernarg_size 128
		.amdhsa_user_sgpr_count 15
		.amdhsa_user_sgpr_dispatch_ptr 0
		.amdhsa_user_sgpr_queue_ptr 0
		.amdhsa_user_sgpr_kernarg_segment_ptr 1
		.amdhsa_user_sgpr_dispatch_id 0
		.amdhsa_user_sgpr_private_segment_size 0
		.amdhsa_wavefront_size32 1
		.amdhsa_uses_dynamic_stack 0
		.amdhsa_enable_private_segment 0
		.amdhsa_system_sgpr_workgroup_id_x 1
		.amdhsa_system_sgpr_workgroup_id_y 0
		.amdhsa_system_sgpr_workgroup_id_z 0
		.amdhsa_system_sgpr_workgroup_info 0
		.amdhsa_system_vgpr_workitem_id 0
		.amdhsa_next_free_vgpr 1
		.amdhsa_next_free_sgpr 1
		.amdhsa_reserve_vcc 0
		.amdhsa_float_round_mode_32 0
		.amdhsa_float_round_mode_16_64 0
		.amdhsa_float_denorm_mode_32 3
		.amdhsa_float_denorm_mode_16_64 3
		.amdhsa_dx10_clamp 1
		.amdhsa_ieee_mode 1
		.amdhsa_fp16_overflow 0
		.amdhsa_workgroup_processor_mode 1
		.amdhsa_memory_ordered 1
		.amdhsa_forward_progress 0
		.amdhsa_shared_vgpr_count 0
		.amdhsa_exception_fp_ieee_invalid_op 0
		.amdhsa_exception_fp_denorm_src 0
		.amdhsa_exception_fp_ieee_div_zero 0
		.amdhsa_exception_fp_ieee_overflow 0
		.amdhsa_exception_fp_ieee_underflow 0
		.amdhsa_exception_fp_ieee_inexact 0
		.amdhsa_exception_int_div_zero 0
	.end_amdhsa_kernel
	.section	.text._ZN7rocprim17ROCPRIM_400000_NS6detail17trampoline_kernelINS0_14default_configENS1_25partition_config_selectorILNS1_17partition_subalgoE6EjNS0_10empty_typeEbEEZZNS1_14partition_implILS5_6ELb0ES3_mN6thrust23THRUST_200600_302600_NS6detail15normal_iteratorINSA_10device_ptrIjEEEEPS6_SG_NS0_5tupleIJSF_S6_EEENSH_IJSG_SG_EEES6_PlJ7is_evenIjEEEE10hipError_tPvRmT3_T4_T5_T6_T7_T9_mT8_P12ihipStream_tbDpT10_ENKUlT_T0_E_clISt17integral_constantIbLb0EES15_IbLb1EEEEDaS11_S12_EUlS11_E_NS1_11comp_targetILNS1_3genE0ELNS1_11target_archE4294967295ELNS1_3gpuE0ELNS1_3repE0EEENS1_30default_config_static_selectorELNS0_4arch9wavefront6targetE0EEEvT1_,"axG",@progbits,_ZN7rocprim17ROCPRIM_400000_NS6detail17trampoline_kernelINS0_14default_configENS1_25partition_config_selectorILNS1_17partition_subalgoE6EjNS0_10empty_typeEbEEZZNS1_14partition_implILS5_6ELb0ES3_mN6thrust23THRUST_200600_302600_NS6detail15normal_iteratorINSA_10device_ptrIjEEEEPS6_SG_NS0_5tupleIJSF_S6_EEENSH_IJSG_SG_EEES6_PlJ7is_evenIjEEEE10hipError_tPvRmT3_T4_T5_T6_T7_T9_mT8_P12ihipStream_tbDpT10_ENKUlT_T0_E_clISt17integral_constantIbLb0EES15_IbLb1EEEEDaS11_S12_EUlS11_E_NS1_11comp_targetILNS1_3genE0ELNS1_11target_archE4294967295ELNS1_3gpuE0ELNS1_3repE0EEENS1_30default_config_static_selectorELNS0_4arch9wavefront6targetE0EEEvT1_,comdat
.Lfunc_end320:
	.size	_ZN7rocprim17ROCPRIM_400000_NS6detail17trampoline_kernelINS0_14default_configENS1_25partition_config_selectorILNS1_17partition_subalgoE6EjNS0_10empty_typeEbEEZZNS1_14partition_implILS5_6ELb0ES3_mN6thrust23THRUST_200600_302600_NS6detail15normal_iteratorINSA_10device_ptrIjEEEEPS6_SG_NS0_5tupleIJSF_S6_EEENSH_IJSG_SG_EEES6_PlJ7is_evenIjEEEE10hipError_tPvRmT3_T4_T5_T6_T7_T9_mT8_P12ihipStream_tbDpT10_ENKUlT_T0_E_clISt17integral_constantIbLb0EES15_IbLb1EEEEDaS11_S12_EUlS11_E_NS1_11comp_targetILNS1_3genE0ELNS1_11target_archE4294967295ELNS1_3gpuE0ELNS1_3repE0EEENS1_30default_config_static_selectorELNS0_4arch9wavefront6targetE0EEEvT1_, .Lfunc_end320-_ZN7rocprim17ROCPRIM_400000_NS6detail17trampoline_kernelINS0_14default_configENS1_25partition_config_selectorILNS1_17partition_subalgoE6EjNS0_10empty_typeEbEEZZNS1_14partition_implILS5_6ELb0ES3_mN6thrust23THRUST_200600_302600_NS6detail15normal_iteratorINSA_10device_ptrIjEEEEPS6_SG_NS0_5tupleIJSF_S6_EEENSH_IJSG_SG_EEES6_PlJ7is_evenIjEEEE10hipError_tPvRmT3_T4_T5_T6_T7_T9_mT8_P12ihipStream_tbDpT10_ENKUlT_T0_E_clISt17integral_constantIbLb0EES15_IbLb1EEEEDaS11_S12_EUlS11_E_NS1_11comp_targetILNS1_3genE0ELNS1_11target_archE4294967295ELNS1_3gpuE0ELNS1_3repE0EEENS1_30default_config_static_selectorELNS0_4arch9wavefront6targetE0EEEvT1_
                                        ; -- End function
	.section	.AMDGPU.csdata,"",@progbits
; Kernel info:
; codeLenInByte = 0
; NumSgprs: 0
; NumVgprs: 0
; ScratchSize: 0
; MemoryBound: 0
; FloatMode: 240
; IeeeMode: 1
; LDSByteSize: 0 bytes/workgroup (compile time only)
; SGPRBlocks: 0
; VGPRBlocks: 0
; NumSGPRsForWavesPerEU: 1
; NumVGPRsForWavesPerEU: 1
; Occupancy: 16
; WaveLimiterHint : 0
; COMPUTE_PGM_RSRC2:SCRATCH_EN: 0
; COMPUTE_PGM_RSRC2:USER_SGPR: 15
; COMPUTE_PGM_RSRC2:TRAP_HANDLER: 0
; COMPUTE_PGM_RSRC2:TGID_X_EN: 1
; COMPUTE_PGM_RSRC2:TGID_Y_EN: 0
; COMPUTE_PGM_RSRC2:TGID_Z_EN: 0
; COMPUTE_PGM_RSRC2:TIDIG_COMP_CNT: 0
	.section	.text._ZN7rocprim17ROCPRIM_400000_NS6detail17trampoline_kernelINS0_14default_configENS1_25partition_config_selectorILNS1_17partition_subalgoE6EjNS0_10empty_typeEbEEZZNS1_14partition_implILS5_6ELb0ES3_mN6thrust23THRUST_200600_302600_NS6detail15normal_iteratorINSA_10device_ptrIjEEEEPS6_SG_NS0_5tupleIJSF_S6_EEENSH_IJSG_SG_EEES6_PlJ7is_evenIjEEEE10hipError_tPvRmT3_T4_T5_T6_T7_T9_mT8_P12ihipStream_tbDpT10_ENKUlT_T0_E_clISt17integral_constantIbLb0EES15_IbLb1EEEEDaS11_S12_EUlS11_E_NS1_11comp_targetILNS1_3genE5ELNS1_11target_archE942ELNS1_3gpuE9ELNS1_3repE0EEENS1_30default_config_static_selectorELNS0_4arch9wavefront6targetE0EEEvT1_,"axG",@progbits,_ZN7rocprim17ROCPRIM_400000_NS6detail17trampoline_kernelINS0_14default_configENS1_25partition_config_selectorILNS1_17partition_subalgoE6EjNS0_10empty_typeEbEEZZNS1_14partition_implILS5_6ELb0ES3_mN6thrust23THRUST_200600_302600_NS6detail15normal_iteratorINSA_10device_ptrIjEEEEPS6_SG_NS0_5tupleIJSF_S6_EEENSH_IJSG_SG_EEES6_PlJ7is_evenIjEEEE10hipError_tPvRmT3_T4_T5_T6_T7_T9_mT8_P12ihipStream_tbDpT10_ENKUlT_T0_E_clISt17integral_constantIbLb0EES15_IbLb1EEEEDaS11_S12_EUlS11_E_NS1_11comp_targetILNS1_3genE5ELNS1_11target_archE942ELNS1_3gpuE9ELNS1_3repE0EEENS1_30default_config_static_selectorELNS0_4arch9wavefront6targetE0EEEvT1_,comdat
	.protected	_ZN7rocprim17ROCPRIM_400000_NS6detail17trampoline_kernelINS0_14default_configENS1_25partition_config_selectorILNS1_17partition_subalgoE6EjNS0_10empty_typeEbEEZZNS1_14partition_implILS5_6ELb0ES3_mN6thrust23THRUST_200600_302600_NS6detail15normal_iteratorINSA_10device_ptrIjEEEEPS6_SG_NS0_5tupleIJSF_S6_EEENSH_IJSG_SG_EEES6_PlJ7is_evenIjEEEE10hipError_tPvRmT3_T4_T5_T6_T7_T9_mT8_P12ihipStream_tbDpT10_ENKUlT_T0_E_clISt17integral_constantIbLb0EES15_IbLb1EEEEDaS11_S12_EUlS11_E_NS1_11comp_targetILNS1_3genE5ELNS1_11target_archE942ELNS1_3gpuE9ELNS1_3repE0EEENS1_30default_config_static_selectorELNS0_4arch9wavefront6targetE0EEEvT1_ ; -- Begin function _ZN7rocprim17ROCPRIM_400000_NS6detail17trampoline_kernelINS0_14default_configENS1_25partition_config_selectorILNS1_17partition_subalgoE6EjNS0_10empty_typeEbEEZZNS1_14partition_implILS5_6ELb0ES3_mN6thrust23THRUST_200600_302600_NS6detail15normal_iteratorINSA_10device_ptrIjEEEEPS6_SG_NS0_5tupleIJSF_S6_EEENSH_IJSG_SG_EEES6_PlJ7is_evenIjEEEE10hipError_tPvRmT3_T4_T5_T6_T7_T9_mT8_P12ihipStream_tbDpT10_ENKUlT_T0_E_clISt17integral_constantIbLb0EES15_IbLb1EEEEDaS11_S12_EUlS11_E_NS1_11comp_targetILNS1_3genE5ELNS1_11target_archE942ELNS1_3gpuE9ELNS1_3repE0EEENS1_30default_config_static_selectorELNS0_4arch9wavefront6targetE0EEEvT1_
	.globl	_ZN7rocprim17ROCPRIM_400000_NS6detail17trampoline_kernelINS0_14default_configENS1_25partition_config_selectorILNS1_17partition_subalgoE6EjNS0_10empty_typeEbEEZZNS1_14partition_implILS5_6ELb0ES3_mN6thrust23THRUST_200600_302600_NS6detail15normal_iteratorINSA_10device_ptrIjEEEEPS6_SG_NS0_5tupleIJSF_S6_EEENSH_IJSG_SG_EEES6_PlJ7is_evenIjEEEE10hipError_tPvRmT3_T4_T5_T6_T7_T9_mT8_P12ihipStream_tbDpT10_ENKUlT_T0_E_clISt17integral_constantIbLb0EES15_IbLb1EEEEDaS11_S12_EUlS11_E_NS1_11comp_targetILNS1_3genE5ELNS1_11target_archE942ELNS1_3gpuE9ELNS1_3repE0EEENS1_30default_config_static_selectorELNS0_4arch9wavefront6targetE0EEEvT1_
	.p2align	8
	.type	_ZN7rocprim17ROCPRIM_400000_NS6detail17trampoline_kernelINS0_14default_configENS1_25partition_config_selectorILNS1_17partition_subalgoE6EjNS0_10empty_typeEbEEZZNS1_14partition_implILS5_6ELb0ES3_mN6thrust23THRUST_200600_302600_NS6detail15normal_iteratorINSA_10device_ptrIjEEEEPS6_SG_NS0_5tupleIJSF_S6_EEENSH_IJSG_SG_EEES6_PlJ7is_evenIjEEEE10hipError_tPvRmT3_T4_T5_T6_T7_T9_mT8_P12ihipStream_tbDpT10_ENKUlT_T0_E_clISt17integral_constantIbLb0EES15_IbLb1EEEEDaS11_S12_EUlS11_E_NS1_11comp_targetILNS1_3genE5ELNS1_11target_archE942ELNS1_3gpuE9ELNS1_3repE0EEENS1_30default_config_static_selectorELNS0_4arch9wavefront6targetE0EEEvT1_,@function
_ZN7rocprim17ROCPRIM_400000_NS6detail17trampoline_kernelINS0_14default_configENS1_25partition_config_selectorILNS1_17partition_subalgoE6EjNS0_10empty_typeEbEEZZNS1_14partition_implILS5_6ELb0ES3_mN6thrust23THRUST_200600_302600_NS6detail15normal_iteratorINSA_10device_ptrIjEEEEPS6_SG_NS0_5tupleIJSF_S6_EEENSH_IJSG_SG_EEES6_PlJ7is_evenIjEEEE10hipError_tPvRmT3_T4_T5_T6_T7_T9_mT8_P12ihipStream_tbDpT10_ENKUlT_T0_E_clISt17integral_constantIbLb0EES15_IbLb1EEEEDaS11_S12_EUlS11_E_NS1_11comp_targetILNS1_3genE5ELNS1_11target_archE942ELNS1_3gpuE9ELNS1_3repE0EEENS1_30default_config_static_selectorELNS0_4arch9wavefront6targetE0EEEvT1_: ; @_ZN7rocprim17ROCPRIM_400000_NS6detail17trampoline_kernelINS0_14default_configENS1_25partition_config_selectorILNS1_17partition_subalgoE6EjNS0_10empty_typeEbEEZZNS1_14partition_implILS5_6ELb0ES3_mN6thrust23THRUST_200600_302600_NS6detail15normal_iteratorINSA_10device_ptrIjEEEEPS6_SG_NS0_5tupleIJSF_S6_EEENSH_IJSG_SG_EEES6_PlJ7is_evenIjEEEE10hipError_tPvRmT3_T4_T5_T6_T7_T9_mT8_P12ihipStream_tbDpT10_ENKUlT_T0_E_clISt17integral_constantIbLb0EES15_IbLb1EEEEDaS11_S12_EUlS11_E_NS1_11comp_targetILNS1_3genE5ELNS1_11target_archE942ELNS1_3gpuE9ELNS1_3repE0EEENS1_30default_config_static_selectorELNS0_4arch9wavefront6targetE0EEEvT1_
; %bb.0:
	.section	.rodata,"a",@progbits
	.p2align	6, 0x0
	.amdhsa_kernel _ZN7rocprim17ROCPRIM_400000_NS6detail17trampoline_kernelINS0_14default_configENS1_25partition_config_selectorILNS1_17partition_subalgoE6EjNS0_10empty_typeEbEEZZNS1_14partition_implILS5_6ELb0ES3_mN6thrust23THRUST_200600_302600_NS6detail15normal_iteratorINSA_10device_ptrIjEEEEPS6_SG_NS0_5tupleIJSF_S6_EEENSH_IJSG_SG_EEES6_PlJ7is_evenIjEEEE10hipError_tPvRmT3_T4_T5_T6_T7_T9_mT8_P12ihipStream_tbDpT10_ENKUlT_T0_E_clISt17integral_constantIbLb0EES15_IbLb1EEEEDaS11_S12_EUlS11_E_NS1_11comp_targetILNS1_3genE5ELNS1_11target_archE942ELNS1_3gpuE9ELNS1_3repE0EEENS1_30default_config_static_selectorELNS0_4arch9wavefront6targetE0EEEvT1_
		.amdhsa_group_segment_fixed_size 0
		.amdhsa_private_segment_fixed_size 0
		.amdhsa_kernarg_size 128
		.amdhsa_user_sgpr_count 15
		.amdhsa_user_sgpr_dispatch_ptr 0
		.amdhsa_user_sgpr_queue_ptr 0
		.amdhsa_user_sgpr_kernarg_segment_ptr 1
		.amdhsa_user_sgpr_dispatch_id 0
		.amdhsa_user_sgpr_private_segment_size 0
		.amdhsa_wavefront_size32 1
		.amdhsa_uses_dynamic_stack 0
		.amdhsa_enable_private_segment 0
		.amdhsa_system_sgpr_workgroup_id_x 1
		.amdhsa_system_sgpr_workgroup_id_y 0
		.amdhsa_system_sgpr_workgroup_id_z 0
		.amdhsa_system_sgpr_workgroup_info 0
		.amdhsa_system_vgpr_workitem_id 0
		.amdhsa_next_free_vgpr 1
		.amdhsa_next_free_sgpr 1
		.amdhsa_reserve_vcc 0
		.amdhsa_float_round_mode_32 0
		.amdhsa_float_round_mode_16_64 0
		.amdhsa_float_denorm_mode_32 3
		.amdhsa_float_denorm_mode_16_64 3
		.amdhsa_dx10_clamp 1
		.amdhsa_ieee_mode 1
		.amdhsa_fp16_overflow 0
		.amdhsa_workgroup_processor_mode 1
		.amdhsa_memory_ordered 1
		.amdhsa_forward_progress 0
		.amdhsa_shared_vgpr_count 0
		.amdhsa_exception_fp_ieee_invalid_op 0
		.amdhsa_exception_fp_denorm_src 0
		.amdhsa_exception_fp_ieee_div_zero 0
		.amdhsa_exception_fp_ieee_overflow 0
		.amdhsa_exception_fp_ieee_underflow 0
		.amdhsa_exception_fp_ieee_inexact 0
		.amdhsa_exception_int_div_zero 0
	.end_amdhsa_kernel
	.section	.text._ZN7rocprim17ROCPRIM_400000_NS6detail17trampoline_kernelINS0_14default_configENS1_25partition_config_selectorILNS1_17partition_subalgoE6EjNS0_10empty_typeEbEEZZNS1_14partition_implILS5_6ELb0ES3_mN6thrust23THRUST_200600_302600_NS6detail15normal_iteratorINSA_10device_ptrIjEEEEPS6_SG_NS0_5tupleIJSF_S6_EEENSH_IJSG_SG_EEES6_PlJ7is_evenIjEEEE10hipError_tPvRmT3_T4_T5_T6_T7_T9_mT8_P12ihipStream_tbDpT10_ENKUlT_T0_E_clISt17integral_constantIbLb0EES15_IbLb1EEEEDaS11_S12_EUlS11_E_NS1_11comp_targetILNS1_3genE5ELNS1_11target_archE942ELNS1_3gpuE9ELNS1_3repE0EEENS1_30default_config_static_selectorELNS0_4arch9wavefront6targetE0EEEvT1_,"axG",@progbits,_ZN7rocprim17ROCPRIM_400000_NS6detail17trampoline_kernelINS0_14default_configENS1_25partition_config_selectorILNS1_17partition_subalgoE6EjNS0_10empty_typeEbEEZZNS1_14partition_implILS5_6ELb0ES3_mN6thrust23THRUST_200600_302600_NS6detail15normal_iteratorINSA_10device_ptrIjEEEEPS6_SG_NS0_5tupleIJSF_S6_EEENSH_IJSG_SG_EEES6_PlJ7is_evenIjEEEE10hipError_tPvRmT3_T4_T5_T6_T7_T9_mT8_P12ihipStream_tbDpT10_ENKUlT_T0_E_clISt17integral_constantIbLb0EES15_IbLb1EEEEDaS11_S12_EUlS11_E_NS1_11comp_targetILNS1_3genE5ELNS1_11target_archE942ELNS1_3gpuE9ELNS1_3repE0EEENS1_30default_config_static_selectorELNS0_4arch9wavefront6targetE0EEEvT1_,comdat
.Lfunc_end321:
	.size	_ZN7rocprim17ROCPRIM_400000_NS6detail17trampoline_kernelINS0_14default_configENS1_25partition_config_selectorILNS1_17partition_subalgoE6EjNS0_10empty_typeEbEEZZNS1_14partition_implILS5_6ELb0ES3_mN6thrust23THRUST_200600_302600_NS6detail15normal_iteratorINSA_10device_ptrIjEEEEPS6_SG_NS0_5tupleIJSF_S6_EEENSH_IJSG_SG_EEES6_PlJ7is_evenIjEEEE10hipError_tPvRmT3_T4_T5_T6_T7_T9_mT8_P12ihipStream_tbDpT10_ENKUlT_T0_E_clISt17integral_constantIbLb0EES15_IbLb1EEEEDaS11_S12_EUlS11_E_NS1_11comp_targetILNS1_3genE5ELNS1_11target_archE942ELNS1_3gpuE9ELNS1_3repE0EEENS1_30default_config_static_selectorELNS0_4arch9wavefront6targetE0EEEvT1_, .Lfunc_end321-_ZN7rocprim17ROCPRIM_400000_NS6detail17trampoline_kernelINS0_14default_configENS1_25partition_config_selectorILNS1_17partition_subalgoE6EjNS0_10empty_typeEbEEZZNS1_14partition_implILS5_6ELb0ES3_mN6thrust23THRUST_200600_302600_NS6detail15normal_iteratorINSA_10device_ptrIjEEEEPS6_SG_NS0_5tupleIJSF_S6_EEENSH_IJSG_SG_EEES6_PlJ7is_evenIjEEEE10hipError_tPvRmT3_T4_T5_T6_T7_T9_mT8_P12ihipStream_tbDpT10_ENKUlT_T0_E_clISt17integral_constantIbLb0EES15_IbLb1EEEEDaS11_S12_EUlS11_E_NS1_11comp_targetILNS1_3genE5ELNS1_11target_archE942ELNS1_3gpuE9ELNS1_3repE0EEENS1_30default_config_static_selectorELNS0_4arch9wavefront6targetE0EEEvT1_
                                        ; -- End function
	.section	.AMDGPU.csdata,"",@progbits
; Kernel info:
; codeLenInByte = 0
; NumSgprs: 0
; NumVgprs: 0
; ScratchSize: 0
; MemoryBound: 0
; FloatMode: 240
; IeeeMode: 1
; LDSByteSize: 0 bytes/workgroup (compile time only)
; SGPRBlocks: 0
; VGPRBlocks: 0
; NumSGPRsForWavesPerEU: 1
; NumVGPRsForWavesPerEU: 1
; Occupancy: 16
; WaveLimiterHint : 0
; COMPUTE_PGM_RSRC2:SCRATCH_EN: 0
; COMPUTE_PGM_RSRC2:USER_SGPR: 15
; COMPUTE_PGM_RSRC2:TRAP_HANDLER: 0
; COMPUTE_PGM_RSRC2:TGID_X_EN: 1
; COMPUTE_PGM_RSRC2:TGID_Y_EN: 0
; COMPUTE_PGM_RSRC2:TGID_Z_EN: 0
; COMPUTE_PGM_RSRC2:TIDIG_COMP_CNT: 0
	.section	.text._ZN7rocprim17ROCPRIM_400000_NS6detail17trampoline_kernelINS0_14default_configENS1_25partition_config_selectorILNS1_17partition_subalgoE6EjNS0_10empty_typeEbEEZZNS1_14partition_implILS5_6ELb0ES3_mN6thrust23THRUST_200600_302600_NS6detail15normal_iteratorINSA_10device_ptrIjEEEEPS6_SG_NS0_5tupleIJSF_S6_EEENSH_IJSG_SG_EEES6_PlJ7is_evenIjEEEE10hipError_tPvRmT3_T4_T5_T6_T7_T9_mT8_P12ihipStream_tbDpT10_ENKUlT_T0_E_clISt17integral_constantIbLb0EES15_IbLb1EEEEDaS11_S12_EUlS11_E_NS1_11comp_targetILNS1_3genE4ELNS1_11target_archE910ELNS1_3gpuE8ELNS1_3repE0EEENS1_30default_config_static_selectorELNS0_4arch9wavefront6targetE0EEEvT1_,"axG",@progbits,_ZN7rocprim17ROCPRIM_400000_NS6detail17trampoline_kernelINS0_14default_configENS1_25partition_config_selectorILNS1_17partition_subalgoE6EjNS0_10empty_typeEbEEZZNS1_14partition_implILS5_6ELb0ES3_mN6thrust23THRUST_200600_302600_NS6detail15normal_iteratorINSA_10device_ptrIjEEEEPS6_SG_NS0_5tupleIJSF_S6_EEENSH_IJSG_SG_EEES6_PlJ7is_evenIjEEEE10hipError_tPvRmT3_T4_T5_T6_T7_T9_mT8_P12ihipStream_tbDpT10_ENKUlT_T0_E_clISt17integral_constantIbLb0EES15_IbLb1EEEEDaS11_S12_EUlS11_E_NS1_11comp_targetILNS1_3genE4ELNS1_11target_archE910ELNS1_3gpuE8ELNS1_3repE0EEENS1_30default_config_static_selectorELNS0_4arch9wavefront6targetE0EEEvT1_,comdat
	.protected	_ZN7rocprim17ROCPRIM_400000_NS6detail17trampoline_kernelINS0_14default_configENS1_25partition_config_selectorILNS1_17partition_subalgoE6EjNS0_10empty_typeEbEEZZNS1_14partition_implILS5_6ELb0ES3_mN6thrust23THRUST_200600_302600_NS6detail15normal_iteratorINSA_10device_ptrIjEEEEPS6_SG_NS0_5tupleIJSF_S6_EEENSH_IJSG_SG_EEES6_PlJ7is_evenIjEEEE10hipError_tPvRmT3_T4_T5_T6_T7_T9_mT8_P12ihipStream_tbDpT10_ENKUlT_T0_E_clISt17integral_constantIbLb0EES15_IbLb1EEEEDaS11_S12_EUlS11_E_NS1_11comp_targetILNS1_3genE4ELNS1_11target_archE910ELNS1_3gpuE8ELNS1_3repE0EEENS1_30default_config_static_selectorELNS0_4arch9wavefront6targetE0EEEvT1_ ; -- Begin function _ZN7rocprim17ROCPRIM_400000_NS6detail17trampoline_kernelINS0_14default_configENS1_25partition_config_selectorILNS1_17partition_subalgoE6EjNS0_10empty_typeEbEEZZNS1_14partition_implILS5_6ELb0ES3_mN6thrust23THRUST_200600_302600_NS6detail15normal_iteratorINSA_10device_ptrIjEEEEPS6_SG_NS0_5tupleIJSF_S6_EEENSH_IJSG_SG_EEES6_PlJ7is_evenIjEEEE10hipError_tPvRmT3_T4_T5_T6_T7_T9_mT8_P12ihipStream_tbDpT10_ENKUlT_T0_E_clISt17integral_constantIbLb0EES15_IbLb1EEEEDaS11_S12_EUlS11_E_NS1_11comp_targetILNS1_3genE4ELNS1_11target_archE910ELNS1_3gpuE8ELNS1_3repE0EEENS1_30default_config_static_selectorELNS0_4arch9wavefront6targetE0EEEvT1_
	.globl	_ZN7rocprim17ROCPRIM_400000_NS6detail17trampoline_kernelINS0_14default_configENS1_25partition_config_selectorILNS1_17partition_subalgoE6EjNS0_10empty_typeEbEEZZNS1_14partition_implILS5_6ELb0ES3_mN6thrust23THRUST_200600_302600_NS6detail15normal_iteratorINSA_10device_ptrIjEEEEPS6_SG_NS0_5tupleIJSF_S6_EEENSH_IJSG_SG_EEES6_PlJ7is_evenIjEEEE10hipError_tPvRmT3_T4_T5_T6_T7_T9_mT8_P12ihipStream_tbDpT10_ENKUlT_T0_E_clISt17integral_constantIbLb0EES15_IbLb1EEEEDaS11_S12_EUlS11_E_NS1_11comp_targetILNS1_3genE4ELNS1_11target_archE910ELNS1_3gpuE8ELNS1_3repE0EEENS1_30default_config_static_selectorELNS0_4arch9wavefront6targetE0EEEvT1_
	.p2align	8
	.type	_ZN7rocprim17ROCPRIM_400000_NS6detail17trampoline_kernelINS0_14default_configENS1_25partition_config_selectorILNS1_17partition_subalgoE6EjNS0_10empty_typeEbEEZZNS1_14partition_implILS5_6ELb0ES3_mN6thrust23THRUST_200600_302600_NS6detail15normal_iteratorINSA_10device_ptrIjEEEEPS6_SG_NS0_5tupleIJSF_S6_EEENSH_IJSG_SG_EEES6_PlJ7is_evenIjEEEE10hipError_tPvRmT3_T4_T5_T6_T7_T9_mT8_P12ihipStream_tbDpT10_ENKUlT_T0_E_clISt17integral_constantIbLb0EES15_IbLb1EEEEDaS11_S12_EUlS11_E_NS1_11comp_targetILNS1_3genE4ELNS1_11target_archE910ELNS1_3gpuE8ELNS1_3repE0EEENS1_30default_config_static_selectorELNS0_4arch9wavefront6targetE0EEEvT1_,@function
_ZN7rocprim17ROCPRIM_400000_NS6detail17trampoline_kernelINS0_14default_configENS1_25partition_config_selectorILNS1_17partition_subalgoE6EjNS0_10empty_typeEbEEZZNS1_14partition_implILS5_6ELb0ES3_mN6thrust23THRUST_200600_302600_NS6detail15normal_iteratorINSA_10device_ptrIjEEEEPS6_SG_NS0_5tupleIJSF_S6_EEENSH_IJSG_SG_EEES6_PlJ7is_evenIjEEEE10hipError_tPvRmT3_T4_T5_T6_T7_T9_mT8_P12ihipStream_tbDpT10_ENKUlT_T0_E_clISt17integral_constantIbLb0EES15_IbLb1EEEEDaS11_S12_EUlS11_E_NS1_11comp_targetILNS1_3genE4ELNS1_11target_archE910ELNS1_3gpuE8ELNS1_3repE0EEENS1_30default_config_static_selectorELNS0_4arch9wavefront6targetE0EEEvT1_: ; @_ZN7rocprim17ROCPRIM_400000_NS6detail17trampoline_kernelINS0_14default_configENS1_25partition_config_selectorILNS1_17partition_subalgoE6EjNS0_10empty_typeEbEEZZNS1_14partition_implILS5_6ELb0ES3_mN6thrust23THRUST_200600_302600_NS6detail15normal_iteratorINSA_10device_ptrIjEEEEPS6_SG_NS0_5tupleIJSF_S6_EEENSH_IJSG_SG_EEES6_PlJ7is_evenIjEEEE10hipError_tPvRmT3_T4_T5_T6_T7_T9_mT8_P12ihipStream_tbDpT10_ENKUlT_T0_E_clISt17integral_constantIbLb0EES15_IbLb1EEEEDaS11_S12_EUlS11_E_NS1_11comp_targetILNS1_3genE4ELNS1_11target_archE910ELNS1_3gpuE8ELNS1_3repE0EEENS1_30default_config_static_selectorELNS0_4arch9wavefront6targetE0EEEvT1_
; %bb.0:
	.section	.rodata,"a",@progbits
	.p2align	6, 0x0
	.amdhsa_kernel _ZN7rocprim17ROCPRIM_400000_NS6detail17trampoline_kernelINS0_14default_configENS1_25partition_config_selectorILNS1_17partition_subalgoE6EjNS0_10empty_typeEbEEZZNS1_14partition_implILS5_6ELb0ES3_mN6thrust23THRUST_200600_302600_NS6detail15normal_iteratorINSA_10device_ptrIjEEEEPS6_SG_NS0_5tupleIJSF_S6_EEENSH_IJSG_SG_EEES6_PlJ7is_evenIjEEEE10hipError_tPvRmT3_T4_T5_T6_T7_T9_mT8_P12ihipStream_tbDpT10_ENKUlT_T0_E_clISt17integral_constantIbLb0EES15_IbLb1EEEEDaS11_S12_EUlS11_E_NS1_11comp_targetILNS1_3genE4ELNS1_11target_archE910ELNS1_3gpuE8ELNS1_3repE0EEENS1_30default_config_static_selectorELNS0_4arch9wavefront6targetE0EEEvT1_
		.amdhsa_group_segment_fixed_size 0
		.amdhsa_private_segment_fixed_size 0
		.amdhsa_kernarg_size 128
		.amdhsa_user_sgpr_count 15
		.amdhsa_user_sgpr_dispatch_ptr 0
		.amdhsa_user_sgpr_queue_ptr 0
		.amdhsa_user_sgpr_kernarg_segment_ptr 1
		.amdhsa_user_sgpr_dispatch_id 0
		.amdhsa_user_sgpr_private_segment_size 0
		.amdhsa_wavefront_size32 1
		.amdhsa_uses_dynamic_stack 0
		.amdhsa_enable_private_segment 0
		.amdhsa_system_sgpr_workgroup_id_x 1
		.amdhsa_system_sgpr_workgroup_id_y 0
		.amdhsa_system_sgpr_workgroup_id_z 0
		.amdhsa_system_sgpr_workgroup_info 0
		.amdhsa_system_vgpr_workitem_id 0
		.amdhsa_next_free_vgpr 1
		.amdhsa_next_free_sgpr 1
		.amdhsa_reserve_vcc 0
		.amdhsa_float_round_mode_32 0
		.amdhsa_float_round_mode_16_64 0
		.amdhsa_float_denorm_mode_32 3
		.amdhsa_float_denorm_mode_16_64 3
		.amdhsa_dx10_clamp 1
		.amdhsa_ieee_mode 1
		.amdhsa_fp16_overflow 0
		.amdhsa_workgroup_processor_mode 1
		.amdhsa_memory_ordered 1
		.amdhsa_forward_progress 0
		.amdhsa_shared_vgpr_count 0
		.amdhsa_exception_fp_ieee_invalid_op 0
		.amdhsa_exception_fp_denorm_src 0
		.amdhsa_exception_fp_ieee_div_zero 0
		.amdhsa_exception_fp_ieee_overflow 0
		.amdhsa_exception_fp_ieee_underflow 0
		.amdhsa_exception_fp_ieee_inexact 0
		.amdhsa_exception_int_div_zero 0
	.end_amdhsa_kernel
	.section	.text._ZN7rocprim17ROCPRIM_400000_NS6detail17trampoline_kernelINS0_14default_configENS1_25partition_config_selectorILNS1_17partition_subalgoE6EjNS0_10empty_typeEbEEZZNS1_14partition_implILS5_6ELb0ES3_mN6thrust23THRUST_200600_302600_NS6detail15normal_iteratorINSA_10device_ptrIjEEEEPS6_SG_NS0_5tupleIJSF_S6_EEENSH_IJSG_SG_EEES6_PlJ7is_evenIjEEEE10hipError_tPvRmT3_T4_T5_T6_T7_T9_mT8_P12ihipStream_tbDpT10_ENKUlT_T0_E_clISt17integral_constantIbLb0EES15_IbLb1EEEEDaS11_S12_EUlS11_E_NS1_11comp_targetILNS1_3genE4ELNS1_11target_archE910ELNS1_3gpuE8ELNS1_3repE0EEENS1_30default_config_static_selectorELNS0_4arch9wavefront6targetE0EEEvT1_,"axG",@progbits,_ZN7rocprim17ROCPRIM_400000_NS6detail17trampoline_kernelINS0_14default_configENS1_25partition_config_selectorILNS1_17partition_subalgoE6EjNS0_10empty_typeEbEEZZNS1_14partition_implILS5_6ELb0ES3_mN6thrust23THRUST_200600_302600_NS6detail15normal_iteratorINSA_10device_ptrIjEEEEPS6_SG_NS0_5tupleIJSF_S6_EEENSH_IJSG_SG_EEES6_PlJ7is_evenIjEEEE10hipError_tPvRmT3_T4_T5_T6_T7_T9_mT8_P12ihipStream_tbDpT10_ENKUlT_T0_E_clISt17integral_constantIbLb0EES15_IbLb1EEEEDaS11_S12_EUlS11_E_NS1_11comp_targetILNS1_3genE4ELNS1_11target_archE910ELNS1_3gpuE8ELNS1_3repE0EEENS1_30default_config_static_selectorELNS0_4arch9wavefront6targetE0EEEvT1_,comdat
.Lfunc_end322:
	.size	_ZN7rocprim17ROCPRIM_400000_NS6detail17trampoline_kernelINS0_14default_configENS1_25partition_config_selectorILNS1_17partition_subalgoE6EjNS0_10empty_typeEbEEZZNS1_14partition_implILS5_6ELb0ES3_mN6thrust23THRUST_200600_302600_NS6detail15normal_iteratorINSA_10device_ptrIjEEEEPS6_SG_NS0_5tupleIJSF_S6_EEENSH_IJSG_SG_EEES6_PlJ7is_evenIjEEEE10hipError_tPvRmT3_T4_T5_T6_T7_T9_mT8_P12ihipStream_tbDpT10_ENKUlT_T0_E_clISt17integral_constantIbLb0EES15_IbLb1EEEEDaS11_S12_EUlS11_E_NS1_11comp_targetILNS1_3genE4ELNS1_11target_archE910ELNS1_3gpuE8ELNS1_3repE0EEENS1_30default_config_static_selectorELNS0_4arch9wavefront6targetE0EEEvT1_, .Lfunc_end322-_ZN7rocprim17ROCPRIM_400000_NS6detail17trampoline_kernelINS0_14default_configENS1_25partition_config_selectorILNS1_17partition_subalgoE6EjNS0_10empty_typeEbEEZZNS1_14partition_implILS5_6ELb0ES3_mN6thrust23THRUST_200600_302600_NS6detail15normal_iteratorINSA_10device_ptrIjEEEEPS6_SG_NS0_5tupleIJSF_S6_EEENSH_IJSG_SG_EEES6_PlJ7is_evenIjEEEE10hipError_tPvRmT3_T4_T5_T6_T7_T9_mT8_P12ihipStream_tbDpT10_ENKUlT_T0_E_clISt17integral_constantIbLb0EES15_IbLb1EEEEDaS11_S12_EUlS11_E_NS1_11comp_targetILNS1_3genE4ELNS1_11target_archE910ELNS1_3gpuE8ELNS1_3repE0EEENS1_30default_config_static_selectorELNS0_4arch9wavefront6targetE0EEEvT1_
                                        ; -- End function
	.section	.AMDGPU.csdata,"",@progbits
; Kernel info:
; codeLenInByte = 0
; NumSgprs: 0
; NumVgprs: 0
; ScratchSize: 0
; MemoryBound: 0
; FloatMode: 240
; IeeeMode: 1
; LDSByteSize: 0 bytes/workgroup (compile time only)
; SGPRBlocks: 0
; VGPRBlocks: 0
; NumSGPRsForWavesPerEU: 1
; NumVGPRsForWavesPerEU: 1
; Occupancy: 16
; WaveLimiterHint : 0
; COMPUTE_PGM_RSRC2:SCRATCH_EN: 0
; COMPUTE_PGM_RSRC2:USER_SGPR: 15
; COMPUTE_PGM_RSRC2:TRAP_HANDLER: 0
; COMPUTE_PGM_RSRC2:TGID_X_EN: 1
; COMPUTE_PGM_RSRC2:TGID_Y_EN: 0
; COMPUTE_PGM_RSRC2:TGID_Z_EN: 0
; COMPUTE_PGM_RSRC2:TIDIG_COMP_CNT: 0
	.section	.text._ZN7rocprim17ROCPRIM_400000_NS6detail17trampoline_kernelINS0_14default_configENS1_25partition_config_selectorILNS1_17partition_subalgoE6EjNS0_10empty_typeEbEEZZNS1_14partition_implILS5_6ELb0ES3_mN6thrust23THRUST_200600_302600_NS6detail15normal_iteratorINSA_10device_ptrIjEEEEPS6_SG_NS0_5tupleIJSF_S6_EEENSH_IJSG_SG_EEES6_PlJ7is_evenIjEEEE10hipError_tPvRmT3_T4_T5_T6_T7_T9_mT8_P12ihipStream_tbDpT10_ENKUlT_T0_E_clISt17integral_constantIbLb0EES15_IbLb1EEEEDaS11_S12_EUlS11_E_NS1_11comp_targetILNS1_3genE3ELNS1_11target_archE908ELNS1_3gpuE7ELNS1_3repE0EEENS1_30default_config_static_selectorELNS0_4arch9wavefront6targetE0EEEvT1_,"axG",@progbits,_ZN7rocprim17ROCPRIM_400000_NS6detail17trampoline_kernelINS0_14default_configENS1_25partition_config_selectorILNS1_17partition_subalgoE6EjNS0_10empty_typeEbEEZZNS1_14partition_implILS5_6ELb0ES3_mN6thrust23THRUST_200600_302600_NS6detail15normal_iteratorINSA_10device_ptrIjEEEEPS6_SG_NS0_5tupleIJSF_S6_EEENSH_IJSG_SG_EEES6_PlJ7is_evenIjEEEE10hipError_tPvRmT3_T4_T5_T6_T7_T9_mT8_P12ihipStream_tbDpT10_ENKUlT_T0_E_clISt17integral_constantIbLb0EES15_IbLb1EEEEDaS11_S12_EUlS11_E_NS1_11comp_targetILNS1_3genE3ELNS1_11target_archE908ELNS1_3gpuE7ELNS1_3repE0EEENS1_30default_config_static_selectorELNS0_4arch9wavefront6targetE0EEEvT1_,comdat
	.protected	_ZN7rocprim17ROCPRIM_400000_NS6detail17trampoline_kernelINS0_14default_configENS1_25partition_config_selectorILNS1_17partition_subalgoE6EjNS0_10empty_typeEbEEZZNS1_14partition_implILS5_6ELb0ES3_mN6thrust23THRUST_200600_302600_NS6detail15normal_iteratorINSA_10device_ptrIjEEEEPS6_SG_NS0_5tupleIJSF_S6_EEENSH_IJSG_SG_EEES6_PlJ7is_evenIjEEEE10hipError_tPvRmT3_T4_T5_T6_T7_T9_mT8_P12ihipStream_tbDpT10_ENKUlT_T0_E_clISt17integral_constantIbLb0EES15_IbLb1EEEEDaS11_S12_EUlS11_E_NS1_11comp_targetILNS1_3genE3ELNS1_11target_archE908ELNS1_3gpuE7ELNS1_3repE0EEENS1_30default_config_static_selectorELNS0_4arch9wavefront6targetE0EEEvT1_ ; -- Begin function _ZN7rocprim17ROCPRIM_400000_NS6detail17trampoline_kernelINS0_14default_configENS1_25partition_config_selectorILNS1_17partition_subalgoE6EjNS0_10empty_typeEbEEZZNS1_14partition_implILS5_6ELb0ES3_mN6thrust23THRUST_200600_302600_NS6detail15normal_iteratorINSA_10device_ptrIjEEEEPS6_SG_NS0_5tupleIJSF_S6_EEENSH_IJSG_SG_EEES6_PlJ7is_evenIjEEEE10hipError_tPvRmT3_T4_T5_T6_T7_T9_mT8_P12ihipStream_tbDpT10_ENKUlT_T0_E_clISt17integral_constantIbLb0EES15_IbLb1EEEEDaS11_S12_EUlS11_E_NS1_11comp_targetILNS1_3genE3ELNS1_11target_archE908ELNS1_3gpuE7ELNS1_3repE0EEENS1_30default_config_static_selectorELNS0_4arch9wavefront6targetE0EEEvT1_
	.globl	_ZN7rocprim17ROCPRIM_400000_NS6detail17trampoline_kernelINS0_14default_configENS1_25partition_config_selectorILNS1_17partition_subalgoE6EjNS0_10empty_typeEbEEZZNS1_14partition_implILS5_6ELb0ES3_mN6thrust23THRUST_200600_302600_NS6detail15normal_iteratorINSA_10device_ptrIjEEEEPS6_SG_NS0_5tupleIJSF_S6_EEENSH_IJSG_SG_EEES6_PlJ7is_evenIjEEEE10hipError_tPvRmT3_T4_T5_T6_T7_T9_mT8_P12ihipStream_tbDpT10_ENKUlT_T0_E_clISt17integral_constantIbLb0EES15_IbLb1EEEEDaS11_S12_EUlS11_E_NS1_11comp_targetILNS1_3genE3ELNS1_11target_archE908ELNS1_3gpuE7ELNS1_3repE0EEENS1_30default_config_static_selectorELNS0_4arch9wavefront6targetE0EEEvT1_
	.p2align	8
	.type	_ZN7rocprim17ROCPRIM_400000_NS6detail17trampoline_kernelINS0_14default_configENS1_25partition_config_selectorILNS1_17partition_subalgoE6EjNS0_10empty_typeEbEEZZNS1_14partition_implILS5_6ELb0ES3_mN6thrust23THRUST_200600_302600_NS6detail15normal_iteratorINSA_10device_ptrIjEEEEPS6_SG_NS0_5tupleIJSF_S6_EEENSH_IJSG_SG_EEES6_PlJ7is_evenIjEEEE10hipError_tPvRmT3_T4_T5_T6_T7_T9_mT8_P12ihipStream_tbDpT10_ENKUlT_T0_E_clISt17integral_constantIbLb0EES15_IbLb1EEEEDaS11_S12_EUlS11_E_NS1_11comp_targetILNS1_3genE3ELNS1_11target_archE908ELNS1_3gpuE7ELNS1_3repE0EEENS1_30default_config_static_selectorELNS0_4arch9wavefront6targetE0EEEvT1_,@function
_ZN7rocprim17ROCPRIM_400000_NS6detail17trampoline_kernelINS0_14default_configENS1_25partition_config_selectorILNS1_17partition_subalgoE6EjNS0_10empty_typeEbEEZZNS1_14partition_implILS5_6ELb0ES3_mN6thrust23THRUST_200600_302600_NS6detail15normal_iteratorINSA_10device_ptrIjEEEEPS6_SG_NS0_5tupleIJSF_S6_EEENSH_IJSG_SG_EEES6_PlJ7is_evenIjEEEE10hipError_tPvRmT3_T4_T5_T6_T7_T9_mT8_P12ihipStream_tbDpT10_ENKUlT_T0_E_clISt17integral_constantIbLb0EES15_IbLb1EEEEDaS11_S12_EUlS11_E_NS1_11comp_targetILNS1_3genE3ELNS1_11target_archE908ELNS1_3gpuE7ELNS1_3repE0EEENS1_30default_config_static_selectorELNS0_4arch9wavefront6targetE0EEEvT1_: ; @_ZN7rocprim17ROCPRIM_400000_NS6detail17trampoline_kernelINS0_14default_configENS1_25partition_config_selectorILNS1_17partition_subalgoE6EjNS0_10empty_typeEbEEZZNS1_14partition_implILS5_6ELb0ES3_mN6thrust23THRUST_200600_302600_NS6detail15normal_iteratorINSA_10device_ptrIjEEEEPS6_SG_NS0_5tupleIJSF_S6_EEENSH_IJSG_SG_EEES6_PlJ7is_evenIjEEEE10hipError_tPvRmT3_T4_T5_T6_T7_T9_mT8_P12ihipStream_tbDpT10_ENKUlT_T0_E_clISt17integral_constantIbLb0EES15_IbLb1EEEEDaS11_S12_EUlS11_E_NS1_11comp_targetILNS1_3genE3ELNS1_11target_archE908ELNS1_3gpuE7ELNS1_3repE0EEENS1_30default_config_static_selectorELNS0_4arch9wavefront6targetE0EEEvT1_
; %bb.0:
	.section	.rodata,"a",@progbits
	.p2align	6, 0x0
	.amdhsa_kernel _ZN7rocprim17ROCPRIM_400000_NS6detail17trampoline_kernelINS0_14default_configENS1_25partition_config_selectorILNS1_17partition_subalgoE6EjNS0_10empty_typeEbEEZZNS1_14partition_implILS5_6ELb0ES3_mN6thrust23THRUST_200600_302600_NS6detail15normal_iteratorINSA_10device_ptrIjEEEEPS6_SG_NS0_5tupleIJSF_S6_EEENSH_IJSG_SG_EEES6_PlJ7is_evenIjEEEE10hipError_tPvRmT3_T4_T5_T6_T7_T9_mT8_P12ihipStream_tbDpT10_ENKUlT_T0_E_clISt17integral_constantIbLb0EES15_IbLb1EEEEDaS11_S12_EUlS11_E_NS1_11comp_targetILNS1_3genE3ELNS1_11target_archE908ELNS1_3gpuE7ELNS1_3repE0EEENS1_30default_config_static_selectorELNS0_4arch9wavefront6targetE0EEEvT1_
		.amdhsa_group_segment_fixed_size 0
		.amdhsa_private_segment_fixed_size 0
		.amdhsa_kernarg_size 128
		.amdhsa_user_sgpr_count 15
		.amdhsa_user_sgpr_dispatch_ptr 0
		.amdhsa_user_sgpr_queue_ptr 0
		.amdhsa_user_sgpr_kernarg_segment_ptr 1
		.amdhsa_user_sgpr_dispatch_id 0
		.amdhsa_user_sgpr_private_segment_size 0
		.amdhsa_wavefront_size32 1
		.amdhsa_uses_dynamic_stack 0
		.amdhsa_enable_private_segment 0
		.amdhsa_system_sgpr_workgroup_id_x 1
		.amdhsa_system_sgpr_workgroup_id_y 0
		.amdhsa_system_sgpr_workgroup_id_z 0
		.amdhsa_system_sgpr_workgroup_info 0
		.amdhsa_system_vgpr_workitem_id 0
		.amdhsa_next_free_vgpr 1
		.amdhsa_next_free_sgpr 1
		.amdhsa_reserve_vcc 0
		.amdhsa_float_round_mode_32 0
		.amdhsa_float_round_mode_16_64 0
		.amdhsa_float_denorm_mode_32 3
		.amdhsa_float_denorm_mode_16_64 3
		.amdhsa_dx10_clamp 1
		.amdhsa_ieee_mode 1
		.amdhsa_fp16_overflow 0
		.amdhsa_workgroup_processor_mode 1
		.amdhsa_memory_ordered 1
		.amdhsa_forward_progress 0
		.amdhsa_shared_vgpr_count 0
		.amdhsa_exception_fp_ieee_invalid_op 0
		.amdhsa_exception_fp_denorm_src 0
		.amdhsa_exception_fp_ieee_div_zero 0
		.amdhsa_exception_fp_ieee_overflow 0
		.amdhsa_exception_fp_ieee_underflow 0
		.amdhsa_exception_fp_ieee_inexact 0
		.amdhsa_exception_int_div_zero 0
	.end_amdhsa_kernel
	.section	.text._ZN7rocprim17ROCPRIM_400000_NS6detail17trampoline_kernelINS0_14default_configENS1_25partition_config_selectorILNS1_17partition_subalgoE6EjNS0_10empty_typeEbEEZZNS1_14partition_implILS5_6ELb0ES3_mN6thrust23THRUST_200600_302600_NS6detail15normal_iteratorINSA_10device_ptrIjEEEEPS6_SG_NS0_5tupleIJSF_S6_EEENSH_IJSG_SG_EEES6_PlJ7is_evenIjEEEE10hipError_tPvRmT3_T4_T5_T6_T7_T9_mT8_P12ihipStream_tbDpT10_ENKUlT_T0_E_clISt17integral_constantIbLb0EES15_IbLb1EEEEDaS11_S12_EUlS11_E_NS1_11comp_targetILNS1_3genE3ELNS1_11target_archE908ELNS1_3gpuE7ELNS1_3repE0EEENS1_30default_config_static_selectorELNS0_4arch9wavefront6targetE0EEEvT1_,"axG",@progbits,_ZN7rocprim17ROCPRIM_400000_NS6detail17trampoline_kernelINS0_14default_configENS1_25partition_config_selectorILNS1_17partition_subalgoE6EjNS0_10empty_typeEbEEZZNS1_14partition_implILS5_6ELb0ES3_mN6thrust23THRUST_200600_302600_NS6detail15normal_iteratorINSA_10device_ptrIjEEEEPS6_SG_NS0_5tupleIJSF_S6_EEENSH_IJSG_SG_EEES6_PlJ7is_evenIjEEEE10hipError_tPvRmT3_T4_T5_T6_T7_T9_mT8_P12ihipStream_tbDpT10_ENKUlT_T0_E_clISt17integral_constantIbLb0EES15_IbLb1EEEEDaS11_S12_EUlS11_E_NS1_11comp_targetILNS1_3genE3ELNS1_11target_archE908ELNS1_3gpuE7ELNS1_3repE0EEENS1_30default_config_static_selectorELNS0_4arch9wavefront6targetE0EEEvT1_,comdat
.Lfunc_end323:
	.size	_ZN7rocprim17ROCPRIM_400000_NS6detail17trampoline_kernelINS0_14default_configENS1_25partition_config_selectorILNS1_17partition_subalgoE6EjNS0_10empty_typeEbEEZZNS1_14partition_implILS5_6ELb0ES3_mN6thrust23THRUST_200600_302600_NS6detail15normal_iteratorINSA_10device_ptrIjEEEEPS6_SG_NS0_5tupleIJSF_S6_EEENSH_IJSG_SG_EEES6_PlJ7is_evenIjEEEE10hipError_tPvRmT3_T4_T5_T6_T7_T9_mT8_P12ihipStream_tbDpT10_ENKUlT_T0_E_clISt17integral_constantIbLb0EES15_IbLb1EEEEDaS11_S12_EUlS11_E_NS1_11comp_targetILNS1_3genE3ELNS1_11target_archE908ELNS1_3gpuE7ELNS1_3repE0EEENS1_30default_config_static_selectorELNS0_4arch9wavefront6targetE0EEEvT1_, .Lfunc_end323-_ZN7rocprim17ROCPRIM_400000_NS6detail17trampoline_kernelINS0_14default_configENS1_25partition_config_selectorILNS1_17partition_subalgoE6EjNS0_10empty_typeEbEEZZNS1_14partition_implILS5_6ELb0ES3_mN6thrust23THRUST_200600_302600_NS6detail15normal_iteratorINSA_10device_ptrIjEEEEPS6_SG_NS0_5tupleIJSF_S6_EEENSH_IJSG_SG_EEES6_PlJ7is_evenIjEEEE10hipError_tPvRmT3_T4_T5_T6_T7_T9_mT8_P12ihipStream_tbDpT10_ENKUlT_T0_E_clISt17integral_constantIbLb0EES15_IbLb1EEEEDaS11_S12_EUlS11_E_NS1_11comp_targetILNS1_3genE3ELNS1_11target_archE908ELNS1_3gpuE7ELNS1_3repE0EEENS1_30default_config_static_selectorELNS0_4arch9wavefront6targetE0EEEvT1_
                                        ; -- End function
	.section	.AMDGPU.csdata,"",@progbits
; Kernel info:
; codeLenInByte = 0
; NumSgprs: 0
; NumVgprs: 0
; ScratchSize: 0
; MemoryBound: 0
; FloatMode: 240
; IeeeMode: 1
; LDSByteSize: 0 bytes/workgroup (compile time only)
; SGPRBlocks: 0
; VGPRBlocks: 0
; NumSGPRsForWavesPerEU: 1
; NumVGPRsForWavesPerEU: 1
; Occupancy: 16
; WaveLimiterHint : 0
; COMPUTE_PGM_RSRC2:SCRATCH_EN: 0
; COMPUTE_PGM_RSRC2:USER_SGPR: 15
; COMPUTE_PGM_RSRC2:TRAP_HANDLER: 0
; COMPUTE_PGM_RSRC2:TGID_X_EN: 1
; COMPUTE_PGM_RSRC2:TGID_Y_EN: 0
; COMPUTE_PGM_RSRC2:TGID_Z_EN: 0
; COMPUTE_PGM_RSRC2:TIDIG_COMP_CNT: 0
	.section	.text._ZN7rocprim17ROCPRIM_400000_NS6detail17trampoline_kernelINS0_14default_configENS1_25partition_config_selectorILNS1_17partition_subalgoE6EjNS0_10empty_typeEbEEZZNS1_14partition_implILS5_6ELb0ES3_mN6thrust23THRUST_200600_302600_NS6detail15normal_iteratorINSA_10device_ptrIjEEEEPS6_SG_NS0_5tupleIJSF_S6_EEENSH_IJSG_SG_EEES6_PlJ7is_evenIjEEEE10hipError_tPvRmT3_T4_T5_T6_T7_T9_mT8_P12ihipStream_tbDpT10_ENKUlT_T0_E_clISt17integral_constantIbLb0EES15_IbLb1EEEEDaS11_S12_EUlS11_E_NS1_11comp_targetILNS1_3genE2ELNS1_11target_archE906ELNS1_3gpuE6ELNS1_3repE0EEENS1_30default_config_static_selectorELNS0_4arch9wavefront6targetE0EEEvT1_,"axG",@progbits,_ZN7rocprim17ROCPRIM_400000_NS6detail17trampoline_kernelINS0_14default_configENS1_25partition_config_selectorILNS1_17partition_subalgoE6EjNS0_10empty_typeEbEEZZNS1_14partition_implILS5_6ELb0ES3_mN6thrust23THRUST_200600_302600_NS6detail15normal_iteratorINSA_10device_ptrIjEEEEPS6_SG_NS0_5tupleIJSF_S6_EEENSH_IJSG_SG_EEES6_PlJ7is_evenIjEEEE10hipError_tPvRmT3_T4_T5_T6_T7_T9_mT8_P12ihipStream_tbDpT10_ENKUlT_T0_E_clISt17integral_constantIbLb0EES15_IbLb1EEEEDaS11_S12_EUlS11_E_NS1_11comp_targetILNS1_3genE2ELNS1_11target_archE906ELNS1_3gpuE6ELNS1_3repE0EEENS1_30default_config_static_selectorELNS0_4arch9wavefront6targetE0EEEvT1_,comdat
	.protected	_ZN7rocprim17ROCPRIM_400000_NS6detail17trampoline_kernelINS0_14default_configENS1_25partition_config_selectorILNS1_17partition_subalgoE6EjNS0_10empty_typeEbEEZZNS1_14partition_implILS5_6ELb0ES3_mN6thrust23THRUST_200600_302600_NS6detail15normal_iteratorINSA_10device_ptrIjEEEEPS6_SG_NS0_5tupleIJSF_S6_EEENSH_IJSG_SG_EEES6_PlJ7is_evenIjEEEE10hipError_tPvRmT3_T4_T5_T6_T7_T9_mT8_P12ihipStream_tbDpT10_ENKUlT_T0_E_clISt17integral_constantIbLb0EES15_IbLb1EEEEDaS11_S12_EUlS11_E_NS1_11comp_targetILNS1_3genE2ELNS1_11target_archE906ELNS1_3gpuE6ELNS1_3repE0EEENS1_30default_config_static_selectorELNS0_4arch9wavefront6targetE0EEEvT1_ ; -- Begin function _ZN7rocprim17ROCPRIM_400000_NS6detail17trampoline_kernelINS0_14default_configENS1_25partition_config_selectorILNS1_17partition_subalgoE6EjNS0_10empty_typeEbEEZZNS1_14partition_implILS5_6ELb0ES3_mN6thrust23THRUST_200600_302600_NS6detail15normal_iteratorINSA_10device_ptrIjEEEEPS6_SG_NS0_5tupleIJSF_S6_EEENSH_IJSG_SG_EEES6_PlJ7is_evenIjEEEE10hipError_tPvRmT3_T4_T5_T6_T7_T9_mT8_P12ihipStream_tbDpT10_ENKUlT_T0_E_clISt17integral_constantIbLb0EES15_IbLb1EEEEDaS11_S12_EUlS11_E_NS1_11comp_targetILNS1_3genE2ELNS1_11target_archE906ELNS1_3gpuE6ELNS1_3repE0EEENS1_30default_config_static_selectorELNS0_4arch9wavefront6targetE0EEEvT1_
	.globl	_ZN7rocprim17ROCPRIM_400000_NS6detail17trampoline_kernelINS0_14default_configENS1_25partition_config_selectorILNS1_17partition_subalgoE6EjNS0_10empty_typeEbEEZZNS1_14partition_implILS5_6ELb0ES3_mN6thrust23THRUST_200600_302600_NS6detail15normal_iteratorINSA_10device_ptrIjEEEEPS6_SG_NS0_5tupleIJSF_S6_EEENSH_IJSG_SG_EEES6_PlJ7is_evenIjEEEE10hipError_tPvRmT3_T4_T5_T6_T7_T9_mT8_P12ihipStream_tbDpT10_ENKUlT_T0_E_clISt17integral_constantIbLb0EES15_IbLb1EEEEDaS11_S12_EUlS11_E_NS1_11comp_targetILNS1_3genE2ELNS1_11target_archE906ELNS1_3gpuE6ELNS1_3repE0EEENS1_30default_config_static_selectorELNS0_4arch9wavefront6targetE0EEEvT1_
	.p2align	8
	.type	_ZN7rocprim17ROCPRIM_400000_NS6detail17trampoline_kernelINS0_14default_configENS1_25partition_config_selectorILNS1_17partition_subalgoE6EjNS0_10empty_typeEbEEZZNS1_14partition_implILS5_6ELb0ES3_mN6thrust23THRUST_200600_302600_NS6detail15normal_iteratorINSA_10device_ptrIjEEEEPS6_SG_NS0_5tupleIJSF_S6_EEENSH_IJSG_SG_EEES6_PlJ7is_evenIjEEEE10hipError_tPvRmT3_T4_T5_T6_T7_T9_mT8_P12ihipStream_tbDpT10_ENKUlT_T0_E_clISt17integral_constantIbLb0EES15_IbLb1EEEEDaS11_S12_EUlS11_E_NS1_11comp_targetILNS1_3genE2ELNS1_11target_archE906ELNS1_3gpuE6ELNS1_3repE0EEENS1_30default_config_static_selectorELNS0_4arch9wavefront6targetE0EEEvT1_,@function
_ZN7rocprim17ROCPRIM_400000_NS6detail17trampoline_kernelINS0_14default_configENS1_25partition_config_selectorILNS1_17partition_subalgoE6EjNS0_10empty_typeEbEEZZNS1_14partition_implILS5_6ELb0ES3_mN6thrust23THRUST_200600_302600_NS6detail15normal_iteratorINSA_10device_ptrIjEEEEPS6_SG_NS0_5tupleIJSF_S6_EEENSH_IJSG_SG_EEES6_PlJ7is_evenIjEEEE10hipError_tPvRmT3_T4_T5_T6_T7_T9_mT8_P12ihipStream_tbDpT10_ENKUlT_T0_E_clISt17integral_constantIbLb0EES15_IbLb1EEEEDaS11_S12_EUlS11_E_NS1_11comp_targetILNS1_3genE2ELNS1_11target_archE906ELNS1_3gpuE6ELNS1_3repE0EEENS1_30default_config_static_selectorELNS0_4arch9wavefront6targetE0EEEvT1_: ; @_ZN7rocprim17ROCPRIM_400000_NS6detail17trampoline_kernelINS0_14default_configENS1_25partition_config_selectorILNS1_17partition_subalgoE6EjNS0_10empty_typeEbEEZZNS1_14partition_implILS5_6ELb0ES3_mN6thrust23THRUST_200600_302600_NS6detail15normal_iteratorINSA_10device_ptrIjEEEEPS6_SG_NS0_5tupleIJSF_S6_EEENSH_IJSG_SG_EEES6_PlJ7is_evenIjEEEE10hipError_tPvRmT3_T4_T5_T6_T7_T9_mT8_P12ihipStream_tbDpT10_ENKUlT_T0_E_clISt17integral_constantIbLb0EES15_IbLb1EEEEDaS11_S12_EUlS11_E_NS1_11comp_targetILNS1_3genE2ELNS1_11target_archE906ELNS1_3gpuE6ELNS1_3repE0EEENS1_30default_config_static_selectorELNS0_4arch9wavefront6targetE0EEEvT1_
; %bb.0:
	.section	.rodata,"a",@progbits
	.p2align	6, 0x0
	.amdhsa_kernel _ZN7rocprim17ROCPRIM_400000_NS6detail17trampoline_kernelINS0_14default_configENS1_25partition_config_selectorILNS1_17partition_subalgoE6EjNS0_10empty_typeEbEEZZNS1_14partition_implILS5_6ELb0ES3_mN6thrust23THRUST_200600_302600_NS6detail15normal_iteratorINSA_10device_ptrIjEEEEPS6_SG_NS0_5tupleIJSF_S6_EEENSH_IJSG_SG_EEES6_PlJ7is_evenIjEEEE10hipError_tPvRmT3_T4_T5_T6_T7_T9_mT8_P12ihipStream_tbDpT10_ENKUlT_T0_E_clISt17integral_constantIbLb0EES15_IbLb1EEEEDaS11_S12_EUlS11_E_NS1_11comp_targetILNS1_3genE2ELNS1_11target_archE906ELNS1_3gpuE6ELNS1_3repE0EEENS1_30default_config_static_selectorELNS0_4arch9wavefront6targetE0EEEvT1_
		.amdhsa_group_segment_fixed_size 0
		.amdhsa_private_segment_fixed_size 0
		.amdhsa_kernarg_size 128
		.amdhsa_user_sgpr_count 15
		.amdhsa_user_sgpr_dispatch_ptr 0
		.amdhsa_user_sgpr_queue_ptr 0
		.amdhsa_user_sgpr_kernarg_segment_ptr 1
		.amdhsa_user_sgpr_dispatch_id 0
		.amdhsa_user_sgpr_private_segment_size 0
		.amdhsa_wavefront_size32 1
		.amdhsa_uses_dynamic_stack 0
		.amdhsa_enable_private_segment 0
		.amdhsa_system_sgpr_workgroup_id_x 1
		.amdhsa_system_sgpr_workgroup_id_y 0
		.amdhsa_system_sgpr_workgroup_id_z 0
		.amdhsa_system_sgpr_workgroup_info 0
		.amdhsa_system_vgpr_workitem_id 0
		.amdhsa_next_free_vgpr 1
		.amdhsa_next_free_sgpr 1
		.amdhsa_reserve_vcc 0
		.amdhsa_float_round_mode_32 0
		.amdhsa_float_round_mode_16_64 0
		.amdhsa_float_denorm_mode_32 3
		.amdhsa_float_denorm_mode_16_64 3
		.amdhsa_dx10_clamp 1
		.amdhsa_ieee_mode 1
		.amdhsa_fp16_overflow 0
		.amdhsa_workgroup_processor_mode 1
		.amdhsa_memory_ordered 1
		.amdhsa_forward_progress 0
		.amdhsa_shared_vgpr_count 0
		.amdhsa_exception_fp_ieee_invalid_op 0
		.amdhsa_exception_fp_denorm_src 0
		.amdhsa_exception_fp_ieee_div_zero 0
		.amdhsa_exception_fp_ieee_overflow 0
		.amdhsa_exception_fp_ieee_underflow 0
		.amdhsa_exception_fp_ieee_inexact 0
		.amdhsa_exception_int_div_zero 0
	.end_amdhsa_kernel
	.section	.text._ZN7rocprim17ROCPRIM_400000_NS6detail17trampoline_kernelINS0_14default_configENS1_25partition_config_selectorILNS1_17partition_subalgoE6EjNS0_10empty_typeEbEEZZNS1_14partition_implILS5_6ELb0ES3_mN6thrust23THRUST_200600_302600_NS6detail15normal_iteratorINSA_10device_ptrIjEEEEPS6_SG_NS0_5tupleIJSF_S6_EEENSH_IJSG_SG_EEES6_PlJ7is_evenIjEEEE10hipError_tPvRmT3_T4_T5_T6_T7_T9_mT8_P12ihipStream_tbDpT10_ENKUlT_T0_E_clISt17integral_constantIbLb0EES15_IbLb1EEEEDaS11_S12_EUlS11_E_NS1_11comp_targetILNS1_3genE2ELNS1_11target_archE906ELNS1_3gpuE6ELNS1_3repE0EEENS1_30default_config_static_selectorELNS0_4arch9wavefront6targetE0EEEvT1_,"axG",@progbits,_ZN7rocprim17ROCPRIM_400000_NS6detail17trampoline_kernelINS0_14default_configENS1_25partition_config_selectorILNS1_17partition_subalgoE6EjNS0_10empty_typeEbEEZZNS1_14partition_implILS5_6ELb0ES3_mN6thrust23THRUST_200600_302600_NS6detail15normal_iteratorINSA_10device_ptrIjEEEEPS6_SG_NS0_5tupleIJSF_S6_EEENSH_IJSG_SG_EEES6_PlJ7is_evenIjEEEE10hipError_tPvRmT3_T4_T5_T6_T7_T9_mT8_P12ihipStream_tbDpT10_ENKUlT_T0_E_clISt17integral_constantIbLb0EES15_IbLb1EEEEDaS11_S12_EUlS11_E_NS1_11comp_targetILNS1_3genE2ELNS1_11target_archE906ELNS1_3gpuE6ELNS1_3repE0EEENS1_30default_config_static_selectorELNS0_4arch9wavefront6targetE0EEEvT1_,comdat
.Lfunc_end324:
	.size	_ZN7rocprim17ROCPRIM_400000_NS6detail17trampoline_kernelINS0_14default_configENS1_25partition_config_selectorILNS1_17partition_subalgoE6EjNS0_10empty_typeEbEEZZNS1_14partition_implILS5_6ELb0ES3_mN6thrust23THRUST_200600_302600_NS6detail15normal_iteratorINSA_10device_ptrIjEEEEPS6_SG_NS0_5tupleIJSF_S6_EEENSH_IJSG_SG_EEES6_PlJ7is_evenIjEEEE10hipError_tPvRmT3_T4_T5_T6_T7_T9_mT8_P12ihipStream_tbDpT10_ENKUlT_T0_E_clISt17integral_constantIbLb0EES15_IbLb1EEEEDaS11_S12_EUlS11_E_NS1_11comp_targetILNS1_3genE2ELNS1_11target_archE906ELNS1_3gpuE6ELNS1_3repE0EEENS1_30default_config_static_selectorELNS0_4arch9wavefront6targetE0EEEvT1_, .Lfunc_end324-_ZN7rocprim17ROCPRIM_400000_NS6detail17trampoline_kernelINS0_14default_configENS1_25partition_config_selectorILNS1_17partition_subalgoE6EjNS0_10empty_typeEbEEZZNS1_14partition_implILS5_6ELb0ES3_mN6thrust23THRUST_200600_302600_NS6detail15normal_iteratorINSA_10device_ptrIjEEEEPS6_SG_NS0_5tupleIJSF_S6_EEENSH_IJSG_SG_EEES6_PlJ7is_evenIjEEEE10hipError_tPvRmT3_T4_T5_T6_T7_T9_mT8_P12ihipStream_tbDpT10_ENKUlT_T0_E_clISt17integral_constantIbLb0EES15_IbLb1EEEEDaS11_S12_EUlS11_E_NS1_11comp_targetILNS1_3genE2ELNS1_11target_archE906ELNS1_3gpuE6ELNS1_3repE0EEENS1_30default_config_static_selectorELNS0_4arch9wavefront6targetE0EEEvT1_
                                        ; -- End function
	.section	.AMDGPU.csdata,"",@progbits
; Kernel info:
; codeLenInByte = 0
; NumSgprs: 0
; NumVgprs: 0
; ScratchSize: 0
; MemoryBound: 0
; FloatMode: 240
; IeeeMode: 1
; LDSByteSize: 0 bytes/workgroup (compile time only)
; SGPRBlocks: 0
; VGPRBlocks: 0
; NumSGPRsForWavesPerEU: 1
; NumVGPRsForWavesPerEU: 1
; Occupancy: 15
; WaveLimiterHint : 0
; COMPUTE_PGM_RSRC2:SCRATCH_EN: 0
; COMPUTE_PGM_RSRC2:USER_SGPR: 15
; COMPUTE_PGM_RSRC2:TRAP_HANDLER: 0
; COMPUTE_PGM_RSRC2:TGID_X_EN: 1
; COMPUTE_PGM_RSRC2:TGID_Y_EN: 0
; COMPUTE_PGM_RSRC2:TGID_Z_EN: 0
; COMPUTE_PGM_RSRC2:TIDIG_COMP_CNT: 0
	.section	.text._ZN7rocprim17ROCPRIM_400000_NS6detail17trampoline_kernelINS0_14default_configENS1_25partition_config_selectorILNS1_17partition_subalgoE6EjNS0_10empty_typeEbEEZZNS1_14partition_implILS5_6ELb0ES3_mN6thrust23THRUST_200600_302600_NS6detail15normal_iteratorINSA_10device_ptrIjEEEEPS6_SG_NS0_5tupleIJSF_S6_EEENSH_IJSG_SG_EEES6_PlJ7is_evenIjEEEE10hipError_tPvRmT3_T4_T5_T6_T7_T9_mT8_P12ihipStream_tbDpT10_ENKUlT_T0_E_clISt17integral_constantIbLb0EES15_IbLb1EEEEDaS11_S12_EUlS11_E_NS1_11comp_targetILNS1_3genE10ELNS1_11target_archE1200ELNS1_3gpuE4ELNS1_3repE0EEENS1_30default_config_static_selectorELNS0_4arch9wavefront6targetE0EEEvT1_,"axG",@progbits,_ZN7rocprim17ROCPRIM_400000_NS6detail17trampoline_kernelINS0_14default_configENS1_25partition_config_selectorILNS1_17partition_subalgoE6EjNS0_10empty_typeEbEEZZNS1_14partition_implILS5_6ELb0ES3_mN6thrust23THRUST_200600_302600_NS6detail15normal_iteratorINSA_10device_ptrIjEEEEPS6_SG_NS0_5tupleIJSF_S6_EEENSH_IJSG_SG_EEES6_PlJ7is_evenIjEEEE10hipError_tPvRmT3_T4_T5_T6_T7_T9_mT8_P12ihipStream_tbDpT10_ENKUlT_T0_E_clISt17integral_constantIbLb0EES15_IbLb1EEEEDaS11_S12_EUlS11_E_NS1_11comp_targetILNS1_3genE10ELNS1_11target_archE1200ELNS1_3gpuE4ELNS1_3repE0EEENS1_30default_config_static_selectorELNS0_4arch9wavefront6targetE0EEEvT1_,comdat
	.protected	_ZN7rocprim17ROCPRIM_400000_NS6detail17trampoline_kernelINS0_14default_configENS1_25partition_config_selectorILNS1_17partition_subalgoE6EjNS0_10empty_typeEbEEZZNS1_14partition_implILS5_6ELb0ES3_mN6thrust23THRUST_200600_302600_NS6detail15normal_iteratorINSA_10device_ptrIjEEEEPS6_SG_NS0_5tupleIJSF_S6_EEENSH_IJSG_SG_EEES6_PlJ7is_evenIjEEEE10hipError_tPvRmT3_T4_T5_T6_T7_T9_mT8_P12ihipStream_tbDpT10_ENKUlT_T0_E_clISt17integral_constantIbLb0EES15_IbLb1EEEEDaS11_S12_EUlS11_E_NS1_11comp_targetILNS1_3genE10ELNS1_11target_archE1200ELNS1_3gpuE4ELNS1_3repE0EEENS1_30default_config_static_selectorELNS0_4arch9wavefront6targetE0EEEvT1_ ; -- Begin function _ZN7rocprim17ROCPRIM_400000_NS6detail17trampoline_kernelINS0_14default_configENS1_25partition_config_selectorILNS1_17partition_subalgoE6EjNS0_10empty_typeEbEEZZNS1_14partition_implILS5_6ELb0ES3_mN6thrust23THRUST_200600_302600_NS6detail15normal_iteratorINSA_10device_ptrIjEEEEPS6_SG_NS0_5tupleIJSF_S6_EEENSH_IJSG_SG_EEES6_PlJ7is_evenIjEEEE10hipError_tPvRmT3_T4_T5_T6_T7_T9_mT8_P12ihipStream_tbDpT10_ENKUlT_T0_E_clISt17integral_constantIbLb0EES15_IbLb1EEEEDaS11_S12_EUlS11_E_NS1_11comp_targetILNS1_3genE10ELNS1_11target_archE1200ELNS1_3gpuE4ELNS1_3repE0EEENS1_30default_config_static_selectorELNS0_4arch9wavefront6targetE0EEEvT1_
	.globl	_ZN7rocprim17ROCPRIM_400000_NS6detail17trampoline_kernelINS0_14default_configENS1_25partition_config_selectorILNS1_17partition_subalgoE6EjNS0_10empty_typeEbEEZZNS1_14partition_implILS5_6ELb0ES3_mN6thrust23THRUST_200600_302600_NS6detail15normal_iteratorINSA_10device_ptrIjEEEEPS6_SG_NS0_5tupleIJSF_S6_EEENSH_IJSG_SG_EEES6_PlJ7is_evenIjEEEE10hipError_tPvRmT3_T4_T5_T6_T7_T9_mT8_P12ihipStream_tbDpT10_ENKUlT_T0_E_clISt17integral_constantIbLb0EES15_IbLb1EEEEDaS11_S12_EUlS11_E_NS1_11comp_targetILNS1_3genE10ELNS1_11target_archE1200ELNS1_3gpuE4ELNS1_3repE0EEENS1_30default_config_static_selectorELNS0_4arch9wavefront6targetE0EEEvT1_
	.p2align	8
	.type	_ZN7rocprim17ROCPRIM_400000_NS6detail17trampoline_kernelINS0_14default_configENS1_25partition_config_selectorILNS1_17partition_subalgoE6EjNS0_10empty_typeEbEEZZNS1_14partition_implILS5_6ELb0ES3_mN6thrust23THRUST_200600_302600_NS6detail15normal_iteratorINSA_10device_ptrIjEEEEPS6_SG_NS0_5tupleIJSF_S6_EEENSH_IJSG_SG_EEES6_PlJ7is_evenIjEEEE10hipError_tPvRmT3_T4_T5_T6_T7_T9_mT8_P12ihipStream_tbDpT10_ENKUlT_T0_E_clISt17integral_constantIbLb0EES15_IbLb1EEEEDaS11_S12_EUlS11_E_NS1_11comp_targetILNS1_3genE10ELNS1_11target_archE1200ELNS1_3gpuE4ELNS1_3repE0EEENS1_30default_config_static_selectorELNS0_4arch9wavefront6targetE0EEEvT1_,@function
_ZN7rocprim17ROCPRIM_400000_NS6detail17trampoline_kernelINS0_14default_configENS1_25partition_config_selectorILNS1_17partition_subalgoE6EjNS0_10empty_typeEbEEZZNS1_14partition_implILS5_6ELb0ES3_mN6thrust23THRUST_200600_302600_NS6detail15normal_iteratorINSA_10device_ptrIjEEEEPS6_SG_NS0_5tupleIJSF_S6_EEENSH_IJSG_SG_EEES6_PlJ7is_evenIjEEEE10hipError_tPvRmT3_T4_T5_T6_T7_T9_mT8_P12ihipStream_tbDpT10_ENKUlT_T0_E_clISt17integral_constantIbLb0EES15_IbLb1EEEEDaS11_S12_EUlS11_E_NS1_11comp_targetILNS1_3genE10ELNS1_11target_archE1200ELNS1_3gpuE4ELNS1_3repE0EEENS1_30default_config_static_selectorELNS0_4arch9wavefront6targetE0EEEvT1_: ; @_ZN7rocprim17ROCPRIM_400000_NS6detail17trampoline_kernelINS0_14default_configENS1_25partition_config_selectorILNS1_17partition_subalgoE6EjNS0_10empty_typeEbEEZZNS1_14partition_implILS5_6ELb0ES3_mN6thrust23THRUST_200600_302600_NS6detail15normal_iteratorINSA_10device_ptrIjEEEEPS6_SG_NS0_5tupleIJSF_S6_EEENSH_IJSG_SG_EEES6_PlJ7is_evenIjEEEE10hipError_tPvRmT3_T4_T5_T6_T7_T9_mT8_P12ihipStream_tbDpT10_ENKUlT_T0_E_clISt17integral_constantIbLb0EES15_IbLb1EEEEDaS11_S12_EUlS11_E_NS1_11comp_targetILNS1_3genE10ELNS1_11target_archE1200ELNS1_3gpuE4ELNS1_3repE0EEENS1_30default_config_static_selectorELNS0_4arch9wavefront6targetE0EEEvT1_
; %bb.0:
	.section	.rodata,"a",@progbits
	.p2align	6, 0x0
	.amdhsa_kernel _ZN7rocprim17ROCPRIM_400000_NS6detail17trampoline_kernelINS0_14default_configENS1_25partition_config_selectorILNS1_17partition_subalgoE6EjNS0_10empty_typeEbEEZZNS1_14partition_implILS5_6ELb0ES3_mN6thrust23THRUST_200600_302600_NS6detail15normal_iteratorINSA_10device_ptrIjEEEEPS6_SG_NS0_5tupleIJSF_S6_EEENSH_IJSG_SG_EEES6_PlJ7is_evenIjEEEE10hipError_tPvRmT3_T4_T5_T6_T7_T9_mT8_P12ihipStream_tbDpT10_ENKUlT_T0_E_clISt17integral_constantIbLb0EES15_IbLb1EEEEDaS11_S12_EUlS11_E_NS1_11comp_targetILNS1_3genE10ELNS1_11target_archE1200ELNS1_3gpuE4ELNS1_3repE0EEENS1_30default_config_static_selectorELNS0_4arch9wavefront6targetE0EEEvT1_
		.amdhsa_group_segment_fixed_size 0
		.amdhsa_private_segment_fixed_size 0
		.amdhsa_kernarg_size 128
		.amdhsa_user_sgpr_count 15
		.amdhsa_user_sgpr_dispatch_ptr 0
		.amdhsa_user_sgpr_queue_ptr 0
		.amdhsa_user_sgpr_kernarg_segment_ptr 1
		.amdhsa_user_sgpr_dispatch_id 0
		.amdhsa_user_sgpr_private_segment_size 0
		.amdhsa_wavefront_size32 1
		.amdhsa_uses_dynamic_stack 0
		.amdhsa_enable_private_segment 0
		.amdhsa_system_sgpr_workgroup_id_x 1
		.amdhsa_system_sgpr_workgroup_id_y 0
		.amdhsa_system_sgpr_workgroup_id_z 0
		.amdhsa_system_sgpr_workgroup_info 0
		.amdhsa_system_vgpr_workitem_id 0
		.amdhsa_next_free_vgpr 1
		.amdhsa_next_free_sgpr 1
		.amdhsa_reserve_vcc 0
		.amdhsa_float_round_mode_32 0
		.amdhsa_float_round_mode_16_64 0
		.amdhsa_float_denorm_mode_32 3
		.amdhsa_float_denorm_mode_16_64 3
		.amdhsa_dx10_clamp 1
		.amdhsa_ieee_mode 1
		.amdhsa_fp16_overflow 0
		.amdhsa_workgroup_processor_mode 1
		.amdhsa_memory_ordered 1
		.amdhsa_forward_progress 0
		.amdhsa_shared_vgpr_count 0
		.amdhsa_exception_fp_ieee_invalid_op 0
		.amdhsa_exception_fp_denorm_src 0
		.amdhsa_exception_fp_ieee_div_zero 0
		.amdhsa_exception_fp_ieee_overflow 0
		.amdhsa_exception_fp_ieee_underflow 0
		.amdhsa_exception_fp_ieee_inexact 0
		.amdhsa_exception_int_div_zero 0
	.end_amdhsa_kernel
	.section	.text._ZN7rocprim17ROCPRIM_400000_NS6detail17trampoline_kernelINS0_14default_configENS1_25partition_config_selectorILNS1_17partition_subalgoE6EjNS0_10empty_typeEbEEZZNS1_14partition_implILS5_6ELb0ES3_mN6thrust23THRUST_200600_302600_NS6detail15normal_iteratorINSA_10device_ptrIjEEEEPS6_SG_NS0_5tupleIJSF_S6_EEENSH_IJSG_SG_EEES6_PlJ7is_evenIjEEEE10hipError_tPvRmT3_T4_T5_T6_T7_T9_mT8_P12ihipStream_tbDpT10_ENKUlT_T0_E_clISt17integral_constantIbLb0EES15_IbLb1EEEEDaS11_S12_EUlS11_E_NS1_11comp_targetILNS1_3genE10ELNS1_11target_archE1200ELNS1_3gpuE4ELNS1_3repE0EEENS1_30default_config_static_selectorELNS0_4arch9wavefront6targetE0EEEvT1_,"axG",@progbits,_ZN7rocprim17ROCPRIM_400000_NS6detail17trampoline_kernelINS0_14default_configENS1_25partition_config_selectorILNS1_17partition_subalgoE6EjNS0_10empty_typeEbEEZZNS1_14partition_implILS5_6ELb0ES3_mN6thrust23THRUST_200600_302600_NS6detail15normal_iteratorINSA_10device_ptrIjEEEEPS6_SG_NS0_5tupleIJSF_S6_EEENSH_IJSG_SG_EEES6_PlJ7is_evenIjEEEE10hipError_tPvRmT3_T4_T5_T6_T7_T9_mT8_P12ihipStream_tbDpT10_ENKUlT_T0_E_clISt17integral_constantIbLb0EES15_IbLb1EEEEDaS11_S12_EUlS11_E_NS1_11comp_targetILNS1_3genE10ELNS1_11target_archE1200ELNS1_3gpuE4ELNS1_3repE0EEENS1_30default_config_static_selectorELNS0_4arch9wavefront6targetE0EEEvT1_,comdat
.Lfunc_end325:
	.size	_ZN7rocprim17ROCPRIM_400000_NS6detail17trampoline_kernelINS0_14default_configENS1_25partition_config_selectorILNS1_17partition_subalgoE6EjNS0_10empty_typeEbEEZZNS1_14partition_implILS5_6ELb0ES3_mN6thrust23THRUST_200600_302600_NS6detail15normal_iteratorINSA_10device_ptrIjEEEEPS6_SG_NS0_5tupleIJSF_S6_EEENSH_IJSG_SG_EEES6_PlJ7is_evenIjEEEE10hipError_tPvRmT3_T4_T5_T6_T7_T9_mT8_P12ihipStream_tbDpT10_ENKUlT_T0_E_clISt17integral_constantIbLb0EES15_IbLb1EEEEDaS11_S12_EUlS11_E_NS1_11comp_targetILNS1_3genE10ELNS1_11target_archE1200ELNS1_3gpuE4ELNS1_3repE0EEENS1_30default_config_static_selectorELNS0_4arch9wavefront6targetE0EEEvT1_, .Lfunc_end325-_ZN7rocprim17ROCPRIM_400000_NS6detail17trampoline_kernelINS0_14default_configENS1_25partition_config_selectorILNS1_17partition_subalgoE6EjNS0_10empty_typeEbEEZZNS1_14partition_implILS5_6ELb0ES3_mN6thrust23THRUST_200600_302600_NS6detail15normal_iteratorINSA_10device_ptrIjEEEEPS6_SG_NS0_5tupleIJSF_S6_EEENSH_IJSG_SG_EEES6_PlJ7is_evenIjEEEE10hipError_tPvRmT3_T4_T5_T6_T7_T9_mT8_P12ihipStream_tbDpT10_ENKUlT_T0_E_clISt17integral_constantIbLb0EES15_IbLb1EEEEDaS11_S12_EUlS11_E_NS1_11comp_targetILNS1_3genE10ELNS1_11target_archE1200ELNS1_3gpuE4ELNS1_3repE0EEENS1_30default_config_static_selectorELNS0_4arch9wavefront6targetE0EEEvT1_
                                        ; -- End function
	.section	.AMDGPU.csdata,"",@progbits
; Kernel info:
; codeLenInByte = 0
; NumSgprs: 0
; NumVgprs: 0
; ScratchSize: 0
; MemoryBound: 0
; FloatMode: 240
; IeeeMode: 1
; LDSByteSize: 0 bytes/workgroup (compile time only)
; SGPRBlocks: 0
; VGPRBlocks: 0
; NumSGPRsForWavesPerEU: 1
; NumVGPRsForWavesPerEU: 1
; Occupancy: 15
; WaveLimiterHint : 0
; COMPUTE_PGM_RSRC2:SCRATCH_EN: 0
; COMPUTE_PGM_RSRC2:USER_SGPR: 15
; COMPUTE_PGM_RSRC2:TRAP_HANDLER: 0
; COMPUTE_PGM_RSRC2:TGID_X_EN: 1
; COMPUTE_PGM_RSRC2:TGID_Y_EN: 0
; COMPUTE_PGM_RSRC2:TGID_Z_EN: 0
; COMPUTE_PGM_RSRC2:TIDIG_COMP_CNT: 0
	.section	.text._ZN7rocprim17ROCPRIM_400000_NS6detail17trampoline_kernelINS0_14default_configENS1_25partition_config_selectorILNS1_17partition_subalgoE6EjNS0_10empty_typeEbEEZZNS1_14partition_implILS5_6ELb0ES3_mN6thrust23THRUST_200600_302600_NS6detail15normal_iteratorINSA_10device_ptrIjEEEEPS6_SG_NS0_5tupleIJSF_S6_EEENSH_IJSG_SG_EEES6_PlJ7is_evenIjEEEE10hipError_tPvRmT3_T4_T5_T6_T7_T9_mT8_P12ihipStream_tbDpT10_ENKUlT_T0_E_clISt17integral_constantIbLb0EES15_IbLb1EEEEDaS11_S12_EUlS11_E_NS1_11comp_targetILNS1_3genE9ELNS1_11target_archE1100ELNS1_3gpuE3ELNS1_3repE0EEENS1_30default_config_static_selectorELNS0_4arch9wavefront6targetE0EEEvT1_,"axG",@progbits,_ZN7rocprim17ROCPRIM_400000_NS6detail17trampoline_kernelINS0_14default_configENS1_25partition_config_selectorILNS1_17partition_subalgoE6EjNS0_10empty_typeEbEEZZNS1_14partition_implILS5_6ELb0ES3_mN6thrust23THRUST_200600_302600_NS6detail15normal_iteratorINSA_10device_ptrIjEEEEPS6_SG_NS0_5tupleIJSF_S6_EEENSH_IJSG_SG_EEES6_PlJ7is_evenIjEEEE10hipError_tPvRmT3_T4_T5_T6_T7_T9_mT8_P12ihipStream_tbDpT10_ENKUlT_T0_E_clISt17integral_constantIbLb0EES15_IbLb1EEEEDaS11_S12_EUlS11_E_NS1_11comp_targetILNS1_3genE9ELNS1_11target_archE1100ELNS1_3gpuE3ELNS1_3repE0EEENS1_30default_config_static_selectorELNS0_4arch9wavefront6targetE0EEEvT1_,comdat
	.protected	_ZN7rocprim17ROCPRIM_400000_NS6detail17trampoline_kernelINS0_14default_configENS1_25partition_config_selectorILNS1_17partition_subalgoE6EjNS0_10empty_typeEbEEZZNS1_14partition_implILS5_6ELb0ES3_mN6thrust23THRUST_200600_302600_NS6detail15normal_iteratorINSA_10device_ptrIjEEEEPS6_SG_NS0_5tupleIJSF_S6_EEENSH_IJSG_SG_EEES6_PlJ7is_evenIjEEEE10hipError_tPvRmT3_T4_T5_T6_T7_T9_mT8_P12ihipStream_tbDpT10_ENKUlT_T0_E_clISt17integral_constantIbLb0EES15_IbLb1EEEEDaS11_S12_EUlS11_E_NS1_11comp_targetILNS1_3genE9ELNS1_11target_archE1100ELNS1_3gpuE3ELNS1_3repE0EEENS1_30default_config_static_selectorELNS0_4arch9wavefront6targetE0EEEvT1_ ; -- Begin function _ZN7rocprim17ROCPRIM_400000_NS6detail17trampoline_kernelINS0_14default_configENS1_25partition_config_selectorILNS1_17partition_subalgoE6EjNS0_10empty_typeEbEEZZNS1_14partition_implILS5_6ELb0ES3_mN6thrust23THRUST_200600_302600_NS6detail15normal_iteratorINSA_10device_ptrIjEEEEPS6_SG_NS0_5tupleIJSF_S6_EEENSH_IJSG_SG_EEES6_PlJ7is_evenIjEEEE10hipError_tPvRmT3_T4_T5_T6_T7_T9_mT8_P12ihipStream_tbDpT10_ENKUlT_T0_E_clISt17integral_constantIbLb0EES15_IbLb1EEEEDaS11_S12_EUlS11_E_NS1_11comp_targetILNS1_3genE9ELNS1_11target_archE1100ELNS1_3gpuE3ELNS1_3repE0EEENS1_30default_config_static_selectorELNS0_4arch9wavefront6targetE0EEEvT1_
	.globl	_ZN7rocprim17ROCPRIM_400000_NS6detail17trampoline_kernelINS0_14default_configENS1_25partition_config_selectorILNS1_17partition_subalgoE6EjNS0_10empty_typeEbEEZZNS1_14partition_implILS5_6ELb0ES3_mN6thrust23THRUST_200600_302600_NS6detail15normal_iteratorINSA_10device_ptrIjEEEEPS6_SG_NS0_5tupleIJSF_S6_EEENSH_IJSG_SG_EEES6_PlJ7is_evenIjEEEE10hipError_tPvRmT3_T4_T5_T6_T7_T9_mT8_P12ihipStream_tbDpT10_ENKUlT_T0_E_clISt17integral_constantIbLb0EES15_IbLb1EEEEDaS11_S12_EUlS11_E_NS1_11comp_targetILNS1_3genE9ELNS1_11target_archE1100ELNS1_3gpuE3ELNS1_3repE0EEENS1_30default_config_static_selectorELNS0_4arch9wavefront6targetE0EEEvT1_
	.p2align	8
	.type	_ZN7rocprim17ROCPRIM_400000_NS6detail17trampoline_kernelINS0_14default_configENS1_25partition_config_selectorILNS1_17partition_subalgoE6EjNS0_10empty_typeEbEEZZNS1_14partition_implILS5_6ELb0ES3_mN6thrust23THRUST_200600_302600_NS6detail15normal_iteratorINSA_10device_ptrIjEEEEPS6_SG_NS0_5tupleIJSF_S6_EEENSH_IJSG_SG_EEES6_PlJ7is_evenIjEEEE10hipError_tPvRmT3_T4_T5_T6_T7_T9_mT8_P12ihipStream_tbDpT10_ENKUlT_T0_E_clISt17integral_constantIbLb0EES15_IbLb1EEEEDaS11_S12_EUlS11_E_NS1_11comp_targetILNS1_3genE9ELNS1_11target_archE1100ELNS1_3gpuE3ELNS1_3repE0EEENS1_30default_config_static_selectorELNS0_4arch9wavefront6targetE0EEEvT1_,@function
_ZN7rocprim17ROCPRIM_400000_NS6detail17trampoline_kernelINS0_14default_configENS1_25partition_config_selectorILNS1_17partition_subalgoE6EjNS0_10empty_typeEbEEZZNS1_14partition_implILS5_6ELb0ES3_mN6thrust23THRUST_200600_302600_NS6detail15normal_iteratorINSA_10device_ptrIjEEEEPS6_SG_NS0_5tupleIJSF_S6_EEENSH_IJSG_SG_EEES6_PlJ7is_evenIjEEEE10hipError_tPvRmT3_T4_T5_T6_T7_T9_mT8_P12ihipStream_tbDpT10_ENKUlT_T0_E_clISt17integral_constantIbLb0EES15_IbLb1EEEEDaS11_S12_EUlS11_E_NS1_11comp_targetILNS1_3genE9ELNS1_11target_archE1100ELNS1_3gpuE3ELNS1_3repE0EEENS1_30default_config_static_selectorELNS0_4arch9wavefront6targetE0EEEvT1_: ; @_ZN7rocprim17ROCPRIM_400000_NS6detail17trampoline_kernelINS0_14default_configENS1_25partition_config_selectorILNS1_17partition_subalgoE6EjNS0_10empty_typeEbEEZZNS1_14partition_implILS5_6ELb0ES3_mN6thrust23THRUST_200600_302600_NS6detail15normal_iteratorINSA_10device_ptrIjEEEEPS6_SG_NS0_5tupleIJSF_S6_EEENSH_IJSG_SG_EEES6_PlJ7is_evenIjEEEE10hipError_tPvRmT3_T4_T5_T6_T7_T9_mT8_P12ihipStream_tbDpT10_ENKUlT_T0_E_clISt17integral_constantIbLb0EES15_IbLb1EEEEDaS11_S12_EUlS11_E_NS1_11comp_targetILNS1_3genE9ELNS1_11target_archE1100ELNS1_3gpuE3ELNS1_3repE0EEENS1_30default_config_static_selectorELNS0_4arch9wavefront6targetE0EEEvT1_
; %bb.0:
	s_clause 0x3
	s_load_b64 s[12:13], s[0:1], 0x28
	s_load_b128 s[4:7], s[0:1], 0x40
	s_load_b64 s[16:17], s[0:1], 0x50
	s_load_b64 s[14:15], s[0:1], 0x60
	v_cmp_eq_u32_e64 s2, 0, v0
	s_delay_alu instid0(VALU_DEP_1)
	s_and_saveexec_b32 s3, s2
	s_cbranch_execz .LBB326_4
; %bb.1:
	s_mov_b32 s9, exec_lo
	s_mov_b32 s8, exec_lo
	v_mbcnt_lo_u32_b32 v1, s9, 0
                                        ; implicit-def: $vgpr2
	s_delay_alu instid0(VALU_DEP_1)
	v_cmpx_eq_u32_e32 0, v1
	s_cbranch_execz .LBB326_3
; %bb.2:
	s_load_b64 s[10:11], s[0:1], 0x70
	s_bcnt1_i32_b32 s9, s9
	s_delay_alu instid0(SALU_CYCLE_1)
	v_dual_mov_b32 v2, 0 :: v_dual_mov_b32 v3, s9
	s_waitcnt lgkmcnt(0)
	global_atomic_add_u32 v2, v2, v3, s[10:11] glc
.LBB326_3:
	s_or_b32 exec_lo, exec_lo, s8
	s_waitcnt vmcnt(0)
	v_readfirstlane_b32 s8, v2
	s_delay_alu instid0(VALU_DEP_1)
	v_dual_mov_b32 v2, 0 :: v_dual_add_nc_u32 v1, s8, v1
	ds_store_b32 v2, v1
.LBB326_4:
	s_or_b32 exec_lo, exec_lo, s3
	v_dual_mov_b32 v2, 0 :: v_dual_lshlrev_b32 v17, 2, v0
	s_clause 0x1
	s_load_b128 s[8:11], s[0:1], 0x8
	s_load_b32 s0, s[0:1], 0x68
	s_waitcnt lgkmcnt(0)
	s_barrier
	buffer_gl0_inv
	ds_load_b32 v1, v2
	s_waitcnt lgkmcnt(0)
	s_barrier
	buffer_gl0_inv
	global_load_b64 v[49:50], v2, s[6:7]
	s_lshl_b64 s[6:7], s[10:11], 2
	s_mul_i32 s3, s0, 0x700
	s_add_u32 s1, s8, s6
	s_addc_u32 s18, s9, s7
	s_add_i32 s6, s3, s10
	v_readfirstlane_b32 s7, v1
	v_mul_lo_u32 v1, 0x700, v1
	s_add_i32 s19, s0, -1
	s_sub_i32 s0, s16, s6
	s_add_u32 s8, s10, s3
	s_addc_u32 s9, s11, 0
	s_cmp_eq_u32 s7, s19
	v_cmp_ge_u64_e64 s6, s[8:9], s[16:17]
	s_cselect_b32 s3, -1, 0
	v_lshlrev_b64 v[1:2], 2, v[1:2]
	s_delay_alu instid0(VALU_DEP_2) | instskip(NEXT) | instid1(VALU_DEP_1)
	s_and_b32 s6, s6, s3
	v_add_co_u32 v18, vcc_lo, s1, v1
	s_delay_alu instid0(VALU_DEP_2)
	v_add_co_ci_u32_e32 v19, vcc_lo, s18, v2, vcc_lo
	s_xor_b32 s6, s6, -1
	s_mov_b32 s1, -1
	s_and_b32 vcc_lo, exec_lo, s6
	s_cbranch_vccz .LBB326_6
; %bb.5:
	v_add_co_u32 v1, vcc_lo, v18, v17
	v_add_co_ci_u32_e32 v2, vcc_lo, 0, v19, vcc_lo
	s_mov_b32 s1, 0
	s_delay_alu instid0(VALU_DEP_2) | instskip(NEXT) | instid1(VALU_DEP_2)
	v_add_co_u32 v3, vcc_lo, 0x1000, v1
	v_add_co_ci_u32_e32 v4, vcc_lo, 0, v2, vcc_lo
	s_clause 0xd
	flat_load_b32 v5, v[1:2]
	flat_load_b32 v6, v[1:2] offset:512
	flat_load_b32 v7, v[1:2] offset:1024
	;; [unrolled: 1-line block ×7, first 2 shown]
	flat_load_b32 v2, v[3:4]
	flat_load_b32 v12, v[3:4] offset:512
	flat_load_b32 v13, v[3:4] offset:1024
	;; [unrolled: 1-line block ×5, first 2 shown]
	s_waitcnt vmcnt(12) lgkmcnt(12)
	ds_store_2addr_stride64_b32 v17, v5, v6 offset1:2
	s_waitcnt vmcnt(10) lgkmcnt(11)
	ds_store_2addr_stride64_b32 v17, v7, v8 offset0:4 offset1:6
	s_waitcnt vmcnt(8) lgkmcnt(10)
	ds_store_2addr_stride64_b32 v17, v9, v10 offset0:8 offset1:10
	;; [unrolled: 2-line block ×6, first 2 shown]
	s_waitcnt lgkmcnt(0)
	s_barrier
.LBB326_6:
	s_and_not1_b32 vcc_lo, exec_lo, s1
	s_addk_i32 s0, 0x700
	s_cbranch_vccnz .LBB326_36
; %bb.7:
	s_mov_b32 s1, exec_lo
                                        ; implicit-def: $vgpr1_vgpr2_vgpr3_vgpr4_vgpr5_vgpr6_vgpr7_vgpr8_vgpr9_vgpr10_vgpr11_vgpr12_vgpr13_vgpr14_vgpr15_vgpr16
	v_cmpx_gt_u32_e64 s0, v0
	s_cbranch_execz .LBB326_9
; %bb.8:
	v_add_co_u32 v1, vcc_lo, v18, v17
	v_add_co_ci_u32_e32 v2, vcc_lo, 0, v19, vcc_lo
	flat_load_b32 v1, v[1:2]
.LBB326_9:
	s_or_b32 exec_lo, exec_lo, s1
	v_or_b32_e32 v15, 0x80, v0
	s_mov_b32 s1, exec_lo
	s_delay_alu instid0(VALU_DEP_1)
	v_cmpx_gt_u32_e64 s0, v15
	s_cbranch_execz .LBB326_11
; %bb.10:
	v_add_co_u32 v15, vcc_lo, v18, v17
	v_add_co_ci_u32_e32 v16, vcc_lo, 0, v19, vcc_lo
	flat_load_b32 v2, v[15:16] offset:512
.LBB326_11:
	s_or_b32 exec_lo, exec_lo, s1
	v_or_b32_e32 v15, 0x100, v0
	s_mov_b32 s1, exec_lo
	s_delay_alu instid0(VALU_DEP_1)
	v_cmpx_gt_u32_e64 s0, v15
	s_cbranch_execz .LBB326_13
; %bb.12:
	v_add_co_u32 v15, vcc_lo, v18, v17
	v_add_co_ci_u32_e32 v16, vcc_lo, 0, v19, vcc_lo
	flat_load_b32 v3, v[15:16] offset:1024
.LBB326_13:
	;; [unrolled: 11-line block ×7, first 2 shown]
	s_or_b32 exec_lo, exec_lo, s1
	v_or_b32_e32 v15, 0x400, v0
	s_mov_b32 s1, exec_lo
	s_delay_alu instid0(VALU_DEP_1)
	v_cmpx_gt_u32_e64 s0, v15
	s_cbranch_execz .LBB326_25
; %bb.24:
	v_lshlrev_b32_e32 v9, 2, v15
	s_delay_alu instid0(VALU_DEP_1)
	v_add_co_u32 v15, vcc_lo, v18, v9
	v_add_co_ci_u32_e32 v16, vcc_lo, 0, v19, vcc_lo
	flat_load_b32 v9, v[15:16]
.LBB326_25:
	s_or_b32 exec_lo, exec_lo, s1
	v_or_b32_e32 v15, 0x480, v0
	s_mov_b32 s1, exec_lo
	s_delay_alu instid0(VALU_DEP_1)
	v_cmpx_gt_u32_e64 s0, v15
	s_cbranch_execz .LBB326_27
; %bb.26:
	v_lshlrev_b32_e32 v10, 2, v15
	s_delay_alu instid0(VALU_DEP_1)
	v_add_co_u32 v15, vcc_lo, v18, v10
	v_add_co_ci_u32_e32 v16, vcc_lo, 0, v19, vcc_lo
	flat_load_b32 v10, v[15:16]
.LBB326_27:
	;; [unrolled: 13-line block ×6, first 2 shown]
	s_or_b32 exec_lo, exec_lo, s1
	s_waitcnt vmcnt(0) lgkmcnt(0)
	ds_store_2addr_stride64_b32 v17, v1, v2 offset1:2
	ds_store_2addr_stride64_b32 v17, v3, v4 offset0:4 offset1:6
	ds_store_2addr_stride64_b32 v17, v5, v6 offset0:8 offset1:10
	;; [unrolled: 1-line block ×6, first 2 shown]
	s_waitcnt lgkmcnt(0)
	s_barrier
.LBB326_36:
	v_mul_u32_u24_e32 v12, 14, v0
	s_waitcnt vmcnt(0)
	buffer_gl0_inv
	s_and_not1_b32 vcc_lo, exec_lo, s6
	v_lshlrev_b32_e32 v63, 2, v12
	ds_load_2addr_b64 v[41:44], v63 offset1:1
	ds_load_2addr_b64 v[37:40], v63 offset0:2 offset1:3
	ds_load_2addr_b64 v[33:36], v63 offset0:4 offset1:5
	ds_load_b64 v[51:52], v63 offset:48
	s_waitcnt lgkmcnt(0)
	s_barrier
	buffer_gl0_inv
	v_xor_b32_e32 v13, -1, v41
	v_xor_b32_e32 v14, -1, v42
	;; [unrolled: 1-line block ×14, first 2 shown]
	s_cbranch_vccnz .LBB326_38
; %bb.37:
	v_and_b32_e32 v16, 1, v14
	v_and_b32_e32 v17, 1, v13
	;; [unrolled: 1-line block ×5, first 2 shown]
	v_lshlrev_b16 v16, 8, v16
	v_and_b32_e32 v26, 1, v6
	v_and_b32_e32 v18, 1, v15
	;; [unrolled: 1-line block ×4, first 2 shown]
	v_or_b32_e32 v16, v17, v16
	v_and_b32_e32 v17, 1, v4
	v_and_b32_e32 v24, 1, v3
	v_and_b32_e32 v25, 1, v5
	v_lshlrev_b16 v19, 8, v19
	v_lshlrev_b16 v21, 8, v21
	;; [unrolled: 1-line block ×5, first 2 shown]
	v_or_b32_e32 v18, v18, v19
	v_or_b32_e32 v19, v20, v21
	;; [unrolled: 1-line block ×5, first 2 shown]
	v_and_b32_e32 v16, 0xffff, v16
	v_lshlrev_b32_e32 v18, 16, v18
	v_and_b32_e32 v19, 0xffff, v19
	v_lshlrev_b32_e32 v20, 16, v20
	;; [unrolled: 2-line block ×3, first 2 shown]
	v_and_b32_e32 v56, 1, v1
	v_and_b32_e32 v55, 1, v2
	v_or_b32_e32 v61, v16, v18
	v_or_b32_e32 v58, v19, v20
	;; [unrolled: 1-line block ×3, first 2 shown]
	s_cbranch_execz .LBB326_39
	s_branch .LBB326_40
.LBB326_38:
                                        ; implicit-def: $vgpr55
                                        ; implicit-def: $vgpr56
                                        ; implicit-def: $vgpr57
                                        ; implicit-def: $vgpr58
                                        ; implicit-def: $vgpr61
.LBB326_39:
	v_or_b32_e32 v16, 1, v12
	v_cmp_gt_u32_e32 vcc_lo, s0, v12
	v_add_nc_u32_e32 v17, 2, v12
	v_add_nc_u32_e32 v18, 3, v12
	;; [unrolled: 1-line block ×4, first 2 shown]
	v_cndmask_b32_e64 v27, 0, 1, vcc_lo
	v_cmp_gt_u32_e32 vcc_lo, s0, v16
	v_add_nc_u32_e32 v21, 6, v12
	v_add_nc_u32_e32 v22, 7, v12
	;; [unrolled: 1-line block ×4, first 2 shown]
	v_cndmask_b32_e64 v16, 0, 1, vcc_lo
	v_cmp_gt_u32_e32 vcc_lo, s0, v17
	v_add_nc_u32_e32 v25, 10, v12
	v_add_nc_u32_e32 v26, 11, v12
	v_add_nc_u32_e32 v28, 12, v12
	v_and_b32_e32 v14, v16, v14
	v_cndmask_b32_e64 v17, 0, 1, vcc_lo
	v_cmp_gt_u32_e32 vcc_lo, s0, v18
	v_add_nc_u32_e32 v12, 13, v12
	v_and_b32_e32 v13, v27, v13
	v_lshlrev_b16 v14, 8, v14
	v_and_b32_e32 v15, v17, v15
	v_cndmask_b32_e64 v16, 0, 1, vcc_lo
	v_cmp_gt_u32_e32 vcc_lo, s0, v19
	s_delay_alu instid0(VALU_DEP_4) | instskip(NEXT) | instid1(VALU_DEP_3)
	v_or_b32_e32 v13, v13, v14
	v_and_b32_e32 v7, v16, v7
	v_cndmask_b32_e64 v17, 0, 1, vcc_lo
	v_cmp_gt_u32_e32 vcc_lo, s0, v20
	s_delay_alu instid0(VALU_DEP_4) | instskip(NEXT) | instid1(VALU_DEP_4)
	v_and_b32_e32 v13, 0xffff, v13
	v_lshlrev_b16 v7, 8, v7
	s_delay_alu instid0(VALU_DEP_4) | instskip(SKIP_2) | instid1(VALU_DEP_4)
	v_and_b32_e32 v8, v17, v8
	v_cndmask_b32_e64 v18, 0, 1, vcc_lo
	v_cmp_gt_u32_e32 vcc_lo, s0, v21
	v_or_b32_e32 v7, v15, v7
	s_delay_alu instid0(VALU_DEP_3) | instskip(SKIP_2) | instid1(VALU_DEP_3)
	v_and_b32_e32 v9, v18, v9
	v_cndmask_b32_e64 v19, 0, 1, vcc_lo
	v_cmp_gt_u32_e32 vcc_lo, s0, v22
	v_lshlrev_b16 v9, 8, v9
	s_delay_alu instid0(VALU_DEP_3) | instskip(SKIP_2) | instid1(VALU_DEP_4)
	v_and_b32_e32 v10, v19, v10
	v_cndmask_b32_e64 v20, 0, 1, vcc_lo
	v_cmp_gt_u32_e32 vcc_lo, s0, v23
	v_or_b32_e32 v8, v8, v9
	s_delay_alu instid0(VALU_DEP_3) | instskip(SKIP_2) | instid1(VALU_DEP_3)
	v_and_b32_e32 v11, v20, v11
	v_cndmask_b32_e64 v16, 0, 1, vcc_lo
	v_cmp_gt_u32_e32 vcc_lo, s0, v24
	v_lshlrev_b16 v11, 8, v11
	s_delay_alu instid0(VALU_DEP_3) | instskip(SKIP_2) | instid1(VALU_DEP_4)
	;; [unrolled: 10-line block ×3, first 2 shown]
	v_and_b32_e32 v5, v18, v5
	v_cndmask_b32_e64 v19, 0, 1, vcc_lo
	v_cmp_gt_u32_e32 vcc_lo, s0, v28
	v_or_b32_e32 v3, v3, v4
	s_delay_alu instid0(VALU_DEP_3) | instskip(SKIP_2) | instid1(VALU_DEP_4)
	v_and_b32_e32 v6, v19, v6
	v_cndmask_b32_e64 v14, 0, 1, vcc_lo
	v_cmp_gt_u32_e32 vcc_lo, s0, v12
	v_and_b32_e32 v3, 0xffff, v3
	s_delay_alu instid0(VALU_DEP_4) | instskip(NEXT) | instid1(VALU_DEP_4)
	v_lshlrev_b16 v6, 8, v6
	v_and_b32_e32 v56, v14, v1
	v_cndmask_b32_e64 v12, 0, 1, vcc_lo
	s_delay_alu instid0(VALU_DEP_3)
	v_or_b32_e32 v4, v5, v6
	v_lshlrev_b32_e32 v5, 16, v7
	v_and_b32_e32 v6, 0xffff, v8
	v_lshlrev_b32_e32 v7, 16, v9
	v_and_b32_e32 v55, v12, v2
	v_lshlrev_b32_e32 v4, 16, v4
	v_or_b32_e32 v61, v13, v5
	s_delay_alu instid0(VALU_DEP_4) | instskip(NEXT) | instid1(VALU_DEP_3)
	v_or_b32_e32 v58, v6, v7
	v_or_b32_e32 v57, v3, v4
.LBB326_40:
	s_delay_alu instid0(VALU_DEP_3)
	v_dual_mov_b32 v2, 0 :: v_dual_and_b32 v65, 0xff, v61
	v_bfe_u32 v66, v61, 8, 8
	v_bfe_u32 v67, v61, 16, 8
	v_lshrrev_b32_e32 v62, 24, v61
	v_and_b32_e32 v68, 0xff, v58
	v_bfe_u32 v69, v58, 8, 8
	v_add_co_u32 v1, s0, v66, v65
	s_delay_alu instid0(VALU_DEP_1) | instskip(SKIP_1) | instid1(VALU_DEP_3)
	v_add_co_ci_u32_e64 v3, null, 0, 0, s0
	v_bfe_u32 v70, v58, 16, 8
	v_add_co_u32 v1, vcc_lo, v1, v67
	s_delay_alu instid0(VALU_DEP_3) | instskip(SKIP_1) | instid1(VALU_DEP_3)
	v_add_co_ci_u32_e32 v3, vcc_lo, 0, v3, vcc_lo
	v_lshrrev_b32_e32 v60, 24, v58
	v_add_co_u32 v1, vcc_lo, v1, v62
	s_delay_alu instid0(VALU_DEP_3) | instskip(SKIP_1) | instid1(VALU_DEP_3)
	v_add_co_ci_u32_e32 v3, vcc_lo, 0, v3, vcc_lo
	v_and_b32_e32 v71, 0xff, v57
	v_add_co_u32 v1, vcc_lo, v1, v68
	s_delay_alu instid0(VALU_DEP_3) | instskip(SKIP_1) | instid1(VALU_DEP_3)
	v_add_co_ci_u32_e32 v3, vcc_lo, 0, v3, vcc_lo
	v_bfe_u32 v72, v57, 8, 8
	v_add_co_u32 v1, vcc_lo, v1, v69
	s_delay_alu instid0(VALU_DEP_3) | instskip(SKIP_1) | instid1(VALU_DEP_3)
	v_add_co_ci_u32_e32 v3, vcc_lo, 0, v3, vcc_lo
	v_bfe_u32 v73, v57, 16, 8
	v_add_co_u32 v1, vcc_lo, v1, v70
	s_delay_alu instid0(VALU_DEP_3) | instskip(SKIP_1) | instid1(VALU_DEP_3)
	v_add_co_ci_u32_e32 v3, vcc_lo, 0, v3, vcc_lo
	v_lshrrev_b32_e32 v59, 24, v57
	v_add_co_u32 v1, vcc_lo, v1, v60
	s_delay_alu instid0(VALU_DEP_3) | instskip(SKIP_1) | instid1(VALU_DEP_3)
	v_add_co_ci_u32_e32 v3, vcc_lo, 0, v3, vcc_lo
	v_and_b32_e32 v64, 0xff, v56
	v_add_co_u32 v1, vcc_lo, v1, v71
	s_delay_alu instid0(VALU_DEP_3) | instskip(SKIP_1) | instid1(VALU_DEP_3)
	v_add_co_ci_u32_e32 v3, vcc_lo, 0, v3, vcc_lo
	v_mbcnt_lo_u32_b32 v74, -1, 0
	v_add_co_u32 v1, vcc_lo, v1, v72
	s_delay_alu instid0(VALU_DEP_3) | instskip(SKIP_1) | instid1(VALU_DEP_3)
	v_add_co_ci_u32_e32 v3, vcc_lo, 0, v3, vcc_lo
	v_and_b32_e32 v4, 0xff, v55
	v_add_co_u32 v1, vcc_lo, v1, v73
	s_delay_alu instid0(VALU_DEP_3) | instskip(SKIP_1) | instid1(VALU_DEP_3)
	v_add_co_ci_u32_e32 v3, vcc_lo, 0, v3, vcc_lo
	v_and_b32_e32 v75, 15, v74
	v_add_co_u32 v1, vcc_lo, v1, v59
	s_delay_alu instid0(VALU_DEP_3) | instskip(NEXT) | instid1(VALU_DEP_3)
	v_add_co_ci_u32_e32 v3, vcc_lo, 0, v3, vcc_lo
	v_cmp_ne_u32_e64 s0, 0, v75
	s_delay_alu instid0(VALU_DEP_3) | instskip(NEXT) | instid1(VALU_DEP_3)
	v_add_co_u32 v1, vcc_lo, v1, v64
	v_add_co_ci_u32_e32 v3, vcc_lo, 0, v3, vcc_lo
	s_cmp_lg_u32 s7, 0
	s_delay_alu instid0(VALU_DEP_2) | instskip(NEXT) | instid1(VALU_DEP_2)
	v_add_co_u32 v53, vcc_lo, v1, v4
	v_add_co_ci_u32_e32 v54, vcc_lo, 0, v3, vcc_lo
	s_mov_b32 s1, -1
	s_cbranch_scc0 .LBB326_100
; %bb.41:
	s_delay_alu instid0(VALU_DEP_2)
	v_mov_b32_e32 v3, v53
	v_mov_b32_dpp v1, v53 row_shr:1 row_mask:0xf bank_mask:0xf
	v_mov_b32_dpp v6, v2 row_shr:1 row_mask:0xf bank_mask:0xf
	v_dual_mov_b32 v5, v53 :: v_dual_mov_b32 v4, v54
	s_and_saveexec_b32 s1, s0
; %bb.42:
	s_delay_alu instid0(VALU_DEP_3) | instskip(SKIP_1) | instid1(VALU_DEP_2)
	v_add_co_u32 v5, vcc_lo, v53, v1
	v_add_co_ci_u32_e32 v2, vcc_lo, 0, v54, vcc_lo
	v_add_co_u32 v1, vcc_lo, 0, v5
	s_delay_alu instid0(VALU_DEP_2) | instskip(NEXT) | instid1(VALU_DEP_1)
	v_add_co_ci_u32_e32 v2, vcc_lo, v6, v2, vcc_lo
	v_dual_mov_b32 v4, v2 :: v_dual_mov_b32 v3, v1
; %bb.43:
	s_or_b32 exec_lo, exec_lo, s1
	v_mov_b32_dpp v1, v5 row_shr:2 row_mask:0xf bank_mask:0xf
	v_mov_b32_dpp v6, v2 row_shr:2 row_mask:0xf bank_mask:0xf
	s_mov_b32 s1, exec_lo
	v_cmpx_lt_u32_e32 1, v75
; %bb.44:
	s_delay_alu instid0(VALU_DEP_3) | instskip(SKIP_1) | instid1(VALU_DEP_2)
	v_add_co_u32 v5, vcc_lo, v3, v1
	v_add_co_ci_u32_e32 v2, vcc_lo, 0, v4, vcc_lo
	v_add_co_u32 v1, vcc_lo, 0, v5
	s_delay_alu instid0(VALU_DEP_2) | instskip(NEXT) | instid1(VALU_DEP_1)
	v_add_co_ci_u32_e32 v2, vcc_lo, v6, v2, vcc_lo
	v_dual_mov_b32 v4, v2 :: v_dual_mov_b32 v3, v1
; %bb.45:
	s_or_b32 exec_lo, exec_lo, s1
	v_mov_b32_dpp v1, v5 row_shr:4 row_mask:0xf bank_mask:0xf
	v_mov_b32_dpp v6, v2 row_shr:4 row_mask:0xf bank_mask:0xf
	s_mov_b32 s1, exec_lo
	v_cmpx_lt_u32_e32 3, v75
	;; [unrolled: 14-line block ×3, first 2 shown]
; %bb.48:
	s_delay_alu instid0(VALU_DEP_3) | instskip(SKIP_1) | instid1(VALU_DEP_2)
	v_add_co_u32 v5, vcc_lo, v3, v6
	v_add_co_ci_u32_e32 v2, vcc_lo, 0, v4, vcc_lo
	v_add_co_u32 v3, vcc_lo, 0, v5
	s_delay_alu instid0(VALU_DEP_2) | instskip(NEXT) | instid1(VALU_DEP_1)
	v_add_co_ci_u32_e32 v4, vcc_lo, v1, v2, vcc_lo
	v_mov_b32_e32 v2, v4
; %bb.49:
	s_or_b32 exec_lo, exec_lo, s1
	ds_swizzle_b32 v1, v5 offset:swizzle(BROADCAST,32,15)
	ds_swizzle_b32 v6, v2 offset:swizzle(BROADCAST,32,15)
	v_and_b32_e32 v7, 16, v74
	s_mov_b32 s1, exec_lo
	s_delay_alu instid0(VALU_DEP_1)
	v_cmpx_ne_u32_e32 0, v7
	s_cbranch_execz .LBB326_51
; %bb.50:
	s_waitcnt lgkmcnt(1)
	v_add_co_u32 v5, vcc_lo, v3, v1
	v_add_co_ci_u32_e32 v2, vcc_lo, 0, v4, vcc_lo
	s_delay_alu instid0(VALU_DEP_2) | instskip(SKIP_1) | instid1(VALU_DEP_2)
	v_add_co_u32 v1, vcc_lo, 0, v5
	s_waitcnt lgkmcnt(0)
	v_add_co_ci_u32_e32 v2, vcc_lo, v6, v2, vcc_lo
	s_delay_alu instid0(VALU_DEP_1)
	v_dual_mov_b32 v4, v2 :: v_dual_mov_b32 v3, v1
.LBB326_51:
	s_or_b32 exec_lo, exec_lo, s1
	s_waitcnt lgkmcnt(0)
	v_or_b32_e32 v6, 31, v0
	v_lshrrev_b32_e32 v1, 5, v0
	s_mov_b32 s1, exec_lo
	s_delay_alu instid0(VALU_DEP_2)
	v_cmpx_eq_u32_e64 v6, v0
	s_cbranch_execz .LBB326_53
; %bb.52:
	s_delay_alu instid0(VALU_DEP_2)
	v_lshlrev_b32_e32 v6, 3, v1
	ds_store_b64 v6, v[3:4]
.LBB326_53:
	s_or_b32 exec_lo, exec_lo, s1
	s_delay_alu instid0(SALU_CYCLE_1)
	s_mov_b32 s1, exec_lo
	s_waitcnt lgkmcnt(0)
	s_barrier
	buffer_gl0_inv
	v_cmpx_gt_u32_e32 4, v0
	s_cbranch_execz .LBB326_59
; %bb.54:
	v_lshlrev_b32_e32 v6, 3, v0
	s_mov_b32 s8, exec_lo
	ds_load_b64 v[3:4], v6
	s_waitcnt lgkmcnt(0)
	v_dual_mov_b32 v8, v3 :: v_dual_and_b32 v7, 3, v74
	v_mov_b32_dpp v10, v3 row_shr:1 row_mask:0xf bank_mask:0xf
	v_mov_b32_dpp v9, v4 row_shr:1 row_mask:0xf bank_mask:0xf
	s_delay_alu instid0(VALU_DEP_3)
	v_cmpx_ne_u32_e32 0, v7
; %bb.55:
	s_delay_alu instid0(VALU_DEP_3) | instskip(SKIP_1) | instid1(VALU_DEP_2)
	v_add_co_u32 v8, vcc_lo, v3, v10
	v_add_co_ci_u32_e32 v4, vcc_lo, 0, v4, vcc_lo
	v_add_co_u32 v3, vcc_lo, 0, v8
	s_delay_alu instid0(VALU_DEP_2)
	v_add_co_ci_u32_e32 v4, vcc_lo, v9, v4, vcc_lo
; %bb.56:
	s_or_b32 exec_lo, exec_lo, s8
	v_mov_b32_dpp v9, v8 row_shr:2 row_mask:0xf bank_mask:0xf
	s_delay_alu instid0(VALU_DEP_2)
	v_mov_b32_dpp v8, v4 row_shr:2 row_mask:0xf bank_mask:0xf
	s_mov_b32 s8, exec_lo
	v_cmpx_lt_u32_e32 1, v7
; %bb.57:
	s_delay_alu instid0(VALU_DEP_3) | instskip(SKIP_1) | instid1(VALU_DEP_2)
	v_add_co_u32 v3, vcc_lo, v3, v9
	v_add_co_ci_u32_e32 v4, vcc_lo, 0, v4, vcc_lo
	v_add_co_u32 v3, vcc_lo, v3, 0
	s_delay_alu instid0(VALU_DEP_2)
	v_add_co_ci_u32_e32 v4, vcc_lo, v4, v8, vcc_lo
; %bb.58:
	s_or_b32 exec_lo, exec_lo, s8
	ds_store_b64 v6, v[3:4]
.LBB326_59:
	s_or_b32 exec_lo, exec_lo, s1
	v_cmp_gt_u32_e32 vcc_lo, 32, v0
	s_mov_b32 s8, exec_lo
	s_waitcnt lgkmcnt(0)
	s_barrier
	buffer_gl0_inv
                                        ; implicit-def: $vgpr9_vgpr10
	v_cmpx_lt_u32_e32 31, v0
	s_cbranch_execz .LBB326_61
; %bb.60:
	v_lshl_add_u32 v1, v1, 3, -8
	ds_load_b64 v[9:10], v1
	s_waitcnt lgkmcnt(0)
	v_add_co_u32 v5, s1, v5, v9
	s_delay_alu instid0(VALU_DEP_1)
	v_add_co_ci_u32_e64 v2, s1, v2, v10, s1
.LBB326_61:
	s_or_b32 exec_lo, exec_lo, s8
	v_add_nc_u32_e32 v1, -1, v74
	s_delay_alu instid0(VALU_DEP_1) | instskip(NEXT) | instid1(VALU_DEP_1)
	v_cmp_gt_i32_e64 s1, 0, v1
	v_cndmask_b32_e64 v1, v1, v74, s1
	v_cmp_eq_u32_e64 s1, 0, v74
	s_delay_alu instid0(VALU_DEP_2)
	v_lshlrev_b32_e32 v1, 2, v1
	ds_bpermute_b32 v15, v1, v5
	ds_bpermute_b32 v16, v1, v2
	s_and_saveexec_b32 s8, vcc_lo
	s_cbranch_execz .LBB326_99
; %bb.62:
	v_mov_b32_e32 v4, 0
	ds_load_b64 v[1:2], v4 offset:24
	s_and_saveexec_b32 s9, s1
	s_cbranch_execz .LBB326_64
; %bb.63:
	s_add_i32 s10, s7, 32
	s_mov_b32 s11, 0
	s_delay_alu instid0(SALU_CYCLE_1) | instskip(NEXT) | instid1(SALU_CYCLE_1)
	s_lshl_b64 s[10:11], s[10:11], 4
	s_add_u32 s10, s14, s10
	s_addc_u32 s11, s15, s11
	v_mov_b32_e32 v5, s10
	v_dual_mov_b32 v3, 1 :: v_dual_mov_b32 v6, s11
	s_waitcnt lgkmcnt(0)
	;;#ASMSTART
	global_store_dwordx4 v[5:6], v[1:4] off	
s_waitcnt vmcnt(0)
	;;#ASMEND
.LBB326_64:
	s_or_b32 exec_lo, exec_lo, s9
	v_xad_u32 v11, v74, -1, s7
	s_mov_b32 s10, 0
	s_mov_b32 s9, exec_lo
	s_delay_alu instid0(VALU_DEP_1) | instskip(NEXT) | instid1(VALU_DEP_1)
	v_add_nc_u32_e32 v3, 32, v11
	v_lshlrev_b64 v[3:4], 4, v[3:4]
	s_delay_alu instid0(VALU_DEP_1) | instskip(NEXT) | instid1(VALU_DEP_2)
	v_add_co_u32 v3, vcc_lo, s14, v3
	v_add_co_ci_u32_e32 v4, vcc_lo, s15, v4, vcc_lo
	;;#ASMSTART
	global_load_dwordx4 v[5:8], v[3:4] off glc	
s_waitcnt vmcnt(0)
	;;#ASMEND
	v_and_b32_e32 v8, 0xff, v6
	v_and_b32_e32 v12, 0xff00, v6
	v_or3_b32 v5, v5, 0, 0
	v_and_b32_e32 v13, 0xff000000, v6
	v_and_b32_e32 v6, 0xff0000, v6
	s_delay_alu instid0(VALU_DEP_4) | instskip(SKIP_2) | instid1(VALU_DEP_3)
	v_or3_b32 v8, 0, v8, v12
	v_and_b32_e32 v12, 0xff, v7
	v_or3_b32 v5, v5, 0, 0
	v_or3_b32 v6, v8, v6, v13
	s_delay_alu instid0(VALU_DEP_3)
	v_cmpx_eq_u16_e32 0, v12
	s_cbranch_execz .LBB326_67
.LBB326_65:                             ; =>This Inner Loop Header: Depth=1
	;;#ASMSTART
	global_load_dwordx4 v[5:8], v[3:4] off glc	
s_waitcnt vmcnt(0)
	;;#ASMEND
	v_and_b32_e32 v8, 0xff, v7
	s_delay_alu instid0(VALU_DEP_1) | instskip(SKIP_1) | instid1(SALU_CYCLE_1)
	v_cmp_ne_u16_e32 vcc_lo, 0, v8
	s_or_b32 s10, vcc_lo, s10
	s_and_not1_b32 exec_lo, exec_lo, s10
	s_cbranch_execnz .LBB326_65
; %bb.66:
	s_or_b32 exec_lo, exec_lo, s10
.LBB326_67:
	s_delay_alu instid0(SALU_CYCLE_1)
	s_or_b32 exec_lo, exec_lo, s9
	v_cmp_ne_u32_e32 vcc_lo, 31, v74
	v_and_b32_e32 v4, 0xff, v7
	v_lshlrev_b32_e64 v18, v74, -1
	s_mov_b32 s9, exec_lo
	v_add_co_ci_u32_e32 v3, vcc_lo, 0, v74, vcc_lo
	s_delay_alu instid0(VALU_DEP_3) | instskip(NEXT) | instid1(VALU_DEP_2)
	v_cmp_eq_u16_e32 vcc_lo, 2, v4
	v_dual_mov_b32 v4, v5 :: v_dual_lshlrev_b32 v17, 2, v3
	v_and_or_b32 v3, vcc_lo, v18, 0x80000000
	ds_bpermute_b32 v12, v17, v5
	ds_bpermute_b32 v8, v17, v6
	v_ctz_i32_b32_e32 v3, v3
	s_delay_alu instid0(VALU_DEP_1)
	v_cmpx_lt_u32_e64 v74, v3
	s_cbranch_execz .LBB326_69
; %bb.68:
	s_waitcnt lgkmcnt(1)
	v_add_co_u32 v4, vcc_lo, v5, v12
	v_add_co_ci_u32_e32 v6, vcc_lo, 0, v6, vcc_lo
	s_delay_alu instid0(VALU_DEP_2) | instskip(SKIP_1) | instid1(VALU_DEP_2)
	v_add_co_u32 v5, vcc_lo, 0, v4
	s_waitcnt lgkmcnt(0)
	v_add_co_ci_u32_e32 v6, vcc_lo, v8, v6, vcc_lo
.LBB326_69:
	s_or_b32 exec_lo, exec_lo, s9
	v_cmp_gt_u32_e32 vcc_lo, 30, v74
	v_add_nc_u32_e32 v20, 2, v74
	s_mov_b32 s9, exec_lo
	s_waitcnt lgkmcnt(0)
	v_cndmask_b32_e64 v8, 0, 1, vcc_lo
	s_delay_alu instid0(VALU_DEP_1) | instskip(NEXT) | instid1(VALU_DEP_1)
	v_lshlrev_b32_e32 v8, 1, v8
	v_add_lshl_u32 v19, v8, v74, 2
	ds_bpermute_b32 v12, v19, v4
	ds_bpermute_b32 v8, v19, v6
	v_cmpx_le_u32_e64 v20, v3
	s_cbranch_execz .LBB326_71
; %bb.70:
	s_waitcnt lgkmcnt(1)
	v_add_co_u32 v4, vcc_lo, v5, v12
	v_add_co_ci_u32_e32 v6, vcc_lo, 0, v6, vcc_lo
	s_delay_alu instid0(VALU_DEP_2) | instskip(SKIP_1) | instid1(VALU_DEP_2)
	v_add_co_u32 v5, vcc_lo, 0, v4
	s_waitcnt lgkmcnt(0)
	v_add_co_ci_u32_e32 v6, vcc_lo, v8, v6, vcc_lo
.LBB326_71:
	s_or_b32 exec_lo, exec_lo, s9
	v_cmp_gt_u32_e32 vcc_lo, 28, v74
	v_add_nc_u32_e32 v22, 4, v74
	s_mov_b32 s9, exec_lo
	s_waitcnt lgkmcnt(0)
	v_cndmask_b32_e64 v8, 0, 1, vcc_lo
	s_delay_alu instid0(VALU_DEP_1) | instskip(NEXT) | instid1(VALU_DEP_1)
	v_lshlrev_b32_e32 v8, 2, v8
	v_add_lshl_u32 v21, v8, v74, 2
	ds_bpermute_b32 v12, v21, v4
	ds_bpermute_b32 v8, v21, v6
	v_cmpx_le_u32_e64 v22, v3
	;; [unrolled: 22-line block ×4, first 2 shown]
	s_cbranch_execz .LBB326_77
; %bb.76:
	s_waitcnt lgkmcnt(1)
	v_add_co_u32 v3, vcc_lo, v5, v8
	v_add_co_ci_u32_e32 v6, vcc_lo, 0, v6, vcc_lo
	s_delay_alu instid0(VALU_DEP_2) | instskip(SKIP_1) | instid1(VALU_DEP_2)
	v_add_co_u32 v5, vcc_lo, v3, 0
	s_waitcnt lgkmcnt(0)
	v_add_co_ci_u32_e32 v6, vcc_lo, v6, v4, vcc_lo
.LBB326_77:
	s_or_b32 exec_lo, exec_lo, s9
	v_mov_b32_e32 v12, 0
	s_branch .LBB326_79
.LBB326_78:                             ;   in Loop: Header=BB326_79 Depth=1
	s_or_b32 exec_lo, exec_lo, s9
	v_add_co_u32 v5, vcc_lo, v5, v3
	v_subrev_nc_u32_e32 v11, 32, v11
	v_add_co_ci_u32_e32 v6, vcc_lo, v6, v4, vcc_lo
.LBB326_79:                             ; =>This Loop Header: Depth=1
                                        ;     Child Loop BB326_82 Depth 2
	v_and_b32_e32 v3, 0xff, v7
	s_delay_alu instid0(VALU_DEP_1) | instskip(SKIP_2) | instid1(VALU_DEP_1)
	v_cmp_ne_u16_e32 vcc_lo, 2, v3
	v_cndmask_b32_e64 v3, 0, 1, vcc_lo
	;;#ASMSTART
	;;#ASMEND
	v_cmp_ne_u32_e32 vcc_lo, 0, v3
	s_waitcnt lgkmcnt(0)
	v_dual_mov_b32 v3, v5 :: v_dual_mov_b32 v4, v6
	s_cmp_lg_u32 vcc_lo, exec_lo
	s_cbranch_scc1 .LBB326_94
; %bb.80:                               ;   in Loop: Header=BB326_79 Depth=1
	v_lshlrev_b64 v[5:6], 4, v[11:12]
	s_mov_b32 s9, exec_lo
	s_delay_alu instid0(VALU_DEP_1) | instskip(NEXT) | instid1(VALU_DEP_2)
	v_add_co_u32 v13, vcc_lo, s14, v5
	v_add_co_ci_u32_e32 v14, vcc_lo, s15, v6, vcc_lo
	;;#ASMSTART
	global_load_dwordx4 v[5:8], v[13:14] off glc	
s_waitcnt vmcnt(0)
	;;#ASMEND
	v_and_b32_e32 v8, 0xff, v6
	v_and_b32_e32 v27, 0xff00, v6
	v_or3_b32 v5, v5, 0, 0
	v_and_b32_e32 v28, 0xff000000, v6
	v_and_b32_e32 v6, 0xff0000, v6
	s_delay_alu instid0(VALU_DEP_4) | instskip(SKIP_2) | instid1(VALU_DEP_3)
	v_or3_b32 v8, 0, v8, v27
	v_and_b32_e32 v27, 0xff, v7
	v_or3_b32 v5, v5, 0, 0
	v_or3_b32 v6, v8, v6, v28
	s_delay_alu instid0(VALU_DEP_3)
	v_cmpx_eq_u16_e32 0, v27
	s_cbranch_execz .LBB326_84
; %bb.81:                               ;   in Loop: Header=BB326_79 Depth=1
	s_mov_b32 s10, 0
.LBB326_82:                             ;   Parent Loop BB326_79 Depth=1
                                        ; =>  This Inner Loop Header: Depth=2
	;;#ASMSTART
	global_load_dwordx4 v[5:8], v[13:14] off glc	
s_waitcnt vmcnt(0)
	;;#ASMEND
	v_and_b32_e32 v8, 0xff, v7
	s_delay_alu instid0(VALU_DEP_1) | instskip(SKIP_1) | instid1(SALU_CYCLE_1)
	v_cmp_ne_u16_e32 vcc_lo, 0, v8
	s_or_b32 s10, vcc_lo, s10
	s_and_not1_b32 exec_lo, exec_lo, s10
	s_cbranch_execnz .LBB326_82
; %bb.83:                               ;   in Loop: Header=BB326_79 Depth=1
	s_or_b32 exec_lo, exec_lo, s10
.LBB326_84:                             ;   in Loop: Header=BB326_79 Depth=1
	s_delay_alu instid0(SALU_CYCLE_1)
	s_or_b32 exec_lo, exec_lo, s9
	v_dual_mov_b32 v13, v5 :: v_dual_and_b32 v8, 0xff, v7
	ds_bpermute_b32 v27, v17, v5
	ds_bpermute_b32 v14, v17, v6
	s_mov_b32 s9, exec_lo
	v_cmp_eq_u16_e32 vcc_lo, 2, v8
	v_and_or_b32 v8, vcc_lo, v18, 0x80000000
	s_delay_alu instid0(VALU_DEP_1) | instskip(NEXT) | instid1(VALU_DEP_1)
	v_ctz_i32_b32_e32 v8, v8
	v_cmpx_lt_u32_e64 v74, v8
	s_cbranch_execz .LBB326_86
; %bb.85:                               ;   in Loop: Header=BB326_79 Depth=1
	s_waitcnt lgkmcnt(1)
	v_add_co_u32 v13, vcc_lo, v5, v27
	v_add_co_ci_u32_e32 v6, vcc_lo, 0, v6, vcc_lo
	s_delay_alu instid0(VALU_DEP_2) | instskip(SKIP_1) | instid1(VALU_DEP_2)
	v_add_co_u32 v5, vcc_lo, 0, v13
	s_waitcnt lgkmcnt(0)
	v_add_co_ci_u32_e32 v6, vcc_lo, v14, v6, vcc_lo
.LBB326_86:                             ;   in Loop: Header=BB326_79 Depth=1
	s_or_b32 exec_lo, exec_lo, s9
	s_waitcnt lgkmcnt(1)
	ds_bpermute_b32 v27, v19, v13
	s_waitcnt lgkmcnt(1)
	ds_bpermute_b32 v14, v19, v6
	s_mov_b32 s9, exec_lo
	v_cmpx_le_u32_e64 v20, v8
	s_cbranch_execz .LBB326_88
; %bb.87:                               ;   in Loop: Header=BB326_79 Depth=1
	s_waitcnt lgkmcnt(1)
	v_add_co_u32 v13, vcc_lo, v5, v27
	v_add_co_ci_u32_e32 v6, vcc_lo, 0, v6, vcc_lo
	s_delay_alu instid0(VALU_DEP_2) | instskip(SKIP_1) | instid1(VALU_DEP_2)
	v_add_co_u32 v5, vcc_lo, 0, v13
	s_waitcnt lgkmcnt(0)
	v_add_co_ci_u32_e32 v6, vcc_lo, v14, v6, vcc_lo
.LBB326_88:                             ;   in Loop: Header=BB326_79 Depth=1
	s_or_b32 exec_lo, exec_lo, s9
	s_waitcnt lgkmcnt(1)
	ds_bpermute_b32 v27, v21, v13
	s_waitcnt lgkmcnt(1)
	ds_bpermute_b32 v14, v21, v6
	s_mov_b32 s9, exec_lo
	v_cmpx_le_u32_e64 v22, v8
	;; [unrolled: 17-line block ×3, first 2 shown]
	s_cbranch_execz .LBB326_92
; %bb.91:                               ;   in Loop: Header=BB326_79 Depth=1
	s_waitcnt lgkmcnt(1)
	v_add_co_u32 v13, vcc_lo, v5, v27
	v_add_co_ci_u32_e32 v6, vcc_lo, 0, v6, vcc_lo
	s_delay_alu instid0(VALU_DEP_2) | instskip(SKIP_1) | instid1(VALU_DEP_2)
	v_add_co_u32 v5, vcc_lo, 0, v13
	s_waitcnt lgkmcnt(0)
	v_add_co_ci_u32_e32 v6, vcc_lo, v14, v6, vcc_lo
.LBB326_92:                             ;   in Loop: Header=BB326_79 Depth=1
	s_or_b32 exec_lo, exec_lo, s9
	s_waitcnt lgkmcnt(0)
	ds_bpermute_b32 v14, v25, v13
	ds_bpermute_b32 v13, v25, v6
	s_mov_b32 s9, exec_lo
	v_cmpx_le_u32_e64 v26, v8
	s_cbranch_execz .LBB326_78
; %bb.93:                               ;   in Loop: Header=BB326_79 Depth=1
	s_waitcnt lgkmcnt(1)
	v_add_co_u32 v5, vcc_lo, v5, v14
	v_add_co_ci_u32_e32 v6, vcc_lo, 0, v6, vcc_lo
	s_delay_alu instid0(VALU_DEP_2) | instskip(SKIP_1) | instid1(VALU_DEP_2)
	v_add_co_u32 v5, vcc_lo, v5, 0
	s_waitcnt lgkmcnt(0)
	v_add_co_ci_u32_e32 v6, vcc_lo, v6, v13, vcc_lo
	s_branch .LBB326_78
.LBB326_94:                             ;   in Loop: Header=BB326_79 Depth=1
                                        ; implicit-def: $vgpr5_vgpr6
	s_cbranch_execz .LBB326_79
; %bb.95:
	s_and_saveexec_b32 s9, s1
	s_cbranch_execz .LBB326_97
; %bb.96:
	s_add_i32 s10, s7, 32
	s_mov_b32 s11, 0
	v_add_co_u32 v5, vcc_lo, v3, v1
	s_lshl_b64 s[10:11], s[10:11], 4
	v_dual_mov_b32 v7, 2 :: v_dual_mov_b32 v8, 0
	s_add_u32 s10, s14, s10
	s_addc_u32 s11, s15, s11
	v_add_co_ci_u32_e32 v6, vcc_lo, v4, v2, vcc_lo
	v_dual_mov_b32 v12, s11 :: v_dual_mov_b32 v11, s10
	;;#ASMSTART
	global_store_dwordx4 v[11:12], v[5:8] off	
s_waitcnt vmcnt(0)
	;;#ASMEND
	ds_store_b128 v8, v[1:4] offset:7168
.LBB326_97:
	s_or_b32 exec_lo, exec_lo, s9
	s_delay_alu instid0(SALU_CYCLE_1)
	s_and_b32 exec_lo, exec_lo, s2
	s_cbranch_execz .LBB326_99
; %bb.98:
	v_mov_b32_e32 v1, 0
	ds_store_b64 v1, v[3:4] offset:24
.LBB326_99:
	s_or_b32 exec_lo, exec_lo, s8
	v_mov_b32_e32 v21, 0
	s_waitcnt lgkmcnt(0)
	s_barrier
	buffer_gl0_inv
	v_cndmask_b32_e64 v3, v15, v9, s1
	ds_load_b64 v[1:2], v21 offset:24
	v_cndmask_b32_e64 v4, v16, v10, s1
	s_waitcnt lgkmcnt(0)
	s_barrier
	v_cndmask_b32_e64 v3, v3, 0, s2
	buffer_gl0_inv
	v_cndmask_b32_e64 v4, v4, 0, s2
	ds_load_b128 v[45:48], v21 offset:7168
	v_add_co_u32 v1, vcc_lo, v1, v3
	v_add_co_ci_u32_e32 v2, vcc_lo, v2, v4, vcc_lo
	s_delay_alu instid0(VALU_DEP_2) | instskip(NEXT) | instid1(VALU_DEP_2)
	v_add_co_u32 v3, vcc_lo, v1, v65
	v_add_co_ci_u32_e32 v4, vcc_lo, 0, v2, vcc_lo
	s_delay_alu instid0(VALU_DEP_2) | instskip(NEXT) | instid1(VALU_DEP_2)
	;; [unrolled: 3-line block ×13, first 2 shown]
	v_add_co_u32 v27, vcc_lo, v25, v64
	v_add_co_ci_u32_e32 v28, vcc_lo, 0, v26, vcc_lo
	s_branch .LBB326_124
.LBB326_100:
                                        ; implicit-def: $vgpr47_vgpr48
                                        ; implicit-def: $vgpr1_vgpr2_vgpr3_vgpr4_vgpr5_vgpr6_vgpr7_vgpr8_vgpr9_vgpr10_vgpr11_vgpr12_vgpr13_vgpr14_vgpr15_vgpr16_vgpr17_vgpr18_vgpr19_vgpr20_vgpr21_vgpr22_vgpr23_vgpr24_vgpr25_vgpr26_vgpr27_vgpr28_vgpr29_vgpr30_vgpr31_vgpr32
	s_and_b32 vcc_lo, exec_lo, s1
	s_cbranch_vccz .LBB326_124
; %bb.101:
	v_dual_mov_b32 v2, 0 :: v_dual_mov_b32 v3, v53
	v_mov_b32_dpp v4, v53 row_shr:1 row_mask:0xf bank_mask:0xf
	s_delay_alu instid0(VALU_DEP_2)
	v_mov_b32_dpp v1, v2 row_shr:1 row_mask:0xf bank_mask:0xf
	s_and_saveexec_b32 s1, s0
; %bb.102:
	s_delay_alu instid0(VALU_DEP_2) | instskip(SKIP_1) | instid1(VALU_DEP_2)
	v_add_co_u32 v3, vcc_lo, v53, v4
	v_add_co_ci_u32_e32 v2, vcc_lo, 0, v54, vcc_lo
	v_add_co_u32 v53, vcc_lo, 0, v3
	s_delay_alu instid0(VALU_DEP_2) | instskip(NEXT) | instid1(VALU_DEP_1)
	v_add_co_ci_u32_e32 v54, vcc_lo, v1, v2, vcc_lo
	v_mov_b32_e32 v2, v54
; %bb.103:
	s_or_b32 exec_lo, exec_lo, s1
	v_mov_b32_dpp v1, v3 row_shr:2 row_mask:0xf bank_mask:0xf
	s_delay_alu instid0(VALU_DEP_2)
	v_mov_b32_dpp v4, v2 row_shr:2 row_mask:0xf bank_mask:0xf
	s_mov_b32 s0, exec_lo
	v_cmpx_lt_u32_e32 1, v75
; %bb.104:
	s_delay_alu instid0(VALU_DEP_3) | instskip(SKIP_1) | instid1(VALU_DEP_2)
	v_add_co_u32 v3, vcc_lo, v53, v1
	v_add_co_ci_u32_e32 v2, vcc_lo, 0, v54, vcc_lo
	v_add_co_u32 v1, vcc_lo, 0, v3
	s_delay_alu instid0(VALU_DEP_2) | instskip(NEXT) | instid1(VALU_DEP_1)
	v_add_co_ci_u32_e32 v2, vcc_lo, v4, v2, vcc_lo
	v_dual_mov_b32 v54, v2 :: v_dual_mov_b32 v53, v1
; %bb.105:
	s_or_b32 exec_lo, exec_lo, s0
	v_mov_b32_dpp v1, v3 row_shr:4 row_mask:0xf bank_mask:0xf
	v_mov_b32_dpp v4, v2 row_shr:4 row_mask:0xf bank_mask:0xf
	s_mov_b32 s0, exec_lo
	v_cmpx_lt_u32_e32 3, v75
; %bb.106:
	s_delay_alu instid0(VALU_DEP_3) | instskip(SKIP_1) | instid1(VALU_DEP_2)
	v_add_co_u32 v3, vcc_lo, v53, v1
	v_add_co_ci_u32_e32 v2, vcc_lo, 0, v54, vcc_lo
	v_add_co_u32 v1, vcc_lo, 0, v3
	s_delay_alu instid0(VALU_DEP_2) | instskip(NEXT) | instid1(VALU_DEP_1)
	v_add_co_ci_u32_e32 v2, vcc_lo, v4, v2, vcc_lo
	v_dual_mov_b32 v54, v2 :: v_dual_mov_b32 v53, v1
; %bb.107:
	s_or_b32 exec_lo, exec_lo, s0
	v_mov_b32_dpp v4, v3 row_shr:8 row_mask:0xf bank_mask:0xf
	v_mov_b32_dpp v1, v2 row_shr:8 row_mask:0xf bank_mask:0xf
	s_mov_b32 s0, exec_lo
	v_cmpx_lt_u32_e32 7, v75
; %bb.108:
	s_delay_alu instid0(VALU_DEP_3) | instskip(SKIP_1) | instid1(VALU_DEP_2)
	v_add_co_u32 v3, vcc_lo, v53, v4
	v_add_co_ci_u32_e32 v2, vcc_lo, 0, v54, vcc_lo
	v_add_co_u32 v53, vcc_lo, 0, v3
	s_delay_alu instid0(VALU_DEP_2) | instskip(NEXT) | instid1(VALU_DEP_1)
	v_add_co_ci_u32_e32 v54, vcc_lo, v1, v2, vcc_lo
	v_mov_b32_e32 v2, v54
; %bb.109:
	s_or_b32 exec_lo, exec_lo, s0
	ds_swizzle_b32 v3, v3 offset:swizzle(BROADCAST,32,15)
	ds_swizzle_b32 v1, v2 offset:swizzle(BROADCAST,32,15)
	v_and_b32_e32 v2, 16, v74
	s_mov_b32 s0, exec_lo
	s_delay_alu instid0(VALU_DEP_1)
	v_cmpx_ne_u32_e32 0, v2
	s_cbranch_execz .LBB326_111
; %bb.110:
	s_waitcnt lgkmcnt(1)
	v_add_co_u32 v2, vcc_lo, v53, v3
	v_add_co_ci_u32_e32 v3, vcc_lo, 0, v54, vcc_lo
	s_delay_alu instid0(VALU_DEP_2) | instskip(SKIP_1) | instid1(VALU_DEP_2)
	v_add_co_u32 v53, vcc_lo, v2, 0
	s_waitcnt lgkmcnt(0)
	v_add_co_ci_u32_e32 v54, vcc_lo, v3, v1, vcc_lo
.LBB326_111:
	s_or_b32 exec_lo, exec_lo, s0
	s_waitcnt lgkmcnt(0)
	v_or_b32_e32 v1, 31, v0
	v_lshrrev_b32_e32 v3, 5, v0
	s_mov_b32 s0, exec_lo
	s_delay_alu instid0(VALU_DEP_2)
	v_cmpx_eq_u32_e64 v1, v0
	s_cbranch_execz .LBB326_113
; %bb.112:
	s_delay_alu instid0(VALU_DEP_2)
	v_lshlrev_b32_e32 v1, 3, v3
	ds_store_b64 v1, v[53:54]
.LBB326_113:
	s_or_b32 exec_lo, exec_lo, s0
	s_delay_alu instid0(SALU_CYCLE_1)
	s_mov_b32 s0, exec_lo
	s_waitcnt lgkmcnt(0)
	s_barrier
	buffer_gl0_inv
	v_cmpx_gt_u32_e32 4, v0
	s_cbranch_execz .LBB326_119
; %bb.114:
	v_mad_i32_i24 v1, 0xffffffd0, v0, v63
	s_mov_b32 s1, exec_lo
	ds_load_b64 v[1:2], v1
	s_waitcnt lgkmcnt(0)
	v_dual_mov_b32 v5, v1 :: v_dual_and_b32 v4, 3, v74
	v_mov_b32_dpp v7, v1 row_shr:1 row_mask:0xf bank_mask:0xf
	v_mov_b32_dpp v6, v2 row_shr:1 row_mask:0xf bank_mask:0xf
	s_delay_alu instid0(VALU_DEP_3)
	v_cmpx_ne_u32_e32 0, v4
; %bb.115:
	s_delay_alu instid0(VALU_DEP_3) | instskip(SKIP_1) | instid1(VALU_DEP_2)
	v_add_co_u32 v5, vcc_lo, v1, v7
	v_add_co_ci_u32_e32 v2, vcc_lo, 0, v2, vcc_lo
	v_add_co_u32 v1, vcc_lo, 0, v5
	s_delay_alu instid0(VALU_DEP_2)
	v_add_co_ci_u32_e32 v2, vcc_lo, v6, v2, vcc_lo
; %bb.116:
	s_or_b32 exec_lo, exec_lo, s1
	v_mul_i32_i24_e32 v6, 0xffffffd0, v0
	v_mov_b32_dpp v7, v5 row_shr:2 row_mask:0xf bank_mask:0xf
	s_delay_alu instid0(VALU_DEP_3)
	v_mov_b32_dpp v5, v2 row_shr:2 row_mask:0xf bank_mask:0xf
	s_mov_b32 s1, exec_lo
	v_cmpx_lt_u32_e32 1, v4
; %bb.117:
	s_delay_alu instid0(VALU_DEP_3) | instskip(SKIP_1) | instid1(VALU_DEP_2)
	v_add_co_u32 v1, vcc_lo, v1, v7
	v_add_co_ci_u32_e32 v2, vcc_lo, 0, v2, vcc_lo
	v_add_co_u32 v1, vcc_lo, v1, 0
	s_delay_alu instid0(VALU_DEP_2)
	v_add_co_ci_u32_e32 v2, vcc_lo, v2, v5, vcc_lo
; %bb.118:
	s_or_b32 exec_lo, exec_lo, s1
	v_add_nc_u32_e32 v4, v63, v6
	ds_store_b64 v4, v[1:2]
.LBB326_119:
	s_or_b32 exec_lo, exec_lo, s0
	v_mov_b32_e32 v1, 0
	v_mov_b32_e32 v2, 0
	s_mov_b32 s0, exec_lo
	s_waitcnt lgkmcnt(0)
	s_barrier
	buffer_gl0_inv
	v_cmpx_lt_u32_e32 31, v0
	s_cbranch_execz .LBB326_121
; %bb.120:
	v_lshl_add_u32 v1, v3, 3, -8
	ds_load_b64 v[1:2], v1
.LBB326_121:
	s_or_b32 exec_lo, exec_lo, s0
	v_dual_mov_b32 v48, 0 :: v_dual_add_nc_u32 v3, -1, v74
	s_delay_alu instid0(VALU_DEP_1) | instskip(SKIP_2) | instid1(VALU_DEP_1)
	v_cmp_gt_i32_e32 vcc_lo, 0, v3
	ds_load_b64 v[45:46], v48 offset:24
	v_cndmask_b32_e32 v3, v3, v74, vcc_lo
	v_lshlrev_b32_e32 v4, 2, v3
	s_waitcnt lgkmcnt(1)
	v_add_co_u32 v3, vcc_lo, v1, v53
	v_add_co_ci_u32_e32 v5, vcc_lo, v2, v54, vcc_lo
	ds_bpermute_b32 v3, v4, v3
	ds_bpermute_b32 v4, v4, v5
	s_and_saveexec_b32 s0, s2
	s_cbranch_execz .LBB326_123
; %bb.122:
	s_add_u32 s8, s14, 0x200
	s_addc_u32 s9, s15, 0
	v_mov_b32_e32 v5, s8
	v_dual_mov_b32 v47, 2 :: v_dual_mov_b32 v6, s9
	s_waitcnt lgkmcnt(2)
	;;#ASMSTART
	global_store_dwordx4 v[5:6], v[45:48] off	
s_waitcnt vmcnt(0)
	;;#ASMEND
.LBB326_123:
	s_or_b32 exec_lo, exec_lo, s0
	v_cmp_eq_u32_e32 vcc_lo, 0, v74
	v_mov_b32_e32 v47, 0
	v_mov_b32_e32 v48, 0
	s_waitcnt lgkmcnt(0)
	s_barrier
	v_dual_cndmask_b32 v1, v3, v1 :: v_dual_cndmask_b32 v2, v4, v2
	buffer_gl0_inv
	v_cndmask_b32_e64 v1, v1, 0, s2
	v_cndmask_b32_e64 v2, v2, 0, s2
	s_delay_alu instid0(VALU_DEP_2) | instskip(NEXT) | instid1(VALU_DEP_2)
	v_add_co_u32 v3, vcc_lo, v1, v65
	v_add_co_ci_u32_e32 v4, vcc_lo, 0, v2, vcc_lo
	s_delay_alu instid0(VALU_DEP_2) | instskip(NEXT) | instid1(VALU_DEP_2)
	v_add_co_u32 v5, vcc_lo, v3, v66
	v_add_co_ci_u32_e32 v6, vcc_lo, 0, v4, vcc_lo
	;; [unrolled: 3-line block ×13, first 2 shown]
.LBB326_124:
	s_waitcnt lgkmcnt(0)
	v_cmp_gt_u64_e32 vcc_lo, 0x81, v[45:46]
	v_lshrrev_b32_e32 v53, 16, v58
	v_lshrrev_b32_e32 v54, 8, v58
	v_lshrrev_b32_e32 v64, 8, v61
	v_lshrrev_b32_e32 v63, 16, v61
	v_lshrrev_b32_e32 v32, 8, v57
	v_lshrrev_b32_e32 v31, 16, v57
	s_mov_b32 s0, -1
	s_cbranch_vccnz .LBB326_128
; %bb.125:
	s_and_b32 vcc_lo, exec_lo, s0
	s_cbranch_vccnz .LBB326_171
.LBB326_126:
	s_and_b32 s0, s2, s3
	s_delay_alu instid0(SALU_CYCLE_1)
	s_and_saveexec_b32 s1, s0
	s_cbranch_execnz .LBB326_203
.LBB326_127:
	s_nop 0
	s_sendmsg sendmsg(MSG_DEALLOC_VGPRS)
	s_endpgm
.LBB326_128:
	v_add_co_u32 v29, vcc_lo, v47, v45
	v_add_co_ci_u32_e32 v30, vcc_lo, v48, v46, vcc_lo
	v_lshlrev_b64 v[65:66], 2, v[49:50]
	s_delay_alu instid0(VALU_DEP_2) | instskip(NEXT) | instid1(VALU_DEP_2)
	v_cmp_lt_u64_e32 vcc_lo, v[1:2], v[29:30]
	v_add_co_u32 v65, s0, s12, v65
	s_delay_alu instid0(VALU_DEP_1) | instskip(SKIP_1) | instid1(SALU_CYCLE_1)
	v_add_co_ci_u32_e64 v66, s0, s13, v66, s0
	s_or_b32 s1, s6, vcc_lo
	s_and_saveexec_b32 s0, s1
	s_cbranch_execz .LBB326_131
; %bb.129:
	v_and_b32_e32 v67, 1, v61
	s_delay_alu instid0(VALU_DEP_1)
	v_cmp_eq_u32_e32 vcc_lo, 1, v67
	s_and_b32 exec_lo, exec_lo, vcc_lo
	s_cbranch_execz .LBB326_131
; %bb.130:
	v_lshlrev_b64 v[67:68], 2, v[1:2]
	s_delay_alu instid0(VALU_DEP_1) | instskip(NEXT) | instid1(VALU_DEP_2)
	v_add_co_u32 v67, vcc_lo, v65, v67
	v_add_co_ci_u32_e32 v68, vcc_lo, v66, v68, vcc_lo
	global_store_b32 v[67:68], v41, off
.LBB326_131:
	s_or_b32 exec_lo, exec_lo, s0
	v_cmp_lt_u64_e32 vcc_lo, v[3:4], v[29:30]
	s_or_b32 s1, s6, vcc_lo
	s_delay_alu instid0(SALU_CYCLE_1)
	s_and_saveexec_b32 s0, s1
	s_cbranch_execz .LBB326_134
; %bb.132:
	v_and_b32_e32 v2, 1, v64
	s_delay_alu instid0(VALU_DEP_1)
	v_cmp_eq_u32_e32 vcc_lo, 1, v2
	s_and_b32 exec_lo, exec_lo, vcc_lo
	s_cbranch_execz .LBB326_134
; %bb.133:
	v_lshlrev_b64 v[67:68], 2, v[3:4]
	s_delay_alu instid0(VALU_DEP_1) | instskip(NEXT) | instid1(VALU_DEP_2)
	v_add_co_u32 v67, vcc_lo, v65, v67
	v_add_co_ci_u32_e32 v68, vcc_lo, v66, v68, vcc_lo
	global_store_b32 v[67:68], v42, off
.LBB326_134:
	s_or_b32 exec_lo, exec_lo, s0
	v_cmp_lt_u64_e32 vcc_lo, v[5:6], v[29:30]
	s_or_b32 s1, s6, vcc_lo
	s_delay_alu instid0(SALU_CYCLE_1)
	;; [unrolled: 19-line block ×13, first 2 shown]
	s_and_saveexec_b32 s0, s1
	s_cbranch_execz .LBB326_170
; %bb.168:
	v_and_b32_e32 v2, 1, v55
	s_delay_alu instid0(VALU_DEP_1)
	v_cmp_eq_u32_e32 vcc_lo, 1, v2
	s_and_b32 exec_lo, exec_lo, vcc_lo
	s_cbranch_execz .LBB326_170
; %bb.169:
	v_lshlrev_b64 v[28:29], 2, v[27:28]
	s_delay_alu instid0(VALU_DEP_1) | instskip(NEXT) | instid1(VALU_DEP_2)
	v_add_co_u32 v28, vcc_lo, v65, v28
	v_add_co_ci_u32_e32 v29, vcc_lo, v66, v29, vcc_lo
	global_store_b32 v[28:29], v52, off
.LBB326_170:
	s_or_b32 exec_lo, exec_lo, s0
	s_branch .LBB326_126
.LBB326_171:
	v_and_b32_e32 v2, 1, v61
	s_mov_b32 s0, exec_lo
	s_delay_alu instid0(VALU_DEP_1)
	v_cmpx_eq_u32_e32 1, v2
	s_cbranch_execz .LBB326_173
; %bb.172:
	v_sub_nc_u32_e32 v1, v1, v47
	s_delay_alu instid0(VALU_DEP_1)
	v_lshlrev_b32_e32 v1, 2, v1
	ds_store_b32 v1, v41
.LBB326_173:
	s_or_b32 exec_lo, exec_lo, s0
	v_and_b32_e32 v1, 1, v64
	s_mov_b32 s0, exec_lo
	s_delay_alu instid0(VALU_DEP_1)
	v_cmpx_eq_u32_e32 1, v1
	s_cbranch_execz .LBB326_175
; %bb.174:
	v_sub_nc_u32_e32 v1, v3, v47
	s_delay_alu instid0(VALU_DEP_1)
	v_lshlrev_b32_e32 v1, 2, v1
	ds_store_b32 v1, v42
.LBB326_175:
	s_or_b32 exec_lo, exec_lo, s0
	;; [unrolled: 12-line block ×14, first 2 shown]
	v_mov_b32_e32 v1, 0
	s_mov_b32 s1, exec_lo
	s_waitcnt lgkmcnt(0)
	s_waitcnt_vscnt null, 0x0
	s_barrier
	buffer_gl0_inv
	v_cmpx_gt_u64_e64 v[45:46], v[0:1]
	s_cbranch_execz .LBB326_202
; %bb.200:
	v_lshlrev_b64 v[2:3], 2, v[47:48]
	v_lshlrev_b64 v[4:5], 2, v[49:50]
	s_mov_b32 s6, 0
	s_delay_alu instid0(VALU_DEP_2) | instskip(NEXT) | instid1(VALU_DEP_3)
	v_add_co_u32 v6, vcc_lo, s12, v2
	v_add_co_ci_u32_e32 v7, vcc_lo, s13, v3, vcc_lo
	v_dual_mov_b32 v3, v1 :: v_dual_mov_b32 v2, v0
	s_delay_alu instid0(VALU_DEP_3) | instskip(NEXT) | instid1(VALU_DEP_3)
	v_add_co_u32 v4, vcc_lo, v6, v4
	v_add_co_ci_u32_e32 v5, vcc_lo, v7, v5, vcc_lo
	v_or_b32_e32 v0, 0x80, v0
	.p2align	6
.LBB326_201:                            ; =>This Inner Loop Header: Depth=1
	s_delay_alu instid0(VALU_DEP_4) | instskip(NEXT) | instid1(VALU_DEP_2)
	v_lshlrev_b32_e32 v6, 2, v2
	v_cmp_le_u64_e32 vcc_lo, v[45:46], v[0:1]
	ds_load_b32 v8, v6
	v_lshlrev_b64 v[6:7], 2, v[2:3]
	v_dual_mov_b32 v3, v1 :: v_dual_mov_b32 v2, v0
	v_add_nc_u32_e32 v0, 0x80, v0
	s_or_b32 s6, vcc_lo, s6
	s_delay_alu instid0(VALU_DEP_3) | instskip(NEXT) | instid1(VALU_DEP_1)
	v_add_co_u32 v6, s0, v4, v6
	v_add_co_ci_u32_e64 v7, s0, v5, v7, s0
	s_waitcnt lgkmcnt(0)
	global_store_b32 v[6:7], v8, off
	s_and_not1_b32 exec_lo, exec_lo, s6
	s_cbranch_execnz .LBB326_201
.LBB326_202:
	s_or_b32 exec_lo, exec_lo, s1
	s_and_b32 s0, s2, s3
	s_delay_alu instid0(SALU_CYCLE_1)
	s_and_saveexec_b32 s1, s0
	s_cbranch_execz .LBB326_127
.LBB326_203:
	v_add_co_u32 v0, vcc_lo, v47, v45
	v_add_co_ci_u32_e32 v1, vcc_lo, v48, v46, vcc_lo
	v_mov_b32_e32 v2, 0
	s_delay_alu instid0(VALU_DEP_3) | instskip(NEXT) | instid1(VALU_DEP_3)
	v_add_co_u32 v0, vcc_lo, v0, v49
	v_add_co_ci_u32_e32 v1, vcc_lo, v1, v50, vcc_lo
	global_store_b64 v2, v[0:1], s[4:5]
	s_nop 0
	s_sendmsg sendmsg(MSG_DEALLOC_VGPRS)
	s_endpgm
	.section	.rodata,"a",@progbits
	.p2align	6, 0x0
	.amdhsa_kernel _ZN7rocprim17ROCPRIM_400000_NS6detail17trampoline_kernelINS0_14default_configENS1_25partition_config_selectorILNS1_17partition_subalgoE6EjNS0_10empty_typeEbEEZZNS1_14partition_implILS5_6ELb0ES3_mN6thrust23THRUST_200600_302600_NS6detail15normal_iteratorINSA_10device_ptrIjEEEEPS6_SG_NS0_5tupleIJSF_S6_EEENSH_IJSG_SG_EEES6_PlJ7is_evenIjEEEE10hipError_tPvRmT3_T4_T5_T6_T7_T9_mT8_P12ihipStream_tbDpT10_ENKUlT_T0_E_clISt17integral_constantIbLb0EES15_IbLb1EEEEDaS11_S12_EUlS11_E_NS1_11comp_targetILNS1_3genE9ELNS1_11target_archE1100ELNS1_3gpuE3ELNS1_3repE0EEENS1_30default_config_static_selectorELNS0_4arch9wavefront6targetE0EEEvT1_
		.amdhsa_group_segment_fixed_size 7184
		.amdhsa_private_segment_fixed_size 0
		.amdhsa_kernarg_size 128
		.amdhsa_user_sgpr_count 15
		.amdhsa_user_sgpr_dispatch_ptr 0
		.amdhsa_user_sgpr_queue_ptr 0
		.amdhsa_user_sgpr_kernarg_segment_ptr 1
		.amdhsa_user_sgpr_dispatch_id 0
		.amdhsa_user_sgpr_private_segment_size 0
		.amdhsa_wavefront_size32 1
		.amdhsa_uses_dynamic_stack 0
		.amdhsa_enable_private_segment 0
		.amdhsa_system_sgpr_workgroup_id_x 1
		.amdhsa_system_sgpr_workgroup_id_y 0
		.amdhsa_system_sgpr_workgroup_id_z 0
		.amdhsa_system_sgpr_workgroup_info 0
		.amdhsa_system_vgpr_workitem_id 0
		.amdhsa_next_free_vgpr 76
		.amdhsa_next_free_sgpr 20
		.amdhsa_reserve_vcc 1
		.amdhsa_float_round_mode_32 0
		.amdhsa_float_round_mode_16_64 0
		.amdhsa_float_denorm_mode_32 3
		.amdhsa_float_denorm_mode_16_64 3
		.amdhsa_dx10_clamp 1
		.amdhsa_ieee_mode 1
		.amdhsa_fp16_overflow 0
		.amdhsa_workgroup_processor_mode 1
		.amdhsa_memory_ordered 1
		.amdhsa_forward_progress 0
		.amdhsa_shared_vgpr_count 0
		.amdhsa_exception_fp_ieee_invalid_op 0
		.amdhsa_exception_fp_denorm_src 0
		.amdhsa_exception_fp_ieee_div_zero 0
		.amdhsa_exception_fp_ieee_overflow 0
		.amdhsa_exception_fp_ieee_underflow 0
		.amdhsa_exception_fp_ieee_inexact 0
		.amdhsa_exception_int_div_zero 0
	.end_amdhsa_kernel
	.section	.text._ZN7rocprim17ROCPRIM_400000_NS6detail17trampoline_kernelINS0_14default_configENS1_25partition_config_selectorILNS1_17partition_subalgoE6EjNS0_10empty_typeEbEEZZNS1_14partition_implILS5_6ELb0ES3_mN6thrust23THRUST_200600_302600_NS6detail15normal_iteratorINSA_10device_ptrIjEEEEPS6_SG_NS0_5tupleIJSF_S6_EEENSH_IJSG_SG_EEES6_PlJ7is_evenIjEEEE10hipError_tPvRmT3_T4_T5_T6_T7_T9_mT8_P12ihipStream_tbDpT10_ENKUlT_T0_E_clISt17integral_constantIbLb0EES15_IbLb1EEEEDaS11_S12_EUlS11_E_NS1_11comp_targetILNS1_3genE9ELNS1_11target_archE1100ELNS1_3gpuE3ELNS1_3repE0EEENS1_30default_config_static_selectorELNS0_4arch9wavefront6targetE0EEEvT1_,"axG",@progbits,_ZN7rocprim17ROCPRIM_400000_NS6detail17trampoline_kernelINS0_14default_configENS1_25partition_config_selectorILNS1_17partition_subalgoE6EjNS0_10empty_typeEbEEZZNS1_14partition_implILS5_6ELb0ES3_mN6thrust23THRUST_200600_302600_NS6detail15normal_iteratorINSA_10device_ptrIjEEEEPS6_SG_NS0_5tupleIJSF_S6_EEENSH_IJSG_SG_EEES6_PlJ7is_evenIjEEEE10hipError_tPvRmT3_T4_T5_T6_T7_T9_mT8_P12ihipStream_tbDpT10_ENKUlT_T0_E_clISt17integral_constantIbLb0EES15_IbLb1EEEEDaS11_S12_EUlS11_E_NS1_11comp_targetILNS1_3genE9ELNS1_11target_archE1100ELNS1_3gpuE3ELNS1_3repE0EEENS1_30default_config_static_selectorELNS0_4arch9wavefront6targetE0EEEvT1_,comdat
.Lfunc_end326:
	.size	_ZN7rocprim17ROCPRIM_400000_NS6detail17trampoline_kernelINS0_14default_configENS1_25partition_config_selectorILNS1_17partition_subalgoE6EjNS0_10empty_typeEbEEZZNS1_14partition_implILS5_6ELb0ES3_mN6thrust23THRUST_200600_302600_NS6detail15normal_iteratorINSA_10device_ptrIjEEEEPS6_SG_NS0_5tupleIJSF_S6_EEENSH_IJSG_SG_EEES6_PlJ7is_evenIjEEEE10hipError_tPvRmT3_T4_T5_T6_T7_T9_mT8_P12ihipStream_tbDpT10_ENKUlT_T0_E_clISt17integral_constantIbLb0EES15_IbLb1EEEEDaS11_S12_EUlS11_E_NS1_11comp_targetILNS1_3genE9ELNS1_11target_archE1100ELNS1_3gpuE3ELNS1_3repE0EEENS1_30default_config_static_selectorELNS0_4arch9wavefront6targetE0EEEvT1_, .Lfunc_end326-_ZN7rocprim17ROCPRIM_400000_NS6detail17trampoline_kernelINS0_14default_configENS1_25partition_config_selectorILNS1_17partition_subalgoE6EjNS0_10empty_typeEbEEZZNS1_14partition_implILS5_6ELb0ES3_mN6thrust23THRUST_200600_302600_NS6detail15normal_iteratorINSA_10device_ptrIjEEEEPS6_SG_NS0_5tupleIJSF_S6_EEENSH_IJSG_SG_EEES6_PlJ7is_evenIjEEEE10hipError_tPvRmT3_T4_T5_T6_T7_T9_mT8_P12ihipStream_tbDpT10_ENKUlT_T0_E_clISt17integral_constantIbLb0EES15_IbLb1EEEEDaS11_S12_EUlS11_E_NS1_11comp_targetILNS1_3genE9ELNS1_11target_archE1100ELNS1_3gpuE3ELNS1_3repE0EEENS1_30default_config_static_selectorELNS0_4arch9wavefront6targetE0EEEvT1_
                                        ; -- End function
	.section	.AMDGPU.csdata,"",@progbits
; Kernel info:
; codeLenInByte = 8584
; NumSgprs: 22
; NumVgprs: 76
; ScratchSize: 0
; MemoryBound: 0
; FloatMode: 240
; IeeeMode: 1
; LDSByteSize: 7184 bytes/workgroup (compile time only)
; SGPRBlocks: 2
; VGPRBlocks: 9
; NumSGPRsForWavesPerEU: 22
; NumVGPRsForWavesPerEU: 76
; Occupancy: 16
; WaveLimiterHint : 1
; COMPUTE_PGM_RSRC2:SCRATCH_EN: 0
; COMPUTE_PGM_RSRC2:USER_SGPR: 15
; COMPUTE_PGM_RSRC2:TRAP_HANDLER: 0
; COMPUTE_PGM_RSRC2:TGID_X_EN: 1
; COMPUTE_PGM_RSRC2:TGID_Y_EN: 0
; COMPUTE_PGM_RSRC2:TGID_Z_EN: 0
; COMPUTE_PGM_RSRC2:TIDIG_COMP_CNT: 0
	.section	.text._ZN7rocprim17ROCPRIM_400000_NS6detail17trampoline_kernelINS0_14default_configENS1_25partition_config_selectorILNS1_17partition_subalgoE6EjNS0_10empty_typeEbEEZZNS1_14partition_implILS5_6ELb0ES3_mN6thrust23THRUST_200600_302600_NS6detail15normal_iteratorINSA_10device_ptrIjEEEEPS6_SG_NS0_5tupleIJSF_S6_EEENSH_IJSG_SG_EEES6_PlJ7is_evenIjEEEE10hipError_tPvRmT3_T4_T5_T6_T7_T9_mT8_P12ihipStream_tbDpT10_ENKUlT_T0_E_clISt17integral_constantIbLb0EES15_IbLb1EEEEDaS11_S12_EUlS11_E_NS1_11comp_targetILNS1_3genE8ELNS1_11target_archE1030ELNS1_3gpuE2ELNS1_3repE0EEENS1_30default_config_static_selectorELNS0_4arch9wavefront6targetE0EEEvT1_,"axG",@progbits,_ZN7rocprim17ROCPRIM_400000_NS6detail17trampoline_kernelINS0_14default_configENS1_25partition_config_selectorILNS1_17partition_subalgoE6EjNS0_10empty_typeEbEEZZNS1_14partition_implILS5_6ELb0ES3_mN6thrust23THRUST_200600_302600_NS6detail15normal_iteratorINSA_10device_ptrIjEEEEPS6_SG_NS0_5tupleIJSF_S6_EEENSH_IJSG_SG_EEES6_PlJ7is_evenIjEEEE10hipError_tPvRmT3_T4_T5_T6_T7_T9_mT8_P12ihipStream_tbDpT10_ENKUlT_T0_E_clISt17integral_constantIbLb0EES15_IbLb1EEEEDaS11_S12_EUlS11_E_NS1_11comp_targetILNS1_3genE8ELNS1_11target_archE1030ELNS1_3gpuE2ELNS1_3repE0EEENS1_30default_config_static_selectorELNS0_4arch9wavefront6targetE0EEEvT1_,comdat
	.protected	_ZN7rocprim17ROCPRIM_400000_NS6detail17trampoline_kernelINS0_14default_configENS1_25partition_config_selectorILNS1_17partition_subalgoE6EjNS0_10empty_typeEbEEZZNS1_14partition_implILS5_6ELb0ES3_mN6thrust23THRUST_200600_302600_NS6detail15normal_iteratorINSA_10device_ptrIjEEEEPS6_SG_NS0_5tupleIJSF_S6_EEENSH_IJSG_SG_EEES6_PlJ7is_evenIjEEEE10hipError_tPvRmT3_T4_T5_T6_T7_T9_mT8_P12ihipStream_tbDpT10_ENKUlT_T0_E_clISt17integral_constantIbLb0EES15_IbLb1EEEEDaS11_S12_EUlS11_E_NS1_11comp_targetILNS1_3genE8ELNS1_11target_archE1030ELNS1_3gpuE2ELNS1_3repE0EEENS1_30default_config_static_selectorELNS0_4arch9wavefront6targetE0EEEvT1_ ; -- Begin function _ZN7rocprim17ROCPRIM_400000_NS6detail17trampoline_kernelINS0_14default_configENS1_25partition_config_selectorILNS1_17partition_subalgoE6EjNS0_10empty_typeEbEEZZNS1_14partition_implILS5_6ELb0ES3_mN6thrust23THRUST_200600_302600_NS6detail15normal_iteratorINSA_10device_ptrIjEEEEPS6_SG_NS0_5tupleIJSF_S6_EEENSH_IJSG_SG_EEES6_PlJ7is_evenIjEEEE10hipError_tPvRmT3_T4_T5_T6_T7_T9_mT8_P12ihipStream_tbDpT10_ENKUlT_T0_E_clISt17integral_constantIbLb0EES15_IbLb1EEEEDaS11_S12_EUlS11_E_NS1_11comp_targetILNS1_3genE8ELNS1_11target_archE1030ELNS1_3gpuE2ELNS1_3repE0EEENS1_30default_config_static_selectorELNS0_4arch9wavefront6targetE0EEEvT1_
	.globl	_ZN7rocprim17ROCPRIM_400000_NS6detail17trampoline_kernelINS0_14default_configENS1_25partition_config_selectorILNS1_17partition_subalgoE6EjNS0_10empty_typeEbEEZZNS1_14partition_implILS5_6ELb0ES3_mN6thrust23THRUST_200600_302600_NS6detail15normal_iteratorINSA_10device_ptrIjEEEEPS6_SG_NS0_5tupleIJSF_S6_EEENSH_IJSG_SG_EEES6_PlJ7is_evenIjEEEE10hipError_tPvRmT3_T4_T5_T6_T7_T9_mT8_P12ihipStream_tbDpT10_ENKUlT_T0_E_clISt17integral_constantIbLb0EES15_IbLb1EEEEDaS11_S12_EUlS11_E_NS1_11comp_targetILNS1_3genE8ELNS1_11target_archE1030ELNS1_3gpuE2ELNS1_3repE0EEENS1_30default_config_static_selectorELNS0_4arch9wavefront6targetE0EEEvT1_
	.p2align	8
	.type	_ZN7rocprim17ROCPRIM_400000_NS6detail17trampoline_kernelINS0_14default_configENS1_25partition_config_selectorILNS1_17partition_subalgoE6EjNS0_10empty_typeEbEEZZNS1_14partition_implILS5_6ELb0ES3_mN6thrust23THRUST_200600_302600_NS6detail15normal_iteratorINSA_10device_ptrIjEEEEPS6_SG_NS0_5tupleIJSF_S6_EEENSH_IJSG_SG_EEES6_PlJ7is_evenIjEEEE10hipError_tPvRmT3_T4_T5_T6_T7_T9_mT8_P12ihipStream_tbDpT10_ENKUlT_T0_E_clISt17integral_constantIbLb0EES15_IbLb1EEEEDaS11_S12_EUlS11_E_NS1_11comp_targetILNS1_3genE8ELNS1_11target_archE1030ELNS1_3gpuE2ELNS1_3repE0EEENS1_30default_config_static_selectorELNS0_4arch9wavefront6targetE0EEEvT1_,@function
_ZN7rocprim17ROCPRIM_400000_NS6detail17trampoline_kernelINS0_14default_configENS1_25partition_config_selectorILNS1_17partition_subalgoE6EjNS0_10empty_typeEbEEZZNS1_14partition_implILS5_6ELb0ES3_mN6thrust23THRUST_200600_302600_NS6detail15normal_iteratorINSA_10device_ptrIjEEEEPS6_SG_NS0_5tupleIJSF_S6_EEENSH_IJSG_SG_EEES6_PlJ7is_evenIjEEEE10hipError_tPvRmT3_T4_T5_T6_T7_T9_mT8_P12ihipStream_tbDpT10_ENKUlT_T0_E_clISt17integral_constantIbLb0EES15_IbLb1EEEEDaS11_S12_EUlS11_E_NS1_11comp_targetILNS1_3genE8ELNS1_11target_archE1030ELNS1_3gpuE2ELNS1_3repE0EEENS1_30default_config_static_selectorELNS0_4arch9wavefront6targetE0EEEvT1_: ; @_ZN7rocprim17ROCPRIM_400000_NS6detail17trampoline_kernelINS0_14default_configENS1_25partition_config_selectorILNS1_17partition_subalgoE6EjNS0_10empty_typeEbEEZZNS1_14partition_implILS5_6ELb0ES3_mN6thrust23THRUST_200600_302600_NS6detail15normal_iteratorINSA_10device_ptrIjEEEEPS6_SG_NS0_5tupleIJSF_S6_EEENSH_IJSG_SG_EEES6_PlJ7is_evenIjEEEE10hipError_tPvRmT3_T4_T5_T6_T7_T9_mT8_P12ihipStream_tbDpT10_ENKUlT_T0_E_clISt17integral_constantIbLb0EES15_IbLb1EEEEDaS11_S12_EUlS11_E_NS1_11comp_targetILNS1_3genE8ELNS1_11target_archE1030ELNS1_3gpuE2ELNS1_3repE0EEENS1_30default_config_static_selectorELNS0_4arch9wavefront6targetE0EEEvT1_
; %bb.0:
	.section	.rodata,"a",@progbits
	.p2align	6, 0x0
	.amdhsa_kernel _ZN7rocprim17ROCPRIM_400000_NS6detail17trampoline_kernelINS0_14default_configENS1_25partition_config_selectorILNS1_17partition_subalgoE6EjNS0_10empty_typeEbEEZZNS1_14partition_implILS5_6ELb0ES3_mN6thrust23THRUST_200600_302600_NS6detail15normal_iteratorINSA_10device_ptrIjEEEEPS6_SG_NS0_5tupleIJSF_S6_EEENSH_IJSG_SG_EEES6_PlJ7is_evenIjEEEE10hipError_tPvRmT3_T4_T5_T6_T7_T9_mT8_P12ihipStream_tbDpT10_ENKUlT_T0_E_clISt17integral_constantIbLb0EES15_IbLb1EEEEDaS11_S12_EUlS11_E_NS1_11comp_targetILNS1_3genE8ELNS1_11target_archE1030ELNS1_3gpuE2ELNS1_3repE0EEENS1_30default_config_static_selectorELNS0_4arch9wavefront6targetE0EEEvT1_
		.amdhsa_group_segment_fixed_size 0
		.amdhsa_private_segment_fixed_size 0
		.amdhsa_kernarg_size 128
		.amdhsa_user_sgpr_count 15
		.amdhsa_user_sgpr_dispatch_ptr 0
		.amdhsa_user_sgpr_queue_ptr 0
		.amdhsa_user_sgpr_kernarg_segment_ptr 1
		.amdhsa_user_sgpr_dispatch_id 0
		.amdhsa_user_sgpr_private_segment_size 0
		.amdhsa_wavefront_size32 1
		.amdhsa_uses_dynamic_stack 0
		.amdhsa_enable_private_segment 0
		.amdhsa_system_sgpr_workgroup_id_x 1
		.amdhsa_system_sgpr_workgroup_id_y 0
		.amdhsa_system_sgpr_workgroup_id_z 0
		.amdhsa_system_sgpr_workgroup_info 0
		.amdhsa_system_vgpr_workitem_id 0
		.amdhsa_next_free_vgpr 1
		.amdhsa_next_free_sgpr 1
		.amdhsa_reserve_vcc 0
		.amdhsa_float_round_mode_32 0
		.amdhsa_float_round_mode_16_64 0
		.amdhsa_float_denorm_mode_32 3
		.amdhsa_float_denorm_mode_16_64 3
		.amdhsa_dx10_clamp 1
		.amdhsa_ieee_mode 1
		.amdhsa_fp16_overflow 0
		.amdhsa_workgroup_processor_mode 1
		.amdhsa_memory_ordered 1
		.amdhsa_forward_progress 0
		.amdhsa_shared_vgpr_count 0
		.amdhsa_exception_fp_ieee_invalid_op 0
		.amdhsa_exception_fp_denorm_src 0
		.amdhsa_exception_fp_ieee_div_zero 0
		.amdhsa_exception_fp_ieee_overflow 0
		.amdhsa_exception_fp_ieee_underflow 0
		.amdhsa_exception_fp_ieee_inexact 0
		.amdhsa_exception_int_div_zero 0
	.end_amdhsa_kernel
	.section	.text._ZN7rocprim17ROCPRIM_400000_NS6detail17trampoline_kernelINS0_14default_configENS1_25partition_config_selectorILNS1_17partition_subalgoE6EjNS0_10empty_typeEbEEZZNS1_14partition_implILS5_6ELb0ES3_mN6thrust23THRUST_200600_302600_NS6detail15normal_iteratorINSA_10device_ptrIjEEEEPS6_SG_NS0_5tupleIJSF_S6_EEENSH_IJSG_SG_EEES6_PlJ7is_evenIjEEEE10hipError_tPvRmT3_T4_T5_T6_T7_T9_mT8_P12ihipStream_tbDpT10_ENKUlT_T0_E_clISt17integral_constantIbLb0EES15_IbLb1EEEEDaS11_S12_EUlS11_E_NS1_11comp_targetILNS1_3genE8ELNS1_11target_archE1030ELNS1_3gpuE2ELNS1_3repE0EEENS1_30default_config_static_selectorELNS0_4arch9wavefront6targetE0EEEvT1_,"axG",@progbits,_ZN7rocprim17ROCPRIM_400000_NS6detail17trampoline_kernelINS0_14default_configENS1_25partition_config_selectorILNS1_17partition_subalgoE6EjNS0_10empty_typeEbEEZZNS1_14partition_implILS5_6ELb0ES3_mN6thrust23THRUST_200600_302600_NS6detail15normal_iteratorINSA_10device_ptrIjEEEEPS6_SG_NS0_5tupleIJSF_S6_EEENSH_IJSG_SG_EEES6_PlJ7is_evenIjEEEE10hipError_tPvRmT3_T4_T5_T6_T7_T9_mT8_P12ihipStream_tbDpT10_ENKUlT_T0_E_clISt17integral_constantIbLb0EES15_IbLb1EEEEDaS11_S12_EUlS11_E_NS1_11comp_targetILNS1_3genE8ELNS1_11target_archE1030ELNS1_3gpuE2ELNS1_3repE0EEENS1_30default_config_static_selectorELNS0_4arch9wavefront6targetE0EEEvT1_,comdat
.Lfunc_end327:
	.size	_ZN7rocprim17ROCPRIM_400000_NS6detail17trampoline_kernelINS0_14default_configENS1_25partition_config_selectorILNS1_17partition_subalgoE6EjNS0_10empty_typeEbEEZZNS1_14partition_implILS5_6ELb0ES3_mN6thrust23THRUST_200600_302600_NS6detail15normal_iteratorINSA_10device_ptrIjEEEEPS6_SG_NS0_5tupleIJSF_S6_EEENSH_IJSG_SG_EEES6_PlJ7is_evenIjEEEE10hipError_tPvRmT3_T4_T5_T6_T7_T9_mT8_P12ihipStream_tbDpT10_ENKUlT_T0_E_clISt17integral_constantIbLb0EES15_IbLb1EEEEDaS11_S12_EUlS11_E_NS1_11comp_targetILNS1_3genE8ELNS1_11target_archE1030ELNS1_3gpuE2ELNS1_3repE0EEENS1_30default_config_static_selectorELNS0_4arch9wavefront6targetE0EEEvT1_, .Lfunc_end327-_ZN7rocprim17ROCPRIM_400000_NS6detail17trampoline_kernelINS0_14default_configENS1_25partition_config_selectorILNS1_17partition_subalgoE6EjNS0_10empty_typeEbEEZZNS1_14partition_implILS5_6ELb0ES3_mN6thrust23THRUST_200600_302600_NS6detail15normal_iteratorINSA_10device_ptrIjEEEEPS6_SG_NS0_5tupleIJSF_S6_EEENSH_IJSG_SG_EEES6_PlJ7is_evenIjEEEE10hipError_tPvRmT3_T4_T5_T6_T7_T9_mT8_P12ihipStream_tbDpT10_ENKUlT_T0_E_clISt17integral_constantIbLb0EES15_IbLb1EEEEDaS11_S12_EUlS11_E_NS1_11comp_targetILNS1_3genE8ELNS1_11target_archE1030ELNS1_3gpuE2ELNS1_3repE0EEENS1_30default_config_static_selectorELNS0_4arch9wavefront6targetE0EEEvT1_
                                        ; -- End function
	.section	.AMDGPU.csdata,"",@progbits
; Kernel info:
; codeLenInByte = 0
; NumSgprs: 0
; NumVgprs: 0
; ScratchSize: 0
; MemoryBound: 0
; FloatMode: 240
; IeeeMode: 1
; LDSByteSize: 0 bytes/workgroup (compile time only)
; SGPRBlocks: 0
; VGPRBlocks: 0
; NumSGPRsForWavesPerEU: 1
; NumVGPRsForWavesPerEU: 1
; Occupancy: 16
; WaveLimiterHint : 0
; COMPUTE_PGM_RSRC2:SCRATCH_EN: 0
; COMPUTE_PGM_RSRC2:USER_SGPR: 15
; COMPUTE_PGM_RSRC2:TRAP_HANDLER: 0
; COMPUTE_PGM_RSRC2:TGID_X_EN: 1
; COMPUTE_PGM_RSRC2:TGID_Y_EN: 0
; COMPUTE_PGM_RSRC2:TGID_Z_EN: 0
; COMPUTE_PGM_RSRC2:TIDIG_COMP_CNT: 0
	.section	.text._ZN7rocprim17ROCPRIM_400000_NS6detail17trampoline_kernelINS0_14default_configENS1_25partition_config_selectorILNS1_17partition_subalgoE6EtNS0_10empty_typeEbEEZZNS1_14partition_implILS5_6ELb0ES3_mN6thrust23THRUST_200600_302600_NS6detail15normal_iteratorINSA_10device_ptrItEEEEPS6_SG_NS0_5tupleIJSF_S6_EEENSH_IJSG_SG_EEES6_PlJ7is_evenItEEEE10hipError_tPvRmT3_T4_T5_T6_T7_T9_mT8_P12ihipStream_tbDpT10_ENKUlT_T0_E_clISt17integral_constantIbLb0EES16_EEDaS11_S12_EUlS11_E_NS1_11comp_targetILNS1_3genE0ELNS1_11target_archE4294967295ELNS1_3gpuE0ELNS1_3repE0EEENS1_30default_config_static_selectorELNS0_4arch9wavefront6targetE0EEEvT1_,"axG",@progbits,_ZN7rocprim17ROCPRIM_400000_NS6detail17trampoline_kernelINS0_14default_configENS1_25partition_config_selectorILNS1_17partition_subalgoE6EtNS0_10empty_typeEbEEZZNS1_14partition_implILS5_6ELb0ES3_mN6thrust23THRUST_200600_302600_NS6detail15normal_iteratorINSA_10device_ptrItEEEEPS6_SG_NS0_5tupleIJSF_S6_EEENSH_IJSG_SG_EEES6_PlJ7is_evenItEEEE10hipError_tPvRmT3_T4_T5_T6_T7_T9_mT8_P12ihipStream_tbDpT10_ENKUlT_T0_E_clISt17integral_constantIbLb0EES16_EEDaS11_S12_EUlS11_E_NS1_11comp_targetILNS1_3genE0ELNS1_11target_archE4294967295ELNS1_3gpuE0ELNS1_3repE0EEENS1_30default_config_static_selectorELNS0_4arch9wavefront6targetE0EEEvT1_,comdat
	.protected	_ZN7rocprim17ROCPRIM_400000_NS6detail17trampoline_kernelINS0_14default_configENS1_25partition_config_selectorILNS1_17partition_subalgoE6EtNS0_10empty_typeEbEEZZNS1_14partition_implILS5_6ELb0ES3_mN6thrust23THRUST_200600_302600_NS6detail15normal_iteratorINSA_10device_ptrItEEEEPS6_SG_NS0_5tupleIJSF_S6_EEENSH_IJSG_SG_EEES6_PlJ7is_evenItEEEE10hipError_tPvRmT3_T4_T5_T6_T7_T9_mT8_P12ihipStream_tbDpT10_ENKUlT_T0_E_clISt17integral_constantIbLb0EES16_EEDaS11_S12_EUlS11_E_NS1_11comp_targetILNS1_3genE0ELNS1_11target_archE4294967295ELNS1_3gpuE0ELNS1_3repE0EEENS1_30default_config_static_selectorELNS0_4arch9wavefront6targetE0EEEvT1_ ; -- Begin function _ZN7rocprim17ROCPRIM_400000_NS6detail17trampoline_kernelINS0_14default_configENS1_25partition_config_selectorILNS1_17partition_subalgoE6EtNS0_10empty_typeEbEEZZNS1_14partition_implILS5_6ELb0ES3_mN6thrust23THRUST_200600_302600_NS6detail15normal_iteratorINSA_10device_ptrItEEEEPS6_SG_NS0_5tupleIJSF_S6_EEENSH_IJSG_SG_EEES6_PlJ7is_evenItEEEE10hipError_tPvRmT3_T4_T5_T6_T7_T9_mT8_P12ihipStream_tbDpT10_ENKUlT_T0_E_clISt17integral_constantIbLb0EES16_EEDaS11_S12_EUlS11_E_NS1_11comp_targetILNS1_3genE0ELNS1_11target_archE4294967295ELNS1_3gpuE0ELNS1_3repE0EEENS1_30default_config_static_selectorELNS0_4arch9wavefront6targetE0EEEvT1_
	.globl	_ZN7rocprim17ROCPRIM_400000_NS6detail17trampoline_kernelINS0_14default_configENS1_25partition_config_selectorILNS1_17partition_subalgoE6EtNS0_10empty_typeEbEEZZNS1_14partition_implILS5_6ELb0ES3_mN6thrust23THRUST_200600_302600_NS6detail15normal_iteratorINSA_10device_ptrItEEEEPS6_SG_NS0_5tupleIJSF_S6_EEENSH_IJSG_SG_EEES6_PlJ7is_evenItEEEE10hipError_tPvRmT3_T4_T5_T6_T7_T9_mT8_P12ihipStream_tbDpT10_ENKUlT_T0_E_clISt17integral_constantIbLb0EES16_EEDaS11_S12_EUlS11_E_NS1_11comp_targetILNS1_3genE0ELNS1_11target_archE4294967295ELNS1_3gpuE0ELNS1_3repE0EEENS1_30default_config_static_selectorELNS0_4arch9wavefront6targetE0EEEvT1_
	.p2align	8
	.type	_ZN7rocprim17ROCPRIM_400000_NS6detail17trampoline_kernelINS0_14default_configENS1_25partition_config_selectorILNS1_17partition_subalgoE6EtNS0_10empty_typeEbEEZZNS1_14partition_implILS5_6ELb0ES3_mN6thrust23THRUST_200600_302600_NS6detail15normal_iteratorINSA_10device_ptrItEEEEPS6_SG_NS0_5tupleIJSF_S6_EEENSH_IJSG_SG_EEES6_PlJ7is_evenItEEEE10hipError_tPvRmT3_T4_T5_T6_T7_T9_mT8_P12ihipStream_tbDpT10_ENKUlT_T0_E_clISt17integral_constantIbLb0EES16_EEDaS11_S12_EUlS11_E_NS1_11comp_targetILNS1_3genE0ELNS1_11target_archE4294967295ELNS1_3gpuE0ELNS1_3repE0EEENS1_30default_config_static_selectorELNS0_4arch9wavefront6targetE0EEEvT1_,@function
_ZN7rocprim17ROCPRIM_400000_NS6detail17trampoline_kernelINS0_14default_configENS1_25partition_config_selectorILNS1_17partition_subalgoE6EtNS0_10empty_typeEbEEZZNS1_14partition_implILS5_6ELb0ES3_mN6thrust23THRUST_200600_302600_NS6detail15normal_iteratorINSA_10device_ptrItEEEEPS6_SG_NS0_5tupleIJSF_S6_EEENSH_IJSG_SG_EEES6_PlJ7is_evenItEEEE10hipError_tPvRmT3_T4_T5_T6_T7_T9_mT8_P12ihipStream_tbDpT10_ENKUlT_T0_E_clISt17integral_constantIbLb0EES16_EEDaS11_S12_EUlS11_E_NS1_11comp_targetILNS1_3genE0ELNS1_11target_archE4294967295ELNS1_3gpuE0ELNS1_3repE0EEENS1_30default_config_static_selectorELNS0_4arch9wavefront6targetE0EEEvT1_: ; @_ZN7rocprim17ROCPRIM_400000_NS6detail17trampoline_kernelINS0_14default_configENS1_25partition_config_selectorILNS1_17partition_subalgoE6EtNS0_10empty_typeEbEEZZNS1_14partition_implILS5_6ELb0ES3_mN6thrust23THRUST_200600_302600_NS6detail15normal_iteratorINSA_10device_ptrItEEEEPS6_SG_NS0_5tupleIJSF_S6_EEENSH_IJSG_SG_EEES6_PlJ7is_evenItEEEE10hipError_tPvRmT3_T4_T5_T6_T7_T9_mT8_P12ihipStream_tbDpT10_ENKUlT_T0_E_clISt17integral_constantIbLb0EES16_EEDaS11_S12_EUlS11_E_NS1_11comp_targetILNS1_3genE0ELNS1_11target_archE4294967295ELNS1_3gpuE0ELNS1_3repE0EEENS1_30default_config_static_selectorELNS0_4arch9wavefront6targetE0EEEvT1_
; %bb.0:
	.section	.rodata,"a",@progbits
	.p2align	6, 0x0
	.amdhsa_kernel _ZN7rocprim17ROCPRIM_400000_NS6detail17trampoline_kernelINS0_14default_configENS1_25partition_config_selectorILNS1_17partition_subalgoE6EtNS0_10empty_typeEbEEZZNS1_14partition_implILS5_6ELb0ES3_mN6thrust23THRUST_200600_302600_NS6detail15normal_iteratorINSA_10device_ptrItEEEEPS6_SG_NS0_5tupleIJSF_S6_EEENSH_IJSG_SG_EEES6_PlJ7is_evenItEEEE10hipError_tPvRmT3_T4_T5_T6_T7_T9_mT8_P12ihipStream_tbDpT10_ENKUlT_T0_E_clISt17integral_constantIbLb0EES16_EEDaS11_S12_EUlS11_E_NS1_11comp_targetILNS1_3genE0ELNS1_11target_archE4294967295ELNS1_3gpuE0ELNS1_3repE0EEENS1_30default_config_static_selectorELNS0_4arch9wavefront6targetE0EEEvT1_
		.amdhsa_group_segment_fixed_size 0
		.amdhsa_private_segment_fixed_size 0
		.amdhsa_kernarg_size 112
		.amdhsa_user_sgpr_count 15
		.amdhsa_user_sgpr_dispatch_ptr 0
		.amdhsa_user_sgpr_queue_ptr 0
		.amdhsa_user_sgpr_kernarg_segment_ptr 1
		.amdhsa_user_sgpr_dispatch_id 0
		.amdhsa_user_sgpr_private_segment_size 0
		.amdhsa_wavefront_size32 1
		.amdhsa_uses_dynamic_stack 0
		.amdhsa_enable_private_segment 0
		.amdhsa_system_sgpr_workgroup_id_x 1
		.amdhsa_system_sgpr_workgroup_id_y 0
		.amdhsa_system_sgpr_workgroup_id_z 0
		.amdhsa_system_sgpr_workgroup_info 0
		.amdhsa_system_vgpr_workitem_id 0
		.amdhsa_next_free_vgpr 1
		.amdhsa_next_free_sgpr 1
		.amdhsa_reserve_vcc 0
		.amdhsa_float_round_mode_32 0
		.amdhsa_float_round_mode_16_64 0
		.amdhsa_float_denorm_mode_32 3
		.amdhsa_float_denorm_mode_16_64 3
		.amdhsa_dx10_clamp 1
		.amdhsa_ieee_mode 1
		.amdhsa_fp16_overflow 0
		.amdhsa_workgroup_processor_mode 1
		.amdhsa_memory_ordered 1
		.amdhsa_forward_progress 0
		.amdhsa_shared_vgpr_count 0
		.amdhsa_exception_fp_ieee_invalid_op 0
		.amdhsa_exception_fp_denorm_src 0
		.amdhsa_exception_fp_ieee_div_zero 0
		.amdhsa_exception_fp_ieee_overflow 0
		.amdhsa_exception_fp_ieee_underflow 0
		.amdhsa_exception_fp_ieee_inexact 0
		.amdhsa_exception_int_div_zero 0
	.end_amdhsa_kernel
	.section	.text._ZN7rocprim17ROCPRIM_400000_NS6detail17trampoline_kernelINS0_14default_configENS1_25partition_config_selectorILNS1_17partition_subalgoE6EtNS0_10empty_typeEbEEZZNS1_14partition_implILS5_6ELb0ES3_mN6thrust23THRUST_200600_302600_NS6detail15normal_iteratorINSA_10device_ptrItEEEEPS6_SG_NS0_5tupleIJSF_S6_EEENSH_IJSG_SG_EEES6_PlJ7is_evenItEEEE10hipError_tPvRmT3_T4_T5_T6_T7_T9_mT8_P12ihipStream_tbDpT10_ENKUlT_T0_E_clISt17integral_constantIbLb0EES16_EEDaS11_S12_EUlS11_E_NS1_11comp_targetILNS1_3genE0ELNS1_11target_archE4294967295ELNS1_3gpuE0ELNS1_3repE0EEENS1_30default_config_static_selectorELNS0_4arch9wavefront6targetE0EEEvT1_,"axG",@progbits,_ZN7rocprim17ROCPRIM_400000_NS6detail17trampoline_kernelINS0_14default_configENS1_25partition_config_selectorILNS1_17partition_subalgoE6EtNS0_10empty_typeEbEEZZNS1_14partition_implILS5_6ELb0ES3_mN6thrust23THRUST_200600_302600_NS6detail15normal_iteratorINSA_10device_ptrItEEEEPS6_SG_NS0_5tupleIJSF_S6_EEENSH_IJSG_SG_EEES6_PlJ7is_evenItEEEE10hipError_tPvRmT3_T4_T5_T6_T7_T9_mT8_P12ihipStream_tbDpT10_ENKUlT_T0_E_clISt17integral_constantIbLb0EES16_EEDaS11_S12_EUlS11_E_NS1_11comp_targetILNS1_3genE0ELNS1_11target_archE4294967295ELNS1_3gpuE0ELNS1_3repE0EEENS1_30default_config_static_selectorELNS0_4arch9wavefront6targetE0EEEvT1_,comdat
.Lfunc_end328:
	.size	_ZN7rocprim17ROCPRIM_400000_NS6detail17trampoline_kernelINS0_14default_configENS1_25partition_config_selectorILNS1_17partition_subalgoE6EtNS0_10empty_typeEbEEZZNS1_14partition_implILS5_6ELb0ES3_mN6thrust23THRUST_200600_302600_NS6detail15normal_iteratorINSA_10device_ptrItEEEEPS6_SG_NS0_5tupleIJSF_S6_EEENSH_IJSG_SG_EEES6_PlJ7is_evenItEEEE10hipError_tPvRmT3_T4_T5_T6_T7_T9_mT8_P12ihipStream_tbDpT10_ENKUlT_T0_E_clISt17integral_constantIbLb0EES16_EEDaS11_S12_EUlS11_E_NS1_11comp_targetILNS1_3genE0ELNS1_11target_archE4294967295ELNS1_3gpuE0ELNS1_3repE0EEENS1_30default_config_static_selectorELNS0_4arch9wavefront6targetE0EEEvT1_, .Lfunc_end328-_ZN7rocprim17ROCPRIM_400000_NS6detail17trampoline_kernelINS0_14default_configENS1_25partition_config_selectorILNS1_17partition_subalgoE6EtNS0_10empty_typeEbEEZZNS1_14partition_implILS5_6ELb0ES3_mN6thrust23THRUST_200600_302600_NS6detail15normal_iteratorINSA_10device_ptrItEEEEPS6_SG_NS0_5tupleIJSF_S6_EEENSH_IJSG_SG_EEES6_PlJ7is_evenItEEEE10hipError_tPvRmT3_T4_T5_T6_T7_T9_mT8_P12ihipStream_tbDpT10_ENKUlT_T0_E_clISt17integral_constantIbLb0EES16_EEDaS11_S12_EUlS11_E_NS1_11comp_targetILNS1_3genE0ELNS1_11target_archE4294967295ELNS1_3gpuE0ELNS1_3repE0EEENS1_30default_config_static_selectorELNS0_4arch9wavefront6targetE0EEEvT1_
                                        ; -- End function
	.section	.AMDGPU.csdata,"",@progbits
; Kernel info:
; codeLenInByte = 0
; NumSgprs: 0
; NumVgprs: 0
; ScratchSize: 0
; MemoryBound: 0
; FloatMode: 240
; IeeeMode: 1
; LDSByteSize: 0 bytes/workgroup (compile time only)
; SGPRBlocks: 0
; VGPRBlocks: 0
; NumSGPRsForWavesPerEU: 1
; NumVGPRsForWavesPerEU: 1
; Occupancy: 16
; WaveLimiterHint : 0
; COMPUTE_PGM_RSRC2:SCRATCH_EN: 0
; COMPUTE_PGM_RSRC2:USER_SGPR: 15
; COMPUTE_PGM_RSRC2:TRAP_HANDLER: 0
; COMPUTE_PGM_RSRC2:TGID_X_EN: 1
; COMPUTE_PGM_RSRC2:TGID_Y_EN: 0
; COMPUTE_PGM_RSRC2:TGID_Z_EN: 0
; COMPUTE_PGM_RSRC2:TIDIG_COMP_CNT: 0
	.section	.text._ZN7rocprim17ROCPRIM_400000_NS6detail17trampoline_kernelINS0_14default_configENS1_25partition_config_selectorILNS1_17partition_subalgoE6EtNS0_10empty_typeEbEEZZNS1_14partition_implILS5_6ELb0ES3_mN6thrust23THRUST_200600_302600_NS6detail15normal_iteratorINSA_10device_ptrItEEEEPS6_SG_NS0_5tupleIJSF_S6_EEENSH_IJSG_SG_EEES6_PlJ7is_evenItEEEE10hipError_tPvRmT3_T4_T5_T6_T7_T9_mT8_P12ihipStream_tbDpT10_ENKUlT_T0_E_clISt17integral_constantIbLb0EES16_EEDaS11_S12_EUlS11_E_NS1_11comp_targetILNS1_3genE5ELNS1_11target_archE942ELNS1_3gpuE9ELNS1_3repE0EEENS1_30default_config_static_selectorELNS0_4arch9wavefront6targetE0EEEvT1_,"axG",@progbits,_ZN7rocprim17ROCPRIM_400000_NS6detail17trampoline_kernelINS0_14default_configENS1_25partition_config_selectorILNS1_17partition_subalgoE6EtNS0_10empty_typeEbEEZZNS1_14partition_implILS5_6ELb0ES3_mN6thrust23THRUST_200600_302600_NS6detail15normal_iteratorINSA_10device_ptrItEEEEPS6_SG_NS0_5tupleIJSF_S6_EEENSH_IJSG_SG_EEES6_PlJ7is_evenItEEEE10hipError_tPvRmT3_T4_T5_T6_T7_T9_mT8_P12ihipStream_tbDpT10_ENKUlT_T0_E_clISt17integral_constantIbLb0EES16_EEDaS11_S12_EUlS11_E_NS1_11comp_targetILNS1_3genE5ELNS1_11target_archE942ELNS1_3gpuE9ELNS1_3repE0EEENS1_30default_config_static_selectorELNS0_4arch9wavefront6targetE0EEEvT1_,comdat
	.protected	_ZN7rocprim17ROCPRIM_400000_NS6detail17trampoline_kernelINS0_14default_configENS1_25partition_config_selectorILNS1_17partition_subalgoE6EtNS0_10empty_typeEbEEZZNS1_14partition_implILS5_6ELb0ES3_mN6thrust23THRUST_200600_302600_NS6detail15normal_iteratorINSA_10device_ptrItEEEEPS6_SG_NS0_5tupleIJSF_S6_EEENSH_IJSG_SG_EEES6_PlJ7is_evenItEEEE10hipError_tPvRmT3_T4_T5_T6_T7_T9_mT8_P12ihipStream_tbDpT10_ENKUlT_T0_E_clISt17integral_constantIbLb0EES16_EEDaS11_S12_EUlS11_E_NS1_11comp_targetILNS1_3genE5ELNS1_11target_archE942ELNS1_3gpuE9ELNS1_3repE0EEENS1_30default_config_static_selectorELNS0_4arch9wavefront6targetE0EEEvT1_ ; -- Begin function _ZN7rocprim17ROCPRIM_400000_NS6detail17trampoline_kernelINS0_14default_configENS1_25partition_config_selectorILNS1_17partition_subalgoE6EtNS0_10empty_typeEbEEZZNS1_14partition_implILS5_6ELb0ES3_mN6thrust23THRUST_200600_302600_NS6detail15normal_iteratorINSA_10device_ptrItEEEEPS6_SG_NS0_5tupleIJSF_S6_EEENSH_IJSG_SG_EEES6_PlJ7is_evenItEEEE10hipError_tPvRmT3_T4_T5_T6_T7_T9_mT8_P12ihipStream_tbDpT10_ENKUlT_T0_E_clISt17integral_constantIbLb0EES16_EEDaS11_S12_EUlS11_E_NS1_11comp_targetILNS1_3genE5ELNS1_11target_archE942ELNS1_3gpuE9ELNS1_3repE0EEENS1_30default_config_static_selectorELNS0_4arch9wavefront6targetE0EEEvT1_
	.globl	_ZN7rocprim17ROCPRIM_400000_NS6detail17trampoline_kernelINS0_14default_configENS1_25partition_config_selectorILNS1_17partition_subalgoE6EtNS0_10empty_typeEbEEZZNS1_14partition_implILS5_6ELb0ES3_mN6thrust23THRUST_200600_302600_NS6detail15normal_iteratorINSA_10device_ptrItEEEEPS6_SG_NS0_5tupleIJSF_S6_EEENSH_IJSG_SG_EEES6_PlJ7is_evenItEEEE10hipError_tPvRmT3_T4_T5_T6_T7_T9_mT8_P12ihipStream_tbDpT10_ENKUlT_T0_E_clISt17integral_constantIbLb0EES16_EEDaS11_S12_EUlS11_E_NS1_11comp_targetILNS1_3genE5ELNS1_11target_archE942ELNS1_3gpuE9ELNS1_3repE0EEENS1_30default_config_static_selectorELNS0_4arch9wavefront6targetE0EEEvT1_
	.p2align	8
	.type	_ZN7rocprim17ROCPRIM_400000_NS6detail17trampoline_kernelINS0_14default_configENS1_25partition_config_selectorILNS1_17partition_subalgoE6EtNS0_10empty_typeEbEEZZNS1_14partition_implILS5_6ELb0ES3_mN6thrust23THRUST_200600_302600_NS6detail15normal_iteratorINSA_10device_ptrItEEEEPS6_SG_NS0_5tupleIJSF_S6_EEENSH_IJSG_SG_EEES6_PlJ7is_evenItEEEE10hipError_tPvRmT3_T4_T5_T6_T7_T9_mT8_P12ihipStream_tbDpT10_ENKUlT_T0_E_clISt17integral_constantIbLb0EES16_EEDaS11_S12_EUlS11_E_NS1_11comp_targetILNS1_3genE5ELNS1_11target_archE942ELNS1_3gpuE9ELNS1_3repE0EEENS1_30default_config_static_selectorELNS0_4arch9wavefront6targetE0EEEvT1_,@function
_ZN7rocprim17ROCPRIM_400000_NS6detail17trampoline_kernelINS0_14default_configENS1_25partition_config_selectorILNS1_17partition_subalgoE6EtNS0_10empty_typeEbEEZZNS1_14partition_implILS5_6ELb0ES3_mN6thrust23THRUST_200600_302600_NS6detail15normal_iteratorINSA_10device_ptrItEEEEPS6_SG_NS0_5tupleIJSF_S6_EEENSH_IJSG_SG_EEES6_PlJ7is_evenItEEEE10hipError_tPvRmT3_T4_T5_T6_T7_T9_mT8_P12ihipStream_tbDpT10_ENKUlT_T0_E_clISt17integral_constantIbLb0EES16_EEDaS11_S12_EUlS11_E_NS1_11comp_targetILNS1_3genE5ELNS1_11target_archE942ELNS1_3gpuE9ELNS1_3repE0EEENS1_30default_config_static_selectorELNS0_4arch9wavefront6targetE0EEEvT1_: ; @_ZN7rocprim17ROCPRIM_400000_NS6detail17trampoline_kernelINS0_14default_configENS1_25partition_config_selectorILNS1_17partition_subalgoE6EtNS0_10empty_typeEbEEZZNS1_14partition_implILS5_6ELb0ES3_mN6thrust23THRUST_200600_302600_NS6detail15normal_iteratorINSA_10device_ptrItEEEEPS6_SG_NS0_5tupleIJSF_S6_EEENSH_IJSG_SG_EEES6_PlJ7is_evenItEEEE10hipError_tPvRmT3_T4_T5_T6_T7_T9_mT8_P12ihipStream_tbDpT10_ENKUlT_T0_E_clISt17integral_constantIbLb0EES16_EEDaS11_S12_EUlS11_E_NS1_11comp_targetILNS1_3genE5ELNS1_11target_archE942ELNS1_3gpuE9ELNS1_3repE0EEENS1_30default_config_static_selectorELNS0_4arch9wavefront6targetE0EEEvT1_
; %bb.0:
	.section	.rodata,"a",@progbits
	.p2align	6, 0x0
	.amdhsa_kernel _ZN7rocprim17ROCPRIM_400000_NS6detail17trampoline_kernelINS0_14default_configENS1_25partition_config_selectorILNS1_17partition_subalgoE6EtNS0_10empty_typeEbEEZZNS1_14partition_implILS5_6ELb0ES3_mN6thrust23THRUST_200600_302600_NS6detail15normal_iteratorINSA_10device_ptrItEEEEPS6_SG_NS0_5tupleIJSF_S6_EEENSH_IJSG_SG_EEES6_PlJ7is_evenItEEEE10hipError_tPvRmT3_T4_T5_T6_T7_T9_mT8_P12ihipStream_tbDpT10_ENKUlT_T0_E_clISt17integral_constantIbLb0EES16_EEDaS11_S12_EUlS11_E_NS1_11comp_targetILNS1_3genE5ELNS1_11target_archE942ELNS1_3gpuE9ELNS1_3repE0EEENS1_30default_config_static_selectorELNS0_4arch9wavefront6targetE0EEEvT1_
		.amdhsa_group_segment_fixed_size 0
		.amdhsa_private_segment_fixed_size 0
		.amdhsa_kernarg_size 112
		.amdhsa_user_sgpr_count 15
		.amdhsa_user_sgpr_dispatch_ptr 0
		.amdhsa_user_sgpr_queue_ptr 0
		.amdhsa_user_sgpr_kernarg_segment_ptr 1
		.amdhsa_user_sgpr_dispatch_id 0
		.amdhsa_user_sgpr_private_segment_size 0
		.amdhsa_wavefront_size32 1
		.amdhsa_uses_dynamic_stack 0
		.amdhsa_enable_private_segment 0
		.amdhsa_system_sgpr_workgroup_id_x 1
		.amdhsa_system_sgpr_workgroup_id_y 0
		.amdhsa_system_sgpr_workgroup_id_z 0
		.amdhsa_system_sgpr_workgroup_info 0
		.amdhsa_system_vgpr_workitem_id 0
		.amdhsa_next_free_vgpr 1
		.amdhsa_next_free_sgpr 1
		.amdhsa_reserve_vcc 0
		.amdhsa_float_round_mode_32 0
		.amdhsa_float_round_mode_16_64 0
		.amdhsa_float_denorm_mode_32 3
		.amdhsa_float_denorm_mode_16_64 3
		.amdhsa_dx10_clamp 1
		.amdhsa_ieee_mode 1
		.amdhsa_fp16_overflow 0
		.amdhsa_workgroup_processor_mode 1
		.amdhsa_memory_ordered 1
		.amdhsa_forward_progress 0
		.amdhsa_shared_vgpr_count 0
		.amdhsa_exception_fp_ieee_invalid_op 0
		.amdhsa_exception_fp_denorm_src 0
		.amdhsa_exception_fp_ieee_div_zero 0
		.amdhsa_exception_fp_ieee_overflow 0
		.amdhsa_exception_fp_ieee_underflow 0
		.amdhsa_exception_fp_ieee_inexact 0
		.amdhsa_exception_int_div_zero 0
	.end_amdhsa_kernel
	.section	.text._ZN7rocprim17ROCPRIM_400000_NS6detail17trampoline_kernelINS0_14default_configENS1_25partition_config_selectorILNS1_17partition_subalgoE6EtNS0_10empty_typeEbEEZZNS1_14partition_implILS5_6ELb0ES3_mN6thrust23THRUST_200600_302600_NS6detail15normal_iteratorINSA_10device_ptrItEEEEPS6_SG_NS0_5tupleIJSF_S6_EEENSH_IJSG_SG_EEES6_PlJ7is_evenItEEEE10hipError_tPvRmT3_T4_T5_T6_T7_T9_mT8_P12ihipStream_tbDpT10_ENKUlT_T0_E_clISt17integral_constantIbLb0EES16_EEDaS11_S12_EUlS11_E_NS1_11comp_targetILNS1_3genE5ELNS1_11target_archE942ELNS1_3gpuE9ELNS1_3repE0EEENS1_30default_config_static_selectorELNS0_4arch9wavefront6targetE0EEEvT1_,"axG",@progbits,_ZN7rocprim17ROCPRIM_400000_NS6detail17trampoline_kernelINS0_14default_configENS1_25partition_config_selectorILNS1_17partition_subalgoE6EtNS0_10empty_typeEbEEZZNS1_14partition_implILS5_6ELb0ES3_mN6thrust23THRUST_200600_302600_NS6detail15normal_iteratorINSA_10device_ptrItEEEEPS6_SG_NS0_5tupleIJSF_S6_EEENSH_IJSG_SG_EEES6_PlJ7is_evenItEEEE10hipError_tPvRmT3_T4_T5_T6_T7_T9_mT8_P12ihipStream_tbDpT10_ENKUlT_T0_E_clISt17integral_constantIbLb0EES16_EEDaS11_S12_EUlS11_E_NS1_11comp_targetILNS1_3genE5ELNS1_11target_archE942ELNS1_3gpuE9ELNS1_3repE0EEENS1_30default_config_static_selectorELNS0_4arch9wavefront6targetE0EEEvT1_,comdat
.Lfunc_end329:
	.size	_ZN7rocprim17ROCPRIM_400000_NS6detail17trampoline_kernelINS0_14default_configENS1_25partition_config_selectorILNS1_17partition_subalgoE6EtNS0_10empty_typeEbEEZZNS1_14partition_implILS5_6ELb0ES3_mN6thrust23THRUST_200600_302600_NS6detail15normal_iteratorINSA_10device_ptrItEEEEPS6_SG_NS0_5tupleIJSF_S6_EEENSH_IJSG_SG_EEES6_PlJ7is_evenItEEEE10hipError_tPvRmT3_T4_T5_T6_T7_T9_mT8_P12ihipStream_tbDpT10_ENKUlT_T0_E_clISt17integral_constantIbLb0EES16_EEDaS11_S12_EUlS11_E_NS1_11comp_targetILNS1_3genE5ELNS1_11target_archE942ELNS1_3gpuE9ELNS1_3repE0EEENS1_30default_config_static_selectorELNS0_4arch9wavefront6targetE0EEEvT1_, .Lfunc_end329-_ZN7rocprim17ROCPRIM_400000_NS6detail17trampoline_kernelINS0_14default_configENS1_25partition_config_selectorILNS1_17partition_subalgoE6EtNS0_10empty_typeEbEEZZNS1_14partition_implILS5_6ELb0ES3_mN6thrust23THRUST_200600_302600_NS6detail15normal_iteratorINSA_10device_ptrItEEEEPS6_SG_NS0_5tupleIJSF_S6_EEENSH_IJSG_SG_EEES6_PlJ7is_evenItEEEE10hipError_tPvRmT3_T4_T5_T6_T7_T9_mT8_P12ihipStream_tbDpT10_ENKUlT_T0_E_clISt17integral_constantIbLb0EES16_EEDaS11_S12_EUlS11_E_NS1_11comp_targetILNS1_3genE5ELNS1_11target_archE942ELNS1_3gpuE9ELNS1_3repE0EEENS1_30default_config_static_selectorELNS0_4arch9wavefront6targetE0EEEvT1_
                                        ; -- End function
	.section	.AMDGPU.csdata,"",@progbits
; Kernel info:
; codeLenInByte = 0
; NumSgprs: 0
; NumVgprs: 0
; ScratchSize: 0
; MemoryBound: 0
; FloatMode: 240
; IeeeMode: 1
; LDSByteSize: 0 bytes/workgroup (compile time only)
; SGPRBlocks: 0
; VGPRBlocks: 0
; NumSGPRsForWavesPerEU: 1
; NumVGPRsForWavesPerEU: 1
; Occupancy: 16
; WaveLimiterHint : 0
; COMPUTE_PGM_RSRC2:SCRATCH_EN: 0
; COMPUTE_PGM_RSRC2:USER_SGPR: 15
; COMPUTE_PGM_RSRC2:TRAP_HANDLER: 0
; COMPUTE_PGM_RSRC2:TGID_X_EN: 1
; COMPUTE_PGM_RSRC2:TGID_Y_EN: 0
; COMPUTE_PGM_RSRC2:TGID_Z_EN: 0
; COMPUTE_PGM_RSRC2:TIDIG_COMP_CNT: 0
	.section	.text._ZN7rocprim17ROCPRIM_400000_NS6detail17trampoline_kernelINS0_14default_configENS1_25partition_config_selectorILNS1_17partition_subalgoE6EtNS0_10empty_typeEbEEZZNS1_14partition_implILS5_6ELb0ES3_mN6thrust23THRUST_200600_302600_NS6detail15normal_iteratorINSA_10device_ptrItEEEEPS6_SG_NS0_5tupleIJSF_S6_EEENSH_IJSG_SG_EEES6_PlJ7is_evenItEEEE10hipError_tPvRmT3_T4_T5_T6_T7_T9_mT8_P12ihipStream_tbDpT10_ENKUlT_T0_E_clISt17integral_constantIbLb0EES16_EEDaS11_S12_EUlS11_E_NS1_11comp_targetILNS1_3genE4ELNS1_11target_archE910ELNS1_3gpuE8ELNS1_3repE0EEENS1_30default_config_static_selectorELNS0_4arch9wavefront6targetE0EEEvT1_,"axG",@progbits,_ZN7rocprim17ROCPRIM_400000_NS6detail17trampoline_kernelINS0_14default_configENS1_25partition_config_selectorILNS1_17partition_subalgoE6EtNS0_10empty_typeEbEEZZNS1_14partition_implILS5_6ELb0ES3_mN6thrust23THRUST_200600_302600_NS6detail15normal_iteratorINSA_10device_ptrItEEEEPS6_SG_NS0_5tupleIJSF_S6_EEENSH_IJSG_SG_EEES6_PlJ7is_evenItEEEE10hipError_tPvRmT3_T4_T5_T6_T7_T9_mT8_P12ihipStream_tbDpT10_ENKUlT_T0_E_clISt17integral_constantIbLb0EES16_EEDaS11_S12_EUlS11_E_NS1_11comp_targetILNS1_3genE4ELNS1_11target_archE910ELNS1_3gpuE8ELNS1_3repE0EEENS1_30default_config_static_selectorELNS0_4arch9wavefront6targetE0EEEvT1_,comdat
	.protected	_ZN7rocprim17ROCPRIM_400000_NS6detail17trampoline_kernelINS0_14default_configENS1_25partition_config_selectorILNS1_17partition_subalgoE6EtNS0_10empty_typeEbEEZZNS1_14partition_implILS5_6ELb0ES3_mN6thrust23THRUST_200600_302600_NS6detail15normal_iteratorINSA_10device_ptrItEEEEPS6_SG_NS0_5tupleIJSF_S6_EEENSH_IJSG_SG_EEES6_PlJ7is_evenItEEEE10hipError_tPvRmT3_T4_T5_T6_T7_T9_mT8_P12ihipStream_tbDpT10_ENKUlT_T0_E_clISt17integral_constantIbLb0EES16_EEDaS11_S12_EUlS11_E_NS1_11comp_targetILNS1_3genE4ELNS1_11target_archE910ELNS1_3gpuE8ELNS1_3repE0EEENS1_30default_config_static_selectorELNS0_4arch9wavefront6targetE0EEEvT1_ ; -- Begin function _ZN7rocprim17ROCPRIM_400000_NS6detail17trampoline_kernelINS0_14default_configENS1_25partition_config_selectorILNS1_17partition_subalgoE6EtNS0_10empty_typeEbEEZZNS1_14partition_implILS5_6ELb0ES3_mN6thrust23THRUST_200600_302600_NS6detail15normal_iteratorINSA_10device_ptrItEEEEPS6_SG_NS0_5tupleIJSF_S6_EEENSH_IJSG_SG_EEES6_PlJ7is_evenItEEEE10hipError_tPvRmT3_T4_T5_T6_T7_T9_mT8_P12ihipStream_tbDpT10_ENKUlT_T0_E_clISt17integral_constantIbLb0EES16_EEDaS11_S12_EUlS11_E_NS1_11comp_targetILNS1_3genE4ELNS1_11target_archE910ELNS1_3gpuE8ELNS1_3repE0EEENS1_30default_config_static_selectorELNS0_4arch9wavefront6targetE0EEEvT1_
	.globl	_ZN7rocprim17ROCPRIM_400000_NS6detail17trampoline_kernelINS0_14default_configENS1_25partition_config_selectorILNS1_17partition_subalgoE6EtNS0_10empty_typeEbEEZZNS1_14partition_implILS5_6ELb0ES3_mN6thrust23THRUST_200600_302600_NS6detail15normal_iteratorINSA_10device_ptrItEEEEPS6_SG_NS0_5tupleIJSF_S6_EEENSH_IJSG_SG_EEES6_PlJ7is_evenItEEEE10hipError_tPvRmT3_T4_T5_T6_T7_T9_mT8_P12ihipStream_tbDpT10_ENKUlT_T0_E_clISt17integral_constantIbLb0EES16_EEDaS11_S12_EUlS11_E_NS1_11comp_targetILNS1_3genE4ELNS1_11target_archE910ELNS1_3gpuE8ELNS1_3repE0EEENS1_30default_config_static_selectorELNS0_4arch9wavefront6targetE0EEEvT1_
	.p2align	8
	.type	_ZN7rocprim17ROCPRIM_400000_NS6detail17trampoline_kernelINS0_14default_configENS1_25partition_config_selectorILNS1_17partition_subalgoE6EtNS0_10empty_typeEbEEZZNS1_14partition_implILS5_6ELb0ES3_mN6thrust23THRUST_200600_302600_NS6detail15normal_iteratorINSA_10device_ptrItEEEEPS6_SG_NS0_5tupleIJSF_S6_EEENSH_IJSG_SG_EEES6_PlJ7is_evenItEEEE10hipError_tPvRmT3_T4_T5_T6_T7_T9_mT8_P12ihipStream_tbDpT10_ENKUlT_T0_E_clISt17integral_constantIbLb0EES16_EEDaS11_S12_EUlS11_E_NS1_11comp_targetILNS1_3genE4ELNS1_11target_archE910ELNS1_3gpuE8ELNS1_3repE0EEENS1_30default_config_static_selectorELNS0_4arch9wavefront6targetE0EEEvT1_,@function
_ZN7rocprim17ROCPRIM_400000_NS6detail17trampoline_kernelINS0_14default_configENS1_25partition_config_selectorILNS1_17partition_subalgoE6EtNS0_10empty_typeEbEEZZNS1_14partition_implILS5_6ELb0ES3_mN6thrust23THRUST_200600_302600_NS6detail15normal_iteratorINSA_10device_ptrItEEEEPS6_SG_NS0_5tupleIJSF_S6_EEENSH_IJSG_SG_EEES6_PlJ7is_evenItEEEE10hipError_tPvRmT3_T4_T5_T6_T7_T9_mT8_P12ihipStream_tbDpT10_ENKUlT_T0_E_clISt17integral_constantIbLb0EES16_EEDaS11_S12_EUlS11_E_NS1_11comp_targetILNS1_3genE4ELNS1_11target_archE910ELNS1_3gpuE8ELNS1_3repE0EEENS1_30default_config_static_selectorELNS0_4arch9wavefront6targetE0EEEvT1_: ; @_ZN7rocprim17ROCPRIM_400000_NS6detail17trampoline_kernelINS0_14default_configENS1_25partition_config_selectorILNS1_17partition_subalgoE6EtNS0_10empty_typeEbEEZZNS1_14partition_implILS5_6ELb0ES3_mN6thrust23THRUST_200600_302600_NS6detail15normal_iteratorINSA_10device_ptrItEEEEPS6_SG_NS0_5tupleIJSF_S6_EEENSH_IJSG_SG_EEES6_PlJ7is_evenItEEEE10hipError_tPvRmT3_T4_T5_T6_T7_T9_mT8_P12ihipStream_tbDpT10_ENKUlT_T0_E_clISt17integral_constantIbLb0EES16_EEDaS11_S12_EUlS11_E_NS1_11comp_targetILNS1_3genE4ELNS1_11target_archE910ELNS1_3gpuE8ELNS1_3repE0EEENS1_30default_config_static_selectorELNS0_4arch9wavefront6targetE0EEEvT1_
; %bb.0:
	.section	.rodata,"a",@progbits
	.p2align	6, 0x0
	.amdhsa_kernel _ZN7rocprim17ROCPRIM_400000_NS6detail17trampoline_kernelINS0_14default_configENS1_25partition_config_selectorILNS1_17partition_subalgoE6EtNS0_10empty_typeEbEEZZNS1_14partition_implILS5_6ELb0ES3_mN6thrust23THRUST_200600_302600_NS6detail15normal_iteratorINSA_10device_ptrItEEEEPS6_SG_NS0_5tupleIJSF_S6_EEENSH_IJSG_SG_EEES6_PlJ7is_evenItEEEE10hipError_tPvRmT3_T4_T5_T6_T7_T9_mT8_P12ihipStream_tbDpT10_ENKUlT_T0_E_clISt17integral_constantIbLb0EES16_EEDaS11_S12_EUlS11_E_NS1_11comp_targetILNS1_3genE4ELNS1_11target_archE910ELNS1_3gpuE8ELNS1_3repE0EEENS1_30default_config_static_selectorELNS0_4arch9wavefront6targetE0EEEvT1_
		.amdhsa_group_segment_fixed_size 0
		.amdhsa_private_segment_fixed_size 0
		.amdhsa_kernarg_size 112
		.amdhsa_user_sgpr_count 15
		.amdhsa_user_sgpr_dispatch_ptr 0
		.amdhsa_user_sgpr_queue_ptr 0
		.amdhsa_user_sgpr_kernarg_segment_ptr 1
		.amdhsa_user_sgpr_dispatch_id 0
		.amdhsa_user_sgpr_private_segment_size 0
		.amdhsa_wavefront_size32 1
		.amdhsa_uses_dynamic_stack 0
		.amdhsa_enable_private_segment 0
		.amdhsa_system_sgpr_workgroup_id_x 1
		.amdhsa_system_sgpr_workgroup_id_y 0
		.amdhsa_system_sgpr_workgroup_id_z 0
		.amdhsa_system_sgpr_workgroup_info 0
		.amdhsa_system_vgpr_workitem_id 0
		.amdhsa_next_free_vgpr 1
		.amdhsa_next_free_sgpr 1
		.amdhsa_reserve_vcc 0
		.amdhsa_float_round_mode_32 0
		.amdhsa_float_round_mode_16_64 0
		.amdhsa_float_denorm_mode_32 3
		.amdhsa_float_denorm_mode_16_64 3
		.amdhsa_dx10_clamp 1
		.amdhsa_ieee_mode 1
		.amdhsa_fp16_overflow 0
		.amdhsa_workgroup_processor_mode 1
		.amdhsa_memory_ordered 1
		.amdhsa_forward_progress 0
		.amdhsa_shared_vgpr_count 0
		.amdhsa_exception_fp_ieee_invalid_op 0
		.amdhsa_exception_fp_denorm_src 0
		.amdhsa_exception_fp_ieee_div_zero 0
		.amdhsa_exception_fp_ieee_overflow 0
		.amdhsa_exception_fp_ieee_underflow 0
		.amdhsa_exception_fp_ieee_inexact 0
		.amdhsa_exception_int_div_zero 0
	.end_amdhsa_kernel
	.section	.text._ZN7rocprim17ROCPRIM_400000_NS6detail17trampoline_kernelINS0_14default_configENS1_25partition_config_selectorILNS1_17partition_subalgoE6EtNS0_10empty_typeEbEEZZNS1_14partition_implILS5_6ELb0ES3_mN6thrust23THRUST_200600_302600_NS6detail15normal_iteratorINSA_10device_ptrItEEEEPS6_SG_NS0_5tupleIJSF_S6_EEENSH_IJSG_SG_EEES6_PlJ7is_evenItEEEE10hipError_tPvRmT3_T4_T5_T6_T7_T9_mT8_P12ihipStream_tbDpT10_ENKUlT_T0_E_clISt17integral_constantIbLb0EES16_EEDaS11_S12_EUlS11_E_NS1_11comp_targetILNS1_3genE4ELNS1_11target_archE910ELNS1_3gpuE8ELNS1_3repE0EEENS1_30default_config_static_selectorELNS0_4arch9wavefront6targetE0EEEvT1_,"axG",@progbits,_ZN7rocprim17ROCPRIM_400000_NS6detail17trampoline_kernelINS0_14default_configENS1_25partition_config_selectorILNS1_17partition_subalgoE6EtNS0_10empty_typeEbEEZZNS1_14partition_implILS5_6ELb0ES3_mN6thrust23THRUST_200600_302600_NS6detail15normal_iteratorINSA_10device_ptrItEEEEPS6_SG_NS0_5tupleIJSF_S6_EEENSH_IJSG_SG_EEES6_PlJ7is_evenItEEEE10hipError_tPvRmT3_T4_T5_T6_T7_T9_mT8_P12ihipStream_tbDpT10_ENKUlT_T0_E_clISt17integral_constantIbLb0EES16_EEDaS11_S12_EUlS11_E_NS1_11comp_targetILNS1_3genE4ELNS1_11target_archE910ELNS1_3gpuE8ELNS1_3repE0EEENS1_30default_config_static_selectorELNS0_4arch9wavefront6targetE0EEEvT1_,comdat
.Lfunc_end330:
	.size	_ZN7rocprim17ROCPRIM_400000_NS6detail17trampoline_kernelINS0_14default_configENS1_25partition_config_selectorILNS1_17partition_subalgoE6EtNS0_10empty_typeEbEEZZNS1_14partition_implILS5_6ELb0ES3_mN6thrust23THRUST_200600_302600_NS6detail15normal_iteratorINSA_10device_ptrItEEEEPS6_SG_NS0_5tupleIJSF_S6_EEENSH_IJSG_SG_EEES6_PlJ7is_evenItEEEE10hipError_tPvRmT3_T4_T5_T6_T7_T9_mT8_P12ihipStream_tbDpT10_ENKUlT_T0_E_clISt17integral_constantIbLb0EES16_EEDaS11_S12_EUlS11_E_NS1_11comp_targetILNS1_3genE4ELNS1_11target_archE910ELNS1_3gpuE8ELNS1_3repE0EEENS1_30default_config_static_selectorELNS0_4arch9wavefront6targetE0EEEvT1_, .Lfunc_end330-_ZN7rocprim17ROCPRIM_400000_NS6detail17trampoline_kernelINS0_14default_configENS1_25partition_config_selectorILNS1_17partition_subalgoE6EtNS0_10empty_typeEbEEZZNS1_14partition_implILS5_6ELb0ES3_mN6thrust23THRUST_200600_302600_NS6detail15normal_iteratorINSA_10device_ptrItEEEEPS6_SG_NS0_5tupleIJSF_S6_EEENSH_IJSG_SG_EEES6_PlJ7is_evenItEEEE10hipError_tPvRmT3_T4_T5_T6_T7_T9_mT8_P12ihipStream_tbDpT10_ENKUlT_T0_E_clISt17integral_constantIbLb0EES16_EEDaS11_S12_EUlS11_E_NS1_11comp_targetILNS1_3genE4ELNS1_11target_archE910ELNS1_3gpuE8ELNS1_3repE0EEENS1_30default_config_static_selectorELNS0_4arch9wavefront6targetE0EEEvT1_
                                        ; -- End function
	.section	.AMDGPU.csdata,"",@progbits
; Kernel info:
; codeLenInByte = 0
; NumSgprs: 0
; NumVgprs: 0
; ScratchSize: 0
; MemoryBound: 0
; FloatMode: 240
; IeeeMode: 1
; LDSByteSize: 0 bytes/workgroup (compile time only)
; SGPRBlocks: 0
; VGPRBlocks: 0
; NumSGPRsForWavesPerEU: 1
; NumVGPRsForWavesPerEU: 1
; Occupancy: 16
; WaveLimiterHint : 0
; COMPUTE_PGM_RSRC2:SCRATCH_EN: 0
; COMPUTE_PGM_RSRC2:USER_SGPR: 15
; COMPUTE_PGM_RSRC2:TRAP_HANDLER: 0
; COMPUTE_PGM_RSRC2:TGID_X_EN: 1
; COMPUTE_PGM_RSRC2:TGID_Y_EN: 0
; COMPUTE_PGM_RSRC2:TGID_Z_EN: 0
; COMPUTE_PGM_RSRC2:TIDIG_COMP_CNT: 0
	.section	.text._ZN7rocprim17ROCPRIM_400000_NS6detail17trampoline_kernelINS0_14default_configENS1_25partition_config_selectorILNS1_17partition_subalgoE6EtNS0_10empty_typeEbEEZZNS1_14partition_implILS5_6ELb0ES3_mN6thrust23THRUST_200600_302600_NS6detail15normal_iteratorINSA_10device_ptrItEEEEPS6_SG_NS0_5tupleIJSF_S6_EEENSH_IJSG_SG_EEES6_PlJ7is_evenItEEEE10hipError_tPvRmT3_T4_T5_T6_T7_T9_mT8_P12ihipStream_tbDpT10_ENKUlT_T0_E_clISt17integral_constantIbLb0EES16_EEDaS11_S12_EUlS11_E_NS1_11comp_targetILNS1_3genE3ELNS1_11target_archE908ELNS1_3gpuE7ELNS1_3repE0EEENS1_30default_config_static_selectorELNS0_4arch9wavefront6targetE0EEEvT1_,"axG",@progbits,_ZN7rocprim17ROCPRIM_400000_NS6detail17trampoline_kernelINS0_14default_configENS1_25partition_config_selectorILNS1_17partition_subalgoE6EtNS0_10empty_typeEbEEZZNS1_14partition_implILS5_6ELb0ES3_mN6thrust23THRUST_200600_302600_NS6detail15normal_iteratorINSA_10device_ptrItEEEEPS6_SG_NS0_5tupleIJSF_S6_EEENSH_IJSG_SG_EEES6_PlJ7is_evenItEEEE10hipError_tPvRmT3_T4_T5_T6_T7_T9_mT8_P12ihipStream_tbDpT10_ENKUlT_T0_E_clISt17integral_constantIbLb0EES16_EEDaS11_S12_EUlS11_E_NS1_11comp_targetILNS1_3genE3ELNS1_11target_archE908ELNS1_3gpuE7ELNS1_3repE0EEENS1_30default_config_static_selectorELNS0_4arch9wavefront6targetE0EEEvT1_,comdat
	.protected	_ZN7rocprim17ROCPRIM_400000_NS6detail17trampoline_kernelINS0_14default_configENS1_25partition_config_selectorILNS1_17partition_subalgoE6EtNS0_10empty_typeEbEEZZNS1_14partition_implILS5_6ELb0ES3_mN6thrust23THRUST_200600_302600_NS6detail15normal_iteratorINSA_10device_ptrItEEEEPS6_SG_NS0_5tupleIJSF_S6_EEENSH_IJSG_SG_EEES6_PlJ7is_evenItEEEE10hipError_tPvRmT3_T4_T5_T6_T7_T9_mT8_P12ihipStream_tbDpT10_ENKUlT_T0_E_clISt17integral_constantIbLb0EES16_EEDaS11_S12_EUlS11_E_NS1_11comp_targetILNS1_3genE3ELNS1_11target_archE908ELNS1_3gpuE7ELNS1_3repE0EEENS1_30default_config_static_selectorELNS0_4arch9wavefront6targetE0EEEvT1_ ; -- Begin function _ZN7rocprim17ROCPRIM_400000_NS6detail17trampoline_kernelINS0_14default_configENS1_25partition_config_selectorILNS1_17partition_subalgoE6EtNS0_10empty_typeEbEEZZNS1_14partition_implILS5_6ELb0ES3_mN6thrust23THRUST_200600_302600_NS6detail15normal_iteratorINSA_10device_ptrItEEEEPS6_SG_NS0_5tupleIJSF_S6_EEENSH_IJSG_SG_EEES6_PlJ7is_evenItEEEE10hipError_tPvRmT3_T4_T5_T6_T7_T9_mT8_P12ihipStream_tbDpT10_ENKUlT_T0_E_clISt17integral_constantIbLb0EES16_EEDaS11_S12_EUlS11_E_NS1_11comp_targetILNS1_3genE3ELNS1_11target_archE908ELNS1_3gpuE7ELNS1_3repE0EEENS1_30default_config_static_selectorELNS0_4arch9wavefront6targetE0EEEvT1_
	.globl	_ZN7rocprim17ROCPRIM_400000_NS6detail17trampoline_kernelINS0_14default_configENS1_25partition_config_selectorILNS1_17partition_subalgoE6EtNS0_10empty_typeEbEEZZNS1_14partition_implILS5_6ELb0ES3_mN6thrust23THRUST_200600_302600_NS6detail15normal_iteratorINSA_10device_ptrItEEEEPS6_SG_NS0_5tupleIJSF_S6_EEENSH_IJSG_SG_EEES6_PlJ7is_evenItEEEE10hipError_tPvRmT3_T4_T5_T6_T7_T9_mT8_P12ihipStream_tbDpT10_ENKUlT_T0_E_clISt17integral_constantIbLb0EES16_EEDaS11_S12_EUlS11_E_NS1_11comp_targetILNS1_3genE3ELNS1_11target_archE908ELNS1_3gpuE7ELNS1_3repE0EEENS1_30default_config_static_selectorELNS0_4arch9wavefront6targetE0EEEvT1_
	.p2align	8
	.type	_ZN7rocprim17ROCPRIM_400000_NS6detail17trampoline_kernelINS0_14default_configENS1_25partition_config_selectorILNS1_17partition_subalgoE6EtNS0_10empty_typeEbEEZZNS1_14partition_implILS5_6ELb0ES3_mN6thrust23THRUST_200600_302600_NS6detail15normal_iteratorINSA_10device_ptrItEEEEPS6_SG_NS0_5tupleIJSF_S6_EEENSH_IJSG_SG_EEES6_PlJ7is_evenItEEEE10hipError_tPvRmT3_T4_T5_T6_T7_T9_mT8_P12ihipStream_tbDpT10_ENKUlT_T0_E_clISt17integral_constantIbLb0EES16_EEDaS11_S12_EUlS11_E_NS1_11comp_targetILNS1_3genE3ELNS1_11target_archE908ELNS1_3gpuE7ELNS1_3repE0EEENS1_30default_config_static_selectorELNS0_4arch9wavefront6targetE0EEEvT1_,@function
_ZN7rocprim17ROCPRIM_400000_NS6detail17trampoline_kernelINS0_14default_configENS1_25partition_config_selectorILNS1_17partition_subalgoE6EtNS0_10empty_typeEbEEZZNS1_14partition_implILS5_6ELb0ES3_mN6thrust23THRUST_200600_302600_NS6detail15normal_iteratorINSA_10device_ptrItEEEEPS6_SG_NS0_5tupleIJSF_S6_EEENSH_IJSG_SG_EEES6_PlJ7is_evenItEEEE10hipError_tPvRmT3_T4_T5_T6_T7_T9_mT8_P12ihipStream_tbDpT10_ENKUlT_T0_E_clISt17integral_constantIbLb0EES16_EEDaS11_S12_EUlS11_E_NS1_11comp_targetILNS1_3genE3ELNS1_11target_archE908ELNS1_3gpuE7ELNS1_3repE0EEENS1_30default_config_static_selectorELNS0_4arch9wavefront6targetE0EEEvT1_: ; @_ZN7rocprim17ROCPRIM_400000_NS6detail17trampoline_kernelINS0_14default_configENS1_25partition_config_selectorILNS1_17partition_subalgoE6EtNS0_10empty_typeEbEEZZNS1_14partition_implILS5_6ELb0ES3_mN6thrust23THRUST_200600_302600_NS6detail15normal_iteratorINSA_10device_ptrItEEEEPS6_SG_NS0_5tupleIJSF_S6_EEENSH_IJSG_SG_EEES6_PlJ7is_evenItEEEE10hipError_tPvRmT3_T4_T5_T6_T7_T9_mT8_P12ihipStream_tbDpT10_ENKUlT_T0_E_clISt17integral_constantIbLb0EES16_EEDaS11_S12_EUlS11_E_NS1_11comp_targetILNS1_3genE3ELNS1_11target_archE908ELNS1_3gpuE7ELNS1_3repE0EEENS1_30default_config_static_selectorELNS0_4arch9wavefront6targetE0EEEvT1_
; %bb.0:
	.section	.rodata,"a",@progbits
	.p2align	6, 0x0
	.amdhsa_kernel _ZN7rocprim17ROCPRIM_400000_NS6detail17trampoline_kernelINS0_14default_configENS1_25partition_config_selectorILNS1_17partition_subalgoE6EtNS0_10empty_typeEbEEZZNS1_14partition_implILS5_6ELb0ES3_mN6thrust23THRUST_200600_302600_NS6detail15normal_iteratorINSA_10device_ptrItEEEEPS6_SG_NS0_5tupleIJSF_S6_EEENSH_IJSG_SG_EEES6_PlJ7is_evenItEEEE10hipError_tPvRmT3_T4_T5_T6_T7_T9_mT8_P12ihipStream_tbDpT10_ENKUlT_T0_E_clISt17integral_constantIbLb0EES16_EEDaS11_S12_EUlS11_E_NS1_11comp_targetILNS1_3genE3ELNS1_11target_archE908ELNS1_3gpuE7ELNS1_3repE0EEENS1_30default_config_static_selectorELNS0_4arch9wavefront6targetE0EEEvT1_
		.amdhsa_group_segment_fixed_size 0
		.amdhsa_private_segment_fixed_size 0
		.amdhsa_kernarg_size 112
		.amdhsa_user_sgpr_count 15
		.amdhsa_user_sgpr_dispatch_ptr 0
		.amdhsa_user_sgpr_queue_ptr 0
		.amdhsa_user_sgpr_kernarg_segment_ptr 1
		.amdhsa_user_sgpr_dispatch_id 0
		.amdhsa_user_sgpr_private_segment_size 0
		.amdhsa_wavefront_size32 1
		.amdhsa_uses_dynamic_stack 0
		.amdhsa_enable_private_segment 0
		.amdhsa_system_sgpr_workgroup_id_x 1
		.amdhsa_system_sgpr_workgroup_id_y 0
		.amdhsa_system_sgpr_workgroup_id_z 0
		.amdhsa_system_sgpr_workgroup_info 0
		.amdhsa_system_vgpr_workitem_id 0
		.amdhsa_next_free_vgpr 1
		.amdhsa_next_free_sgpr 1
		.amdhsa_reserve_vcc 0
		.amdhsa_float_round_mode_32 0
		.amdhsa_float_round_mode_16_64 0
		.amdhsa_float_denorm_mode_32 3
		.amdhsa_float_denorm_mode_16_64 3
		.amdhsa_dx10_clamp 1
		.amdhsa_ieee_mode 1
		.amdhsa_fp16_overflow 0
		.amdhsa_workgroup_processor_mode 1
		.amdhsa_memory_ordered 1
		.amdhsa_forward_progress 0
		.amdhsa_shared_vgpr_count 0
		.amdhsa_exception_fp_ieee_invalid_op 0
		.amdhsa_exception_fp_denorm_src 0
		.amdhsa_exception_fp_ieee_div_zero 0
		.amdhsa_exception_fp_ieee_overflow 0
		.amdhsa_exception_fp_ieee_underflow 0
		.amdhsa_exception_fp_ieee_inexact 0
		.amdhsa_exception_int_div_zero 0
	.end_amdhsa_kernel
	.section	.text._ZN7rocprim17ROCPRIM_400000_NS6detail17trampoline_kernelINS0_14default_configENS1_25partition_config_selectorILNS1_17partition_subalgoE6EtNS0_10empty_typeEbEEZZNS1_14partition_implILS5_6ELb0ES3_mN6thrust23THRUST_200600_302600_NS6detail15normal_iteratorINSA_10device_ptrItEEEEPS6_SG_NS0_5tupleIJSF_S6_EEENSH_IJSG_SG_EEES6_PlJ7is_evenItEEEE10hipError_tPvRmT3_T4_T5_T6_T7_T9_mT8_P12ihipStream_tbDpT10_ENKUlT_T0_E_clISt17integral_constantIbLb0EES16_EEDaS11_S12_EUlS11_E_NS1_11comp_targetILNS1_3genE3ELNS1_11target_archE908ELNS1_3gpuE7ELNS1_3repE0EEENS1_30default_config_static_selectorELNS0_4arch9wavefront6targetE0EEEvT1_,"axG",@progbits,_ZN7rocprim17ROCPRIM_400000_NS6detail17trampoline_kernelINS0_14default_configENS1_25partition_config_selectorILNS1_17partition_subalgoE6EtNS0_10empty_typeEbEEZZNS1_14partition_implILS5_6ELb0ES3_mN6thrust23THRUST_200600_302600_NS6detail15normal_iteratorINSA_10device_ptrItEEEEPS6_SG_NS0_5tupleIJSF_S6_EEENSH_IJSG_SG_EEES6_PlJ7is_evenItEEEE10hipError_tPvRmT3_T4_T5_T6_T7_T9_mT8_P12ihipStream_tbDpT10_ENKUlT_T0_E_clISt17integral_constantIbLb0EES16_EEDaS11_S12_EUlS11_E_NS1_11comp_targetILNS1_3genE3ELNS1_11target_archE908ELNS1_3gpuE7ELNS1_3repE0EEENS1_30default_config_static_selectorELNS0_4arch9wavefront6targetE0EEEvT1_,comdat
.Lfunc_end331:
	.size	_ZN7rocprim17ROCPRIM_400000_NS6detail17trampoline_kernelINS0_14default_configENS1_25partition_config_selectorILNS1_17partition_subalgoE6EtNS0_10empty_typeEbEEZZNS1_14partition_implILS5_6ELb0ES3_mN6thrust23THRUST_200600_302600_NS6detail15normal_iteratorINSA_10device_ptrItEEEEPS6_SG_NS0_5tupleIJSF_S6_EEENSH_IJSG_SG_EEES6_PlJ7is_evenItEEEE10hipError_tPvRmT3_T4_T5_T6_T7_T9_mT8_P12ihipStream_tbDpT10_ENKUlT_T0_E_clISt17integral_constantIbLb0EES16_EEDaS11_S12_EUlS11_E_NS1_11comp_targetILNS1_3genE3ELNS1_11target_archE908ELNS1_3gpuE7ELNS1_3repE0EEENS1_30default_config_static_selectorELNS0_4arch9wavefront6targetE0EEEvT1_, .Lfunc_end331-_ZN7rocprim17ROCPRIM_400000_NS6detail17trampoline_kernelINS0_14default_configENS1_25partition_config_selectorILNS1_17partition_subalgoE6EtNS0_10empty_typeEbEEZZNS1_14partition_implILS5_6ELb0ES3_mN6thrust23THRUST_200600_302600_NS6detail15normal_iteratorINSA_10device_ptrItEEEEPS6_SG_NS0_5tupleIJSF_S6_EEENSH_IJSG_SG_EEES6_PlJ7is_evenItEEEE10hipError_tPvRmT3_T4_T5_T6_T7_T9_mT8_P12ihipStream_tbDpT10_ENKUlT_T0_E_clISt17integral_constantIbLb0EES16_EEDaS11_S12_EUlS11_E_NS1_11comp_targetILNS1_3genE3ELNS1_11target_archE908ELNS1_3gpuE7ELNS1_3repE0EEENS1_30default_config_static_selectorELNS0_4arch9wavefront6targetE0EEEvT1_
                                        ; -- End function
	.section	.AMDGPU.csdata,"",@progbits
; Kernel info:
; codeLenInByte = 0
; NumSgprs: 0
; NumVgprs: 0
; ScratchSize: 0
; MemoryBound: 0
; FloatMode: 240
; IeeeMode: 1
; LDSByteSize: 0 bytes/workgroup (compile time only)
; SGPRBlocks: 0
; VGPRBlocks: 0
; NumSGPRsForWavesPerEU: 1
; NumVGPRsForWavesPerEU: 1
; Occupancy: 16
; WaveLimiterHint : 0
; COMPUTE_PGM_RSRC2:SCRATCH_EN: 0
; COMPUTE_PGM_RSRC2:USER_SGPR: 15
; COMPUTE_PGM_RSRC2:TRAP_HANDLER: 0
; COMPUTE_PGM_RSRC2:TGID_X_EN: 1
; COMPUTE_PGM_RSRC2:TGID_Y_EN: 0
; COMPUTE_PGM_RSRC2:TGID_Z_EN: 0
; COMPUTE_PGM_RSRC2:TIDIG_COMP_CNT: 0
	.section	.text._ZN7rocprim17ROCPRIM_400000_NS6detail17trampoline_kernelINS0_14default_configENS1_25partition_config_selectorILNS1_17partition_subalgoE6EtNS0_10empty_typeEbEEZZNS1_14partition_implILS5_6ELb0ES3_mN6thrust23THRUST_200600_302600_NS6detail15normal_iteratorINSA_10device_ptrItEEEEPS6_SG_NS0_5tupleIJSF_S6_EEENSH_IJSG_SG_EEES6_PlJ7is_evenItEEEE10hipError_tPvRmT3_T4_T5_T6_T7_T9_mT8_P12ihipStream_tbDpT10_ENKUlT_T0_E_clISt17integral_constantIbLb0EES16_EEDaS11_S12_EUlS11_E_NS1_11comp_targetILNS1_3genE2ELNS1_11target_archE906ELNS1_3gpuE6ELNS1_3repE0EEENS1_30default_config_static_selectorELNS0_4arch9wavefront6targetE0EEEvT1_,"axG",@progbits,_ZN7rocprim17ROCPRIM_400000_NS6detail17trampoline_kernelINS0_14default_configENS1_25partition_config_selectorILNS1_17partition_subalgoE6EtNS0_10empty_typeEbEEZZNS1_14partition_implILS5_6ELb0ES3_mN6thrust23THRUST_200600_302600_NS6detail15normal_iteratorINSA_10device_ptrItEEEEPS6_SG_NS0_5tupleIJSF_S6_EEENSH_IJSG_SG_EEES6_PlJ7is_evenItEEEE10hipError_tPvRmT3_T4_T5_T6_T7_T9_mT8_P12ihipStream_tbDpT10_ENKUlT_T0_E_clISt17integral_constantIbLb0EES16_EEDaS11_S12_EUlS11_E_NS1_11comp_targetILNS1_3genE2ELNS1_11target_archE906ELNS1_3gpuE6ELNS1_3repE0EEENS1_30default_config_static_selectorELNS0_4arch9wavefront6targetE0EEEvT1_,comdat
	.protected	_ZN7rocprim17ROCPRIM_400000_NS6detail17trampoline_kernelINS0_14default_configENS1_25partition_config_selectorILNS1_17partition_subalgoE6EtNS0_10empty_typeEbEEZZNS1_14partition_implILS5_6ELb0ES3_mN6thrust23THRUST_200600_302600_NS6detail15normal_iteratorINSA_10device_ptrItEEEEPS6_SG_NS0_5tupleIJSF_S6_EEENSH_IJSG_SG_EEES6_PlJ7is_evenItEEEE10hipError_tPvRmT3_T4_T5_T6_T7_T9_mT8_P12ihipStream_tbDpT10_ENKUlT_T0_E_clISt17integral_constantIbLb0EES16_EEDaS11_S12_EUlS11_E_NS1_11comp_targetILNS1_3genE2ELNS1_11target_archE906ELNS1_3gpuE6ELNS1_3repE0EEENS1_30default_config_static_selectorELNS0_4arch9wavefront6targetE0EEEvT1_ ; -- Begin function _ZN7rocprim17ROCPRIM_400000_NS6detail17trampoline_kernelINS0_14default_configENS1_25partition_config_selectorILNS1_17partition_subalgoE6EtNS0_10empty_typeEbEEZZNS1_14partition_implILS5_6ELb0ES3_mN6thrust23THRUST_200600_302600_NS6detail15normal_iteratorINSA_10device_ptrItEEEEPS6_SG_NS0_5tupleIJSF_S6_EEENSH_IJSG_SG_EEES6_PlJ7is_evenItEEEE10hipError_tPvRmT3_T4_T5_T6_T7_T9_mT8_P12ihipStream_tbDpT10_ENKUlT_T0_E_clISt17integral_constantIbLb0EES16_EEDaS11_S12_EUlS11_E_NS1_11comp_targetILNS1_3genE2ELNS1_11target_archE906ELNS1_3gpuE6ELNS1_3repE0EEENS1_30default_config_static_selectorELNS0_4arch9wavefront6targetE0EEEvT1_
	.globl	_ZN7rocprim17ROCPRIM_400000_NS6detail17trampoline_kernelINS0_14default_configENS1_25partition_config_selectorILNS1_17partition_subalgoE6EtNS0_10empty_typeEbEEZZNS1_14partition_implILS5_6ELb0ES3_mN6thrust23THRUST_200600_302600_NS6detail15normal_iteratorINSA_10device_ptrItEEEEPS6_SG_NS0_5tupleIJSF_S6_EEENSH_IJSG_SG_EEES6_PlJ7is_evenItEEEE10hipError_tPvRmT3_T4_T5_T6_T7_T9_mT8_P12ihipStream_tbDpT10_ENKUlT_T0_E_clISt17integral_constantIbLb0EES16_EEDaS11_S12_EUlS11_E_NS1_11comp_targetILNS1_3genE2ELNS1_11target_archE906ELNS1_3gpuE6ELNS1_3repE0EEENS1_30default_config_static_selectorELNS0_4arch9wavefront6targetE0EEEvT1_
	.p2align	8
	.type	_ZN7rocprim17ROCPRIM_400000_NS6detail17trampoline_kernelINS0_14default_configENS1_25partition_config_selectorILNS1_17partition_subalgoE6EtNS0_10empty_typeEbEEZZNS1_14partition_implILS5_6ELb0ES3_mN6thrust23THRUST_200600_302600_NS6detail15normal_iteratorINSA_10device_ptrItEEEEPS6_SG_NS0_5tupleIJSF_S6_EEENSH_IJSG_SG_EEES6_PlJ7is_evenItEEEE10hipError_tPvRmT3_T4_T5_T6_T7_T9_mT8_P12ihipStream_tbDpT10_ENKUlT_T0_E_clISt17integral_constantIbLb0EES16_EEDaS11_S12_EUlS11_E_NS1_11comp_targetILNS1_3genE2ELNS1_11target_archE906ELNS1_3gpuE6ELNS1_3repE0EEENS1_30default_config_static_selectorELNS0_4arch9wavefront6targetE0EEEvT1_,@function
_ZN7rocprim17ROCPRIM_400000_NS6detail17trampoline_kernelINS0_14default_configENS1_25partition_config_selectorILNS1_17partition_subalgoE6EtNS0_10empty_typeEbEEZZNS1_14partition_implILS5_6ELb0ES3_mN6thrust23THRUST_200600_302600_NS6detail15normal_iteratorINSA_10device_ptrItEEEEPS6_SG_NS0_5tupleIJSF_S6_EEENSH_IJSG_SG_EEES6_PlJ7is_evenItEEEE10hipError_tPvRmT3_T4_T5_T6_T7_T9_mT8_P12ihipStream_tbDpT10_ENKUlT_T0_E_clISt17integral_constantIbLb0EES16_EEDaS11_S12_EUlS11_E_NS1_11comp_targetILNS1_3genE2ELNS1_11target_archE906ELNS1_3gpuE6ELNS1_3repE0EEENS1_30default_config_static_selectorELNS0_4arch9wavefront6targetE0EEEvT1_: ; @_ZN7rocprim17ROCPRIM_400000_NS6detail17trampoline_kernelINS0_14default_configENS1_25partition_config_selectorILNS1_17partition_subalgoE6EtNS0_10empty_typeEbEEZZNS1_14partition_implILS5_6ELb0ES3_mN6thrust23THRUST_200600_302600_NS6detail15normal_iteratorINSA_10device_ptrItEEEEPS6_SG_NS0_5tupleIJSF_S6_EEENSH_IJSG_SG_EEES6_PlJ7is_evenItEEEE10hipError_tPvRmT3_T4_T5_T6_T7_T9_mT8_P12ihipStream_tbDpT10_ENKUlT_T0_E_clISt17integral_constantIbLb0EES16_EEDaS11_S12_EUlS11_E_NS1_11comp_targetILNS1_3genE2ELNS1_11target_archE906ELNS1_3gpuE6ELNS1_3repE0EEENS1_30default_config_static_selectorELNS0_4arch9wavefront6targetE0EEEvT1_
; %bb.0:
	.section	.rodata,"a",@progbits
	.p2align	6, 0x0
	.amdhsa_kernel _ZN7rocprim17ROCPRIM_400000_NS6detail17trampoline_kernelINS0_14default_configENS1_25partition_config_selectorILNS1_17partition_subalgoE6EtNS0_10empty_typeEbEEZZNS1_14partition_implILS5_6ELb0ES3_mN6thrust23THRUST_200600_302600_NS6detail15normal_iteratorINSA_10device_ptrItEEEEPS6_SG_NS0_5tupleIJSF_S6_EEENSH_IJSG_SG_EEES6_PlJ7is_evenItEEEE10hipError_tPvRmT3_T4_T5_T6_T7_T9_mT8_P12ihipStream_tbDpT10_ENKUlT_T0_E_clISt17integral_constantIbLb0EES16_EEDaS11_S12_EUlS11_E_NS1_11comp_targetILNS1_3genE2ELNS1_11target_archE906ELNS1_3gpuE6ELNS1_3repE0EEENS1_30default_config_static_selectorELNS0_4arch9wavefront6targetE0EEEvT1_
		.amdhsa_group_segment_fixed_size 0
		.amdhsa_private_segment_fixed_size 0
		.amdhsa_kernarg_size 112
		.amdhsa_user_sgpr_count 15
		.amdhsa_user_sgpr_dispatch_ptr 0
		.amdhsa_user_sgpr_queue_ptr 0
		.amdhsa_user_sgpr_kernarg_segment_ptr 1
		.amdhsa_user_sgpr_dispatch_id 0
		.amdhsa_user_sgpr_private_segment_size 0
		.amdhsa_wavefront_size32 1
		.amdhsa_uses_dynamic_stack 0
		.amdhsa_enable_private_segment 0
		.amdhsa_system_sgpr_workgroup_id_x 1
		.amdhsa_system_sgpr_workgroup_id_y 0
		.amdhsa_system_sgpr_workgroup_id_z 0
		.amdhsa_system_sgpr_workgroup_info 0
		.amdhsa_system_vgpr_workitem_id 0
		.amdhsa_next_free_vgpr 1
		.amdhsa_next_free_sgpr 1
		.amdhsa_reserve_vcc 0
		.amdhsa_float_round_mode_32 0
		.amdhsa_float_round_mode_16_64 0
		.amdhsa_float_denorm_mode_32 3
		.amdhsa_float_denorm_mode_16_64 3
		.amdhsa_dx10_clamp 1
		.amdhsa_ieee_mode 1
		.amdhsa_fp16_overflow 0
		.amdhsa_workgroup_processor_mode 1
		.amdhsa_memory_ordered 1
		.amdhsa_forward_progress 0
		.amdhsa_shared_vgpr_count 0
		.amdhsa_exception_fp_ieee_invalid_op 0
		.amdhsa_exception_fp_denorm_src 0
		.amdhsa_exception_fp_ieee_div_zero 0
		.amdhsa_exception_fp_ieee_overflow 0
		.amdhsa_exception_fp_ieee_underflow 0
		.amdhsa_exception_fp_ieee_inexact 0
		.amdhsa_exception_int_div_zero 0
	.end_amdhsa_kernel
	.section	.text._ZN7rocprim17ROCPRIM_400000_NS6detail17trampoline_kernelINS0_14default_configENS1_25partition_config_selectorILNS1_17partition_subalgoE6EtNS0_10empty_typeEbEEZZNS1_14partition_implILS5_6ELb0ES3_mN6thrust23THRUST_200600_302600_NS6detail15normal_iteratorINSA_10device_ptrItEEEEPS6_SG_NS0_5tupleIJSF_S6_EEENSH_IJSG_SG_EEES6_PlJ7is_evenItEEEE10hipError_tPvRmT3_T4_T5_T6_T7_T9_mT8_P12ihipStream_tbDpT10_ENKUlT_T0_E_clISt17integral_constantIbLb0EES16_EEDaS11_S12_EUlS11_E_NS1_11comp_targetILNS1_3genE2ELNS1_11target_archE906ELNS1_3gpuE6ELNS1_3repE0EEENS1_30default_config_static_selectorELNS0_4arch9wavefront6targetE0EEEvT1_,"axG",@progbits,_ZN7rocprim17ROCPRIM_400000_NS6detail17trampoline_kernelINS0_14default_configENS1_25partition_config_selectorILNS1_17partition_subalgoE6EtNS0_10empty_typeEbEEZZNS1_14partition_implILS5_6ELb0ES3_mN6thrust23THRUST_200600_302600_NS6detail15normal_iteratorINSA_10device_ptrItEEEEPS6_SG_NS0_5tupleIJSF_S6_EEENSH_IJSG_SG_EEES6_PlJ7is_evenItEEEE10hipError_tPvRmT3_T4_T5_T6_T7_T9_mT8_P12ihipStream_tbDpT10_ENKUlT_T0_E_clISt17integral_constantIbLb0EES16_EEDaS11_S12_EUlS11_E_NS1_11comp_targetILNS1_3genE2ELNS1_11target_archE906ELNS1_3gpuE6ELNS1_3repE0EEENS1_30default_config_static_selectorELNS0_4arch9wavefront6targetE0EEEvT1_,comdat
.Lfunc_end332:
	.size	_ZN7rocprim17ROCPRIM_400000_NS6detail17trampoline_kernelINS0_14default_configENS1_25partition_config_selectorILNS1_17partition_subalgoE6EtNS0_10empty_typeEbEEZZNS1_14partition_implILS5_6ELb0ES3_mN6thrust23THRUST_200600_302600_NS6detail15normal_iteratorINSA_10device_ptrItEEEEPS6_SG_NS0_5tupleIJSF_S6_EEENSH_IJSG_SG_EEES6_PlJ7is_evenItEEEE10hipError_tPvRmT3_T4_T5_T6_T7_T9_mT8_P12ihipStream_tbDpT10_ENKUlT_T0_E_clISt17integral_constantIbLb0EES16_EEDaS11_S12_EUlS11_E_NS1_11comp_targetILNS1_3genE2ELNS1_11target_archE906ELNS1_3gpuE6ELNS1_3repE0EEENS1_30default_config_static_selectorELNS0_4arch9wavefront6targetE0EEEvT1_, .Lfunc_end332-_ZN7rocprim17ROCPRIM_400000_NS6detail17trampoline_kernelINS0_14default_configENS1_25partition_config_selectorILNS1_17partition_subalgoE6EtNS0_10empty_typeEbEEZZNS1_14partition_implILS5_6ELb0ES3_mN6thrust23THRUST_200600_302600_NS6detail15normal_iteratorINSA_10device_ptrItEEEEPS6_SG_NS0_5tupleIJSF_S6_EEENSH_IJSG_SG_EEES6_PlJ7is_evenItEEEE10hipError_tPvRmT3_T4_T5_T6_T7_T9_mT8_P12ihipStream_tbDpT10_ENKUlT_T0_E_clISt17integral_constantIbLb0EES16_EEDaS11_S12_EUlS11_E_NS1_11comp_targetILNS1_3genE2ELNS1_11target_archE906ELNS1_3gpuE6ELNS1_3repE0EEENS1_30default_config_static_selectorELNS0_4arch9wavefront6targetE0EEEvT1_
                                        ; -- End function
	.section	.AMDGPU.csdata,"",@progbits
; Kernel info:
; codeLenInByte = 0
; NumSgprs: 0
; NumVgprs: 0
; ScratchSize: 0
; MemoryBound: 0
; FloatMode: 240
; IeeeMode: 1
; LDSByteSize: 0 bytes/workgroup (compile time only)
; SGPRBlocks: 0
; VGPRBlocks: 0
; NumSGPRsForWavesPerEU: 1
; NumVGPRsForWavesPerEU: 1
; Occupancy: 16
; WaveLimiterHint : 0
; COMPUTE_PGM_RSRC2:SCRATCH_EN: 0
; COMPUTE_PGM_RSRC2:USER_SGPR: 15
; COMPUTE_PGM_RSRC2:TRAP_HANDLER: 0
; COMPUTE_PGM_RSRC2:TGID_X_EN: 1
; COMPUTE_PGM_RSRC2:TGID_Y_EN: 0
; COMPUTE_PGM_RSRC2:TGID_Z_EN: 0
; COMPUTE_PGM_RSRC2:TIDIG_COMP_CNT: 0
	.section	.text._ZN7rocprim17ROCPRIM_400000_NS6detail17trampoline_kernelINS0_14default_configENS1_25partition_config_selectorILNS1_17partition_subalgoE6EtNS0_10empty_typeEbEEZZNS1_14partition_implILS5_6ELb0ES3_mN6thrust23THRUST_200600_302600_NS6detail15normal_iteratorINSA_10device_ptrItEEEEPS6_SG_NS0_5tupleIJSF_S6_EEENSH_IJSG_SG_EEES6_PlJ7is_evenItEEEE10hipError_tPvRmT3_T4_T5_T6_T7_T9_mT8_P12ihipStream_tbDpT10_ENKUlT_T0_E_clISt17integral_constantIbLb0EES16_EEDaS11_S12_EUlS11_E_NS1_11comp_targetILNS1_3genE10ELNS1_11target_archE1200ELNS1_3gpuE4ELNS1_3repE0EEENS1_30default_config_static_selectorELNS0_4arch9wavefront6targetE0EEEvT1_,"axG",@progbits,_ZN7rocprim17ROCPRIM_400000_NS6detail17trampoline_kernelINS0_14default_configENS1_25partition_config_selectorILNS1_17partition_subalgoE6EtNS0_10empty_typeEbEEZZNS1_14partition_implILS5_6ELb0ES3_mN6thrust23THRUST_200600_302600_NS6detail15normal_iteratorINSA_10device_ptrItEEEEPS6_SG_NS0_5tupleIJSF_S6_EEENSH_IJSG_SG_EEES6_PlJ7is_evenItEEEE10hipError_tPvRmT3_T4_T5_T6_T7_T9_mT8_P12ihipStream_tbDpT10_ENKUlT_T0_E_clISt17integral_constantIbLb0EES16_EEDaS11_S12_EUlS11_E_NS1_11comp_targetILNS1_3genE10ELNS1_11target_archE1200ELNS1_3gpuE4ELNS1_3repE0EEENS1_30default_config_static_selectorELNS0_4arch9wavefront6targetE0EEEvT1_,comdat
	.protected	_ZN7rocprim17ROCPRIM_400000_NS6detail17trampoline_kernelINS0_14default_configENS1_25partition_config_selectorILNS1_17partition_subalgoE6EtNS0_10empty_typeEbEEZZNS1_14partition_implILS5_6ELb0ES3_mN6thrust23THRUST_200600_302600_NS6detail15normal_iteratorINSA_10device_ptrItEEEEPS6_SG_NS0_5tupleIJSF_S6_EEENSH_IJSG_SG_EEES6_PlJ7is_evenItEEEE10hipError_tPvRmT3_T4_T5_T6_T7_T9_mT8_P12ihipStream_tbDpT10_ENKUlT_T0_E_clISt17integral_constantIbLb0EES16_EEDaS11_S12_EUlS11_E_NS1_11comp_targetILNS1_3genE10ELNS1_11target_archE1200ELNS1_3gpuE4ELNS1_3repE0EEENS1_30default_config_static_selectorELNS0_4arch9wavefront6targetE0EEEvT1_ ; -- Begin function _ZN7rocprim17ROCPRIM_400000_NS6detail17trampoline_kernelINS0_14default_configENS1_25partition_config_selectorILNS1_17partition_subalgoE6EtNS0_10empty_typeEbEEZZNS1_14partition_implILS5_6ELb0ES3_mN6thrust23THRUST_200600_302600_NS6detail15normal_iteratorINSA_10device_ptrItEEEEPS6_SG_NS0_5tupleIJSF_S6_EEENSH_IJSG_SG_EEES6_PlJ7is_evenItEEEE10hipError_tPvRmT3_T4_T5_T6_T7_T9_mT8_P12ihipStream_tbDpT10_ENKUlT_T0_E_clISt17integral_constantIbLb0EES16_EEDaS11_S12_EUlS11_E_NS1_11comp_targetILNS1_3genE10ELNS1_11target_archE1200ELNS1_3gpuE4ELNS1_3repE0EEENS1_30default_config_static_selectorELNS0_4arch9wavefront6targetE0EEEvT1_
	.globl	_ZN7rocprim17ROCPRIM_400000_NS6detail17trampoline_kernelINS0_14default_configENS1_25partition_config_selectorILNS1_17partition_subalgoE6EtNS0_10empty_typeEbEEZZNS1_14partition_implILS5_6ELb0ES3_mN6thrust23THRUST_200600_302600_NS6detail15normal_iteratorINSA_10device_ptrItEEEEPS6_SG_NS0_5tupleIJSF_S6_EEENSH_IJSG_SG_EEES6_PlJ7is_evenItEEEE10hipError_tPvRmT3_T4_T5_T6_T7_T9_mT8_P12ihipStream_tbDpT10_ENKUlT_T0_E_clISt17integral_constantIbLb0EES16_EEDaS11_S12_EUlS11_E_NS1_11comp_targetILNS1_3genE10ELNS1_11target_archE1200ELNS1_3gpuE4ELNS1_3repE0EEENS1_30default_config_static_selectorELNS0_4arch9wavefront6targetE0EEEvT1_
	.p2align	8
	.type	_ZN7rocprim17ROCPRIM_400000_NS6detail17trampoline_kernelINS0_14default_configENS1_25partition_config_selectorILNS1_17partition_subalgoE6EtNS0_10empty_typeEbEEZZNS1_14partition_implILS5_6ELb0ES3_mN6thrust23THRUST_200600_302600_NS6detail15normal_iteratorINSA_10device_ptrItEEEEPS6_SG_NS0_5tupleIJSF_S6_EEENSH_IJSG_SG_EEES6_PlJ7is_evenItEEEE10hipError_tPvRmT3_T4_T5_T6_T7_T9_mT8_P12ihipStream_tbDpT10_ENKUlT_T0_E_clISt17integral_constantIbLb0EES16_EEDaS11_S12_EUlS11_E_NS1_11comp_targetILNS1_3genE10ELNS1_11target_archE1200ELNS1_3gpuE4ELNS1_3repE0EEENS1_30default_config_static_selectorELNS0_4arch9wavefront6targetE0EEEvT1_,@function
_ZN7rocprim17ROCPRIM_400000_NS6detail17trampoline_kernelINS0_14default_configENS1_25partition_config_selectorILNS1_17partition_subalgoE6EtNS0_10empty_typeEbEEZZNS1_14partition_implILS5_6ELb0ES3_mN6thrust23THRUST_200600_302600_NS6detail15normal_iteratorINSA_10device_ptrItEEEEPS6_SG_NS0_5tupleIJSF_S6_EEENSH_IJSG_SG_EEES6_PlJ7is_evenItEEEE10hipError_tPvRmT3_T4_T5_T6_T7_T9_mT8_P12ihipStream_tbDpT10_ENKUlT_T0_E_clISt17integral_constantIbLb0EES16_EEDaS11_S12_EUlS11_E_NS1_11comp_targetILNS1_3genE10ELNS1_11target_archE1200ELNS1_3gpuE4ELNS1_3repE0EEENS1_30default_config_static_selectorELNS0_4arch9wavefront6targetE0EEEvT1_: ; @_ZN7rocprim17ROCPRIM_400000_NS6detail17trampoline_kernelINS0_14default_configENS1_25partition_config_selectorILNS1_17partition_subalgoE6EtNS0_10empty_typeEbEEZZNS1_14partition_implILS5_6ELb0ES3_mN6thrust23THRUST_200600_302600_NS6detail15normal_iteratorINSA_10device_ptrItEEEEPS6_SG_NS0_5tupleIJSF_S6_EEENSH_IJSG_SG_EEES6_PlJ7is_evenItEEEE10hipError_tPvRmT3_T4_T5_T6_T7_T9_mT8_P12ihipStream_tbDpT10_ENKUlT_T0_E_clISt17integral_constantIbLb0EES16_EEDaS11_S12_EUlS11_E_NS1_11comp_targetILNS1_3genE10ELNS1_11target_archE1200ELNS1_3gpuE4ELNS1_3repE0EEENS1_30default_config_static_selectorELNS0_4arch9wavefront6targetE0EEEvT1_
; %bb.0:
	.section	.rodata,"a",@progbits
	.p2align	6, 0x0
	.amdhsa_kernel _ZN7rocprim17ROCPRIM_400000_NS6detail17trampoline_kernelINS0_14default_configENS1_25partition_config_selectorILNS1_17partition_subalgoE6EtNS0_10empty_typeEbEEZZNS1_14partition_implILS5_6ELb0ES3_mN6thrust23THRUST_200600_302600_NS6detail15normal_iteratorINSA_10device_ptrItEEEEPS6_SG_NS0_5tupleIJSF_S6_EEENSH_IJSG_SG_EEES6_PlJ7is_evenItEEEE10hipError_tPvRmT3_T4_T5_T6_T7_T9_mT8_P12ihipStream_tbDpT10_ENKUlT_T0_E_clISt17integral_constantIbLb0EES16_EEDaS11_S12_EUlS11_E_NS1_11comp_targetILNS1_3genE10ELNS1_11target_archE1200ELNS1_3gpuE4ELNS1_3repE0EEENS1_30default_config_static_selectorELNS0_4arch9wavefront6targetE0EEEvT1_
		.amdhsa_group_segment_fixed_size 0
		.amdhsa_private_segment_fixed_size 0
		.amdhsa_kernarg_size 112
		.amdhsa_user_sgpr_count 15
		.amdhsa_user_sgpr_dispatch_ptr 0
		.amdhsa_user_sgpr_queue_ptr 0
		.amdhsa_user_sgpr_kernarg_segment_ptr 1
		.amdhsa_user_sgpr_dispatch_id 0
		.amdhsa_user_sgpr_private_segment_size 0
		.amdhsa_wavefront_size32 1
		.amdhsa_uses_dynamic_stack 0
		.amdhsa_enable_private_segment 0
		.amdhsa_system_sgpr_workgroup_id_x 1
		.amdhsa_system_sgpr_workgroup_id_y 0
		.amdhsa_system_sgpr_workgroup_id_z 0
		.amdhsa_system_sgpr_workgroup_info 0
		.amdhsa_system_vgpr_workitem_id 0
		.amdhsa_next_free_vgpr 1
		.amdhsa_next_free_sgpr 1
		.amdhsa_reserve_vcc 0
		.amdhsa_float_round_mode_32 0
		.amdhsa_float_round_mode_16_64 0
		.amdhsa_float_denorm_mode_32 3
		.amdhsa_float_denorm_mode_16_64 3
		.amdhsa_dx10_clamp 1
		.amdhsa_ieee_mode 1
		.amdhsa_fp16_overflow 0
		.amdhsa_workgroup_processor_mode 1
		.amdhsa_memory_ordered 1
		.amdhsa_forward_progress 0
		.amdhsa_shared_vgpr_count 0
		.amdhsa_exception_fp_ieee_invalid_op 0
		.amdhsa_exception_fp_denorm_src 0
		.amdhsa_exception_fp_ieee_div_zero 0
		.amdhsa_exception_fp_ieee_overflow 0
		.amdhsa_exception_fp_ieee_underflow 0
		.amdhsa_exception_fp_ieee_inexact 0
		.amdhsa_exception_int_div_zero 0
	.end_amdhsa_kernel
	.section	.text._ZN7rocprim17ROCPRIM_400000_NS6detail17trampoline_kernelINS0_14default_configENS1_25partition_config_selectorILNS1_17partition_subalgoE6EtNS0_10empty_typeEbEEZZNS1_14partition_implILS5_6ELb0ES3_mN6thrust23THRUST_200600_302600_NS6detail15normal_iteratorINSA_10device_ptrItEEEEPS6_SG_NS0_5tupleIJSF_S6_EEENSH_IJSG_SG_EEES6_PlJ7is_evenItEEEE10hipError_tPvRmT3_T4_T5_T6_T7_T9_mT8_P12ihipStream_tbDpT10_ENKUlT_T0_E_clISt17integral_constantIbLb0EES16_EEDaS11_S12_EUlS11_E_NS1_11comp_targetILNS1_3genE10ELNS1_11target_archE1200ELNS1_3gpuE4ELNS1_3repE0EEENS1_30default_config_static_selectorELNS0_4arch9wavefront6targetE0EEEvT1_,"axG",@progbits,_ZN7rocprim17ROCPRIM_400000_NS6detail17trampoline_kernelINS0_14default_configENS1_25partition_config_selectorILNS1_17partition_subalgoE6EtNS0_10empty_typeEbEEZZNS1_14partition_implILS5_6ELb0ES3_mN6thrust23THRUST_200600_302600_NS6detail15normal_iteratorINSA_10device_ptrItEEEEPS6_SG_NS0_5tupleIJSF_S6_EEENSH_IJSG_SG_EEES6_PlJ7is_evenItEEEE10hipError_tPvRmT3_T4_T5_T6_T7_T9_mT8_P12ihipStream_tbDpT10_ENKUlT_T0_E_clISt17integral_constantIbLb0EES16_EEDaS11_S12_EUlS11_E_NS1_11comp_targetILNS1_3genE10ELNS1_11target_archE1200ELNS1_3gpuE4ELNS1_3repE0EEENS1_30default_config_static_selectorELNS0_4arch9wavefront6targetE0EEEvT1_,comdat
.Lfunc_end333:
	.size	_ZN7rocprim17ROCPRIM_400000_NS6detail17trampoline_kernelINS0_14default_configENS1_25partition_config_selectorILNS1_17partition_subalgoE6EtNS0_10empty_typeEbEEZZNS1_14partition_implILS5_6ELb0ES3_mN6thrust23THRUST_200600_302600_NS6detail15normal_iteratorINSA_10device_ptrItEEEEPS6_SG_NS0_5tupleIJSF_S6_EEENSH_IJSG_SG_EEES6_PlJ7is_evenItEEEE10hipError_tPvRmT3_T4_T5_T6_T7_T9_mT8_P12ihipStream_tbDpT10_ENKUlT_T0_E_clISt17integral_constantIbLb0EES16_EEDaS11_S12_EUlS11_E_NS1_11comp_targetILNS1_3genE10ELNS1_11target_archE1200ELNS1_3gpuE4ELNS1_3repE0EEENS1_30default_config_static_selectorELNS0_4arch9wavefront6targetE0EEEvT1_, .Lfunc_end333-_ZN7rocprim17ROCPRIM_400000_NS6detail17trampoline_kernelINS0_14default_configENS1_25partition_config_selectorILNS1_17partition_subalgoE6EtNS0_10empty_typeEbEEZZNS1_14partition_implILS5_6ELb0ES3_mN6thrust23THRUST_200600_302600_NS6detail15normal_iteratorINSA_10device_ptrItEEEEPS6_SG_NS0_5tupleIJSF_S6_EEENSH_IJSG_SG_EEES6_PlJ7is_evenItEEEE10hipError_tPvRmT3_T4_T5_T6_T7_T9_mT8_P12ihipStream_tbDpT10_ENKUlT_T0_E_clISt17integral_constantIbLb0EES16_EEDaS11_S12_EUlS11_E_NS1_11comp_targetILNS1_3genE10ELNS1_11target_archE1200ELNS1_3gpuE4ELNS1_3repE0EEENS1_30default_config_static_selectorELNS0_4arch9wavefront6targetE0EEEvT1_
                                        ; -- End function
	.section	.AMDGPU.csdata,"",@progbits
; Kernel info:
; codeLenInByte = 0
; NumSgprs: 0
; NumVgprs: 0
; ScratchSize: 0
; MemoryBound: 0
; FloatMode: 240
; IeeeMode: 1
; LDSByteSize: 0 bytes/workgroup (compile time only)
; SGPRBlocks: 0
; VGPRBlocks: 0
; NumSGPRsForWavesPerEU: 1
; NumVGPRsForWavesPerEU: 1
; Occupancy: 15
; WaveLimiterHint : 0
; COMPUTE_PGM_RSRC2:SCRATCH_EN: 0
; COMPUTE_PGM_RSRC2:USER_SGPR: 15
; COMPUTE_PGM_RSRC2:TRAP_HANDLER: 0
; COMPUTE_PGM_RSRC2:TGID_X_EN: 1
; COMPUTE_PGM_RSRC2:TGID_Y_EN: 0
; COMPUTE_PGM_RSRC2:TGID_Z_EN: 0
; COMPUTE_PGM_RSRC2:TIDIG_COMP_CNT: 0
	.section	.text._ZN7rocprim17ROCPRIM_400000_NS6detail17trampoline_kernelINS0_14default_configENS1_25partition_config_selectorILNS1_17partition_subalgoE6EtNS0_10empty_typeEbEEZZNS1_14partition_implILS5_6ELb0ES3_mN6thrust23THRUST_200600_302600_NS6detail15normal_iteratorINSA_10device_ptrItEEEEPS6_SG_NS0_5tupleIJSF_S6_EEENSH_IJSG_SG_EEES6_PlJ7is_evenItEEEE10hipError_tPvRmT3_T4_T5_T6_T7_T9_mT8_P12ihipStream_tbDpT10_ENKUlT_T0_E_clISt17integral_constantIbLb0EES16_EEDaS11_S12_EUlS11_E_NS1_11comp_targetILNS1_3genE9ELNS1_11target_archE1100ELNS1_3gpuE3ELNS1_3repE0EEENS1_30default_config_static_selectorELNS0_4arch9wavefront6targetE0EEEvT1_,"axG",@progbits,_ZN7rocprim17ROCPRIM_400000_NS6detail17trampoline_kernelINS0_14default_configENS1_25partition_config_selectorILNS1_17partition_subalgoE6EtNS0_10empty_typeEbEEZZNS1_14partition_implILS5_6ELb0ES3_mN6thrust23THRUST_200600_302600_NS6detail15normal_iteratorINSA_10device_ptrItEEEEPS6_SG_NS0_5tupleIJSF_S6_EEENSH_IJSG_SG_EEES6_PlJ7is_evenItEEEE10hipError_tPvRmT3_T4_T5_T6_T7_T9_mT8_P12ihipStream_tbDpT10_ENKUlT_T0_E_clISt17integral_constantIbLb0EES16_EEDaS11_S12_EUlS11_E_NS1_11comp_targetILNS1_3genE9ELNS1_11target_archE1100ELNS1_3gpuE3ELNS1_3repE0EEENS1_30default_config_static_selectorELNS0_4arch9wavefront6targetE0EEEvT1_,comdat
	.protected	_ZN7rocprim17ROCPRIM_400000_NS6detail17trampoline_kernelINS0_14default_configENS1_25partition_config_selectorILNS1_17partition_subalgoE6EtNS0_10empty_typeEbEEZZNS1_14partition_implILS5_6ELb0ES3_mN6thrust23THRUST_200600_302600_NS6detail15normal_iteratorINSA_10device_ptrItEEEEPS6_SG_NS0_5tupleIJSF_S6_EEENSH_IJSG_SG_EEES6_PlJ7is_evenItEEEE10hipError_tPvRmT3_T4_T5_T6_T7_T9_mT8_P12ihipStream_tbDpT10_ENKUlT_T0_E_clISt17integral_constantIbLb0EES16_EEDaS11_S12_EUlS11_E_NS1_11comp_targetILNS1_3genE9ELNS1_11target_archE1100ELNS1_3gpuE3ELNS1_3repE0EEENS1_30default_config_static_selectorELNS0_4arch9wavefront6targetE0EEEvT1_ ; -- Begin function _ZN7rocprim17ROCPRIM_400000_NS6detail17trampoline_kernelINS0_14default_configENS1_25partition_config_selectorILNS1_17partition_subalgoE6EtNS0_10empty_typeEbEEZZNS1_14partition_implILS5_6ELb0ES3_mN6thrust23THRUST_200600_302600_NS6detail15normal_iteratorINSA_10device_ptrItEEEEPS6_SG_NS0_5tupleIJSF_S6_EEENSH_IJSG_SG_EEES6_PlJ7is_evenItEEEE10hipError_tPvRmT3_T4_T5_T6_T7_T9_mT8_P12ihipStream_tbDpT10_ENKUlT_T0_E_clISt17integral_constantIbLb0EES16_EEDaS11_S12_EUlS11_E_NS1_11comp_targetILNS1_3genE9ELNS1_11target_archE1100ELNS1_3gpuE3ELNS1_3repE0EEENS1_30default_config_static_selectorELNS0_4arch9wavefront6targetE0EEEvT1_
	.globl	_ZN7rocprim17ROCPRIM_400000_NS6detail17trampoline_kernelINS0_14default_configENS1_25partition_config_selectorILNS1_17partition_subalgoE6EtNS0_10empty_typeEbEEZZNS1_14partition_implILS5_6ELb0ES3_mN6thrust23THRUST_200600_302600_NS6detail15normal_iteratorINSA_10device_ptrItEEEEPS6_SG_NS0_5tupleIJSF_S6_EEENSH_IJSG_SG_EEES6_PlJ7is_evenItEEEE10hipError_tPvRmT3_T4_T5_T6_T7_T9_mT8_P12ihipStream_tbDpT10_ENKUlT_T0_E_clISt17integral_constantIbLb0EES16_EEDaS11_S12_EUlS11_E_NS1_11comp_targetILNS1_3genE9ELNS1_11target_archE1100ELNS1_3gpuE3ELNS1_3repE0EEENS1_30default_config_static_selectorELNS0_4arch9wavefront6targetE0EEEvT1_
	.p2align	8
	.type	_ZN7rocprim17ROCPRIM_400000_NS6detail17trampoline_kernelINS0_14default_configENS1_25partition_config_selectorILNS1_17partition_subalgoE6EtNS0_10empty_typeEbEEZZNS1_14partition_implILS5_6ELb0ES3_mN6thrust23THRUST_200600_302600_NS6detail15normal_iteratorINSA_10device_ptrItEEEEPS6_SG_NS0_5tupleIJSF_S6_EEENSH_IJSG_SG_EEES6_PlJ7is_evenItEEEE10hipError_tPvRmT3_T4_T5_T6_T7_T9_mT8_P12ihipStream_tbDpT10_ENKUlT_T0_E_clISt17integral_constantIbLb0EES16_EEDaS11_S12_EUlS11_E_NS1_11comp_targetILNS1_3genE9ELNS1_11target_archE1100ELNS1_3gpuE3ELNS1_3repE0EEENS1_30default_config_static_selectorELNS0_4arch9wavefront6targetE0EEEvT1_,@function
_ZN7rocprim17ROCPRIM_400000_NS6detail17trampoline_kernelINS0_14default_configENS1_25partition_config_selectorILNS1_17partition_subalgoE6EtNS0_10empty_typeEbEEZZNS1_14partition_implILS5_6ELb0ES3_mN6thrust23THRUST_200600_302600_NS6detail15normal_iteratorINSA_10device_ptrItEEEEPS6_SG_NS0_5tupleIJSF_S6_EEENSH_IJSG_SG_EEES6_PlJ7is_evenItEEEE10hipError_tPvRmT3_T4_T5_T6_T7_T9_mT8_P12ihipStream_tbDpT10_ENKUlT_T0_E_clISt17integral_constantIbLb0EES16_EEDaS11_S12_EUlS11_E_NS1_11comp_targetILNS1_3genE9ELNS1_11target_archE1100ELNS1_3gpuE3ELNS1_3repE0EEENS1_30default_config_static_selectorELNS0_4arch9wavefront6targetE0EEEvT1_: ; @_ZN7rocprim17ROCPRIM_400000_NS6detail17trampoline_kernelINS0_14default_configENS1_25partition_config_selectorILNS1_17partition_subalgoE6EtNS0_10empty_typeEbEEZZNS1_14partition_implILS5_6ELb0ES3_mN6thrust23THRUST_200600_302600_NS6detail15normal_iteratorINSA_10device_ptrItEEEEPS6_SG_NS0_5tupleIJSF_S6_EEENSH_IJSG_SG_EEES6_PlJ7is_evenItEEEE10hipError_tPvRmT3_T4_T5_T6_T7_T9_mT8_P12ihipStream_tbDpT10_ENKUlT_T0_E_clISt17integral_constantIbLb0EES16_EEDaS11_S12_EUlS11_E_NS1_11comp_targetILNS1_3genE9ELNS1_11target_archE1100ELNS1_3gpuE3ELNS1_3repE0EEENS1_30default_config_static_selectorELNS0_4arch9wavefront6targetE0EEEvT1_
; %bb.0:
	s_clause 0x3
	s_load_b128 s[8:11], s[0:1], 0x8
	s_load_b128 s[4:7], s[0:1], 0x40
	s_load_b32 s14, s[0:1], 0x68
	s_load_b64 s[12:13], s[0:1], 0x50
	v_lshlrev_b32_e32 v1, 1, v0
	s_waitcnt lgkmcnt(0)
	s_lshl_b64 s[2:3], s[10:11], 1
	s_load_b64 s[6:7], s[6:7], 0x0
	s_mul_i32 s16, s14, 0xf00
	s_add_u32 s17, s8, s2
	s_addc_u32 s18, s9, s3
	s_add_i32 s2, s16, s10
	s_add_i32 s14, s14, -1
	s_sub_i32 s2, s12, s2
	s_add_u32 s8, s10, s16
	s_addc_u32 s9, s11, 0
	s_cmp_eq_u32 s15, s14
	v_cmp_ge_u64_e64 s3, s[8:9], s[12:13]
	s_cselect_b32 s14, -1, 0
	s_mov_b32 s9, 0
	s_mul_i32 s8, s15, 0xf00
	s_delay_alu instid0(SALU_CYCLE_1) | instskip(NEXT) | instid1(VALU_DEP_1)
	s_lshl_b64 s[8:9], s[8:9], 1
	s_and_b32 s3, s14, s3
	s_delay_alu instid0(SALU_CYCLE_1)
	s_xor_b32 s16, s3, -1
	s_add_u32 s3, s17, s8
	s_addc_u32 s8, s18, s9
	s_and_b32 vcc_lo, exec_lo, s16
	s_mov_b32 s9, -1
	s_cbranch_vccz .LBB334_2
; %bb.1:
	v_add_co_u32 v2, s9, s3, v1
	s_delay_alu instid0(VALU_DEP_1) | instskip(SKIP_1) | instid1(VALU_DEP_2)
	v_add_co_ci_u32_e64 v3, null, s8, 0, s9
	s_mov_b32 s9, 0
	v_add_co_u32 v4, vcc_lo, 0x1000, v2
	s_clause 0x7
	flat_load_u16 v6, v[2:3]
	flat_load_u16 v7, v[2:3] offset:256
	flat_load_u16 v8, v[2:3] offset:512
	;; [unrolled: 1-line block ×7, first 2 shown]
	v_add_co_ci_u32_e32 v5, vcc_lo, 0, v3, vcc_lo
	s_clause 0x15
	flat_load_u16 v14, v[2:3] offset:2048
	flat_load_u16 v15, v[2:3] offset:2304
	;; [unrolled: 1-line block ×8, first 2 shown]
	flat_load_u16 v3, v[4:5]
	flat_load_u16 v21, v[4:5] offset:256
	flat_load_u16 v22, v[4:5] offset:512
	;; [unrolled: 1-line block ×13, first 2 shown]
	s_waitcnt vmcnt(29) lgkmcnt(0)
	ds_store_b16 v1, v6
	s_waitcnt vmcnt(28)
	ds_store_b16 v1, v7 offset:256
	s_waitcnt vmcnt(27)
	ds_store_b16 v1, v8 offset:512
	;; [unrolled: 2-line block ×29, first 2 shown]
	s_waitcnt lgkmcnt(0)
	s_barrier
.LBB334_2:
	s_and_not1_b32 vcc_lo, exec_lo, s9
	s_addk_i32 s2, 0xf00
	s_cbranch_vccnz .LBB334_64
; %bb.3:
	s_mov_b32 s9, exec_lo
                                        ; implicit-def: $vgpr2
	v_cmpx_gt_u32_e64 s2, v0
	s_cbranch_execz .LBB334_5
; %bb.4:
	v_add_co_u32 v2, s10, s3, v1
	s_delay_alu instid0(VALU_DEP_1)
	v_add_co_ci_u32_e64 v3, null, s8, 0, s10
	flat_load_u16 v2, v[2:3]
.LBB334_5:
	s_or_b32 exec_lo, exec_lo, s9
	v_or_b32_e32 v3, 0x80, v0
	s_delay_alu instid0(VALU_DEP_1)
	v_cmp_gt_u32_e32 vcc_lo, s2, v3
                                        ; implicit-def: $vgpr3
	s_and_saveexec_b32 s9, vcc_lo
	s_cbranch_execz .LBB334_7
; %bb.6:
	v_add_co_u32 v3, s10, s3, v1
	s_delay_alu instid0(VALU_DEP_1)
	v_add_co_ci_u32_e64 v4, null, s8, 0, s10
	flat_load_u16 v3, v[3:4] offset:256
.LBB334_7:
	s_or_b32 exec_lo, exec_lo, s9
	v_or_b32_e32 v4, 0x100, v0
	s_delay_alu instid0(VALU_DEP_1)
	v_cmp_gt_u32_e32 vcc_lo, s2, v4
                                        ; implicit-def: $vgpr4
	s_and_saveexec_b32 s9, vcc_lo
	s_cbranch_execz .LBB334_9
; %bb.8:
	v_add_co_u32 v4, s10, s3, v1
	s_delay_alu instid0(VALU_DEP_1)
	v_add_co_ci_u32_e64 v5, null, s8, 0, s10
	flat_load_u16 v4, v[4:5] offset:512
.LBB334_9:
	s_or_b32 exec_lo, exec_lo, s9
	v_or_b32_e32 v5, 0x180, v0
	s_delay_alu instid0(VALU_DEP_1)
	v_cmp_gt_u32_e32 vcc_lo, s2, v5
                                        ; implicit-def: $vgpr5
	s_and_saveexec_b32 s9, vcc_lo
	s_cbranch_execz .LBB334_11
; %bb.10:
	v_add_co_u32 v5, s10, s3, v1
	s_delay_alu instid0(VALU_DEP_1)
	v_add_co_ci_u32_e64 v6, null, s8, 0, s10
	flat_load_u16 v5, v[5:6] offset:768
.LBB334_11:
	s_or_b32 exec_lo, exec_lo, s9
	v_or_b32_e32 v6, 0x200, v0
	s_delay_alu instid0(VALU_DEP_1)
	v_cmp_gt_u32_e32 vcc_lo, s2, v6
                                        ; implicit-def: $vgpr6
	s_and_saveexec_b32 s9, vcc_lo
	s_cbranch_execz .LBB334_13
; %bb.12:
	v_add_co_u32 v6, s10, s3, v1
	s_delay_alu instid0(VALU_DEP_1)
	v_add_co_ci_u32_e64 v7, null, s8, 0, s10
	flat_load_u16 v6, v[6:7] offset:1024
.LBB334_13:
	s_or_b32 exec_lo, exec_lo, s9
	v_or_b32_e32 v7, 0x280, v0
	s_delay_alu instid0(VALU_DEP_1)
	v_cmp_gt_u32_e32 vcc_lo, s2, v7
                                        ; implicit-def: $vgpr7
	s_and_saveexec_b32 s9, vcc_lo
	s_cbranch_execz .LBB334_15
; %bb.14:
	v_add_co_u32 v7, s10, s3, v1
	s_delay_alu instid0(VALU_DEP_1)
	v_add_co_ci_u32_e64 v8, null, s8, 0, s10
	flat_load_u16 v7, v[7:8] offset:1280
.LBB334_15:
	s_or_b32 exec_lo, exec_lo, s9
	v_or_b32_e32 v8, 0x300, v0
	s_delay_alu instid0(VALU_DEP_1)
	v_cmp_gt_u32_e32 vcc_lo, s2, v8
                                        ; implicit-def: $vgpr8
	s_and_saveexec_b32 s9, vcc_lo
	s_cbranch_execz .LBB334_17
; %bb.16:
	v_add_co_u32 v8, s10, s3, v1
	s_delay_alu instid0(VALU_DEP_1)
	v_add_co_ci_u32_e64 v9, null, s8, 0, s10
	flat_load_u16 v8, v[8:9] offset:1536
.LBB334_17:
	s_or_b32 exec_lo, exec_lo, s9
	v_or_b32_e32 v9, 0x380, v0
	s_delay_alu instid0(VALU_DEP_1)
	v_cmp_gt_u32_e32 vcc_lo, s2, v9
                                        ; implicit-def: $vgpr9
	s_and_saveexec_b32 s9, vcc_lo
	s_cbranch_execz .LBB334_19
; %bb.18:
	v_add_co_u32 v9, s10, s3, v1
	s_delay_alu instid0(VALU_DEP_1)
	v_add_co_ci_u32_e64 v10, null, s8, 0, s10
	flat_load_u16 v9, v[9:10] offset:1792
.LBB334_19:
	s_or_b32 exec_lo, exec_lo, s9
	v_or_b32_e32 v10, 0x400, v0
	s_delay_alu instid0(VALU_DEP_1)
	v_cmp_gt_u32_e32 vcc_lo, s2, v10
                                        ; implicit-def: $vgpr10
	s_and_saveexec_b32 s9, vcc_lo
	s_cbranch_execz .LBB334_21
; %bb.20:
	v_add_co_u32 v10, s10, s3, v1
	s_delay_alu instid0(VALU_DEP_1)
	v_add_co_ci_u32_e64 v11, null, s8, 0, s10
	flat_load_u16 v10, v[10:11] offset:2048
.LBB334_21:
	s_or_b32 exec_lo, exec_lo, s9
	v_or_b32_e32 v11, 0x480, v0
	s_delay_alu instid0(VALU_DEP_1)
	v_cmp_gt_u32_e32 vcc_lo, s2, v11
                                        ; implicit-def: $vgpr11
	s_and_saveexec_b32 s9, vcc_lo
	s_cbranch_execz .LBB334_23
; %bb.22:
	v_add_co_u32 v11, s10, s3, v1
	s_delay_alu instid0(VALU_DEP_1)
	v_add_co_ci_u32_e64 v12, null, s8, 0, s10
	flat_load_u16 v11, v[11:12] offset:2304
.LBB334_23:
	s_or_b32 exec_lo, exec_lo, s9
	v_or_b32_e32 v12, 0x500, v0
	s_delay_alu instid0(VALU_DEP_1)
	v_cmp_gt_u32_e32 vcc_lo, s2, v12
                                        ; implicit-def: $vgpr12
	s_and_saveexec_b32 s9, vcc_lo
	s_cbranch_execz .LBB334_25
; %bb.24:
	v_add_co_u32 v12, s10, s3, v1
	s_delay_alu instid0(VALU_DEP_1)
	v_add_co_ci_u32_e64 v13, null, s8, 0, s10
	flat_load_u16 v12, v[12:13] offset:2560
.LBB334_25:
	s_or_b32 exec_lo, exec_lo, s9
	v_or_b32_e32 v13, 0x580, v0
	s_delay_alu instid0(VALU_DEP_1)
	v_cmp_gt_u32_e32 vcc_lo, s2, v13
                                        ; implicit-def: $vgpr13
	s_and_saveexec_b32 s9, vcc_lo
	s_cbranch_execz .LBB334_27
; %bb.26:
	v_add_co_u32 v13, s10, s3, v1
	s_delay_alu instid0(VALU_DEP_1)
	v_add_co_ci_u32_e64 v14, null, s8, 0, s10
	flat_load_u16 v13, v[13:14] offset:2816
.LBB334_27:
	s_or_b32 exec_lo, exec_lo, s9
	v_or_b32_e32 v14, 0x600, v0
	s_delay_alu instid0(VALU_DEP_1)
	v_cmp_gt_u32_e32 vcc_lo, s2, v14
                                        ; implicit-def: $vgpr14
	s_and_saveexec_b32 s9, vcc_lo
	s_cbranch_execz .LBB334_29
; %bb.28:
	v_add_co_u32 v14, s10, s3, v1
	s_delay_alu instid0(VALU_DEP_1)
	v_add_co_ci_u32_e64 v15, null, s8, 0, s10
	flat_load_u16 v14, v[14:15] offset:3072
.LBB334_29:
	s_or_b32 exec_lo, exec_lo, s9
	v_or_b32_e32 v15, 0x680, v0
	s_delay_alu instid0(VALU_DEP_1)
	v_cmp_gt_u32_e32 vcc_lo, s2, v15
                                        ; implicit-def: $vgpr15
	s_and_saveexec_b32 s9, vcc_lo
	s_cbranch_execz .LBB334_31
; %bb.30:
	v_add_co_u32 v15, s10, s3, v1
	s_delay_alu instid0(VALU_DEP_1)
	v_add_co_ci_u32_e64 v16, null, s8, 0, s10
	flat_load_u16 v15, v[15:16] offset:3328
.LBB334_31:
	s_or_b32 exec_lo, exec_lo, s9
	v_or_b32_e32 v16, 0x700, v0
	s_delay_alu instid0(VALU_DEP_1)
	v_cmp_gt_u32_e32 vcc_lo, s2, v16
                                        ; implicit-def: $vgpr16
	s_and_saveexec_b32 s9, vcc_lo
	s_cbranch_execz .LBB334_33
; %bb.32:
	v_add_co_u32 v16, s10, s3, v1
	s_delay_alu instid0(VALU_DEP_1)
	v_add_co_ci_u32_e64 v17, null, s8, 0, s10
	flat_load_u16 v16, v[16:17] offset:3584
.LBB334_33:
	s_or_b32 exec_lo, exec_lo, s9
	v_or_b32_e32 v17, 0x780, v0
	s_delay_alu instid0(VALU_DEP_1)
	v_cmp_gt_u32_e32 vcc_lo, s2, v17
                                        ; implicit-def: $vgpr17
	s_and_saveexec_b32 s9, vcc_lo
	s_cbranch_execz .LBB334_35
; %bb.34:
	v_add_co_u32 v17, s10, s3, v1
	s_delay_alu instid0(VALU_DEP_1)
	v_add_co_ci_u32_e64 v18, null, s8, 0, s10
	flat_load_u16 v17, v[17:18] offset:3840
.LBB334_35:
	s_or_b32 exec_lo, exec_lo, s9
	v_or_b32_e32 v19, 0x800, v0
	s_mov_b32 s9, exec_lo
                                        ; implicit-def: $vgpr18
	s_delay_alu instid0(VALU_DEP_1)
	v_cmpx_gt_u32_e64 s2, v19
	s_cbranch_execz .LBB334_37
; %bb.36:
	v_lshlrev_b32_e32 v18, 1, v19
	s_delay_alu instid0(VALU_DEP_1) | instskip(NEXT) | instid1(VALU_DEP_1)
	v_add_co_u32 v18, s10, s3, v18
	v_add_co_ci_u32_e64 v19, null, s8, 0, s10
	flat_load_u16 v18, v[18:19]
.LBB334_37:
	s_or_b32 exec_lo, exec_lo, s9
	v_or_b32_e32 v20, 0x880, v0
	s_mov_b32 s9, exec_lo
                                        ; implicit-def: $vgpr19
	s_delay_alu instid0(VALU_DEP_1)
	v_cmpx_gt_u32_e64 s2, v20
	s_cbranch_execz .LBB334_39
; %bb.38:
	v_lshlrev_b32_e32 v19, 1, v20
	s_delay_alu instid0(VALU_DEP_1) | instskip(NEXT) | instid1(VALU_DEP_1)
	v_add_co_u32 v19, s10, s3, v19
	v_add_co_ci_u32_e64 v20, null, s8, 0, s10
	flat_load_u16 v19, v[19:20]
.LBB334_39:
	s_or_b32 exec_lo, exec_lo, s9
	v_or_b32_e32 v21, 0x900, v0
	s_mov_b32 s9, exec_lo
                                        ; implicit-def: $vgpr20
	s_delay_alu instid0(VALU_DEP_1)
	v_cmpx_gt_u32_e64 s2, v21
	s_cbranch_execz .LBB334_41
; %bb.40:
	v_lshlrev_b32_e32 v20, 1, v21
	s_delay_alu instid0(VALU_DEP_1) | instskip(NEXT) | instid1(VALU_DEP_1)
	v_add_co_u32 v20, s10, s3, v20
	v_add_co_ci_u32_e64 v21, null, s8, 0, s10
	flat_load_u16 v20, v[20:21]
.LBB334_41:
	s_or_b32 exec_lo, exec_lo, s9
	v_or_b32_e32 v22, 0x980, v0
	s_mov_b32 s9, exec_lo
                                        ; implicit-def: $vgpr21
	s_delay_alu instid0(VALU_DEP_1)
	v_cmpx_gt_u32_e64 s2, v22
	s_cbranch_execz .LBB334_43
; %bb.42:
	v_lshlrev_b32_e32 v21, 1, v22
	s_delay_alu instid0(VALU_DEP_1) | instskip(NEXT) | instid1(VALU_DEP_1)
	v_add_co_u32 v21, s10, s3, v21
	v_add_co_ci_u32_e64 v22, null, s8, 0, s10
	flat_load_u16 v21, v[21:22]
.LBB334_43:
	s_or_b32 exec_lo, exec_lo, s9
	v_or_b32_e32 v23, 0xa00, v0
	s_mov_b32 s9, exec_lo
                                        ; implicit-def: $vgpr22
	s_delay_alu instid0(VALU_DEP_1)
	v_cmpx_gt_u32_e64 s2, v23
	s_cbranch_execz .LBB334_45
; %bb.44:
	v_lshlrev_b32_e32 v22, 1, v23
	s_delay_alu instid0(VALU_DEP_1) | instskip(NEXT) | instid1(VALU_DEP_1)
	v_add_co_u32 v22, s10, s3, v22
	v_add_co_ci_u32_e64 v23, null, s8, 0, s10
	flat_load_u16 v22, v[22:23]
.LBB334_45:
	s_or_b32 exec_lo, exec_lo, s9
	v_or_b32_e32 v24, 0xa80, v0
	s_mov_b32 s9, exec_lo
                                        ; implicit-def: $vgpr23
	s_delay_alu instid0(VALU_DEP_1)
	v_cmpx_gt_u32_e64 s2, v24
	s_cbranch_execz .LBB334_47
; %bb.46:
	v_lshlrev_b32_e32 v23, 1, v24
	s_delay_alu instid0(VALU_DEP_1) | instskip(NEXT) | instid1(VALU_DEP_1)
	v_add_co_u32 v23, s10, s3, v23
	v_add_co_ci_u32_e64 v24, null, s8, 0, s10
	flat_load_u16 v23, v[23:24]
.LBB334_47:
	s_or_b32 exec_lo, exec_lo, s9
	v_or_b32_e32 v25, 0xb00, v0
	s_mov_b32 s9, exec_lo
                                        ; implicit-def: $vgpr24
	s_delay_alu instid0(VALU_DEP_1)
	v_cmpx_gt_u32_e64 s2, v25
	s_cbranch_execz .LBB334_49
; %bb.48:
	v_lshlrev_b32_e32 v24, 1, v25
	s_delay_alu instid0(VALU_DEP_1) | instskip(NEXT) | instid1(VALU_DEP_1)
	v_add_co_u32 v24, s10, s3, v24
	v_add_co_ci_u32_e64 v25, null, s8, 0, s10
	flat_load_u16 v24, v[24:25]
.LBB334_49:
	s_or_b32 exec_lo, exec_lo, s9
	v_or_b32_e32 v26, 0xb80, v0
	s_mov_b32 s9, exec_lo
                                        ; implicit-def: $vgpr25
	s_delay_alu instid0(VALU_DEP_1)
	v_cmpx_gt_u32_e64 s2, v26
	s_cbranch_execz .LBB334_51
; %bb.50:
	v_lshlrev_b32_e32 v25, 1, v26
	s_delay_alu instid0(VALU_DEP_1) | instskip(NEXT) | instid1(VALU_DEP_1)
	v_add_co_u32 v25, s10, s3, v25
	v_add_co_ci_u32_e64 v26, null, s8, 0, s10
	flat_load_u16 v25, v[25:26]
.LBB334_51:
	s_or_b32 exec_lo, exec_lo, s9
	v_or_b32_e32 v27, 0xc00, v0
	s_mov_b32 s9, exec_lo
                                        ; implicit-def: $vgpr26
	s_delay_alu instid0(VALU_DEP_1)
	v_cmpx_gt_u32_e64 s2, v27
	s_cbranch_execz .LBB334_53
; %bb.52:
	v_lshlrev_b32_e32 v26, 1, v27
	s_delay_alu instid0(VALU_DEP_1) | instskip(NEXT) | instid1(VALU_DEP_1)
	v_add_co_u32 v26, s10, s3, v26
	v_add_co_ci_u32_e64 v27, null, s8, 0, s10
	flat_load_u16 v26, v[26:27]
.LBB334_53:
	s_or_b32 exec_lo, exec_lo, s9
	v_or_b32_e32 v28, 0xc80, v0
	s_mov_b32 s9, exec_lo
                                        ; implicit-def: $vgpr27
	s_delay_alu instid0(VALU_DEP_1)
	v_cmpx_gt_u32_e64 s2, v28
	s_cbranch_execz .LBB334_55
; %bb.54:
	v_lshlrev_b32_e32 v27, 1, v28
	s_delay_alu instid0(VALU_DEP_1) | instskip(NEXT) | instid1(VALU_DEP_1)
	v_add_co_u32 v27, s10, s3, v27
	v_add_co_ci_u32_e64 v28, null, s8, 0, s10
	flat_load_u16 v27, v[27:28]
.LBB334_55:
	s_or_b32 exec_lo, exec_lo, s9
	v_or_b32_e32 v29, 0xd00, v0
	s_mov_b32 s9, exec_lo
                                        ; implicit-def: $vgpr28
	s_delay_alu instid0(VALU_DEP_1)
	v_cmpx_gt_u32_e64 s2, v29
	s_cbranch_execz .LBB334_57
; %bb.56:
	v_lshlrev_b32_e32 v28, 1, v29
	s_delay_alu instid0(VALU_DEP_1) | instskip(NEXT) | instid1(VALU_DEP_1)
	v_add_co_u32 v28, s10, s3, v28
	v_add_co_ci_u32_e64 v29, null, s8, 0, s10
	flat_load_u16 v28, v[28:29]
.LBB334_57:
	s_or_b32 exec_lo, exec_lo, s9
	v_or_b32_e32 v30, 0xd80, v0
	s_mov_b32 s9, exec_lo
                                        ; implicit-def: $vgpr29
	s_delay_alu instid0(VALU_DEP_1)
	v_cmpx_gt_u32_e64 s2, v30
	s_cbranch_execz .LBB334_59
; %bb.58:
	v_lshlrev_b32_e32 v29, 1, v30
	s_delay_alu instid0(VALU_DEP_1) | instskip(NEXT) | instid1(VALU_DEP_1)
	v_add_co_u32 v29, s10, s3, v29
	v_add_co_ci_u32_e64 v30, null, s8, 0, s10
	flat_load_u16 v29, v[29:30]
.LBB334_59:
	s_or_b32 exec_lo, exec_lo, s9
	v_or_b32_e32 v31, 0xe00, v0
	s_mov_b32 s9, exec_lo
                                        ; implicit-def: $vgpr30
	s_delay_alu instid0(VALU_DEP_1)
	v_cmpx_gt_u32_e64 s2, v31
	s_cbranch_execz .LBB334_61
; %bb.60:
	v_lshlrev_b32_e32 v30, 1, v31
	s_delay_alu instid0(VALU_DEP_1) | instskip(NEXT) | instid1(VALU_DEP_1)
	v_add_co_u32 v30, s10, s3, v30
	v_add_co_ci_u32_e64 v31, null, s8, 0, s10
	flat_load_u16 v30, v[30:31]
.LBB334_61:
	s_or_b32 exec_lo, exec_lo, s9
	v_or_b32_e32 v32, 0xe80, v0
	s_mov_b32 s9, exec_lo
                                        ; implicit-def: $vgpr31
	s_delay_alu instid0(VALU_DEP_1)
	v_cmpx_gt_u32_e64 s2, v32
	s_cbranch_execz .LBB334_63
; %bb.62:
	v_lshlrev_b32_e32 v31, 1, v32
	s_delay_alu instid0(VALU_DEP_1) | instskip(NEXT) | instid1(VALU_DEP_1)
	v_add_co_u32 v31, s3, s3, v31
	v_add_co_ci_u32_e64 v32, null, s8, 0, s3
	flat_load_u16 v31, v[31:32]
.LBB334_63:
	s_or_b32 exec_lo, exec_lo, s9
	s_waitcnt vmcnt(0) lgkmcnt(0)
	ds_store_b16 v1, v2
	ds_store_b16 v1, v3 offset:256
	ds_store_b16 v1, v4 offset:512
	;; [unrolled: 1-line block ×29, first 2 shown]
	s_waitcnt lgkmcnt(0)
	s_barrier
.LBB334_64:
	v_mul_u32_u24_e32 v30, 30, v0
	s_waitcnt lgkmcnt(0)
	buffer_gl0_inv
	s_and_not1_b32 vcc_lo, exec_lo, s16
	v_lshlrev_b32_e32 v1, 1, v30
	ds_load_b32 v81, v1 offset:56
	ds_load_2addr_b32 v[9:10], v1 offset0:12 offset1:13
	ds_load_2addr_b32 v[11:12], v1 offset0:10 offset1:11
	ds_load_2addr_b32 v[21:22], v1 offset1:1
	ds_load_2addr_b32 v[19:20], v1 offset0:2 offset1:3
	ds_load_2addr_b32 v[17:18], v1 offset0:4 offset1:5
	;; [unrolled: 1-line block ×4, first 2 shown]
	s_waitcnt lgkmcnt(0)
	s_barrier
	buffer_gl0_inv
	v_lshrrev_b32_e32 v82, 16, v81
	v_lshrrev_b32_e32 v84, 16, v9
	;; [unrolled: 1-line block ×15, first 2 shown]
	v_xor_b32_e32 v41, -1, v21
	v_xor_b32_e32 v42, -1, v22
	;; [unrolled: 1-line block ×30, first 2 shown]
	s_cbranch_vccnz .LBB334_66
; %bb.65:
	v_and_b32_e32 v126, 1, v41
	v_and_b32_e32 v125, 1, v45
	;; [unrolled: 1-line block ×30, first 2 shown]
	s_load_b64 s[10:11], s[0:1], 0x60
	s_cbranch_execz .LBB334_67
	s_branch .LBB334_68
.LBB334_66:
                                        ; implicit-def: $vgpr126
                                        ; implicit-def: $vgpr125
                                        ; implicit-def: $vgpr124
                                        ; implicit-def: $vgpr123
                                        ; implicit-def: $vgpr121
                                        ; implicit-def: $vgpr122
                                        ; implicit-def: $vgpr120
                                        ; implicit-def: $vgpr119
                                        ; implicit-def: $vgpr118
                                        ; implicit-def: $vgpr116
                                        ; implicit-def: $vgpr117
                                        ; implicit-def: $vgpr115
                                        ; implicit-def: $vgpr114
                                        ; implicit-def: $vgpr113
                                        ; implicit-def: $vgpr111
                                        ; implicit-def: $vgpr112
                                        ; implicit-def: $vgpr110
                                        ; implicit-def: $vgpr108
                                        ; implicit-def: $vgpr107
                                        ; implicit-def: $vgpr104
                                        ; implicit-def: $vgpr106
                                        ; implicit-def: $vgpr103
                                        ; implicit-def: $vgpr102
                                        ; implicit-def: $vgpr100
                                        ; implicit-def: $vgpr98
                                        ; implicit-def: $vgpr99
                                        ; implicit-def: $vgpr97
                                        ; implicit-def: $vgpr95
                                        ; implicit-def: $vgpr94
                                        ; implicit-def: $vgpr92
	s_load_b64 s[10:11], s[0:1], 0x60
.LBB334_67:
	v_or_b32_e32 v55, 1, v30
	v_cmp_gt_u32_e32 vcc_lo, s2, v30
	v_add_nc_u32_e32 v46, 29, v30
	v_add_nc_u32_e32 v47, 28, v30
	;; [unrolled: 1-line block ×28, first 2 shown]
	v_cndmask_b32_e64 v30, 0, 1, vcc_lo
	v_cmp_gt_u32_e32 vcc_lo, s2, v55
	s_delay_alu instid0(VALU_DEP_2) | instskip(SKIP_2) | instid1(VALU_DEP_2)
	v_and_b32_e32 v126, v30, v41
	v_cndmask_b32_e64 v55, 0, 1, vcc_lo
	v_cmp_gt_u32_e32 vcc_lo, s2, v56
	v_and_b32_e32 v125, v55, v45
	v_cndmask_b32_e64 v56, 0, 1, vcc_lo
	v_cmp_gt_u32_e32 vcc_lo, s2, v57
	s_delay_alu instid0(VALU_DEP_2) | instskip(SKIP_2) | instid1(VALU_DEP_2)
	v_and_b32_e32 v124, v56, v42
	v_cndmask_b32_e64 v57, 0, 1, vcc_lo
	v_cmp_gt_u32_e32 vcc_lo, s2, v58
	v_and_b32_e32 v123, v57, v44
	;; [unrolled: 7-line block ×14, first 2 shown]
	v_cndmask_b32_e64 v23, 0, 1, vcc_lo
	v_cmp_gt_u32_e32 vcc_lo, s2, v46
	s_delay_alu instid0(VALU_DEP_2) | instskip(SKIP_1) | instid1(VALU_DEP_1)
	v_and_b32_e32 v94, v23, v4
	v_cndmask_b32_e64 v24, 0, 1, vcc_lo
	v_and_b32_e32 v92, v24, v5
.LBB334_68:
	s_delay_alu instid0(VALU_DEP_3) | instskip(NEXT) | instid1(VALU_DEP_2)
	v_dual_mov_b32 v2, 0 :: v_dual_and_b32 v79, 0xff, v94
	v_and_b32_e32 v1, 0xff, v92
	v_and_b32_e32 v80, 0xff, v95
	;; [unrolled: 1-line block ×5, first 2 shown]
	v_add_co_u32 v1, s2, v79, v1
	s_delay_alu instid0(VALU_DEP_1) | instskip(SKIP_1) | instid1(VALU_DEP_3)
	v_add_co_ci_u32_e64 v3, null, 0, 0, s2
	v_and_b32_e32 v130, 0xff, v100
	v_add_co_u32 v1, vcc_lo, v1, v80
	s_delay_alu instid0(VALU_DEP_3) | instskip(SKIP_1) | instid1(VALU_DEP_3)
	v_add_co_ci_u32_e32 v3, vcc_lo, 0, v3, vcc_lo
	v_and_b32_e32 v31, 0xff, v102
	v_add_co_u32 v1, vcc_lo, v1, v127
	s_delay_alu instid0(VALU_DEP_3) | instskip(SKIP_1) | instid1(VALU_DEP_3)
	v_add_co_ci_u32_e32 v3, vcc_lo, 0, v3, vcc_lo
	;; [unrolled: 4-line block ×23, first 2 shown]
	v_mbcnt_lo_u32_b32 v54, -1, 0
	v_add_co_u32 v1, vcc_lo, v1, v50
	s_delay_alu instid0(VALU_DEP_3) | instskip(SKIP_1) | instid1(VALU_DEP_3)
	v_add_co_ci_u32_e32 v3, vcc_lo, 0, v3, vcc_lo
	v_and_b32_e32 v42, 0xff, v126
	v_add_co_u32 v1, vcc_lo, v1, v51
	s_delay_alu instid0(VALU_DEP_3) | instskip(SKIP_1) | instid1(VALU_DEP_3)
	v_add_co_ci_u32_e32 v3, vcc_lo, 0, v3, vcc_lo
	v_and_b32_e32 v55, 15, v54
	v_add_co_u32 v1, vcc_lo, v1, v52
	s_delay_alu instid0(VALU_DEP_3) | instskip(NEXT) | instid1(VALU_DEP_3)
	v_add_co_ci_u32_e32 v3, vcc_lo, 0, v3, vcc_lo
	v_cmp_ne_u32_e64 s2, 0, v55
	s_delay_alu instid0(VALU_DEP_3) | instskip(NEXT) | instid1(VALU_DEP_3)
	v_add_co_u32 v1, vcc_lo, v1, v53
	v_add_co_ci_u32_e32 v3, vcc_lo, 0, v3, vcc_lo
	s_cmp_lg_u32 s15, 0
	s_delay_alu instid0(VALU_DEP_2) | instskip(NEXT) | instid1(VALU_DEP_2)
	v_add_co_u32 v23, vcc_lo, v1, v42
	v_add_co_ci_u32_e32 v24, vcc_lo, 0, v3, vcc_lo
	s_mov_b32 s3, -1
	s_cbranch_scc0 .LBB334_128
; %bb.69:
	s_delay_alu instid0(VALU_DEP_2)
	v_mov_b32_e32 v3, v23
	v_mov_b32_dpp v1, v23 row_shr:1 row_mask:0xf bank_mask:0xf
	v_mov_b32_dpp v6, v2 row_shr:1 row_mask:0xf bank_mask:0xf
	v_dual_mov_b32 v5, v23 :: v_dual_mov_b32 v4, v24
	s_and_saveexec_b32 s3, s2
; %bb.70:
	s_delay_alu instid0(VALU_DEP_3) | instskip(SKIP_1) | instid1(VALU_DEP_2)
	v_add_co_u32 v5, vcc_lo, v23, v1
	v_add_co_ci_u32_e32 v2, vcc_lo, 0, v24, vcc_lo
	v_add_co_u32 v1, vcc_lo, 0, v5
	s_delay_alu instid0(VALU_DEP_2) | instskip(NEXT) | instid1(VALU_DEP_1)
	v_add_co_ci_u32_e32 v2, vcc_lo, v6, v2, vcc_lo
	v_dual_mov_b32 v4, v2 :: v_dual_mov_b32 v3, v1
; %bb.71:
	s_or_b32 exec_lo, exec_lo, s3
	v_mov_b32_dpp v1, v5 row_shr:2 row_mask:0xf bank_mask:0xf
	v_mov_b32_dpp v6, v2 row_shr:2 row_mask:0xf bank_mask:0xf
	s_mov_b32 s3, exec_lo
	v_cmpx_lt_u32_e32 1, v55
; %bb.72:
	s_delay_alu instid0(VALU_DEP_3) | instskip(SKIP_1) | instid1(VALU_DEP_2)
	v_add_co_u32 v5, vcc_lo, v3, v1
	v_add_co_ci_u32_e32 v2, vcc_lo, 0, v4, vcc_lo
	v_add_co_u32 v1, vcc_lo, 0, v5
	s_delay_alu instid0(VALU_DEP_2) | instskip(NEXT) | instid1(VALU_DEP_1)
	v_add_co_ci_u32_e32 v2, vcc_lo, v6, v2, vcc_lo
	v_dual_mov_b32 v4, v2 :: v_dual_mov_b32 v3, v1
; %bb.73:
	s_or_b32 exec_lo, exec_lo, s3
	v_mov_b32_dpp v1, v5 row_shr:4 row_mask:0xf bank_mask:0xf
	v_mov_b32_dpp v6, v2 row_shr:4 row_mask:0xf bank_mask:0xf
	s_mov_b32 s3, exec_lo
	v_cmpx_lt_u32_e32 3, v55
	;; [unrolled: 14-line block ×3, first 2 shown]
; %bb.76:
	s_delay_alu instid0(VALU_DEP_3) | instskip(SKIP_1) | instid1(VALU_DEP_2)
	v_add_co_u32 v5, vcc_lo, v3, v6
	v_add_co_ci_u32_e32 v2, vcc_lo, 0, v4, vcc_lo
	v_add_co_u32 v3, vcc_lo, 0, v5
	s_delay_alu instid0(VALU_DEP_2) | instskip(NEXT) | instid1(VALU_DEP_1)
	v_add_co_ci_u32_e32 v4, vcc_lo, v1, v2, vcc_lo
	v_mov_b32_e32 v2, v4
; %bb.77:
	s_or_b32 exec_lo, exec_lo, s3
	ds_swizzle_b32 v1, v5 offset:swizzle(BROADCAST,32,15)
	ds_swizzle_b32 v6, v2 offset:swizzle(BROADCAST,32,15)
	v_and_b32_e32 v7, 16, v54
	s_mov_b32 s3, exec_lo
	s_delay_alu instid0(VALU_DEP_1)
	v_cmpx_ne_u32_e32 0, v7
	s_cbranch_execz .LBB334_79
; %bb.78:
	s_waitcnt lgkmcnt(0)
	v_add_co_u32 v5, vcc_lo, v3, v1
	v_add_co_ci_u32_e32 v2, vcc_lo, 0, v4, vcc_lo
	s_delay_alu instid0(VALU_DEP_2) | instskip(NEXT) | instid1(VALU_DEP_2)
	v_add_co_u32 v1, vcc_lo, 0, v5
	v_add_co_ci_u32_e32 v2, vcc_lo, v6, v2, vcc_lo
	s_delay_alu instid0(VALU_DEP_1)
	v_dual_mov_b32 v4, v2 :: v_dual_mov_b32 v3, v1
.LBB334_79:
	s_or_b32 exec_lo, exec_lo, s3
	s_waitcnt lgkmcnt(0)
	v_or_b32_e32 v6, 31, v0
	v_lshrrev_b32_e32 v1, 5, v0
	s_mov_b32 s3, exec_lo
	s_delay_alu instid0(VALU_DEP_2)
	v_cmpx_eq_u32_e64 v6, v0
	s_cbranch_execz .LBB334_81
; %bb.80:
	s_delay_alu instid0(VALU_DEP_2)
	v_lshlrev_b32_e32 v6, 3, v1
	ds_store_b64 v6, v[3:4]
.LBB334_81:
	s_or_b32 exec_lo, exec_lo, s3
	s_delay_alu instid0(SALU_CYCLE_1)
	s_mov_b32 s3, exec_lo
	s_waitcnt lgkmcnt(0)
	s_barrier
	buffer_gl0_inv
	v_cmpx_gt_u32_e32 4, v0
	s_cbranch_execz .LBB334_87
; %bb.82:
	v_lshlrev_b32_e32 v6, 3, v0
	s_mov_b32 s8, exec_lo
	ds_load_b64 v[3:4], v6
	s_waitcnt lgkmcnt(0)
	v_dual_mov_b32 v8, v3 :: v_dual_and_b32 v7, 3, v54
	v_mov_b32_dpp v26, v3 row_shr:1 row_mask:0xf bank_mask:0xf
	v_mov_b32_dpp v25, v4 row_shr:1 row_mask:0xf bank_mask:0xf
	s_delay_alu instid0(VALU_DEP_3)
	v_cmpx_ne_u32_e32 0, v7
; %bb.83:
	s_delay_alu instid0(VALU_DEP_3) | instskip(SKIP_1) | instid1(VALU_DEP_2)
	v_add_co_u32 v8, vcc_lo, v3, v26
	v_add_co_ci_u32_e32 v4, vcc_lo, 0, v4, vcc_lo
	v_add_co_u32 v3, vcc_lo, 0, v8
	s_delay_alu instid0(VALU_DEP_2)
	v_add_co_ci_u32_e32 v4, vcc_lo, v25, v4, vcc_lo
; %bb.84:
	s_or_b32 exec_lo, exec_lo, s8
	v_mov_b32_dpp v25, v8 row_shr:2 row_mask:0xf bank_mask:0xf
	s_delay_alu instid0(VALU_DEP_2)
	v_mov_b32_dpp v8, v4 row_shr:2 row_mask:0xf bank_mask:0xf
	s_mov_b32 s8, exec_lo
	v_cmpx_lt_u32_e32 1, v7
; %bb.85:
	s_delay_alu instid0(VALU_DEP_3) | instskip(SKIP_1) | instid1(VALU_DEP_2)
	v_add_co_u32 v3, vcc_lo, v3, v25
	v_add_co_ci_u32_e32 v4, vcc_lo, 0, v4, vcc_lo
	v_add_co_u32 v3, vcc_lo, v3, 0
	s_delay_alu instid0(VALU_DEP_2)
	v_add_co_ci_u32_e32 v4, vcc_lo, v4, v8, vcc_lo
; %bb.86:
	s_or_b32 exec_lo, exec_lo, s8
	ds_store_b64 v6, v[3:4]
.LBB334_87:
	s_or_b32 exec_lo, exec_lo, s3
	v_cmp_gt_u32_e32 vcc_lo, 32, v0
	s_mov_b32 s8, exec_lo
	s_waitcnt lgkmcnt(0)
	s_barrier
	buffer_gl0_inv
                                        ; implicit-def: $vgpr25_vgpr26
	v_cmpx_lt_u32_e32 31, v0
	s_cbranch_execz .LBB334_89
; %bb.88:
	v_lshl_add_u32 v1, v1, 3, -8
	ds_load_b64 v[25:26], v1
	s_waitcnt lgkmcnt(0)
	v_add_co_u32 v5, s3, v5, v25
	s_delay_alu instid0(VALU_DEP_1)
	v_add_co_ci_u32_e64 v2, s3, v2, v26, s3
.LBB334_89:
	s_or_b32 exec_lo, exec_lo, s8
	v_add_nc_u32_e32 v1, -1, v54
	s_delay_alu instid0(VALU_DEP_1) | instskip(NEXT) | instid1(VALU_DEP_1)
	v_cmp_gt_i32_e64 s3, 0, v1
	v_cndmask_b32_e64 v1, v1, v54, s3
	v_cmp_eq_u32_e64 s3, 0, v54
	s_delay_alu instid0(VALU_DEP_2)
	v_lshlrev_b32_e32 v1, 2, v1
	ds_bpermute_b32 v56, v1, v5
	ds_bpermute_b32 v57, v1, v2
	s_and_saveexec_b32 s8, vcc_lo
	s_cbranch_execz .LBB334_127
; %bb.90:
	v_mov_b32_e32 v4, 0
	ds_load_b64 v[1:2], v4 offset:24
	s_and_saveexec_b32 s9, s3
	s_cbranch_execz .LBB334_92
; %bb.91:
	s_add_i32 s12, s15, 32
	s_mov_b32 s13, 0
	s_delay_alu instid0(SALU_CYCLE_1) | instskip(NEXT) | instid1(SALU_CYCLE_1)
	s_lshl_b64 s[12:13], s[12:13], 4
	s_add_u32 s12, s10, s12
	s_addc_u32 s13, s11, s13
	v_mov_b32_e32 v5, s12
	v_dual_mov_b32 v3, 1 :: v_dual_mov_b32 v6, s13
	s_waitcnt lgkmcnt(0)
	;;#ASMSTART
	global_store_dwordx4 v[5:6], v[1:4] off	
s_waitcnt vmcnt(0)
	;;#ASMEND
.LBB334_92:
	s_or_b32 exec_lo, exec_lo, s9
	v_xad_u32 v27, v54, -1, s15
	s_mov_b32 s12, 0
	s_mov_b32 s9, exec_lo
	s_delay_alu instid0(VALU_DEP_1) | instskip(NEXT) | instid1(VALU_DEP_1)
	v_add_nc_u32_e32 v3, 32, v27
	v_lshlrev_b64 v[3:4], 4, v[3:4]
	s_delay_alu instid0(VALU_DEP_1) | instskip(NEXT) | instid1(VALU_DEP_2)
	v_add_co_u32 v3, vcc_lo, s10, v3
	v_add_co_ci_u32_e32 v4, vcc_lo, s11, v4, vcc_lo
	;;#ASMSTART
	global_load_dwordx4 v[5:8], v[3:4] off glc	
s_waitcnt vmcnt(0)
	;;#ASMEND
	v_and_b32_e32 v8, 0xff, v6
	v_and_b32_e32 v28, 0xff00, v6
	v_or3_b32 v5, v5, 0, 0
	v_and_b32_e32 v29, 0xff000000, v6
	v_and_b32_e32 v6, 0xff0000, v6
	s_delay_alu instid0(VALU_DEP_4) | instskip(SKIP_2) | instid1(VALU_DEP_3)
	v_or3_b32 v8, 0, v8, v28
	v_and_b32_e32 v28, 0xff, v7
	v_or3_b32 v5, v5, 0, 0
	v_or3_b32 v6, v8, v6, v29
	s_delay_alu instid0(VALU_DEP_3)
	v_cmpx_eq_u16_e32 0, v28
	s_cbranch_execz .LBB334_95
.LBB334_93:                             ; =>This Inner Loop Header: Depth=1
	;;#ASMSTART
	global_load_dwordx4 v[5:8], v[3:4] off glc	
s_waitcnt vmcnt(0)
	;;#ASMEND
	v_and_b32_e32 v8, 0xff, v7
	s_delay_alu instid0(VALU_DEP_1) | instskip(SKIP_1) | instid1(SALU_CYCLE_1)
	v_cmp_ne_u16_e32 vcc_lo, 0, v8
	s_or_b32 s12, vcc_lo, s12
	s_and_not1_b32 exec_lo, exec_lo, s12
	s_cbranch_execnz .LBB334_93
; %bb.94:
	s_or_b32 exec_lo, exec_lo, s12
.LBB334_95:
	s_delay_alu instid0(SALU_CYCLE_1)
	s_or_b32 exec_lo, exec_lo, s9
	v_cmp_ne_u32_e32 vcc_lo, 31, v54
	v_and_b32_e32 v4, 0xff, v7
	v_lshlrev_b32_e64 v59, v54, -1
	s_mov_b32 s9, exec_lo
	v_add_co_ci_u32_e32 v3, vcc_lo, 0, v54, vcc_lo
	s_delay_alu instid0(VALU_DEP_3) | instskip(SKIP_1) | instid1(VALU_DEP_3)
	v_cmp_eq_u16_e32 vcc_lo, 2, v4
	v_mov_b32_e32 v4, v5
	v_lshlrev_b32_e32 v58, 2, v3
	v_and_or_b32 v3, vcc_lo, v59, 0x80000000
	ds_bpermute_b32 v28, v58, v5
	ds_bpermute_b32 v8, v58, v6
	v_ctz_i32_b32_e32 v3, v3
	s_delay_alu instid0(VALU_DEP_1)
	v_cmpx_lt_u32_e64 v54, v3
	s_cbranch_execz .LBB334_97
; %bb.96:
	s_waitcnt lgkmcnt(1)
	v_add_co_u32 v4, vcc_lo, v5, v28
	v_add_co_ci_u32_e32 v6, vcc_lo, 0, v6, vcc_lo
	s_delay_alu instid0(VALU_DEP_2) | instskip(SKIP_1) | instid1(VALU_DEP_2)
	v_add_co_u32 v5, vcc_lo, 0, v4
	s_waitcnt lgkmcnt(0)
	v_add_co_ci_u32_e32 v6, vcc_lo, v8, v6, vcc_lo
.LBB334_97:
	s_or_b32 exec_lo, exec_lo, s9
	v_cmp_gt_u32_e32 vcc_lo, 30, v54
	v_add_nc_u32_e32 v61, 2, v54
	s_mov_b32 s9, exec_lo
	s_waitcnt lgkmcnt(0)
	v_cndmask_b32_e64 v8, 0, 1, vcc_lo
	s_delay_alu instid0(VALU_DEP_1) | instskip(NEXT) | instid1(VALU_DEP_1)
	v_lshlrev_b32_e32 v8, 1, v8
	v_add_lshl_u32 v60, v8, v54, 2
	ds_bpermute_b32 v28, v60, v4
	ds_bpermute_b32 v8, v60, v6
	v_cmpx_le_u32_e64 v61, v3
	s_cbranch_execz .LBB334_99
; %bb.98:
	s_waitcnt lgkmcnt(1)
	v_add_co_u32 v4, vcc_lo, v5, v28
	v_add_co_ci_u32_e32 v6, vcc_lo, 0, v6, vcc_lo
	s_delay_alu instid0(VALU_DEP_2) | instskip(SKIP_1) | instid1(VALU_DEP_2)
	v_add_co_u32 v5, vcc_lo, 0, v4
	s_waitcnt lgkmcnt(0)
	v_add_co_ci_u32_e32 v6, vcc_lo, v8, v6, vcc_lo
.LBB334_99:
	s_or_b32 exec_lo, exec_lo, s9
	v_cmp_gt_u32_e32 vcc_lo, 28, v54
	v_add_nc_u32_e32 v63, 4, v54
	s_mov_b32 s9, exec_lo
	s_waitcnt lgkmcnt(0)
	v_cndmask_b32_e64 v8, 0, 1, vcc_lo
	s_delay_alu instid0(VALU_DEP_1) | instskip(NEXT) | instid1(VALU_DEP_1)
	v_lshlrev_b32_e32 v8, 2, v8
	v_add_lshl_u32 v62, v8, v54, 2
	ds_bpermute_b32 v28, v62, v4
	ds_bpermute_b32 v8, v62, v6
	v_cmpx_le_u32_e64 v63, v3
	;; [unrolled: 22-line block ×4, first 2 shown]
	s_cbranch_execz .LBB334_105
; %bb.104:
	s_waitcnt lgkmcnt(1)
	v_add_co_u32 v3, vcc_lo, v5, v8
	v_add_co_ci_u32_e32 v6, vcc_lo, 0, v6, vcc_lo
	s_delay_alu instid0(VALU_DEP_2) | instskip(SKIP_1) | instid1(VALU_DEP_2)
	v_add_co_u32 v5, vcc_lo, v3, 0
	s_waitcnt lgkmcnt(0)
	v_add_co_ci_u32_e32 v6, vcc_lo, v6, v4, vcc_lo
.LBB334_105:
	s_or_b32 exec_lo, exec_lo, s9
	v_mov_b32_e32 v28, 0
	s_branch .LBB334_107
.LBB334_106:                            ;   in Loop: Header=BB334_107 Depth=1
	s_or_b32 exec_lo, exec_lo, s9
	v_add_co_u32 v5, vcc_lo, v5, v3
	v_subrev_nc_u32_e32 v27, 32, v27
	v_add_co_ci_u32_e32 v6, vcc_lo, v6, v4, vcc_lo
.LBB334_107:                            ; =>This Loop Header: Depth=1
                                        ;     Child Loop BB334_110 Depth 2
	v_and_b32_e32 v3, 0xff, v7
	s_delay_alu instid0(VALU_DEP_1) | instskip(SKIP_2) | instid1(VALU_DEP_1)
	v_cmp_ne_u16_e32 vcc_lo, 2, v3
	v_cndmask_b32_e64 v3, 0, 1, vcc_lo
	;;#ASMSTART
	;;#ASMEND
	v_cmp_ne_u32_e32 vcc_lo, 0, v3
	s_waitcnt lgkmcnt(0)
	v_dual_mov_b32 v3, v5 :: v_dual_mov_b32 v4, v6
	s_cmp_lg_u32 vcc_lo, exec_lo
	s_cbranch_scc1 .LBB334_122
; %bb.108:                              ;   in Loop: Header=BB334_107 Depth=1
	v_lshlrev_b64 v[5:6], 4, v[27:28]
	s_mov_b32 s9, exec_lo
	s_delay_alu instid0(VALU_DEP_1) | instskip(NEXT) | instid1(VALU_DEP_2)
	v_add_co_u32 v29, vcc_lo, s10, v5
	v_add_co_ci_u32_e32 v30, vcc_lo, s11, v6, vcc_lo
	;;#ASMSTART
	global_load_dwordx4 v[5:8], v[29:30] off glc	
s_waitcnt vmcnt(0)
	;;#ASMEND
	v_and_b32_e32 v8, 0xff, v6
	v_and_b32_e32 v68, 0xff00, v6
	v_or3_b32 v5, v5, 0, 0
	v_and_b32_e32 v69, 0xff000000, v6
	v_and_b32_e32 v6, 0xff0000, v6
	s_delay_alu instid0(VALU_DEP_4) | instskip(SKIP_2) | instid1(VALU_DEP_3)
	v_or3_b32 v8, 0, v8, v68
	v_and_b32_e32 v68, 0xff, v7
	v_or3_b32 v5, v5, 0, 0
	v_or3_b32 v6, v8, v6, v69
	s_delay_alu instid0(VALU_DEP_3)
	v_cmpx_eq_u16_e32 0, v68
	s_cbranch_execz .LBB334_112
; %bb.109:                              ;   in Loop: Header=BB334_107 Depth=1
	s_mov_b32 s12, 0
.LBB334_110:                            ;   Parent Loop BB334_107 Depth=1
                                        ; =>  This Inner Loop Header: Depth=2
	;;#ASMSTART
	global_load_dwordx4 v[5:8], v[29:30] off glc	
s_waitcnt vmcnt(0)
	;;#ASMEND
	v_and_b32_e32 v8, 0xff, v7
	s_delay_alu instid0(VALU_DEP_1) | instskip(SKIP_1) | instid1(SALU_CYCLE_1)
	v_cmp_ne_u16_e32 vcc_lo, 0, v8
	s_or_b32 s12, vcc_lo, s12
	s_and_not1_b32 exec_lo, exec_lo, s12
	s_cbranch_execnz .LBB334_110
; %bb.111:                              ;   in Loop: Header=BB334_107 Depth=1
	s_or_b32 exec_lo, exec_lo, s12
.LBB334_112:                            ;   in Loop: Header=BB334_107 Depth=1
	s_delay_alu instid0(SALU_CYCLE_1)
	s_or_b32 exec_lo, exec_lo, s9
	v_dual_mov_b32 v29, v5 :: v_dual_and_b32 v8, 0xff, v7
	ds_bpermute_b32 v68, v58, v5
	ds_bpermute_b32 v30, v58, v6
	s_mov_b32 s9, exec_lo
	v_cmp_eq_u16_e32 vcc_lo, 2, v8
	v_and_or_b32 v8, vcc_lo, v59, 0x80000000
	s_delay_alu instid0(VALU_DEP_1) | instskip(NEXT) | instid1(VALU_DEP_1)
	v_ctz_i32_b32_e32 v8, v8
	v_cmpx_lt_u32_e64 v54, v8
	s_cbranch_execz .LBB334_114
; %bb.113:                              ;   in Loop: Header=BB334_107 Depth=1
	s_waitcnt lgkmcnt(1)
	v_add_co_u32 v29, vcc_lo, v5, v68
	v_add_co_ci_u32_e32 v6, vcc_lo, 0, v6, vcc_lo
	s_delay_alu instid0(VALU_DEP_2) | instskip(SKIP_1) | instid1(VALU_DEP_2)
	v_add_co_u32 v5, vcc_lo, 0, v29
	s_waitcnt lgkmcnt(0)
	v_add_co_ci_u32_e32 v6, vcc_lo, v30, v6, vcc_lo
.LBB334_114:                            ;   in Loop: Header=BB334_107 Depth=1
	s_or_b32 exec_lo, exec_lo, s9
	s_waitcnt lgkmcnt(1)
	ds_bpermute_b32 v68, v60, v29
	s_waitcnt lgkmcnt(1)
	ds_bpermute_b32 v30, v60, v6
	s_mov_b32 s9, exec_lo
	v_cmpx_le_u32_e64 v61, v8
	s_cbranch_execz .LBB334_116
; %bb.115:                              ;   in Loop: Header=BB334_107 Depth=1
	s_waitcnt lgkmcnt(1)
	v_add_co_u32 v29, vcc_lo, v5, v68
	v_add_co_ci_u32_e32 v6, vcc_lo, 0, v6, vcc_lo
	s_delay_alu instid0(VALU_DEP_2) | instskip(SKIP_1) | instid1(VALU_DEP_2)
	v_add_co_u32 v5, vcc_lo, 0, v29
	s_waitcnt lgkmcnt(0)
	v_add_co_ci_u32_e32 v6, vcc_lo, v30, v6, vcc_lo
.LBB334_116:                            ;   in Loop: Header=BB334_107 Depth=1
	s_or_b32 exec_lo, exec_lo, s9
	s_waitcnt lgkmcnt(1)
	ds_bpermute_b32 v68, v62, v29
	s_waitcnt lgkmcnt(1)
	ds_bpermute_b32 v30, v62, v6
	s_mov_b32 s9, exec_lo
	v_cmpx_le_u32_e64 v63, v8
	;; [unrolled: 17-line block ×3, first 2 shown]
	s_cbranch_execz .LBB334_120
; %bb.119:                              ;   in Loop: Header=BB334_107 Depth=1
	s_waitcnt lgkmcnt(1)
	v_add_co_u32 v29, vcc_lo, v5, v68
	v_add_co_ci_u32_e32 v6, vcc_lo, 0, v6, vcc_lo
	s_delay_alu instid0(VALU_DEP_2) | instskip(SKIP_1) | instid1(VALU_DEP_2)
	v_add_co_u32 v5, vcc_lo, 0, v29
	s_waitcnt lgkmcnt(0)
	v_add_co_ci_u32_e32 v6, vcc_lo, v30, v6, vcc_lo
.LBB334_120:                            ;   in Loop: Header=BB334_107 Depth=1
	s_or_b32 exec_lo, exec_lo, s9
	s_waitcnt lgkmcnt(0)
	ds_bpermute_b32 v30, v66, v29
	ds_bpermute_b32 v29, v66, v6
	s_mov_b32 s9, exec_lo
	v_cmpx_le_u32_e64 v67, v8
	s_cbranch_execz .LBB334_106
; %bb.121:                              ;   in Loop: Header=BB334_107 Depth=1
	s_waitcnt lgkmcnt(1)
	v_add_co_u32 v5, vcc_lo, v5, v30
	v_add_co_ci_u32_e32 v6, vcc_lo, 0, v6, vcc_lo
	s_delay_alu instid0(VALU_DEP_2) | instskip(SKIP_1) | instid1(VALU_DEP_2)
	v_add_co_u32 v5, vcc_lo, v5, 0
	s_waitcnt lgkmcnt(0)
	v_add_co_ci_u32_e32 v6, vcc_lo, v6, v29, vcc_lo
	s_branch .LBB334_106
.LBB334_122:                            ;   in Loop: Header=BB334_107 Depth=1
                                        ; implicit-def: $vgpr5_vgpr6
	s_cbranch_execz .LBB334_107
; %bb.123:
	s_and_saveexec_b32 s9, s3
	s_cbranch_execz .LBB334_125
; %bb.124:
	s_add_i32 s12, s15, 32
	s_mov_b32 s13, 0
	v_add_co_u32 v5, vcc_lo, v3, v1
	s_lshl_b64 s[12:13], s[12:13], 4
	v_dual_mov_b32 v7, 2 :: v_dual_mov_b32 v8, 0
	s_add_u32 s12, s10, s12
	s_addc_u32 s13, s11, s13
	v_add_co_ci_u32_e32 v6, vcc_lo, v4, v2, vcc_lo
	v_dual_mov_b32 v28, s13 :: v_dual_mov_b32 v27, s12
	;;#ASMSTART
	global_store_dwordx4 v[27:28], v[5:8] off	
s_waitcnt vmcnt(0)
	;;#ASMEND
	ds_store_b128 v8, v[1:4] offset:7680
.LBB334_125:
	s_or_b32 exec_lo, exec_lo, s9
	v_cmp_eq_u32_e32 vcc_lo, 0, v0
	s_and_b32 exec_lo, exec_lo, vcc_lo
	s_cbranch_execz .LBB334_127
; %bb.126:
	v_mov_b32_e32 v1, 0
	ds_store_b64 v1, v[3:4] offset:24
.LBB334_127:
	s_or_b32 exec_lo, exec_lo, s8
	s_waitcnt lgkmcnt(0)
	v_cndmask_b32_e64 v8, v57, v26, s3
	v_cmp_ne_u32_e32 vcc_lo, 0, v0
	v_mov_b32_e32 v3, 0
	s_barrier
	buffer_gl0_inv
	v_cndmask_b32_e32 v8, 0, v8, vcc_lo
	ds_load_b64 v[1:2], v3 offset:24
	s_waitcnt lgkmcnt(0)
	s_barrier
	buffer_gl0_inv
	ds_load_b128 v[4:7], v3 offset:7680
	v_cndmask_b32_e64 v3, v56, v25, s3
	s_delay_alu instid0(VALU_DEP_1) | instskip(NEXT) | instid1(VALU_DEP_1)
	v_cndmask_b32_e32 v3, 0, v3, vcc_lo
	v_add_co_u32 v67, vcc_lo, v1, v3
	v_add_co_ci_u32_e32 v68, vcc_lo, v2, v8, vcc_lo
	s_waitcnt lgkmcnt(0)
	v_readfirstlane_b32 s13, v7
	v_readfirstlane_b32 s12, v6
	s_load_b64 s[8:9], s[0:1], 0x28
	s_branch .LBB334_152
.LBB334_128:
                                        ; implicit-def: $sgpr12_sgpr13
                                        ; implicit-def: $vgpr4_vgpr5
                                        ; implicit-def: $vgpr67_vgpr68
	s_load_b64 s[8:9], s[0:1], 0x28
	s_and_b32 vcc_lo, exec_lo, s3
	s_cbranch_vccz .LBB334_152
; %bb.129:
	v_dual_mov_b32 v2, 0 :: v_dual_mov_b32 v3, v23
	v_mov_b32_dpp v4, v23 row_shr:1 row_mask:0xf bank_mask:0xf
	s_delay_alu instid0(VALU_DEP_2)
	v_mov_b32_dpp v1, v2 row_shr:1 row_mask:0xf bank_mask:0xf
	s_and_saveexec_b32 s0, s2
; %bb.130:
	s_delay_alu instid0(VALU_DEP_2) | instskip(SKIP_1) | instid1(VALU_DEP_2)
	v_add_co_u32 v3, vcc_lo, v23, v4
	v_add_co_ci_u32_e32 v2, vcc_lo, 0, v24, vcc_lo
	v_add_co_u32 v23, vcc_lo, 0, v3
	s_delay_alu instid0(VALU_DEP_2) | instskip(NEXT) | instid1(VALU_DEP_1)
	v_add_co_ci_u32_e32 v24, vcc_lo, v1, v2, vcc_lo
	v_mov_b32_e32 v2, v24
; %bb.131:
	s_or_b32 exec_lo, exec_lo, s0
	v_mov_b32_dpp v1, v3 row_shr:2 row_mask:0xf bank_mask:0xf
	s_delay_alu instid0(VALU_DEP_2)
	v_mov_b32_dpp v4, v2 row_shr:2 row_mask:0xf bank_mask:0xf
	s_mov_b32 s0, exec_lo
	v_cmpx_lt_u32_e32 1, v55
; %bb.132:
	s_delay_alu instid0(VALU_DEP_3) | instskip(SKIP_1) | instid1(VALU_DEP_2)
	v_add_co_u32 v3, vcc_lo, v23, v1
	v_add_co_ci_u32_e32 v2, vcc_lo, 0, v24, vcc_lo
	v_add_co_u32 v1, vcc_lo, 0, v3
	s_delay_alu instid0(VALU_DEP_2) | instskip(NEXT) | instid1(VALU_DEP_1)
	v_add_co_ci_u32_e32 v2, vcc_lo, v4, v2, vcc_lo
	v_dual_mov_b32 v24, v2 :: v_dual_mov_b32 v23, v1
; %bb.133:
	s_or_b32 exec_lo, exec_lo, s0
	v_mov_b32_dpp v1, v3 row_shr:4 row_mask:0xf bank_mask:0xf
	v_mov_b32_dpp v4, v2 row_shr:4 row_mask:0xf bank_mask:0xf
	s_mov_b32 s0, exec_lo
	v_cmpx_lt_u32_e32 3, v55
; %bb.134:
	s_delay_alu instid0(VALU_DEP_3) | instskip(SKIP_1) | instid1(VALU_DEP_2)
	v_add_co_u32 v3, vcc_lo, v23, v1
	v_add_co_ci_u32_e32 v2, vcc_lo, 0, v24, vcc_lo
	v_add_co_u32 v1, vcc_lo, 0, v3
	s_delay_alu instid0(VALU_DEP_2) | instskip(NEXT) | instid1(VALU_DEP_1)
	v_add_co_ci_u32_e32 v2, vcc_lo, v4, v2, vcc_lo
	v_dual_mov_b32 v24, v2 :: v_dual_mov_b32 v23, v1
; %bb.135:
	s_or_b32 exec_lo, exec_lo, s0
	v_mov_b32_dpp v4, v3 row_shr:8 row_mask:0xf bank_mask:0xf
	v_mov_b32_dpp v1, v2 row_shr:8 row_mask:0xf bank_mask:0xf
	s_mov_b32 s0, exec_lo
	v_cmpx_lt_u32_e32 7, v55
; %bb.136:
	s_delay_alu instid0(VALU_DEP_3) | instskip(SKIP_1) | instid1(VALU_DEP_2)
	v_add_co_u32 v3, vcc_lo, v23, v4
	v_add_co_ci_u32_e32 v2, vcc_lo, 0, v24, vcc_lo
	v_add_co_u32 v23, vcc_lo, 0, v3
	s_delay_alu instid0(VALU_DEP_2) | instskip(NEXT) | instid1(VALU_DEP_1)
	v_add_co_ci_u32_e32 v24, vcc_lo, v1, v2, vcc_lo
	v_mov_b32_e32 v2, v24
; %bb.137:
	s_or_b32 exec_lo, exec_lo, s0
	ds_swizzle_b32 v3, v3 offset:swizzle(BROADCAST,32,15)
	ds_swizzle_b32 v1, v2 offset:swizzle(BROADCAST,32,15)
	v_and_b32_e32 v2, 16, v54
	s_mov_b32 s0, exec_lo
	s_delay_alu instid0(VALU_DEP_1)
	v_cmpx_ne_u32_e32 0, v2
	s_cbranch_execz .LBB334_139
; %bb.138:
	s_waitcnt lgkmcnt(0)
	v_add_co_u32 v2, vcc_lo, v23, v3
	v_add_co_ci_u32_e32 v3, vcc_lo, 0, v24, vcc_lo
	s_delay_alu instid0(VALU_DEP_2) | instskip(NEXT) | instid1(VALU_DEP_2)
	v_add_co_u32 v23, vcc_lo, v2, 0
	v_add_co_ci_u32_e32 v24, vcc_lo, v3, v1, vcc_lo
.LBB334_139:
	s_or_b32 exec_lo, exec_lo, s0
	s_waitcnt lgkmcnt(0)
	v_or_b32_e32 v1, 31, v0
	v_lshrrev_b32_e32 v3, 5, v0
	s_mov_b32 s0, exec_lo
	s_delay_alu instid0(VALU_DEP_2)
	v_cmpx_eq_u32_e64 v1, v0
	s_cbranch_execz .LBB334_141
; %bb.140:
	s_delay_alu instid0(VALU_DEP_2)
	v_lshlrev_b32_e32 v1, 3, v3
	ds_store_b64 v1, v[23:24]
.LBB334_141:
	s_or_b32 exec_lo, exec_lo, s0
	s_delay_alu instid0(SALU_CYCLE_1)
	s_mov_b32 s0, exec_lo
	s_waitcnt lgkmcnt(0)
	s_barrier
	buffer_gl0_inv
	v_cmpx_gt_u32_e32 4, v0
	s_cbranch_execz .LBB334_147
; %bb.142:
	v_lshlrev_b32_e32 v4, 3, v0
	s_mov_b32 s1, exec_lo
	ds_load_b64 v[1:2], v4
	s_waitcnt lgkmcnt(0)
	v_dual_mov_b32 v6, v1 :: v_dual_and_b32 v5, 3, v54
	v_mov_b32_dpp v8, v1 row_shr:1 row_mask:0xf bank_mask:0xf
	v_mov_b32_dpp v7, v2 row_shr:1 row_mask:0xf bank_mask:0xf
	s_delay_alu instid0(VALU_DEP_3)
	v_cmpx_ne_u32_e32 0, v5
; %bb.143:
	s_delay_alu instid0(VALU_DEP_3) | instskip(SKIP_1) | instid1(VALU_DEP_2)
	v_add_co_u32 v6, vcc_lo, v1, v8
	v_add_co_ci_u32_e32 v2, vcc_lo, 0, v2, vcc_lo
	v_add_co_u32 v1, vcc_lo, 0, v6
	s_delay_alu instid0(VALU_DEP_2)
	v_add_co_ci_u32_e32 v2, vcc_lo, v7, v2, vcc_lo
; %bb.144:
	s_or_b32 exec_lo, exec_lo, s1
	v_mov_b32_dpp v7, v6 row_shr:2 row_mask:0xf bank_mask:0xf
	s_delay_alu instid0(VALU_DEP_2)
	v_mov_b32_dpp v6, v2 row_shr:2 row_mask:0xf bank_mask:0xf
	s_mov_b32 s1, exec_lo
	v_cmpx_lt_u32_e32 1, v5
; %bb.145:
	s_delay_alu instid0(VALU_DEP_3) | instskip(SKIP_1) | instid1(VALU_DEP_2)
	v_add_co_u32 v1, vcc_lo, v1, v7
	v_add_co_ci_u32_e32 v2, vcc_lo, 0, v2, vcc_lo
	v_add_co_u32 v1, vcc_lo, v1, 0
	s_delay_alu instid0(VALU_DEP_2)
	v_add_co_ci_u32_e32 v2, vcc_lo, v2, v6, vcc_lo
; %bb.146:
	s_or_b32 exec_lo, exec_lo, s1
	ds_store_b64 v4, v[1:2]
.LBB334_147:
	s_or_b32 exec_lo, exec_lo, s0
	v_mov_b32_e32 v1, 0
	v_mov_b32_e32 v2, 0
	s_mov_b32 s0, exec_lo
	s_waitcnt lgkmcnt(0)
	s_barrier
	buffer_gl0_inv
	v_cmpx_lt_u32_e32 31, v0
	s_cbranch_execz .LBB334_149
; %bb.148:
	v_lshl_add_u32 v1, v3, 3, -8
	ds_load_b64 v[1:2], v1
.LBB334_149:
	s_or_b32 exec_lo, exec_lo, s0
	v_add_nc_u32_e32 v3, -1, v54
	v_mov_b32_e32 v7, 0
	s_delay_alu instid0(VALU_DEP_2) | instskip(SKIP_1) | instid1(VALU_DEP_1)
	v_cmp_gt_i32_e32 vcc_lo, 0, v3
	v_cndmask_b32_e32 v3, v3, v54, vcc_lo
	v_lshlrev_b32_e32 v4, 2, v3
	s_waitcnt lgkmcnt(0)
	v_add_co_u32 v3, vcc_lo, v1, v23
	v_add_co_ci_u32_e32 v5, vcc_lo, v2, v24, vcc_lo
	v_cmp_eq_u32_e32 vcc_lo, 0, v0
	ds_bpermute_b32 v3, v4, v3
	ds_bpermute_b32 v8, v4, v5
	ds_load_b64 v[4:5], v7 offset:24
	s_and_saveexec_b32 s0, vcc_lo
	s_cbranch_execz .LBB334_151
; %bb.150:
	s_add_u32 s2, s10, 0x200
	s_addc_u32 s3, s11, 0
	v_mov_b32_e32 v6, 2
	v_dual_mov_b32 v24, s3 :: v_dual_mov_b32 v23, s2
	s_waitcnt lgkmcnt(0)
	;;#ASMSTART
	global_store_dwordx4 v[23:24], v[4:7] off	
s_waitcnt vmcnt(0)
	;;#ASMEND
.LBB334_151:
	s_or_b32 exec_lo, exec_lo, s0
	v_cmp_eq_u32_e64 s0, 0, v54
	s_waitcnt lgkmcnt(0)
	s_barrier
	s_mov_b64 s[12:13], 0
	buffer_gl0_inv
	v_cndmask_b32_e64 v1, v3, v1, s0
	v_cndmask_b32_e64 v2, v8, v2, s0
	s_delay_alu instid0(VALU_DEP_2) | instskip(NEXT) | instid1(VALU_DEP_2)
	v_cndmask_b32_e64 v67, v1, 0, vcc_lo
	v_cndmask_b32_e64 v68, v2, 0, vcc_lo
.LBB334_152:
	s_delay_alu instid0(VALU_DEP_2) | instskip(NEXT) | instid1(VALU_DEP_2)
	v_add_co_u32 v77, vcc_lo, v67, v42
	v_add_co_ci_u32_e32 v78, vcc_lo, 0, v68, vcc_lo
	s_delay_alu instid0(VALU_DEP_2) | instskip(NEXT) | instid1(VALU_DEP_2)
	v_add_co_u32 v75, vcc_lo, v77, v53
	v_add_co_ci_u32_e32 v76, vcc_lo, 0, v78, vcc_lo
	s_delay_alu instid0(VALU_DEP_2) | instskip(NEXT) | instid1(VALU_DEP_2)
	v_add_co_u32 v73, vcc_lo, v75, v52
	v_add_co_ci_u32_e32 v74, vcc_lo, 0, v76, vcc_lo
	s_delay_alu instid0(VALU_DEP_2) | instskip(NEXT) | instid1(VALU_DEP_2)
	v_add_co_u32 v71, vcc_lo, v73, v51
	v_add_co_ci_u32_e32 v72, vcc_lo, 0, v74, vcc_lo
	s_delay_alu instid0(VALU_DEP_2) | instskip(NEXT) | instid1(VALU_DEP_2)
	v_add_co_u32 v69, vcc_lo, v71, v50
	v_add_co_ci_u32_e32 v70, vcc_lo, 0, v72, vcc_lo
	s_delay_alu instid0(VALU_DEP_2) | instskip(NEXT) | instid1(VALU_DEP_2)
	v_add_co_u32 v65, vcc_lo, v69, v49
	v_add_co_ci_u32_e32 v66, vcc_lo, 0, v70, vcc_lo
	s_delay_alu instid0(VALU_DEP_2) | instskip(NEXT) | instid1(VALU_DEP_2)
	v_add_co_u32 v63, vcc_lo, v65, v48
	v_add_co_ci_u32_e32 v64, vcc_lo, 0, v66, vcc_lo
	s_delay_alu instid0(VALU_DEP_2) | instskip(NEXT) | instid1(VALU_DEP_2)
	v_add_co_u32 v61, vcc_lo, v63, v47
	v_add_co_ci_u32_e32 v62, vcc_lo, 0, v64, vcc_lo
	s_delay_alu instid0(VALU_DEP_2) | instskip(NEXT) | instid1(VALU_DEP_2)
	v_add_co_u32 v59, vcc_lo, v61, v46
	v_add_co_ci_u32_e32 v60, vcc_lo, 0, v62, vcc_lo
	s_delay_alu instid0(VALU_DEP_2) | instskip(NEXT) | instid1(VALU_DEP_2)
	v_add_co_u32 v57, vcc_lo, v59, v45
	v_add_co_ci_u32_e32 v58, vcc_lo, 0, v60, vcc_lo
	s_delay_alu instid0(VALU_DEP_2) | instskip(NEXT) | instid1(VALU_DEP_2)
	v_add_co_u32 v55, vcc_lo, v57, v44
	v_add_co_ci_u32_e32 v56, vcc_lo, 0, v58, vcc_lo
	s_delay_alu instid0(VALU_DEP_2) | instskip(NEXT) | instid1(VALU_DEP_2)
	v_add_co_u32 v53, vcc_lo, v55, v43
	v_add_co_ci_u32_e32 v54, vcc_lo, 0, v56, vcc_lo
	s_delay_alu instid0(VALU_DEP_2) | instskip(NEXT) | instid1(VALU_DEP_2)
	v_add_co_u32 v51, vcc_lo, v53, v41
	v_add_co_ci_u32_e32 v52, vcc_lo, 0, v54, vcc_lo
	s_delay_alu instid0(VALU_DEP_2) | instskip(NEXT) | instid1(VALU_DEP_2)
	v_add_co_u32 v49, vcc_lo, v51, v40
	v_add_co_ci_u32_e32 v50, vcc_lo, 0, v52, vcc_lo
	s_delay_alu instid0(VALU_DEP_2) | instskip(NEXT) | instid1(VALU_DEP_2)
	v_add_co_u32 v47, vcc_lo, v49, v39
	v_add_co_ci_u32_e32 v48, vcc_lo, 0, v50, vcc_lo
	s_delay_alu instid0(VALU_DEP_2) | instskip(NEXT) | instid1(VALU_DEP_2)
	v_add_co_u32 v45, vcc_lo, v47, v38
	v_add_co_ci_u32_e32 v46, vcc_lo, 0, v48, vcc_lo
	s_delay_alu instid0(VALU_DEP_2) | instskip(NEXT) | instid1(VALU_DEP_2)
	v_add_co_u32 v43, vcc_lo, v45, v37
	v_add_co_ci_u32_e32 v44, vcc_lo, 0, v46, vcc_lo
	s_delay_alu instid0(VALU_DEP_2) | instskip(NEXT) | instid1(VALU_DEP_2)
	v_add_co_u32 v41, vcc_lo, v43, v36
	v_add_co_ci_u32_e32 v42, vcc_lo, 0, v44, vcc_lo
	s_delay_alu instid0(VALU_DEP_2) | instskip(NEXT) | instid1(VALU_DEP_2)
	v_add_co_u32 v39, vcc_lo, v41, v35
	v_add_co_ci_u32_e32 v40, vcc_lo, 0, v42, vcc_lo
	s_delay_alu instid0(VALU_DEP_2) | instskip(NEXT) | instid1(VALU_DEP_2)
	v_add_co_u32 v37, vcc_lo, v39, v34
	v_add_co_ci_u32_e32 v38, vcc_lo, 0, v40, vcc_lo
	s_delay_alu instid0(VALU_DEP_2) | instskip(NEXT) | instid1(VALU_DEP_2)
	v_add_co_u32 v35, vcc_lo, v37, v33
	v_add_co_ci_u32_e32 v36, vcc_lo, 0, v38, vcc_lo
	s_delay_alu instid0(VALU_DEP_2) | instskip(NEXT) | instid1(VALU_DEP_2)
	v_add_co_u32 v33, vcc_lo, v35, v32
	v_add_co_ci_u32_e32 v34, vcc_lo, 0, v36, vcc_lo
	s_delay_alu instid0(VALU_DEP_2) | instskip(NEXT) | instid1(VALU_DEP_2)
	v_add_co_u32 v31, vcc_lo, v33, v31
	v_add_co_ci_u32_e32 v32, vcc_lo, 0, v34, vcc_lo
	s_delay_alu instid0(VALU_DEP_2) | instskip(NEXT) | instid1(VALU_DEP_2)
	v_add_co_u32 v29, vcc_lo, v31, v130
	v_add_co_ci_u32_e32 v30, vcc_lo, 0, v32, vcc_lo
	s_delay_alu instid0(VALU_DEP_2) | instskip(NEXT) | instid1(VALU_DEP_2)
	v_add_co_u32 v27, vcc_lo, v29, v129
	v_add_co_ci_u32_e32 v28, vcc_lo, 0, v30, vcc_lo
	s_delay_alu instid0(VALU_DEP_2) | instskip(NEXT) | instid1(VALU_DEP_2)
	v_add_co_u32 v25, vcc_lo, v27, v128
	v_add_co_ci_u32_e32 v26, vcc_lo, 0, v28, vcc_lo
	s_delay_alu instid0(VALU_DEP_2) | instskip(NEXT) | instid1(VALU_DEP_2)
	v_add_co_u32 v6, vcc_lo, v25, v127
	v_add_co_ci_u32_e32 v7, vcc_lo, 0, v26, vcc_lo
	v_cmp_gt_u64_e32 vcc_lo, 0x81, v[4:5]
	s_delay_alu instid0(VALU_DEP_3) | instskip(NEXT) | instid1(VALU_DEP_1)
	v_add_co_u32 v23, s0, v6, v80
	v_add_co_ci_u32_e64 v24, s0, 0, v7, s0
	s_delay_alu instid0(VALU_DEP_2) | instskip(NEXT) | instid1(VALU_DEP_1)
	v_add_co_u32 v1, s0, v23, v79
	v_add_co_ci_u32_e64 v2, s0, 0, v24, s0
	s_mov_b32 s0, -1
	s_cbranch_vccnz .LBB334_156
; %bb.153:
	s_and_b32 vcc_lo, exec_lo, s0
	s_cbranch_vccnz .LBB334_247
.LBB334_154:
	v_cmp_eq_u32_e32 vcc_lo, 0, v0
	s_and_b32 s0, vcc_lo, s14
	s_delay_alu instid0(SALU_CYCLE_1)
	s_and_saveexec_b32 s1, s0
	s_cbranch_execnz .LBB334_318
.LBB334_155:
	s_nop 0
	s_sendmsg sendmsg(MSG_DEALLOC_VGPRS)
	s_endpgm
.LBB334_156:
	v_add_co_u32 v79, vcc_lo, s12, v4
	v_add_co_ci_u32_e32 v80, vcc_lo, s13, v5, vcc_lo
	s_lshl_b64 s[0:1], s[6:7], 1
	s_waitcnt lgkmcnt(0)
	s_add_u32 s0, s8, s0
	s_delay_alu instid0(VALU_DEP_1) | instskip(SKIP_2) | instid1(SALU_CYCLE_1)
	v_cmp_lt_u64_e32 vcc_lo, v[67:68], v[79:80]
	s_addc_u32 s1, s9, s1
	s_or_b32 s3, s16, vcc_lo
	s_and_saveexec_b32 s2, s3
	s_cbranch_execz .LBB334_159
; %bb.157:
	v_and_b32_e32 v3, 1, v126
	s_delay_alu instid0(VALU_DEP_1)
	v_cmp_eq_u32_e32 vcc_lo, 1, v3
	s_and_b32 exec_lo, exec_lo, vcc_lo
	s_cbranch_execz .LBB334_159
; %bb.158:
	v_lshlrev_b64 v[127:128], 1, v[67:68]
	s_delay_alu instid0(VALU_DEP_1) | instskip(NEXT) | instid1(VALU_DEP_2)
	v_add_co_u32 v127, vcc_lo, s0, v127
	v_add_co_ci_u32_e32 v128, vcc_lo, s1, v128, vcc_lo
	global_store_b16 v[127:128], v21, off
.LBB334_159:
	s_or_b32 exec_lo, exec_lo, s2
	v_cmp_lt_u64_e32 vcc_lo, v[77:78], v[79:80]
	s_or_b32 s3, s16, vcc_lo
	s_delay_alu instid0(SALU_CYCLE_1)
	s_and_saveexec_b32 s2, s3
	s_cbranch_execz .LBB334_162
; %bb.160:
	v_and_b32_e32 v3, 1, v125
	s_delay_alu instid0(VALU_DEP_1)
	v_cmp_eq_u32_e32 vcc_lo, 1, v3
	s_and_b32 exec_lo, exec_lo, vcc_lo
	s_cbranch_execz .LBB334_162
; %bb.161:
	v_lshlrev_b64 v[127:128], 1, v[77:78]
	s_delay_alu instid0(VALU_DEP_1) | instskip(NEXT) | instid1(VALU_DEP_2)
	v_add_co_u32 v127, vcc_lo, s0, v127
	v_add_co_ci_u32_e32 v128, vcc_lo, s1, v128, vcc_lo
	global_store_b16 v[127:128], v109, off
.LBB334_162:
	s_or_b32 exec_lo, exec_lo, s2
	v_cmp_lt_u64_e32 vcc_lo, v[75:76], v[79:80]
	s_or_b32 s3, s16, vcc_lo
	s_delay_alu instid0(SALU_CYCLE_1)
	;; [unrolled: 19-line block ×29, first 2 shown]
	s_and_saveexec_b32 s2, s3
	s_cbranch_execz .LBB334_246
; %bb.244:
	v_and_b32_e32 v3, 1, v92
	s_delay_alu instid0(VALU_DEP_1)
	v_cmp_eq_u32_e32 vcc_lo, 1, v3
	s_and_b32 exec_lo, exec_lo, vcc_lo
	s_cbranch_execz .LBB334_246
; %bb.245:
	v_lshlrev_b64 v[2:3], 1, v[1:2]
	s_delay_alu instid0(VALU_DEP_1) | instskip(NEXT) | instid1(VALU_DEP_2)
	v_add_co_u32 v2, vcc_lo, s0, v2
	v_add_co_ci_u32_e32 v3, vcc_lo, s1, v3, vcc_lo
	global_store_b16 v[2:3], v82, off
.LBB334_246:
	s_or_b32 exec_lo, exec_lo, s2
	s_branch .LBB334_154
.LBB334_247:
	v_and_b32_e32 v2, 1, v126
	s_mov_b32 s0, exec_lo
	s_delay_alu instid0(VALU_DEP_1)
	v_cmpx_eq_u32_e32 1, v2
	s_cbranch_execz .LBB334_249
; %bb.248:
	v_subrev_nc_u32_e32 v2, s12, v67
	s_delay_alu instid0(VALU_DEP_1)
	v_lshlrev_b32_e32 v2, 1, v2
	ds_store_b16 v2, v21
.LBB334_249:
	s_or_b32 exec_lo, exec_lo, s0
	v_and_b32_e32 v2, 1, v125
	s_mov_b32 s0, exec_lo
	s_delay_alu instid0(VALU_DEP_1)
	v_cmpx_eq_u32_e32 1, v2
	s_cbranch_execz .LBB334_251
; %bb.250:
	v_subrev_nc_u32_e32 v2, s12, v77
	s_delay_alu instid0(VALU_DEP_1)
	v_lshlrev_b32_e32 v2, 1, v2
	ds_store_b16 v2, v109
.LBB334_251:
	s_or_b32 exec_lo, exec_lo, s0
	;; [unrolled: 12-line block ×30, first 2 shown]
	v_mov_b32_e32 v1, 0
	s_mov_b32 s15, exec_lo
	s_waitcnt lgkmcnt(0)
	s_waitcnt_vscnt null, 0x0
	s_barrier
	buffer_gl0_inv
	v_cmpx_gt_u64_e64 v[4:5], v[0:1]
	s_cbranch_execz .LBB334_317
; %bb.308:
	v_not_b32_e32 v2, v0
	v_not_b32_e32 v3, 0
	v_mov_b32_e32 v8, v0
	s_mov_b32 s16, exec_lo
	s_delay_alu instid0(VALU_DEP_3) | instskip(NEXT) | instid1(VALU_DEP_3)
	v_add_co_u32 v6, vcc_lo, v4, v2
	v_add_co_ci_u32_e32 v7, vcc_lo, v5, v3, vcc_lo
	v_dual_mov_b32 v3, v1 :: v_dual_mov_b32 v2, v0
	s_delay_alu instid0(VALU_DEP_2)
	v_cmp_gt_u64_e32 vcc_lo, 0x1a80, v[6:7]
	v_cmpx_lt_u64_e32 0x1a7f, v[6:7]
	s_cbranch_execz .LBB334_314
; %bb.309:
	v_alignbit_b32 v2, v7, v6, 7
	v_not_b32_e32 v3, v0
	v_xor_b32_e32 v8, 0xffffff7f, v0
	s_movk_i32 s11, 0x7f
	s_mov_b32 s10, -1
	v_lshlrev_b32_e32 v9, 7, v2
	v_cmp_lt_u64_e64 s0, s[10:11], v[6:7]
	v_cmp_lt_u32_e64 s1, 0x1ffffff, v2
	s_delay_alu instid0(VALU_DEP_3) | instskip(SKIP_2) | instid1(VALU_DEP_4)
	v_cmp_lt_u32_e64 s3, v8, v9
	v_mov_b32_e32 v8, v0
	v_cmp_gt_u32_e64 s2, v9, v3
	s_or_b32 s0, s1, s0
	v_dual_mov_b32 v3, v1 :: v_dual_mov_b32 v2, v0
	s_or_b32 s0, s0, s3
	s_delay_alu instid0(VALU_DEP_2) | instskip(NEXT) | instid1(SALU_CYCLE_1)
	s_or_b32 s1, s2, s1
	s_or_b32 s0, s1, s0
	s_delay_alu instid0(SALU_CYCLE_1) | instskip(NEXT) | instid1(SALU_CYCLE_1)
	s_xor_b32 s0, s0, -1
	s_and_saveexec_b32 s2, s0
	s_cbranch_execz .LBB334_313
; %bb.310:
	v_lshrrev_b64 v[6:7], 7, v[6:7]
	s_lshl_b64 s[10:11], s[12:13], 1
	v_or_b32_e32 v2, 0x80, v0
	s_mov_b32 s3, 0
	s_delay_alu instid0(VALU_DEP_2) | instskip(NEXT) | instid1(VALU_DEP_1)
	v_add_co_u32 v10, s0, v6, 1
	v_add_co_ci_u32_e64 v11, s0, 0, v7, s0
	s_lshl_b64 s[0:1], s[6:7], 1
	s_delay_alu instid0(VALU_DEP_2) | instskip(SKIP_1) | instid1(VALU_DEP_2)
	v_and_b32_e32 v12, -2, v10
	s_add_u32 s0, s10, s0
	v_mov_b32_e32 v13, v11
	v_lshlrev_b32_e32 v3, 1, v0
	s_addc_u32 s1, s11, s1
	s_add_u32 s0, s8, s0
	s_addc_u32 s1, s9, s1
	v_dual_mov_b32 v17, v13 :: v_dual_mov_b32 v16, v12
	v_add_co_u32 v6, s0, s0, v3
	s_delay_alu instid0(VALU_DEP_1) | instskip(SKIP_1) | instid1(VALU_DEP_3)
	v_add_co_ci_u32_e64 v7, null, s1, 0, s0
	v_mov_b32_e32 v3, v1
	v_add_co_u32 v14, s0, 0x100, v6
	s_delay_alu instid0(VALU_DEP_1) | instskip(NEXT) | instid1(VALU_DEP_3)
	v_add_co_ci_u32_e64 v15, s0, 0, v7, s0
	v_dual_mov_b32 v9, v3 :: v_dual_mov_b32 v6, v0
	v_dual_mov_b32 v8, v2 :: v_dual_mov_b32 v7, v1
	s_set_inst_prefetch_distance 0x1
	.p2align	6
.LBB334_311:                            ; =>This Inner Loop Header: Depth=1
	s_delay_alu instid0(VALU_DEP_2) | instskip(NEXT) | instid1(VALU_DEP_2)
	v_lshlrev_b32_e32 v1, 1, v6
	v_lshlrev_b32_e32 v2, 1, v8
	v_add_co_u32 v8, s0, 0x100, v8
	s_delay_alu instid0(VALU_DEP_1) | instskip(SKIP_3) | instid1(VALU_DEP_1)
	v_add_co_ci_u32_e64 v9, s0, 0, v9, s0
	ds_load_u16 v1, v1
	ds_load_u16 v2, v2
	v_add_co_u32 v16, s0, v16, -2
	v_add_co_ci_u32_e64 v17, s0, -1, v17, s0
	v_add_co_u32 v6, s0, 0x100, v6
	s_delay_alu instid0(VALU_DEP_1) | instskip(NEXT) | instid1(VALU_DEP_3)
	v_add_co_ci_u32_e64 v7, s0, 0, v7, s0
	v_cmp_eq_u64_e64 s0, 0, v[16:17]
	s_waitcnt lgkmcnt(1)
	global_store_b16 v[14:15], v1, off offset:-256
	s_waitcnt lgkmcnt(0)
	global_store_b16 v[14:15], v2, off
	v_add_co_u32 v14, s1, 0x200, v14
	s_delay_alu instid0(VALU_DEP_1) | instskip(SKIP_1) | instid1(SALU_CYCLE_1)
	v_add_co_ci_u32_e64 v15, s1, 0, v15, s1
	s_or_b32 s3, s0, s3
	s_and_not1_b32 exec_lo, exec_lo, s3
	s_cbranch_execnz .LBB334_311
; %bb.312:
	s_set_inst_prefetch_distance 0x2
	s_or_b32 exec_lo, exec_lo, s3
	v_lshlrev_b64 v[1:2], 7, v[12:13]
	v_cmp_ne_u64_e64 s0, v[10:11], v[12:13]
	v_lshl_or_b32 v8, v12, 7, v0
	s_delay_alu instid0(VALU_DEP_3) | instskip(NEXT) | instid1(VALU_DEP_4)
	v_or_b32_e32 v3, 0, v2
	v_or_b32_e32 v2, v1, v0
	s_delay_alu instid0(VALU_DEP_4)
	s_or_not1_b32 s10, s0, exec_lo
.LBB334_313:
	s_or_b32 exec_lo, exec_lo, s2
	s_delay_alu instid0(SALU_CYCLE_1) | instskip(SKIP_1) | instid1(SALU_CYCLE_1)
	s_and_not1_b32 s0, vcc_lo, exec_lo
	s_and_b32 s1, s10, exec_lo
	s_or_b32 vcc_lo, s0, s1
.LBB334_314:
	s_or_b32 exec_lo, exec_lo, s16
	s_delay_alu instid0(SALU_CYCLE_1)
	s_and_b32 exec_lo, exec_lo, vcc_lo
	s_cbranch_execz .LBB334_317
; %bb.315:
	s_lshl_b64 s[0:1], s[12:13], 1
	v_dual_mov_b32 v7, 0 :: v_dual_add_nc_u32 v6, 0x80, v8
	s_add_u32 s0, s8, s0
	s_addc_u32 s8, s9, s1
	s_lshl_b64 s[2:3], s[6:7], 1
	s_delay_alu instid0(SALU_CYCLE_1)
	s_add_u32 s1, s0, s2
	s_addc_u32 s2, s8, s3
	s_mov_b32 s3, 0
	.p2align	6
.LBB334_316:                            ; =>This Inner Loop Header: Depth=1
	v_lshlrev_b32_e32 v1, 1, v2
	v_lshlrev_b64 v[8:9], 1, v[2:3]
	v_mov_b32_e32 v2, v6
	v_cmp_le_u64_e32 vcc_lo, v[4:5], v[6:7]
	v_dual_mov_b32 v3, v7 :: v_dual_add_nc_u32 v6, 0x80, v6
	ds_load_u16 v1, v1
	v_add_co_u32 v8, s0, s1, v8
	s_delay_alu instid0(VALU_DEP_1)
	v_add_co_ci_u32_e64 v9, s0, s2, v9, s0
	s_or_b32 s3, vcc_lo, s3
	s_waitcnt lgkmcnt(0)
	global_store_b16 v[8:9], v1, off
	s_and_not1_b32 exec_lo, exec_lo, s3
	s_cbranch_execnz .LBB334_316
.LBB334_317:
	s_or_b32 exec_lo, exec_lo, s15
	v_cmp_eq_u32_e32 vcc_lo, 0, v0
	s_and_b32 s0, vcc_lo, s14
	s_delay_alu instid0(SALU_CYCLE_1)
	s_and_saveexec_b32 s1, s0
	s_cbranch_execz .LBB334_155
.LBB334_318:
	v_add_co_u32 v0, vcc_lo, s12, v4
	v_add_co_ci_u32_e32 v1, vcc_lo, s13, v5, vcc_lo
	v_mov_b32_e32 v2, 0
	s_delay_alu instid0(VALU_DEP_3) | instskip(NEXT) | instid1(VALU_DEP_3)
	v_add_co_u32 v0, vcc_lo, v0, s6
	v_add_co_ci_u32_e32 v1, vcc_lo, s7, v1, vcc_lo
	global_store_b64 v2, v[0:1], s[4:5]
	s_nop 0
	s_sendmsg sendmsg(MSG_DEALLOC_VGPRS)
	s_endpgm
	.section	.rodata,"a",@progbits
	.p2align	6, 0x0
	.amdhsa_kernel _ZN7rocprim17ROCPRIM_400000_NS6detail17trampoline_kernelINS0_14default_configENS1_25partition_config_selectorILNS1_17partition_subalgoE6EtNS0_10empty_typeEbEEZZNS1_14partition_implILS5_6ELb0ES3_mN6thrust23THRUST_200600_302600_NS6detail15normal_iteratorINSA_10device_ptrItEEEEPS6_SG_NS0_5tupleIJSF_S6_EEENSH_IJSG_SG_EEES6_PlJ7is_evenItEEEE10hipError_tPvRmT3_T4_T5_T6_T7_T9_mT8_P12ihipStream_tbDpT10_ENKUlT_T0_E_clISt17integral_constantIbLb0EES16_EEDaS11_S12_EUlS11_E_NS1_11comp_targetILNS1_3genE9ELNS1_11target_archE1100ELNS1_3gpuE3ELNS1_3repE0EEENS1_30default_config_static_selectorELNS0_4arch9wavefront6targetE0EEEvT1_
		.amdhsa_group_segment_fixed_size 7696
		.amdhsa_private_segment_fixed_size 0
		.amdhsa_kernarg_size 112
		.amdhsa_user_sgpr_count 15
		.amdhsa_user_sgpr_dispatch_ptr 0
		.amdhsa_user_sgpr_queue_ptr 0
		.amdhsa_user_sgpr_kernarg_segment_ptr 1
		.amdhsa_user_sgpr_dispatch_id 0
		.amdhsa_user_sgpr_private_segment_size 0
		.amdhsa_wavefront_size32 1
		.amdhsa_uses_dynamic_stack 0
		.amdhsa_enable_private_segment 0
		.amdhsa_system_sgpr_workgroup_id_x 1
		.amdhsa_system_sgpr_workgroup_id_y 0
		.amdhsa_system_sgpr_workgroup_id_z 0
		.amdhsa_system_sgpr_workgroup_info 0
		.amdhsa_system_vgpr_workitem_id 0
		.amdhsa_next_free_vgpr 131
		.amdhsa_next_free_sgpr 19
		.amdhsa_reserve_vcc 1
		.amdhsa_float_round_mode_32 0
		.amdhsa_float_round_mode_16_64 0
		.amdhsa_float_denorm_mode_32 3
		.amdhsa_float_denorm_mode_16_64 3
		.amdhsa_dx10_clamp 1
		.amdhsa_ieee_mode 1
		.amdhsa_fp16_overflow 0
		.amdhsa_workgroup_processor_mode 1
		.amdhsa_memory_ordered 1
		.amdhsa_forward_progress 0
		.amdhsa_shared_vgpr_count 0
		.amdhsa_exception_fp_ieee_invalid_op 0
		.amdhsa_exception_fp_denorm_src 0
		.amdhsa_exception_fp_ieee_div_zero 0
		.amdhsa_exception_fp_ieee_overflow 0
		.amdhsa_exception_fp_ieee_underflow 0
		.amdhsa_exception_fp_ieee_inexact 0
		.amdhsa_exception_int_div_zero 0
	.end_amdhsa_kernel
	.section	.text._ZN7rocprim17ROCPRIM_400000_NS6detail17trampoline_kernelINS0_14default_configENS1_25partition_config_selectorILNS1_17partition_subalgoE6EtNS0_10empty_typeEbEEZZNS1_14partition_implILS5_6ELb0ES3_mN6thrust23THRUST_200600_302600_NS6detail15normal_iteratorINSA_10device_ptrItEEEEPS6_SG_NS0_5tupleIJSF_S6_EEENSH_IJSG_SG_EEES6_PlJ7is_evenItEEEE10hipError_tPvRmT3_T4_T5_T6_T7_T9_mT8_P12ihipStream_tbDpT10_ENKUlT_T0_E_clISt17integral_constantIbLb0EES16_EEDaS11_S12_EUlS11_E_NS1_11comp_targetILNS1_3genE9ELNS1_11target_archE1100ELNS1_3gpuE3ELNS1_3repE0EEENS1_30default_config_static_selectorELNS0_4arch9wavefront6targetE0EEEvT1_,"axG",@progbits,_ZN7rocprim17ROCPRIM_400000_NS6detail17trampoline_kernelINS0_14default_configENS1_25partition_config_selectorILNS1_17partition_subalgoE6EtNS0_10empty_typeEbEEZZNS1_14partition_implILS5_6ELb0ES3_mN6thrust23THRUST_200600_302600_NS6detail15normal_iteratorINSA_10device_ptrItEEEEPS6_SG_NS0_5tupleIJSF_S6_EEENSH_IJSG_SG_EEES6_PlJ7is_evenItEEEE10hipError_tPvRmT3_T4_T5_T6_T7_T9_mT8_P12ihipStream_tbDpT10_ENKUlT_T0_E_clISt17integral_constantIbLb0EES16_EEDaS11_S12_EUlS11_E_NS1_11comp_targetILNS1_3genE9ELNS1_11target_archE1100ELNS1_3gpuE3ELNS1_3repE0EEENS1_30default_config_static_selectorELNS0_4arch9wavefront6targetE0EEEvT1_,comdat
.Lfunc_end334:
	.size	_ZN7rocprim17ROCPRIM_400000_NS6detail17trampoline_kernelINS0_14default_configENS1_25partition_config_selectorILNS1_17partition_subalgoE6EtNS0_10empty_typeEbEEZZNS1_14partition_implILS5_6ELb0ES3_mN6thrust23THRUST_200600_302600_NS6detail15normal_iteratorINSA_10device_ptrItEEEEPS6_SG_NS0_5tupleIJSF_S6_EEENSH_IJSG_SG_EEES6_PlJ7is_evenItEEEE10hipError_tPvRmT3_T4_T5_T6_T7_T9_mT8_P12ihipStream_tbDpT10_ENKUlT_T0_E_clISt17integral_constantIbLb0EES16_EEDaS11_S12_EUlS11_E_NS1_11comp_targetILNS1_3genE9ELNS1_11target_archE1100ELNS1_3gpuE3ELNS1_3repE0EEENS1_30default_config_static_selectorELNS0_4arch9wavefront6targetE0EEEvT1_, .Lfunc_end334-_ZN7rocprim17ROCPRIM_400000_NS6detail17trampoline_kernelINS0_14default_configENS1_25partition_config_selectorILNS1_17partition_subalgoE6EtNS0_10empty_typeEbEEZZNS1_14partition_implILS5_6ELb0ES3_mN6thrust23THRUST_200600_302600_NS6detail15normal_iteratorINSA_10device_ptrItEEEEPS6_SG_NS0_5tupleIJSF_S6_EEENSH_IJSG_SG_EEES6_PlJ7is_evenItEEEE10hipError_tPvRmT3_T4_T5_T6_T7_T9_mT8_P12ihipStream_tbDpT10_ENKUlT_T0_E_clISt17integral_constantIbLb0EES16_EEDaS11_S12_EUlS11_E_NS1_11comp_targetILNS1_3genE9ELNS1_11target_archE1100ELNS1_3gpuE3ELNS1_3repE0EEENS1_30default_config_static_selectorELNS0_4arch9wavefront6targetE0EEEvT1_
                                        ; -- End function
	.section	.AMDGPU.csdata,"",@progbits
; Kernel info:
; codeLenInByte = 13248
; NumSgprs: 21
; NumVgprs: 131
; ScratchSize: 0
; MemoryBound: 0
; FloatMode: 240
; IeeeMode: 1
; LDSByteSize: 7696 bytes/workgroup (compile time only)
; SGPRBlocks: 2
; VGPRBlocks: 16
; NumSGPRsForWavesPerEU: 21
; NumVGPRsForWavesPerEU: 131
; Occupancy: 10
; WaveLimiterHint : 1
; COMPUTE_PGM_RSRC2:SCRATCH_EN: 0
; COMPUTE_PGM_RSRC2:USER_SGPR: 15
; COMPUTE_PGM_RSRC2:TRAP_HANDLER: 0
; COMPUTE_PGM_RSRC2:TGID_X_EN: 1
; COMPUTE_PGM_RSRC2:TGID_Y_EN: 0
; COMPUTE_PGM_RSRC2:TGID_Z_EN: 0
; COMPUTE_PGM_RSRC2:TIDIG_COMP_CNT: 0
	.section	.text._ZN7rocprim17ROCPRIM_400000_NS6detail17trampoline_kernelINS0_14default_configENS1_25partition_config_selectorILNS1_17partition_subalgoE6EtNS0_10empty_typeEbEEZZNS1_14partition_implILS5_6ELb0ES3_mN6thrust23THRUST_200600_302600_NS6detail15normal_iteratorINSA_10device_ptrItEEEEPS6_SG_NS0_5tupleIJSF_S6_EEENSH_IJSG_SG_EEES6_PlJ7is_evenItEEEE10hipError_tPvRmT3_T4_T5_T6_T7_T9_mT8_P12ihipStream_tbDpT10_ENKUlT_T0_E_clISt17integral_constantIbLb0EES16_EEDaS11_S12_EUlS11_E_NS1_11comp_targetILNS1_3genE8ELNS1_11target_archE1030ELNS1_3gpuE2ELNS1_3repE0EEENS1_30default_config_static_selectorELNS0_4arch9wavefront6targetE0EEEvT1_,"axG",@progbits,_ZN7rocprim17ROCPRIM_400000_NS6detail17trampoline_kernelINS0_14default_configENS1_25partition_config_selectorILNS1_17partition_subalgoE6EtNS0_10empty_typeEbEEZZNS1_14partition_implILS5_6ELb0ES3_mN6thrust23THRUST_200600_302600_NS6detail15normal_iteratorINSA_10device_ptrItEEEEPS6_SG_NS0_5tupleIJSF_S6_EEENSH_IJSG_SG_EEES6_PlJ7is_evenItEEEE10hipError_tPvRmT3_T4_T5_T6_T7_T9_mT8_P12ihipStream_tbDpT10_ENKUlT_T0_E_clISt17integral_constantIbLb0EES16_EEDaS11_S12_EUlS11_E_NS1_11comp_targetILNS1_3genE8ELNS1_11target_archE1030ELNS1_3gpuE2ELNS1_3repE0EEENS1_30default_config_static_selectorELNS0_4arch9wavefront6targetE0EEEvT1_,comdat
	.protected	_ZN7rocprim17ROCPRIM_400000_NS6detail17trampoline_kernelINS0_14default_configENS1_25partition_config_selectorILNS1_17partition_subalgoE6EtNS0_10empty_typeEbEEZZNS1_14partition_implILS5_6ELb0ES3_mN6thrust23THRUST_200600_302600_NS6detail15normal_iteratorINSA_10device_ptrItEEEEPS6_SG_NS0_5tupleIJSF_S6_EEENSH_IJSG_SG_EEES6_PlJ7is_evenItEEEE10hipError_tPvRmT3_T4_T5_T6_T7_T9_mT8_P12ihipStream_tbDpT10_ENKUlT_T0_E_clISt17integral_constantIbLb0EES16_EEDaS11_S12_EUlS11_E_NS1_11comp_targetILNS1_3genE8ELNS1_11target_archE1030ELNS1_3gpuE2ELNS1_3repE0EEENS1_30default_config_static_selectorELNS0_4arch9wavefront6targetE0EEEvT1_ ; -- Begin function _ZN7rocprim17ROCPRIM_400000_NS6detail17trampoline_kernelINS0_14default_configENS1_25partition_config_selectorILNS1_17partition_subalgoE6EtNS0_10empty_typeEbEEZZNS1_14partition_implILS5_6ELb0ES3_mN6thrust23THRUST_200600_302600_NS6detail15normal_iteratorINSA_10device_ptrItEEEEPS6_SG_NS0_5tupleIJSF_S6_EEENSH_IJSG_SG_EEES6_PlJ7is_evenItEEEE10hipError_tPvRmT3_T4_T5_T6_T7_T9_mT8_P12ihipStream_tbDpT10_ENKUlT_T0_E_clISt17integral_constantIbLb0EES16_EEDaS11_S12_EUlS11_E_NS1_11comp_targetILNS1_3genE8ELNS1_11target_archE1030ELNS1_3gpuE2ELNS1_3repE0EEENS1_30default_config_static_selectorELNS0_4arch9wavefront6targetE0EEEvT1_
	.globl	_ZN7rocprim17ROCPRIM_400000_NS6detail17trampoline_kernelINS0_14default_configENS1_25partition_config_selectorILNS1_17partition_subalgoE6EtNS0_10empty_typeEbEEZZNS1_14partition_implILS5_6ELb0ES3_mN6thrust23THRUST_200600_302600_NS6detail15normal_iteratorINSA_10device_ptrItEEEEPS6_SG_NS0_5tupleIJSF_S6_EEENSH_IJSG_SG_EEES6_PlJ7is_evenItEEEE10hipError_tPvRmT3_T4_T5_T6_T7_T9_mT8_P12ihipStream_tbDpT10_ENKUlT_T0_E_clISt17integral_constantIbLb0EES16_EEDaS11_S12_EUlS11_E_NS1_11comp_targetILNS1_3genE8ELNS1_11target_archE1030ELNS1_3gpuE2ELNS1_3repE0EEENS1_30default_config_static_selectorELNS0_4arch9wavefront6targetE0EEEvT1_
	.p2align	8
	.type	_ZN7rocprim17ROCPRIM_400000_NS6detail17trampoline_kernelINS0_14default_configENS1_25partition_config_selectorILNS1_17partition_subalgoE6EtNS0_10empty_typeEbEEZZNS1_14partition_implILS5_6ELb0ES3_mN6thrust23THRUST_200600_302600_NS6detail15normal_iteratorINSA_10device_ptrItEEEEPS6_SG_NS0_5tupleIJSF_S6_EEENSH_IJSG_SG_EEES6_PlJ7is_evenItEEEE10hipError_tPvRmT3_T4_T5_T6_T7_T9_mT8_P12ihipStream_tbDpT10_ENKUlT_T0_E_clISt17integral_constantIbLb0EES16_EEDaS11_S12_EUlS11_E_NS1_11comp_targetILNS1_3genE8ELNS1_11target_archE1030ELNS1_3gpuE2ELNS1_3repE0EEENS1_30default_config_static_selectorELNS0_4arch9wavefront6targetE0EEEvT1_,@function
_ZN7rocprim17ROCPRIM_400000_NS6detail17trampoline_kernelINS0_14default_configENS1_25partition_config_selectorILNS1_17partition_subalgoE6EtNS0_10empty_typeEbEEZZNS1_14partition_implILS5_6ELb0ES3_mN6thrust23THRUST_200600_302600_NS6detail15normal_iteratorINSA_10device_ptrItEEEEPS6_SG_NS0_5tupleIJSF_S6_EEENSH_IJSG_SG_EEES6_PlJ7is_evenItEEEE10hipError_tPvRmT3_T4_T5_T6_T7_T9_mT8_P12ihipStream_tbDpT10_ENKUlT_T0_E_clISt17integral_constantIbLb0EES16_EEDaS11_S12_EUlS11_E_NS1_11comp_targetILNS1_3genE8ELNS1_11target_archE1030ELNS1_3gpuE2ELNS1_3repE0EEENS1_30default_config_static_selectorELNS0_4arch9wavefront6targetE0EEEvT1_: ; @_ZN7rocprim17ROCPRIM_400000_NS6detail17trampoline_kernelINS0_14default_configENS1_25partition_config_selectorILNS1_17partition_subalgoE6EtNS0_10empty_typeEbEEZZNS1_14partition_implILS5_6ELb0ES3_mN6thrust23THRUST_200600_302600_NS6detail15normal_iteratorINSA_10device_ptrItEEEEPS6_SG_NS0_5tupleIJSF_S6_EEENSH_IJSG_SG_EEES6_PlJ7is_evenItEEEE10hipError_tPvRmT3_T4_T5_T6_T7_T9_mT8_P12ihipStream_tbDpT10_ENKUlT_T0_E_clISt17integral_constantIbLb0EES16_EEDaS11_S12_EUlS11_E_NS1_11comp_targetILNS1_3genE8ELNS1_11target_archE1030ELNS1_3gpuE2ELNS1_3repE0EEENS1_30default_config_static_selectorELNS0_4arch9wavefront6targetE0EEEvT1_
; %bb.0:
	.section	.rodata,"a",@progbits
	.p2align	6, 0x0
	.amdhsa_kernel _ZN7rocprim17ROCPRIM_400000_NS6detail17trampoline_kernelINS0_14default_configENS1_25partition_config_selectorILNS1_17partition_subalgoE6EtNS0_10empty_typeEbEEZZNS1_14partition_implILS5_6ELb0ES3_mN6thrust23THRUST_200600_302600_NS6detail15normal_iteratorINSA_10device_ptrItEEEEPS6_SG_NS0_5tupleIJSF_S6_EEENSH_IJSG_SG_EEES6_PlJ7is_evenItEEEE10hipError_tPvRmT3_T4_T5_T6_T7_T9_mT8_P12ihipStream_tbDpT10_ENKUlT_T0_E_clISt17integral_constantIbLb0EES16_EEDaS11_S12_EUlS11_E_NS1_11comp_targetILNS1_3genE8ELNS1_11target_archE1030ELNS1_3gpuE2ELNS1_3repE0EEENS1_30default_config_static_selectorELNS0_4arch9wavefront6targetE0EEEvT1_
		.amdhsa_group_segment_fixed_size 0
		.amdhsa_private_segment_fixed_size 0
		.amdhsa_kernarg_size 112
		.amdhsa_user_sgpr_count 15
		.amdhsa_user_sgpr_dispatch_ptr 0
		.amdhsa_user_sgpr_queue_ptr 0
		.amdhsa_user_sgpr_kernarg_segment_ptr 1
		.amdhsa_user_sgpr_dispatch_id 0
		.amdhsa_user_sgpr_private_segment_size 0
		.amdhsa_wavefront_size32 1
		.amdhsa_uses_dynamic_stack 0
		.amdhsa_enable_private_segment 0
		.amdhsa_system_sgpr_workgroup_id_x 1
		.amdhsa_system_sgpr_workgroup_id_y 0
		.amdhsa_system_sgpr_workgroup_id_z 0
		.amdhsa_system_sgpr_workgroup_info 0
		.amdhsa_system_vgpr_workitem_id 0
		.amdhsa_next_free_vgpr 1
		.amdhsa_next_free_sgpr 1
		.amdhsa_reserve_vcc 0
		.amdhsa_float_round_mode_32 0
		.amdhsa_float_round_mode_16_64 0
		.amdhsa_float_denorm_mode_32 3
		.amdhsa_float_denorm_mode_16_64 3
		.amdhsa_dx10_clamp 1
		.amdhsa_ieee_mode 1
		.amdhsa_fp16_overflow 0
		.amdhsa_workgroup_processor_mode 1
		.amdhsa_memory_ordered 1
		.amdhsa_forward_progress 0
		.amdhsa_shared_vgpr_count 0
		.amdhsa_exception_fp_ieee_invalid_op 0
		.amdhsa_exception_fp_denorm_src 0
		.amdhsa_exception_fp_ieee_div_zero 0
		.amdhsa_exception_fp_ieee_overflow 0
		.amdhsa_exception_fp_ieee_underflow 0
		.amdhsa_exception_fp_ieee_inexact 0
		.amdhsa_exception_int_div_zero 0
	.end_amdhsa_kernel
	.section	.text._ZN7rocprim17ROCPRIM_400000_NS6detail17trampoline_kernelINS0_14default_configENS1_25partition_config_selectorILNS1_17partition_subalgoE6EtNS0_10empty_typeEbEEZZNS1_14partition_implILS5_6ELb0ES3_mN6thrust23THRUST_200600_302600_NS6detail15normal_iteratorINSA_10device_ptrItEEEEPS6_SG_NS0_5tupleIJSF_S6_EEENSH_IJSG_SG_EEES6_PlJ7is_evenItEEEE10hipError_tPvRmT3_T4_T5_T6_T7_T9_mT8_P12ihipStream_tbDpT10_ENKUlT_T0_E_clISt17integral_constantIbLb0EES16_EEDaS11_S12_EUlS11_E_NS1_11comp_targetILNS1_3genE8ELNS1_11target_archE1030ELNS1_3gpuE2ELNS1_3repE0EEENS1_30default_config_static_selectorELNS0_4arch9wavefront6targetE0EEEvT1_,"axG",@progbits,_ZN7rocprim17ROCPRIM_400000_NS6detail17trampoline_kernelINS0_14default_configENS1_25partition_config_selectorILNS1_17partition_subalgoE6EtNS0_10empty_typeEbEEZZNS1_14partition_implILS5_6ELb0ES3_mN6thrust23THRUST_200600_302600_NS6detail15normal_iteratorINSA_10device_ptrItEEEEPS6_SG_NS0_5tupleIJSF_S6_EEENSH_IJSG_SG_EEES6_PlJ7is_evenItEEEE10hipError_tPvRmT3_T4_T5_T6_T7_T9_mT8_P12ihipStream_tbDpT10_ENKUlT_T0_E_clISt17integral_constantIbLb0EES16_EEDaS11_S12_EUlS11_E_NS1_11comp_targetILNS1_3genE8ELNS1_11target_archE1030ELNS1_3gpuE2ELNS1_3repE0EEENS1_30default_config_static_selectorELNS0_4arch9wavefront6targetE0EEEvT1_,comdat
.Lfunc_end335:
	.size	_ZN7rocprim17ROCPRIM_400000_NS6detail17trampoline_kernelINS0_14default_configENS1_25partition_config_selectorILNS1_17partition_subalgoE6EtNS0_10empty_typeEbEEZZNS1_14partition_implILS5_6ELb0ES3_mN6thrust23THRUST_200600_302600_NS6detail15normal_iteratorINSA_10device_ptrItEEEEPS6_SG_NS0_5tupleIJSF_S6_EEENSH_IJSG_SG_EEES6_PlJ7is_evenItEEEE10hipError_tPvRmT3_T4_T5_T6_T7_T9_mT8_P12ihipStream_tbDpT10_ENKUlT_T0_E_clISt17integral_constantIbLb0EES16_EEDaS11_S12_EUlS11_E_NS1_11comp_targetILNS1_3genE8ELNS1_11target_archE1030ELNS1_3gpuE2ELNS1_3repE0EEENS1_30default_config_static_selectorELNS0_4arch9wavefront6targetE0EEEvT1_, .Lfunc_end335-_ZN7rocprim17ROCPRIM_400000_NS6detail17trampoline_kernelINS0_14default_configENS1_25partition_config_selectorILNS1_17partition_subalgoE6EtNS0_10empty_typeEbEEZZNS1_14partition_implILS5_6ELb0ES3_mN6thrust23THRUST_200600_302600_NS6detail15normal_iteratorINSA_10device_ptrItEEEEPS6_SG_NS0_5tupleIJSF_S6_EEENSH_IJSG_SG_EEES6_PlJ7is_evenItEEEE10hipError_tPvRmT3_T4_T5_T6_T7_T9_mT8_P12ihipStream_tbDpT10_ENKUlT_T0_E_clISt17integral_constantIbLb0EES16_EEDaS11_S12_EUlS11_E_NS1_11comp_targetILNS1_3genE8ELNS1_11target_archE1030ELNS1_3gpuE2ELNS1_3repE0EEENS1_30default_config_static_selectorELNS0_4arch9wavefront6targetE0EEEvT1_
                                        ; -- End function
	.section	.AMDGPU.csdata,"",@progbits
; Kernel info:
; codeLenInByte = 0
; NumSgprs: 0
; NumVgprs: 0
; ScratchSize: 0
; MemoryBound: 0
; FloatMode: 240
; IeeeMode: 1
; LDSByteSize: 0 bytes/workgroup (compile time only)
; SGPRBlocks: 0
; VGPRBlocks: 0
; NumSGPRsForWavesPerEU: 1
; NumVGPRsForWavesPerEU: 1
; Occupancy: 16
; WaveLimiterHint : 0
; COMPUTE_PGM_RSRC2:SCRATCH_EN: 0
; COMPUTE_PGM_RSRC2:USER_SGPR: 15
; COMPUTE_PGM_RSRC2:TRAP_HANDLER: 0
; COMPUTE_PGM_RSRC2:TGID_X_EN: 1
; COMPUTE_PGM_RSRC2:TGID_Y_EN: 0
; COMPUTE_PGM_RSRC2:TGID_Z_EN: 0
; COMPUTE_PGM_RSRC2:TIDIG_COMP_CNT: 0
	.section	.text._ZN7rocprim17ROCPRIM_400000_NS6detail17trampoline_kernelINS0_14default_configENS1_25partition_config_selectorILNS1_17partition_subalgoE6EtNS0_10empty_typeEbEEZZNS1_14partition_implILS5_6ELb0ES3_mN6thrust23THRUST_200600_302600_NS6detail15normal_iteratorINSA_10device_ptrItEEEEPS6_SG_NS0_5tupleIJSF_S6_EEENSH_IJSG_SG_EEES6_PlJ7is_evenItEEEE10hipError_tPvRmT3_T4_T5_T6_T7_T9_mT8_P12ihipStream_tbDpT10_ENKUlT_T0_E_clISt17integral_constantIbLb1EES16_EEDaS11_S12_EUlS11_E_NS1_11comp_targetILNS1_3genE0ELNS1_11target_archE4294967295ELNS1_3gpuE0ELNS1_3repE0EEENS1_30default_config_static_selectorELNS0_4arch9wavefront6targetE0EEEvT1_,"axG",@progbits,_ZN7rocprim17ROCPRIM_400000_NS6detail17trampoline_kernelINS0_14default_configENS1_25partition_config_selectorILNS1_17partition_subalgoE6EtNS0_10empty_typeEbEEZZNS1_14partition_implILS5_6ELb0ES3_mN6thrust23THRUST_200600_302600_NS6detail15normal_iteratorINSA_10device_ptrItEEEEPS6_SG_NS0_5tupleIJSF_S6_EEENSH_IJSG_SG_EEES6_PlJ7is_evenItEEEE10hipError_tPvRmT3_T4_T5_T6_T7_T9_mT8_P12ihipStream_tbDpT10_ENKUlT_T0_E_clISt17integral_constantIbLb1EES16_EEDaS11_S12_EUlS11_E_NS1_11comp_targetILNS1_3genE0ELNS1_11target_archE4294967295ELNS1_3gpuE0ELNS1_3repE0EEENS1_30default_config_static_selectorELNS0_4arch9wavefront6targetE0EEEvT1_,comdat
	.protected	_ZN7rocprim17ROCPRIM_400000_NS6detail17trampoline_kernelINS0_14default_configENS1_25partition_config_selectorILNS1_17partition_subalgoE6EtNS0_10empty_typeEbEEZZNS1_14partition_implILS5_6ELb0ES3_mN6thrust23THRUST_200600_302600_NS6detail15normal_iteratorINSA_10device_ptrItEEEEPS6_SG_NS0_5tupleIJSF_S6_EEENSH_IJSG_SG_EEES6_PlJ7is_evenItEEEE10hipError_tPvRmT3_T4_T5_T6_T7_T9_mT8_P12ihipStream_tbDpT10_ENKUlT_T0_E_clISt17integral_constantIbLb1EES16_EEDaS11_S12_EUlS11_E_NS1_11comp_targetILNS1_3genE0ELNS1_11target_archE4294967295ELNS1_3gpuE0ELNS1_3repE0EEENS1_30default_config_static_selectorELNS0_4arch9wavefront6targetE0EEEvT1_ ; -- Begin function _ZN7rocprim17ROCPRIM_400000_NS6detail17trampoline_kernelINS0_14default_configENS1_25partition_config_selectorILNS1_17partition_subalgoE6EtNS0_10empty_typeEbEEZZNS1_14partition_implILS5_6ELb0ES3_mN6thrust23THRUST_200600_302600_NS6detail15normal_iteratorINSA_10device_ptrItEEEEPS6_SG_NS0_5tupleIJSF_S6_EEENSH_IJSG_SG_EEES6_PlJ7is_evenItEEEE10hipError_tPvRmT3_T4_T5_T6_T7_T9_mT8_P12ihipStream_tbDpT10_ENKUlT_T0_E_clISt17integral_constantIbLb1EES16_EEDaS11_S12_EUlS11_E_NS1_11comp_targetILNS1_3genE0ELNS1_11target_archE4294967295ELNS1_3gpuE0ELNS1_3repE0EEENS1_30default_config_static_selectorELNS0_4arch9wavefront6targetE0EEEvT1_
	.globl	_ZN7rocprim17ROCPRIM_400000_NS6detail17trampoline_kernelINS0_14default_configENS1_25partition_config_selectorILNS1_17partition_subalgoE6EtNS0_10empty_typeEbEEZZNS1_14partition_implILS5_6ELb0ES3_mN6thrust23THRUST_200600_302600_NS6detail15normal_iteratorINSA_10device_ptrItEEEEPS6_SG_NS0_5tupleIJSF_S6_EEENSH_IJSG_SG_EEES6_PlJ7is_evenItEEEE10hipError_tPvRmT3_T4_T5_T6_T7_T9_mT8_P12ihipStream_tbDpT10_ENKUlT_T0_E_clISt17integral_constantIbLb1EES16_EEDaS11_S12_EUlS11_E_NS1_11comp_targetILNS1_3genE0ELNS1_11target_archE4294967295ELNS1_3gpuE0ELNS1_3repE0EEENS1_30default_config_static_selectorELNS0_4arch9wavefront6targetE0EEEvT1_
	.p2align	8
	.type	_ZN7rocprim17ROCPRIM_400000_NS6detail17trampoline_kernelINS0_14default_configENS1_25partition_config_selectorILNS1_17partition_subalgoE6EtNS0_10empty_typeEbEEZZNS1_14partition_implILS5_6ELb0ES3_mN6thrust23THRUST_200600_302600_NS6detail15normal_iteratorINSA_10device_ptrItEEEEPS6_SG_NS0_5tupleIJSF_S6_EEENSH_IJSG_SG_EEES6_PlJ7is_evenItEEEE10hipError_tPvRmT3_T4_T5_T6_T7_T9_mT8_P12ihipStream_tbDpT10_ENKUlT_T0_E_clISt17integral_constantIbLb1EES16_EEDaS11_S12_EUlS11_E_NS1_11comp_targetILNS1_3genE0ELNS1_11target_archE4294967295ELNS1_3gpuE0ELNS1_3repE0EEENS1_30default_config_static_selectorELNS0_4arch9wavefront6targetE0EEEvT1_,@function
_ZN7rocprim17ROCPRIM_400000_NS6detail17trampoline_kernelINS0_14default_configENS1_25partition_config_selectorILNS1_17partition_subalgoE6EtNS0_10empty_typeEbEEZZNS1_14partition_implILS5_6ELb0ES3_mN6thrust23THRUST_200600_302600_NS6detail15normal_iteratorINSA_10device_ptrItEEEEPS6_SG_NS0_5tupleIJSF_S6_EEENSH_IJSG_SG_EEES6_PlJ7is_evenItEEEE10hipError_tPvRmT3_T4_T5_T6_T7_T9_mT8_P12ihipStream_tbDpT10_ENKUlT_T0_E_clISt17integral_constantIbLb1EES16_EEDaS11_S12_EUlS11_E_NS1_11comp_targetILNS1_3genE0ELNS1_11target_archE4294967295ELNS1_3gpuE0ELNS1_3repE0EEENS1_30default_config_static_selectorELNS0_4arch9wavefront6targetE0EEEvT1_: ; @_ZN7rocprim17ROCPRIM_400000_NS6detail17trampoline_kernelINS0_14default_configENS1_25partition_config_selectorILNS1_17partition_subalgoE6EtNS0_10empty_typeEbEEZZNS1_14partition_implILS5_6ELb0ES3_mN6thrust23THRUST_200600_302600_NS6detail15normal_iteratorINSA_10device_ptrItEEEEPS6_SG_NS0_5tupleIJSF_S6_EEENSH_IJSG_SG_EEES6_PlJ7is_evenItEEEE10hipError_tPvRmT3_T4_T5_T6_T7_T9_mT8_P12ihipStream_tbDpT10_ENKUlT_T0_E_clISt17integral_constantIbLb1EES16_EEDaS11_S12_EUlS11_E_NS1_11comp_targetILNS1_3genE0ELNS1_11target_archE4294967295ELNS1_3gpuE0ELNS1_3repE0EEENS1_30default_config_static_selectorELNS0_4arch9wavefront6targetE0EEEvT1_
; %bb.0:
	.section	.rodata,"a",@progbits
	.p2align	6, 0x0
	.amdhsa_kernel _ZN7rocprim17ROCPRIM_400000_NS6detail17trampoline_kernelINS0_14default_configENS1_25partition_config_selectorILNS1_17partition_subalgoE6EtNS0_10empty_typeEbEEZZNS1_14partition_implILS5_6ELb0ES3_mN6thrust23THRUST_200600_302600_NS6detail15normal_iteratorINSA_10device_ptrItEEEEPS6_SG_NS0_5tupleIJSF_S6_EEENSH_IJSG_SG_EEES6_PlJ7is_evenItEEEE10hipError_tPvRmT3_T4_T5_T6_T7_T9_mT8_P12ihipStream_tbDpT10_ENKUlT_T0_E_clISt17integral_constantIbLb1EES16_EEDaS11_S12_EUlS11_E_NS1_11comp_targetILNS1_3genE0ELNS1_11target_archE4294967295ELNS1_3gpuE0ELNS1_3repE0EEENS1_30default_config_static_selectorELNS0_4arch9wavefront6targetE0EEEvT1_
		.amdhsa_group_segment_fixed_size 0
		.amdhsa_private_segment_fixed_size 0
		.amdhsa_kernarg_size 128
		.amdhsa_user_sgpr_count 15
		.amdhsa_user_sgpr_dispatch_ptr 0
		.amdhsa_user_sgpr_queue_ptr 0
		.amdhsa_user_sgpr_kernarg_segment_ptr 1
		.amdhsa_user_sgpr_dispatch_id 0
		.amdhsa_user_sgpr_private_segment_size 0
		.amdhsa_wavefront_size32 1
		.amdhsa_uses_dynamic_stack 0
		.amdhsa_enable_private_segment 0
		.amdhsa_system_sgpr_workgroup_id_x 1
		.amdhsa_system_sgpr_workgroup_id_y 0
		.amdhsa_system_sgpr_workgroup_id_z 0
		.amdhsa_system_sgpr_workgroup_info 0
		.amdhsa_system_vgpr_workitem_id 0
		.amdhsa_next_free_vgpr 1
		.amdhsa_next_free_sgpr 1
		.amdhsa_reserve_vcc 0
		.amdhsa_float_round_mode_32 0
		.amdhsa_float_round_mode_16_64 0
		.amdhsa_float_denorm_mode_32 3
		.amdhsa_float_denorm_mode_16_64 3
		.amdhsa_dx10_clamp 1
		.amdhsa_ieee_mode 1
		.amdhsa_fp16_overflow 0
		.amdhsa_workgroup_processor_mode 1
		.amdhsa_memory_ordered 1
		.amdhsa_forward_progress 0
		.amdhsa_shared_vgpr_count 0
		.amdhsa_exception_fp_ieee_invalid_op 0
		.amdhsa_exception_fp_denorm_src 0
		.amdhsa_exception_fp_ieee_div_zero 0
		.amdhsa_exception_fp_ieee_overflow 0
		.amdhsa_exception_fp_ieee_underflow 0
		.amdhsa_exception_fp_ieee_inexact 0
		.amdhsa_exception_int_div_zero 0
	.end_amdhsa_kernel
	.section	.text._ZN7rocprim17ROCPRIM_400000_NS6detail17trampoline_kernelINS0_14default_configENS1_25partition_config_selectorILNS1_17partition_subalgoE6EtNS0_10empty_typeEbEEZZNS1_14partition_implILS5_6ELb0ES3_mN6thrust23THRUST_200600_302600_NS6detail15normal_iteratorINSA_10device_ptrItEEEEPS6_SG_NS0_5tupleIJSF_S6_EEENSH_IJSG_SG_EEES6_PlJ7is_evenItEEEE10hipError_tPvRmT3_T4_T5_T6_T7_T9_mT8_P12ihipStream_tbDpT10_ENKUlT_T0_E_clISt17integral_constantIbLb1EES16_EEDaS11_S12_EUlS11_E_NS1_11comp_targetILNS1_3genE0ELNS1_11target_archE4294967295ELNS1_3gpuE0ELNS1_3repE0EEENS1_30default_config_static_selectorELNS0_4arch9wavefront6targetE0EEEvT1_,"axG",@progbits,_ZN7rocprim17ROCPRIM_400000_NS6detail17trampoline_kernelINS0_14default_configENS1_25partition_config_selectorILNS1_17partition_subalgoE6EtNS0_10empty_typeEbEEZZNS1_14partition_implILS5_6ELb0ES3_mN6thrust23THRUST_200600_302600_NS6detail15normal_iteratorINSA_10device_ptrItEEEEPS6_SG_NS0_5tupleIJSF_S6_EEENSH_IJSG_SG_EEES6_PlJ7is_evenItEEEE10hipError_tPvRmT3_T4_T5_T6_T7_T9_mT8_P12ihipStream_tbDpT10_ENKUlT_T0_E_clISt17integral_constantIbLb1EES16_EEDaS11_S12_EUlS11_E_NS1_11comp_targetILNS1_3genE0ELNS1_11target_archE4294967295ELNS1_3gpuE0ELNS1_3repE0EEENS1_30default_config_static_selectorELNS0_4arch9wavefront6targetE0EEEvT1_,comdat
.Lfunc_end336:
	.size	_ZN7rocprim17ROCPRIM_400000_NS6detail17trampoline_kernelINS0_14default_configENS1_25partition_config_selectorILNS1_17partition_subalgoE6EtNS0_10empty_typeEbEEZZNS1_14partition_implILS5_6ELb0ES3_mN6thrust23THRUST_200600_302600_NS6detail15normal_iteratorINSA_10device_ptrItEEEEPS6_SG_NS0_5tupleIJSF_S6_EEENSH_IJSG_SG_EEES6_PlJ7is_evenItEEEE10hipError_tPvRmT3_T4_T5_T6_T7_T9_mT8_P12ihipStream_tbDpT10_ENKUlT_T0_E_clISt17integral_constantIbLb1EES16_EEDaS11_S12_EUlS11_E_NS1_11comp_targetILNS1_3genE0ELNS1_11target_archE4294967295ELNS1_3gpuE0ELNS1_3repE0EEENS1_30default_config_static_selectorELNS0_4arch9wavefront6targetE0EEEvT1_, .Lfunc_end336-_ZN7rocprim17ROCPRIM_400000_NS6detail17trampoline_kernelINS0_14default_configENS1_25partition_config_selectorILNS1_17partition_subalgoE6EtNS0_10empty_typeEbEEZZNS1_14partition_implILS5_6ELb0ES3_mN6thrust23THRUST_200600_302600_NS6detail15normal_iteratorINSA_10device_ptrItEEEEPS6_SG_NS0_5tupleIJSF_S6_EEENSH_IJSG_SG_EEES6_PlJ7is_evenItEEEE10hipError_tPvRmT3_T4_T5_T6_T7_T9_mT8_P12ihipStream_tbDpT10_ENKUlT_T0_E_clISt17integral_constantIbLb1EES16_EEDaS11_S12_EUlS11_E_NS1_11comp_targetILNS1_3genE0ELNS1_11target_archE4294967295ELNS1_3gpuE0ELNS1_3repE0EEENS1_30default_config_static_selectorELNS0_4arch9wavefront6targetE0EEEvT1_
                                        ; -- End function
	.section	.AMDGPU.csdata,"",@progbits
; Kernel info:
; codeLenInByte = 0
; NumSgprs: 0
; NumVgprs: 0
; ScratchSize: 0
; MemoryBound: 0
; FloatMode: 240
; IeeeMode: 1
; LDSByteSize: 0 bytes/workgroup (compile time only)
; SGPRBlocks: 0
; VGPRBlocks: 0
; NumSGPRsForWavesPerEU: 1
; NumVGPRsForWavesPerEU: 1
; Occupancy: 16
; WaveLimiterHint : 0
; COMPUTE_PGM_RSRC2:SCRATCH_EN: 0
; COMPUTE_PGM_RSRC2:USER_SGPR: 15
; COMPUTE_PGM_RSRC2:TRAP_HANDLER: 0
; COMPUTE_PGM_RSRC2:TGID_X_EN: 1
; COMPUTE_PGM_RSRC2:TGID_Y_EN: 0
; COMPUTE_PGM_RSRC2:TGID_Z_EN: 0
; COMPUTE_PGM_RSRC2:TIDIG_COMP_CNT: 0
	.section	.text._ZN7rocprim17ROCPRIM_400000_NS6detail17trampoline_kernelINS0_14default_configENS1_25partition_config_selectorILNS1_17partition_subalgoE6EtNS0_10empty_typeEbEEZZNS1_14partition_implILS5_6ELb0ES3_mN6thrust23THRUST_200600_302600_NS6detail15normal_iteratorINSA_10device_ptrItEEEEPS6_SG_NS0_5tupleIJSF_S6_EEENSH_IJSG_SG_EEES6_PlJ7is_evenItEEEE10hipError_tPvRmT3_T4_T5_T6_T7_T9_mT8_P12ihipStream_tbDpT10_ENKUlT_T0_E_clISt17integral_constantIbLb1EES16_EEDaS11_S12_EUlS11_E_NS1_11comp_targetILNS1_3genE5ELNS1_11target_archE942ELNS1_3gpuE9ELNS1_3repE0EEENS1_30default_config_static_selectorELNS0_4arch9wavefront6targetE0EEEvT1_,"axG",@progbits,_ZN7rocprim17ROCPRIM_400000_NS6detail17trampoline_kernelINS0_14default_configENS1_25partition_config_selectorILNS1_17partition_subalgoE6EtNS0_10empty_typeEbEEZZNS1_14partition_implILS5_6ELb0ES3_mN6thrust23THRUST_200600_302600_NS6detail15normal_iteratorINSA_10device_ptrItEEEEPS6_SG_NS0_5tupleIJSF_S6_EEENSH_IJSG_SG_EEES6_PlJ7is_evenItEEEE10hipError_tPvRmT3_T4_T5_T6_T7_T9_mT8_P12ihipStream_tbDpT10_ENKUlT_T0_E_clISt17integral_constantIbLb1EES16_EEDaS11_S12_EUlS11_E_NS1_11comp_targetILNS1_3genE5ELNS1_11target_archE942ELNS1_3gpuE9ELNS1_3repE0EEENS1_30default_config_static_selectorELNS0_4arch9wavefront6targetE0EEEvT1_,comdat
	.protected	_ZN7rocprim17ROCPRIM_400000_NS6detail17trampoline_kernelINS0_14default_configENS1_25partition_config_selectorILNS1_17partition_subalgoE6EtNS0_10empty_typeEbEEZZNS1_14partition_implILS5_6ELb0ES3_mN6thrust23THRUST_200600_302600_NS6detail15normal_iteratorINSA_10device_ptrItEEEEPS6_SG_NS0_5tupleIJSF_S6_EEENSH_IJSG_SG_EEES6_PlJ7is_evenItEEEE10hipError_tPvRmT3_T4_T5_T6_T7_T9_mT8_P12ihipStream_tbDpT10_ENKUlT_T0_E_clISt17integral_constantIbLb1EES16_EEDaS11_S12_EUlS11_E_NS1_11comp_targetILNS1_3genE5ELNS1_11target_archE942ELNS1_3gpuE9ELNS1_3repE0EEENS1_30default_config_static_selectorELNS0_4arch9wavefront6targetE0EEEvT1_ ; -- Begin function _ZN7rocprim17ROCPRIM_400000_NS6detail17trampoline_kernelINS0_14default_configENS1_25partition_config_selectorILNS1_17partition_subalgoE6EtNS0_10empty_typeEbEEZZNS1_14partition_implILS5_6ELb0ES3_mN6thrust23THRUST_200600_302600_NS6detail15normal_iteratorINSA_10device_ptrItEEEEPS6_SG_NS0_5tupleIJSF_S6_EEENSH_IJSG_SG_EEES6_PlJ7is_evenItEEEE10hipError_tPvRmT3_T4_T5_T6_T7_T9_mT8_P12ihipStream_tbDpT10_ENKUlT_T0_E_clISt17integral_constantIbLb1EES16_EEDaS11_S12_EUlS11_E_NS1_11comp_targetILNS1_3genE5ELNS1_11target_archE942ELNS1_3gpuE9ELNS1_3repE0EEENS1_30default_config_static_selectorELNS0_4arch9wavefront6targetE0EEEvT1_
	.globl	_ZN7rocprim17ROCPRIM_400000_NS6detail17trampoline_kernelINS0_14default_configENS1_25partition_config_selectorILNS1_17partition_subalgoE6EtNS0_10empty_typeEbEEZZNS1_14partition_implILS5_6ELb0ES3_mN6thrust23THRUST_200600_302600_NS6detail15normal_iteratorINSA_10device_ptrItEEEEPS6_SG_NS0_5tupleIJSF_S6_EEENSH_IJSG_SG_EEES6_PlJ7is_evenItEEEE10hipError_tPvRmT3_T4_T5_T6_T7_T9_mT8_P12ihipStream_tbDpT10_ENKUlT_T0_E_clISt17integral_constantIbLb1EES16_EEDaS11_S12_EUlS11_E_NS1_11comp_targetILNS1_3genE5ELNS1_11target_archE942ELNS1_3gpuE9ELNS1_3repE0EEENS1_30default_config_static_selectorELNS0_4arch9wavefront6targetE0EEEvT1_
	.p2align	8
	.type	_ZN7rocprim17ROCPRIM_400000_NS6detail17trampoline_kernelINS0_14default_configENS1_25partition_config_selectorILNS1_17partition_subalgoE6EtNS0_10empty_typeEbEEZZNS1_14partition_implILS5_6ELb0ES3_mN6thrust23THRUST_200600_302600_NS6detail15normal_iteratorINSA_10device_ptrItEEEEPS6_SG_NS0_5tupleIJSF_S6_EEENSH_IJSG_SG_EEES6_PlJ7is_evenItEEEE10hipError_tPvRmT3_T4_T5_T6_T7_T9_mT8_P12ihipStream_tbDpT10_ENKUlT_T0_E_clISt17integral_constantIbLb1EES16_EEDaS11_S12_EUlS11_E_NS1_11comp_targetILNS1_3genE5ELNS1_11target_archE942ELNS1_3gpuE9ELNS1_3repE0EEENS1_30default_config_static_selectorELNS0_4arch9wavefront6targetE0EEEvT1_,@function
_ZN7rocprim17ROCPRIM_400000_NS6detail17trampoline_kernelINS0_14default_configENS1_25partition_config_selectorILNS1_17partition_subalgoE6EtNS0_10empty_typeEbEEZZNS1_14partition_implILS5_6ELb0ES3_mN6thrust23THRUST_200600_302600_NS6detail15normal_iteratorINSA_10device_ptrItEEEEPS6_SG_NS0_5tupleIJSF_S6_EEENSH_IJSG_SG_EEES6_PlJ7is_evenItEEEE10hipError_tPvRmT3_T4_T5_T6_T7_T9_mT8_P12ihipStream_tbDpT10_ENKUlT_T0_E_clISt17integral_constantIbLb1EES16_EEDaS11_S12_EUlS11_E_NS1_11comp_targetILNS1_3genE5ELNS1_11target_archE942ELNS1_3gpuE9ELNS1_3repE0EEENS1_30default_config_static_selectorELNS0_4arch9wavefront6targetE0EEEvT1_: ; @_ZN7rocprim17ROCPRIM_400000_NS6detail17trampoline_kernelINS0_14default_configENS1_25partition_config_selectorILNS1_17partition_subalgoE6EtNS0_10empty_typeEbEEZZNS1_14partition_implILS5_6ELb0ES3_mN6thrust23THRUST_200600_302600_NS6detail15normal_iteratorINSA_10device_ptrItEEEEPS6_SG_NS0_5tupleIJSF_S6_EEENSH_IJSG_SG_EEES6_PlJ7is_evenItEEEE10hipError_tPvRmT3_T4_T5_T6_T7_T9_mT8_P12ihipStream_tbDpT10_ENKUlT_T0_E_clISt17integral_constantIbLb1EES16_EEDaS11_S12_EUlS11_E_NS1_11comp_targetILNS1_3genE5ELNS1_11target_archE942ELNS1_3gpuE9ELNS1_3repE0EEENS1_30default_config_static_selectorELNS0_4arch9wavefront6targetE0EEEvT1_
; %bb.0:
	.section	.rodata,"a",@progbits
	.p2align	6, 0x0
	.amdhsa_kernel _ZN7rocprim17ROCPRIM_400000_NS6detail17trampoline_kernelINS0_14default_configENS1_25partition_config_selectorILNS1_17partition_subalgoE6EtNS0_10empty_typeEbEEZZNS1_14partition_implILS5_6ELb0ES3_mN6thrust23THRUST_200600_302600_NS6detail15normal_iteratorINSA_10device_ptrItEEEEPS6_SG_NS0_5tupleIJSF_S6_EEENSH_IJSG_SG_EEES6_PlJ7is_evenItEEEE10hipError_tPvRmT3_T4_T5_T6_T7_T9_mT8_P12ihipStream_tbDpT10_ENKUlT_T0_E_clISt17integral_constantIbLb1EES16_EEDaS11_S12_EUlS11_E_NS1_11comp_targetILNS1_3genE5ELNS1_11target_archE942ELNS1_3gpuE9ELNS1_3repE0EEENS1_30default_config_static_selectorELNS0_4arch9wavefront6targetE0EEEvT1_
		.amdhsa_group_segment_fixed_size 0
		.amdhsa_private_segment_fixed_size 0
		.amdhsa_kernarg_size 128
		.amdhsa_user_sgpr_count 15
		.amdhsa_user_sgpr_dispatch_ptr 0
		.amdhsa_user_sgpr_queue_ptr 0
		.amdhsa_user_sgpr_kernarg_segment_ptr 1
		.amdhsa_user_sgpr_dispatch_id 0
		.amdhsa_user_sgpr_private_segment_size 0
		.amdhsa_wavefront_size32 1
		.amdhsa_uses_dynamic_stack 0
		.amdhsa_enable_private_segment 0
		.amdhsa_system_sgpr_workgroup_id_x 1
		.amdhsa_system_sgpr_workgroup_id_y 0
		.amdhsa_system_sgpr_workgroup_id_z 0
		.amdhsa_system_sgpr_workgroup_info 0
		.amdhsa_system_vgpr_workitem_id 0
		.amdhsa_next_free_vgpr 1
		.amdhsa_next_free_sgpr 1
		.amdhsa_reserve_vcc 0
		.amdhsa_float_round_mode_32 0
		.amdhsa_float_round_mode_16_64 0
		.amdhsa_float_denorm_mode_32 3
		.amdhsa_float_denorm_mode_16_64 3
		.amdhsa_dx10_clamp 1
		.amdhsa_ieee_mode 1
		.amdhsa_fp16_overflow 0
		.amdhsa_workgroup_processor_mode 1
		.amdhsa_memory_ordered 1
		.amdhsa_forward_progress 0
		.amdhsa_shared_vgpr_count 0
		.amdhsa_exception_fp_ieee_invalid_op 0
		.amdhsa_exception_fp_denorm_src 0
		.amdhsa_exception_fp_ieee_div_zero 0
		.amdhsa_exception_fp_ieee_overflow 0
		.amdhsa_exception_fp_ieee_underflow 0
		.amdhsa_exception_fp_ieee_inexact 0
		.amdhsa_exception_int_div_zero 0
	.end_amdhsa_kernel
	.section	.text._ZN7rocprim17ROCPRIM_400000_NS6detail17trampoline_kernelINS0_14default_configENS1_25partition_config_selectorILNS1_17partition_subalgoE6EtNS0_10empty_typeEbEEZZNS1_14partition_implILS5_6ELb0ES3_mN6thrust23THRUST_200600_302600_NS6detail15normal_iteratorINSA_10device_ptrItEEEEPS6_SG_NS0_5tupleIJSF_S6_EEENSH_IJSG_SG_EEES6_PlJ7is_evenItEEEE10hipError_tPvRmT3_T4_T5_T6_T7_T9_mT8_P12ihipStream_tbDpT10_ENKUlT_T0_E_clISt17integral_constantIbLb1EES16_EEDaS11_S12_EUlS11_E_NS1_11comp_targetILNS1_3genE5ELNS1_11target_archE942ELNS1_3gpuE9ELNS1_3repE0EEENS1_30default_config_static_selectorELNS0_4arch9wavefront6targetE0EEEvT1_,"axG",@progbits,_ZN7rocprim17ROCPRIM_400000_NS6detail17trampoline_kernelINS0_14default_configENS1_25partition_config_selectorILNS1_17partition_subalgoE6EtNS0_10empty_typeEbEEZZNS1_14partition_implILS5_6ELb0ES3_mN6thrust23THRUST_200600_302600_NS6detail15normal_iteratorINSA_10device_ptrItEEEEPS6_SG_NS0_5tupleIJSF_S6_EEENSH_IJSG_SG_EEES6_PlJ7is_evenItEEEE10hipError_tPvRmT3_T4_T5_T6_T7_T9_mT8_P12ihipStream_tbDpT10_ENKUlT_T0_E_clISt17integral_constantIbLb1EES16_EEDaS11_S12_EUlS11_E_NS1_11comp_targetILNS1_3genE5ELNS1_11target_archE942ELNS1_3gpuE9ELNS1_3repE0EEENS1_30default_config_static_selectorELNS0_4arch9wavefront6targetE0EEEvT1_,comdat
.Lfunc_end337:
	.size	_ZN7rocprim17ROCPRIM_400000_NS6detail17trampoline_kernelINS0_14default_configENS1_25partition_config_selectorILNS1_17partition_subalgoE6EtNS0_10empty_typeEbEEZZNS1_14partition_implILS5_6ELb0ES3_mN6thrust23THRUST_200600_302600_NS6detail15normal_iteratorINSA_10device_ptrItEEEEPS6_SG_NS0_5tupleIJSF_S6_EEENSH_IJSG_SG_EEES6_PlJ7is_evenItEEEE10hipError_tPvRmT3_T4_T5_T6_T7_T9_mT8_P12ihipStream_tbDpT10_ENKUlT_T0_E_clISt17integral_constantIbLb1EES16_EEDaS11_S12_EUlS11_E_NS1_11comp_targetILNS1_3genE5ELNS1_11target_archE942ELNS1_3gpuE9ELNS1_3repE0EEENS1_30default_config_static_selectorELNS0_4arch9wavefront6targetE0EEEvT1_, .Lfunc_end337-_ZN7rocprim17ROCPRIM_400000_NS6detail17trampoline_kernelINS0_14default_configENS1_25partition_config_selectorILNS1_17partition_subalgoE6EtNS0_10empty_typeEbEEZZNS1_14partition_implILS5_6ELb0ES3_mN6thrust23THRUST_200600_302600_NS6detail15normal_iteratorINSA_10device_ptrItEEEEPS6_SG_NS0_5tupleIJSF_S6_EEENSH_IJSG_SG_EEES6_PlJ7is_evenItEEEE10hipError_tPvRmT3_T4_T5_T6_T7_T9_mT8_P12ihipStream_tbDpT10_ENKUlT_T0_E_clISt17integral_constantIbLb1EES16_EEDaS11_S12_EUlS11_E_NS1_11comp_targetILNS1_3genE5ELNS1_11target_archE942ELNS1_3gpuE9ELNS1_3repE0EEENS1_30default_config_static_selectorELNS0_4arch9wavefront6targetE0EEEvT1_
                                        ; -- End function
	.section	.AMDGPU.csdata,"",@progbits
; Kernel info:
; codeLenInByte = 0
; NumSgprs: 0
; NumVgprs: 0
; ScratchSize: 0
; MemoryBound: 0
; FloatMode: 240
; IeeeMode: 1
; LDSByteSize: 0 bytes/workgroup (compile time only)
; SGPRBlocks: 0
; VGPRBlocks: 0
; NumSGPRsForWavesPerEU: 1
; NumVGPRsForWavesPerEU: 1
; Occupancy: 16
; WaveLimiterHint : 0
; COMPUTE_PGM_RSRC2:SCRATCH_EN: 0
; COMPUTE_PGM_RSRC2:USER_SGPR: 15
; COMPUTE_PGM_RSRC2:TRAP_HANDLER: 0
; COMPUTE_PGM_RSRC2:TGID_X_EN: 1
; COMPUTE_PGM_RSRC2:TGID_Y_EN: 0
; COMPUTE_PGM_RSRC2:TGID_Z_EN: 0
; COMPUTE_PGM_RSRC2:TIDIG_COMP_CNT: 0
	.section	.text._ZN7rocprim17ROCPRIM_400000_NS6detail17trampoline_kernelINS0_14default_configENS1_25partition_config_selectorILNS1_17partition_subalgoE6EtNS0_10empty_typeEbEEZZNS1_14partition_implILS5_6ELb0ES3_mN6thrust23THRUST_200600_302600_NS6detail15normal_iteratorINSA_10device_ptrItEEEEPS6_SG_NS0_5tupleIJSF_S6_EEENSH_IJSG_SG_EEES6_PlJ7is_evenItEEEE10hipError_tPvRmT3_T4_T5_T6_T7_T9_mT8_P12ihipStream_tbDpT10_ENKUlT_T0_E_clISt17integral_constantIbLb1EES16_EEDaS11_S12_EUlS11_E_NS1_11comp_targetILNS1_3genE4ELNS1_11target_archE910ELNS1_3gpuE8ELNS1_3repE0EEENS1_30default_config_static_selectorELNS0_4arch9wavefront6targetE0EEEvT1_,"axG",@progbits,_ZN7rocprim17ROCPRIM_400000_NS6detail17trampoline_kernelINS0_14default_configENS1_25partition_config_selectorILNS1_17partition_subalgoE6EtNS0_10empty_typeEbEEZZNS1_14partition_implILS5_6ELb0ES3_mN6thrust23THRUST_200600_302600_NS6detail15normal_iteratorINSA_10device_ptrItEEEEPS6_SG_NS0_5tupleIJSF_S6_EEENSH_IJSG_SG_EEES6_PlJ7is_evenItEEEE10hipError_tPvRmT3_T4_T5_T6_T7_T9_mT8_P12ihipStream_tbDpT10_ENKUlT_T0_E_clISt17integral_constantIbLb1EES16_EEDaS11_S12_EUlS11_E_NS1_11comp_targetILNS1_3genE4ELNS1_11target_archE910ELNS1_3gpuE8ELNS1_3repE0EEENS1_30default_config_static_selectorELNS0_4arch9wavefront6targetE0EEEvT1_,comdat
	.protected	_ZN7rocprim17ROCPRIM_400000_NS6detail17trampoline_kernelINS0_14default_configENS1_25partition_config_selectorILNS1_17partition_subalgoE6EtNS0_10empty_typeEbEEZZNS1_14partition_implILS5_6ELb0ES3_mN6thrust23THRUST_200600_302600_NS6detail15normal_iteratorINSA_10device_ptrItEEEEPS6_SG_NS0_5tupleIJSF_S6_EEENSH_IJSG_SG_EEES6_PlJ7is_evenItEEEE10hipError_tPvRmT3_T4_T5_T6_T7_T9_mT8_P12ihipStream_tbDpT10_ENKUlT_T0_E_clISt17integral_constantIbLb1EES16_EEDaS11_S12_EUlS11_E_NS1_11comp_targetILNS1_3genE4ELNS1_11target_archE910ELNS1_3gpuE8ELNS1_3repE0EEENS1_30default_config_static_selectorELNS0_4arch9wavefront6targetE0EEEvT1_ ; -- Begin function _ZN7rocprim17ROCPRIM_400000_NS6detail17trampoline_kernelINS0_14default_configENS1_25partition_config_selectorILNS1_17partition_subalgoE6EtNS0_10empty_typeEbEEZZNS1_14partition_implILS5_6ELb0ES3_mN6thrust23THRUST_200600_302600_NS6detail15normal_iteratorINSA_10device_ptrItEEEEPS6_SG_NS0_5tupleIJSF_S6_EEENSH_IJSG_SG_EEES6_PlJ7is_evenItEEEE10hipError_tPvRmT3_T4_T5_T6_T7_T9_mT8_P12ihipStream_tbDpT10_ENKUlT_T0_E_clISt17integral_constantIbLb1EES16_EEDaS11_S12_EUlS11_E_NS1_11comp_targetILNS1_3genE4ELNS1_11target_archE910ELNS1_3gpuE8ELNS1_3repE0EEENS1_30default_config_static_selectorELNS0_4arch9wavefront6targetE0EEEvT1_
	.globl	_ZN7rocprim17ROCPRIM_400000_NS6detail17trampoline_kernelINS0_14default_configENS1_25partition_config_selectorILNS1_17partition_subalgoE6EtNS0_10empty_typeEbEEZZNS1_14partition_implILS5_6ELb0ES3_mN6thrust23THRUST_200600_302600_NS6detail15normal_iteratorINSA_10device_ptrItEEEEPS6_SG_NS0_5tupleIJSF_S6_EEENSH_IJSG_SG_EEES6_PlJ7is_evenItEEEE10hipError_tPvRmT3_T4_T5_T6_T7_T9_mT8_P12ihipStream_tbDpT10_ENKUlT_T0_E_clISt17integral_constantIbLb1EES16_EEDaS11_S12_EUlS11_E_NS1_11comp_targetILNS1_3genE4ELNS1_11target_archE910ELNS1_3gpuE8ELNS1_3repE0EEENS1_30default_config_static_selectorELNS0_4arch9wavefront6targetE0EEEvT1_
	.p2align	8
	.type	_ZN7rocprim17ROCPRIM_400000_NS6detail17trampoline_kernelINS0_14default_configENS1_25partition_config_selectorILNS1_17partition_subalgoE6EtNS0_10empty_typeEbEEZZNS1_14partition_implILS5_6ELb0ES3_mN6thrust23THRUST_200600_302600_NS6detail15normal_iteratorINSA_10device_ptrItEEEEPS6_SG_NS0_5tupleIJSF_S6_EEENSH_IJSG_SG_EEES6_PlJ7is_evenItEEEE10hipError_tPvRmT3_T4_T5_T6_T7_T9_mT8_P12ihipStream_tbDpT10_ENKUlT_T0_E_clISt17integral_constantIbLb1EES16_EEDaS11_S12_EUlS11_E_NS1_11comp_targetILNS1_3genE4ELNS1_11target_archE910ELNS1_3gpuE8ELNS1_3repE0EEENS1_30default_config_static_selectorELNS0_4arch9wavefront6targetE0EEEvT1_,@function
_ZN7rocprim17ROCPRIM_400000_NS6detail17trampoline_kernelINS0_14default_configENS1_25partition_config_selectorILNS1_17partition_subalgoE6EtNS0_10empty_typeEbEEZZNS1_14partition_implILS5_6ELb0ES3_mN6thrust23THRUST_200600_302600_NS6detail15normal_iteratorINSA_10device_ptrItEEEEPS6_SG_NS0_5tupleIJSF_S6_EEENSH_IJSG_SG_EEES6_PlJ7is_evenItEEEE10hipError_tPvRmT3_T4_T5_T6_T7_T9_mT8_P12ihipStream_tbDpT10_ENKUlT_T0_E_clISt17integral_constantIbLb1EES16_EEDaS11_S12_EUlS11_E_NS1_11comp_targetILNS1_3genE4ELNS1_11target_archE910ELNS1_3gpuE8ELNS1_3repE0EEENS1_30default_config_static_selectorELNS0_4arch9wavefront6targetE0EEEvT1_: ; @_ZN7rocprim17ROCPRIM_400000_NS6detail17trampoline_kernelINS0_14default_configENS1_25partition_config_selectorILNS1_17partition_subalgoE6EtNS0_10empty_typeEbEEZZNS1_14partition_implILS5_6ELb0ES3_mN6thrust23THRUST_200600_302600_NS6detail15normal_iteratorINSA_10device_ptrItEEEEPS6_SG_NS0_5tupleIJSF_S6_EEENSH_IJSG_SG_EEES6_PlJ7is_evenItEEEE10hipError_tPvRmT3_T4_T5_T6_T7_T9_mT8_P12ihipStream_tbDpT10_ENKUlT_T0_E_clISt17integral_constantIbLb1EES16_EEDaS11_S12_EUlS11_E_NS1_11comp_targetILNS1_3genE4ELNS1_11target_archE910ELNS1_3gpuE8ELNS1_3repE0EEENS1_30default_config_static_selectorELNS0_4arch9wavefront6targetE0EEEvT1_
; %bb.0:
	.section	.rodata,"a",@progbits
	.p2align	6, 0x0
	.amdhsa_kernel _ZN7rocprim17ROCPRIM_400000_NS6detail17trampoline_kernelINS0_14default_configENS1_25partition_config_selectorILNS1_17partition_subalgoE6EtNS0_10empty_typeEbEEZZNS1_14partition_implILS5_6ELb0ES3_mN6thrust23THRUST_200600_302600_NS6detail15normal_iteratorINSA_10device_ptrItEEEEPS6_SG_NS0_5tupleIJSF_S6_EEENSH_IJSG_SG_EEES6_PlJ7is_evenItEEEE10hipError_tPvRmT3_T4_T5_T6_T7_T9_mT8_P12ihipStream_tbDpT10_ENKUlT_T0_E_clISt17integral_constantIbLb1EES16_EEDaS11_S12_EUlS11_E_NS1_11comp_targetILNS1_3genE4ELNS1_11target_archE910ELNS1_3gpuE8ELNS1_3repE0EEENS1_30default_config_static_selectorELNS0_4arch9wavefront6targetE0EEEvT1_
		.amdhsa_group_segment_fixed_size 0
		.amdhsa_private_segment_fixed_size 0
		.amdhsa_kernarg_size 128
		.amdhsa_user_sgpr_count 15
		.amdhsa_user_sgpr_dispatch_ptr 0
		.amdhsa_user_sgpr_queue_ptr 0
		.amdhsa_user_sgpr_kernarg_segment_ptr 1
		.amdhsa_user_sgpr_dispatch_id 0
		.amdhsa_user_sgpr_private_segment_size 0
		.amdhsa_wavefront_size32 1
		.amdhsa_uses_dynamic_stack 0
		.amdhsa_enable_private_segment 0
		.amdhsa_system_sgpr_workgroup_id_x 1
		.amdhsa_system_sgpr_workgroup_id_y 0
		.amdhsa_system_sgpr_workgroup_id_z 0
		.amdhsa_system_sgpr_workgroup_info 0
		.amdhsa_system_vgpr_workitem_id 0
		.amdhsa_next_free_vgpr 1
		.amdhsa_next_free_sgpr 1
		.amdhsa_reserve_vcc 0
		.amdhsa_float_round_mode_32 0
		.amdhsa_float_round_mode_16_64 0
		.amdhsa_float_denorm_mode_32 3
		.amdhsa_float_denorm_mode_16_64 3
		.amdhsa_dx10_clamp 1
		.amdhsa_ieee_mode 1
		.amdhsa_fp16_overflow 0
		.amdhsa_workgroup_processor_mode 1
		.amdhsa_memory_ordered 1
		.amdhsa_forward_progress 0
		.amdhsa_shared_vgpr_count 0
		.amdhsa_exception_fp_ieee_invalid_op 0
		.amdhsa_exception_fp_denorm_src 0
		.amdhsa_exception_fp_ieee_div_zero 0
		.amdhsa_exception_fp_ieee_overflow 0
		.amdhsa_exception_fp_ieee_underflow 0
		.amdhsa_exception_fp_ieee_inexact 0
		.amdhsa_exception_int_div_zero 0
	.end_amdhsa_kernel
	.section	.text._ZN7rocprim17ROCPRIM_400000_NS6detail17trampoline_kernelINS0_14default_configENS1_25partition_config_selectorILNS1_17partition_subalgoE6EtNS0_10empty_typeEbEEZZNS1_14partition_implILS5_6ELb0ES3_mN6thrust23THRUST_200600_302600_NS6detail15normal_iteratorINSA_10device_ptrItEEEEPS6_SG_NS0_5tupleIJSF_S6_EEENSH_IJSG_SG_EEES6_PlJ7is_evenItEEEE10hipError_tPvRmT3_T4_T5_T6_T7_T9_mT8_P12ihipStream_tbDpT10_ENKUlT_T0_E_clISt17integral_constantIbLb1EES16_EEDaS11_S12_EUlS11_E_NS1_11comp_targetILNS1_3genE4ELNS1_11target_archE910ELNS1_3gpuE8ELNS1_3repE0EEENS1_30default_config_static_selectorELNS0_4arch9wavefront6targetE0EEEvT1_,"axG",@progbits,_ZN7rocprim17ROCPRIM_400000_NS6detail17trampoline_kernelINS0_14default_configENS1_25partition_config_selectorILNS1_17partition_subalgoE6EtNS0_10empty_typeEbEEZZNS1_14partition_implILS5_6ELb0ES3_mN6thrust23THRUST_200600_302600_NS6detail15normal_iteratorINSA_10device_ptrItEEEEPS6_SG_NS0_5tupleIJSF_S6_EEENSH_IJSG_SG_EEES6_PlJ7is_evenItEEEE10hipError_tPvRmT3_T4_T5_T6_T7_T9_mT8_P12ihipStream_tbDpT10_ENKUlT_T0_E_clISt17integral_constantIbLb1EES16_EEDaS11_S12_EUlS11_E_NS1_11comp_targetILNS1_3genE4ELNS1_11target_archE910ELNS1_3gpuE8ELNS1_3repE0EEENS1_30default_config_static_selectorELNS0_4arch9wavefront6targetE0EEEvT1_,comdat
.Lfunc_end338:
	.size	_ZN7rocprim17ROCPRIM_400000_NS6detail17trampoline_kernelINS0_14default_configENS1_25partition_config_selectorILNS1_17partition_subalgoE6EtNS0_10empty_typeEbEEZZNS1_14partition_implILS5_6ELb0ES3_mN6thrust23THRUST_200600_302600_NS6detail15normal_iteratorINSA_10device_ptrItEEEEPS6_SG_NS0_5tupleIJSF_S6_EEENSH_IJSG_SG_EEES6_PlJ7is_evenItEEEE10hipError_tPvRmT3_T4_T5_T6_T7_T9_mT8_P12ihipStream_tbDpT10_ENKUlT_T0_E_clISt17integral_constantIbLb1EES16_EEDaS11_S12_EUlS11_E_NS1_11comp_targetILNS1_3genE4ELNS1_11target_archE910ELNS1_3gpuE8ELNS1_3repE0EEENS1_30default_config_static_selectorELNS0_4arch9wavefront6targetE0EEEvT1_, .Lfunc_end338-_ZN7rocprim17ROCPRIM_400000_NS6detail17trampoline_kernelINS0_14default_configENS1_25partition_config_selectorILNS1_17partition_subalgoE6EtNS0_10empty_typeEbEEZZNS1_14partition_implILS5_6ELb0ES3_mN6thrust23THRUST_200600_302600_NS6detail15normal_iteratorINSA_10device_ptrItEEEEPS6_SG_NS0_5tupleIJSF_S6_EEENSH_IJSG_SG_EEES6_PlJ7is_evenItEEEE10hipError_tPvRmT3_T4_T5_T6_T7_T9_mT8_P12ihipStream_tbDpT10_ENKUlT_T0_E_clISt17integral_constantIbLb1EES16_EEDaS11_S12_EUlS11_E_NS1_11comp_targetILNS1_3genE4ELNS1_11target_archE910ELNS1_3gpuE8ELNS1_3repE0EEENS1_30default_config_static_selectorELNS0_4arch9wavefront6targetE0EEEvT1_
                                        ; -- End function
	.section	.AMDGPU.csdata,"",@progbits
; Kernel info:
; codeLenInByte = 0
; NumSgprs: 0
; NumVgprs: 0
; ScratchSize: 0
; MemoryBound: 0
; FloatMode: 240
; IeeeMode: 1
; LDSByteSize: 0 bytes/workgroup (compile time only)
; SGPRBlocks: 0
; VGPRBlocks: 0
; NumSGPRsForWavesPerEU: 1
; NumVGPRsForWavesPerEU: 1
; Occupancy: 16
; WaveLimiterHint : 0
; COMPUTE_PGM_RSRC2:SCRATCH_EN: 0
; COMPUTE_PGM_RSRC2:USER_SGPR: 15
; COMPUTE_PGM_RSRC2:TRAP_HANDLER: 0
; COMPUTE_PGM_RSRC2:TGID_X_EN: 1
; COMPUTE_PGM_RSRC2:TGID_Y_EN: 0
; COMPUTE_PGM_RSRC2:TGID_Z_EN: 0
; COMPUTE_PGM_RSRC2:TIDIG_COMP_CNT: 0
	.section	.text._ZN7rocprim17ROCPRIM_400000_NS6detail17trampoline_kernelINS0_14default_configENS1_25partition_config_selectorILNS1_17partition_subalgoE6EtNS0_10empty_typeEbEEZZNS1_14partition_implILS5_6ELb0ES3_mN6thrust23THRUST_200600_302600_NS6detail15normal_iteratorINSA_10device_ptrItEEEEPS6_SG_NS0_5tupleIJSF_S6_EEENSH_IJSG_SG_EEES6_PlJ7is_evenItEEEE10hipError_tPvRmT3_T4_T5_T6_T7_T9_mT8_P12ihipStream_tbDpT10_ENKUlT_T0_E_clISt17integral_constantIbLb1EES16_EEDaS11_S12_EUlS11_E_NS1_11comp_targetILNS1_3genE3ELNS1_11target_archE908ELNS1_3gpuE7ELNS1_3repE0EEENS1_30default_config_static_selectorELNS0_4arch9wavefront6targetE0EEEvT1_,"axG",@progbits,_ZN7rocprim17ROCPRIM_400000_NS6detail17trampoline_kernelINS0_14default_configENS1_25partition_config_selectorILNS1_17partition_subalgoE6EtNS0_10empty_typeEbEEZZNS1_14partition_implILS5_6ELb0ES3_mN6thrust23THRUST_200600_302600_NS6detail15normal_iteratorINSA_10device_ptrItEEEEPS6_SG_NS0_5tupleIJSF_S6_EEENSH_IJSG_SG_EEES6_PlJ7is_evenItEEEE10hipError_tPvRmT3_T4_T5_T6_T7_T9_mT8_P12ihipStream_tbDpT10_ENKUlT_T0_E_clISt17integral_constantIbLb1EES16_EEDaS11_S12_EUlS11_E_NS1_11comp_targetILNS1_3genE3ELNS1_11target_archE908ELNS1_3gpuE7ELNS1_3repE0EEENS1_30default_config_static_selectorELNS0_4arch9wavefront6targetE0EEEvT1_,comdat
	.protected	_ZN7rocprim17ROCPRIM_400000_NS6detail17trampoline_kernelINS0_14default_configENS1_25partition_config_selectorILNS1_17partition_subalgoE6EtNS0_10empty_typeEbEEZZNS1_14partition_implILS5_6ELb0ES3_mN6thrust23THRUST_200600_302600_NS6detail15normal_iteratorINSA_10device_ptrItEEEEPS6_SG_NS0_5tupleIJSF_S6_EEENSH_IJSG_SG_EEES6_PlJ7is_evenItEEEE10hipError_tPvRmT3_T4_T5_T6_T7_T9_mT8_P12ihipStream_tbDpT10_ENKUlT_T0_E_clISt17integral_constantIbLb1EES16_EEDaS11_S12_EUlS11_E_NS1_11comp_targetILNS1_3genE3ELNS1_11target_archE908ELNS1_3gpuE7ELNS1_3repE0EEENS1_30default_config_static_selectorELNS0_4arch9wavefront6targetE0EEEvT1_ ; -- Begin function _ZN7rocprim17ROCPRIM_400000_NS6detail17trampoline_kernelINS0_14default_configENS1_25partition_config_selectorILNS1_17partition_subalgoE6EtNS0_10empty_typeEbEEZZNS1_14partition_implILS5_6ELb0ES3_mN6thrust23THRUST_200600_302600_NS6detail15normal_iteratorINSA_10device_ptrItEEEEPS6_SG_NS0_5tupleIJSF_S6_EEENSH_IJSG_SG_EEES6_PlJ7is_evenItEEEE10hipError_tPvRmT3_T4_T5_T6_T7_T9_mT8_P12ihipStream_tbDpT10_ENKUlT_T0_E_clISt17integral_constantIbLb1EES16_EEDaS11_S12_EUlS11_E_NS1_11comp_targetILNS1_3genE3ELNS1_11target_archE908ELNS1_3gpuE7ELNS1_3repE0EEENS1_30default_config_static_selectorELNS0_4arch9wavefront6targetE0EEEvT1_
	.globl	_ZN7rocprim17ROCPRIM_400000_NS6detail17trampoline_kernelINS0_14default_configENS1_25partition_config_selectorILNS1_17partition_subalgoE6EtNS0_10empty_typeEbEEZZNS1_14partition_implILS5_6ELb0ES3_mN6thrust23THRUST_200600_302600_NS6detail15normal_iteratorINSA_10device_ptrItEEEEPS6_SG_NS0_5tupleIJSF_S6_EEENSH_IJSG_SG_EEES6_PlJ7is_evenItEEEE10hipError_tPvRmT3_T4_T5_T6_T7_T9_mT8_P12ihipStream_tbDpT10_ENKUlT_T0_E_clISt17integral_constantIbLb1EES16_EEDaS11_S12_EUlS11_E_NS1_11comp_targetILNS1_3genE3ELNS1_11target_archE908ELNS1_3gpuE7ELNS1_3repE0EEENS1_30default_config_static_selectorELNS0_4arch9wavefront6targetE0EEEvT1_
	.p2align	8
	.type	_ZN7rocprim17ROCPRIM_400000_NS6detail17trampoline_kernelINS0_14default_configENS1_25partition_config_selectorILNS1_17partition_subalgoE6EtNS0_10empty_typeEbEEZZNS1_14partition_implILS5_6ELb0ES3_mN6thrust23THRUST_200600_302600_NS6detail15normal_iteratorINSA_10device_ptrItEEEEPS6_SG_NS0_5tupleIJSF_S6_EEENSH_IJSG_SG_EEES6_PlJ7is_evenItEEEE10hipError_tPvRmT3_T4_T5_T6_T7_T9_mT8_P12ihipStream_tbDpT10_ENKUlT_T0_E_clISt17integral_constantIbLb1EES16_EEDaS11_S12_EUlS11_E_NS1_11comp_targetILNS1_3genE3ELNS1_11target_archE908ELNS1_3gpuE7ELNS1_3repE0EEENS1_30default_config_static_selectorELNS0_4arch9wavefront6targetE0EEEvT1_,@function
_ZN7rocprim17ROCPRIM_400000_NS6detail17trampoline_kernelINS0_14default_configENS1_25partition_config_selectorILNS1_17partition_subalgoE6EtNS0_10empty_typeEbEEZZNS1_14partition_implILS5_6ELb0ES3_mN6thrust23THRUST_200600_302600_NS6detail15normal_iteratorINSA_10device_ptrItEEEEPS6_SG_NS0_5tupleIJSF_S6_EEENSH_IJSG_SG_EEES6_PlJ7is_evenItEEEE10hipError_tPvRmT3_T4_T5_T6_T7_T9_mT8_P12ihipStream_tbDpT10_ENKUlT_T0_E_clISt17integral_constantIbLb1EES16_EEDaS11_S12_EUlS11_E_NS1_11comp_targetILNS1_3genE3ELNS1_11target_archE908ELNS1_3gpuE7ELNS1_3repE0EEENS1_30default_config_static_selectorELNS0_4arch9wavefront6targetE0EEEvT1_: ; @_ZN7rocprim17ROCPRIM_400000_NS6detail17trampoline_kernelINS0_14default_configENS1_25partition_config_selectorILNS1_17partition_subalgoE6EtNS0_10empty_typeEbEEZZNS1_14partition_implILS5_6ELb0ES3_mN6thrust23THRUST_200600_302600_NS6detail15normal_iteratorINSA_10device_ptrItEEEEPS6_SG_NS0_5tupleIJSF_S6_EEENSH_IJSG_SG_EEES6_PlJ7is_evenItEEEE10hipError_tPvRmT3_T4_T5_T6_T7_T9_mT8_P12ihipStream_tbDpT10_ENKUlT_T0_E_clISt17integral_constantIbLb1EES16_EEDaS11_S12_EUlS11_E_NS1_11comp_targetILNS1_3genE3ELNS1_11target_archE908ELNS1_3gpuE7ELNS1_3repE0EEENS1_30default_config_static_selectorELNS0_4arch9wavefront6targetE0EEEvT1_
; %bb.0:
	.section	.rodata,"a",@progbits
	.p2align	6, 0x0
	.amdhsa_kernel _ZN7rocprim17ROCPRIM_400000_NS6detail17trampoline_kernelINS0_14default_configENS1_25partition_config_selectorILNS1_17partition_subalgoE6EtNS0_10empty_typeEbEEZZNS1_14partition_implILS5_6ELb0ES3_mN6thrust23THRUST_200600_302600_NS6detail15normal_iteratorINSA_10device_ptrItEEEEPS6_SG_NS0_5tupleIJSF_S6_EEENSH_IJSG_SG_EEES6_PlJ7is_evenItEEEE10hipError_tPvRmT3_T4_T5_T6_T7_T9_mT8_P12ihipStream_tbDpT10_ENKUlT_T0_E_clISt17integral_constantIbLb1EES16_EEDaS11_S12_EUlS11_E_NS1_11comp_targetILNS1_3genE3ELNS1_11target_archE908ELNS1_3gpuE7ELNS1_3repE0EEENS1_30default_config_static_selectorELNS0_4arch9wavefront6targetE0EEEvT1_
		.amdhsa_group_segment_fixed_size 0
		.amdhsa_private_segment_fixed_size 0
		.amdhsa_kernarg_size 128
		.amdhsa_user_sgpr_count 15
		.amdhsa_user_sgpr_dispatch_ptr 0
		.amdhsa_user_sgpr_queue_ptr 0
		.amdhsa_user_sgpr_kernarg_segment_ptr 1
		.amdhsa_user_sgpr_dispatch_id 0
		.amdhsa_user_sgpr_private_segment_size 0
		.amdhsa_wavefront_size32 1
		.amdhsa_uses_dynamic_stack 0
		.amdhsa_enable_private_segment 0
		.amdhsa_system_sgpr_workgroup_id_x 1
		.amdhsa_system_sgpr_workgroup_id_y 0
		.amdhsa_system_sgpr_workgroup_id_z 0
		.amdhsa_system_sgpr_workgroup_info 0
		.amdhsa_system_vgpr_workitem_id 0
		.amdhsa_next_free_vgpr 1
		.amdhsa_next_free_sgpr 1
		.amdhsa_reserve_vcc 0
		.amdhsa_float_round_mode_32 0
		.amdhsa_float_round_mode_16_64 0
		.amdhsa_float_denorm_mode_32 3
		.amdhsa_float_denorm_mode_16_64 3
		.amdhsa_dx10_clamp 1
		.amdhsa_ieee_mode 1
		.amdhsa_fp16_overflow 0
		.amdhsa_workgroup_processor_mode 1
		.amdhsa_memory_ordered 1
		.amdhsa_forward_progress 0
		.amdhsa_shared_vgpr_count 0
		.amdhsa_exception_fp_ieee_invalid_op 0
		.amdhsa_exception_fp_denorm_src 0
		.amdhsa_exception_fp_ieee_div_zero 0
		.amdhsa_exception_fp_ieee_overflow 0
		.amdhsa_exception_fp_ieee_underflow 0
		.amdhsa_exception_fp_ieee_inexact 0
		.amdhsa_exception_int_div_zero 0
	.end_amdhsa_kernel
	.section	.text._ZN7rocprim17ROCPRIM_400000_NS6detail17trampoline_kernelINS0_14default_configENS1_25partition_config_selectorILNS1_17partition_subalgoE6EtNS0_10empty_typeEbEEZZNS1_14partition_implILS5_6ELb0ES3_mN6thrust23THRUST_200600_302600_NS6detail15normal_iteratorINSA_10device_ptrItEEEEPS6_SG_NS0_5tupleIJSF_S6_EEENSH_IJSG_SG_EEES6_PlJ7is_evenItEEEE10hipError_tPvRmT3_T4_T5_T6_T7_T9_mT8_P12ihipStream_tbDpT10_ENKUlT_T0_E_clISt17integral_constantIbLb1EES16_EEDaS11_S12_EUlS11_E_NS1_11comp_targetILNS1_3genE3ELNS1_11target_archE908ELNS1_3gpuE7ELNS1_3repE0EEENS1_30default_config_static_selectorELNS0_4arch9wavefront6targetE0EEEvT1_,"axG",@progbits,_ZN7rocprim17ROCPRIM_400000_NS6detail17trampoline_kernelINS0_14default_configENS1_25partition_config_selectorILNS1_17partition_subalgoE6EtNS0_10empty_typeEbEEZZNS1_14partition_implILS5_6ELb0ES3_mN6thrust23THRUST_200600_302600_NS6detail15normal_iteratorINSA_10device_ptrItEEEEPS6_SG_NS0_5tupleIJSF_S6_EEENSH_IJSG_SG_EEES6_PlJ7is_evenItEEEE10hipError_tPvRmT3_T4_T5_T6_T7_T9_mT8_P12ihipStream_tbDpT10_ENKUlT_T0_E_clISt17integral_constantIbLb1EES16_EEDaS11_S12_EUlS11_E_NS1_11comp_targetILNS1_3genE3ELNS1_11target_archE908ELNS1_3gpuE7ELNS1_3repE0EEENS1_30default_config_static_selectorELNS0_4arch9wavefront6targetE0EEEvT1_,comdat
.Lfunc_end339:
	.size	_ZN7rocprim17ROCPRIM_400000_NS6detail17trampoline_kernelINS0_14default_configENS1_25partition_config_selectorILNS1_17partition_subalgoE6EtNS0_10empty_typeEbEEZZNS1_14partition_implILS5_6ELb0ES3_mN6thrust23THRUST_200600_302600_NS6detail15normal_iteratorINSA_10device_ptrItEEEEPS6_SG_NS0_5tupleIJSF_S6_EEENSH_IJSG_SG_EEES6_PlJ7is_evenItEEEE10hipError_tPvRmT3_T4_T5_T6_T7_T9_mT8_P12ihipStream_tbDpT10_ENKUlT_T0_E_clISt17integral_constantIbLb1EES16_EEDaS11_S12_EUlS11_E_NS1_11comp_targetILNS1_3genE3ELNS1_11target_archE908ELNS1_3gpuE7ELNS1_3repE0EEENS1_30default_config_static_selectorELNS0_4arch9wavefront6targetE0EEEvT1_, .Lfunc_end339-_ZN7rocprim17ROCPRIM_400000_NS6detail17trampoline_kernelINS0_14default_configENS1_25partition_config_selectorILNS1_17partition_subalgoE6EtNS0_10empty_typeEbEEZZNS1_14partition_implILS5_6ELb0ES3_mN6thrust23THRUST_200600_302600_NS6detail15normal_iteratorINSA_10device_ptrItEEEEPS6_SG_NS0_5tupleIJSF_S6_EEENSH_IJSG_SG_EEES6_PlJ7is_evenItEEEE10hipError_tPvRmT3_T4_T5_T6_T7_T9_mT8_P12ihipStream_tbDpT10_ENKUlT_T0_E_clISt17integral_constantIbLb1EES16_EEDaS11_S12_EUlS11_E_NS1_11comp_targetILNS1_3genE3ELNS1_11target_archE908ELNS1_3gpuE7ELNS1_3repE0EEENS1_30default_config_static_selectorELNS0_4arch9wavefront6targetE0EEEvT1_
                                        ; -- End function
	.section	.AMDGPU.csdata,"",@progbits
; Kernel info:
; codeLenInByte = 0
; NumSgprs: 0
; NumVgprs: 0
; ScratchSize: 0
; MemoryBound: 0
; FloatMode: 240
; IeeeMode: 1
; LDSByteSize: 0 bytes/workgroup (compile time only)
; SGPRBlocks: 0
; VGPRBlocks: 0
; NumSGPRsForWavesPerEU: 1
; NumVGPRsForWavesPerEU: 1
; Occupancy: 16
; WaveLimiterHint : 0
; COMPUTE_PGM_RSRC2:SCRATCH_EN: 0
; COMPUTE_PGM_RSRC2:USER_SGPR: 15
; COMPUTE_PGM_RSRC2:TRAP_HANDLER: 0
; COMPUTE_PGM_RSRC2:TGID_X_EN: 1
; COMPUTE_PGM_RSRC2:TGID_Y_EN: 0
; COMPUTE_PGM_RSRC2:TGID_Z_EN: 0
; COMPUTE_PGM_RSRC2:TIDIG_COMP_CNT: 0
	.section	.text._ZN7rocprim17ROCPRIM_400000_NS6detail17trampoline_kernelINS0_14default_configENS1_25partition_config_selectorILNS1_17partition_subalgoE6EtNS0_10empty_typeEbEEZZNS1_14partition_implILS5_6ELb0ES3_mN6thrust23THRUST_200600_302600_NS6detail15normal_iteratorINSA_10device_ptrItEEEEPS6_SG_NS0_5tupleIJSF_S6_EEENSH_IJSG_SG_EEES6_PlJ7is_evenItEEEE10hipError_tPvRmT3_T4_T5_T6_T7_T9_mT8_P12ihipStream_tbDpT10_ENKUlT_T0_E_clISt17integral_constantIbLb1EES16_EEDaS11_S12_EUlS11_E_NS1_11comp_targetILNS1_3genE2ELNS1_11target_archE906ELNS1_3gpuE6ELNS1_3repE0EEENS1_30default_config_static_selectorELNS0_4arch9wavefront6targetE0EEEvT1_,"axG",@progbits,_ZN7rocprim17ROCPRIM_400000_NS6detail17trampoline_kernelINS0_14default_configENS1_25partition_config_selectorILNS1_17partition_subalgoE6EtNS0_10empty_typeEbEEZZNS1_14partition_implILS5_6ELb0ES3_mN6thrust23THRUST_200600_302600_NS6detail15normal_iteratorINSA_10device_ptrItEEEEPS6_SG_NS0_5tupleIJSF_S6_EEENSH_IJSG_SG_EEES6_PlJ7is_evenItEEEE10hipError_tPvRmT3_T4_T5_T6_T7_T9_mT8_P12ihipStream_tbDpT10_ENKUlT_T0_E_clISt17integral_constantIbLb1EES16_EEDaS11_S12_EUlS11_E_NS1_11comp_targetILNS1_3genE2ELNS1_11target_archE906ELNS1_3gpuE6ELNS1_3repE0EEENS1_30default_config_static_selectorELNS0_4arch9wavefront6targetE0EEEvT1_,comdat
	.protected	_ZN7rocprim17ROCPRIM_400000_NS6detail17trampoline_kernelINS0_14default_configENS1_25partition_config_selectorILNS1_17partition_subalgoE6EtNS0_10empty_typeEbEEZZNS1_14partition_implILS5_6ELb0ES3_mN6thrust23THRUST_200600_302600_NS6detail15normal_iteratorINSA_10device_ptrItEEEEPS6_SG_NS0_5tupleIJSF_S6_EEENSH_IJSG_SG_EEES6_PlJ7is_evenItEEEE10hipError_tPvRmT3_T4_T5_T6_T7_T9_mT8_P12ihipStream_tbDpT10_ENKUlT_T0_E_clISt17integral_constantIbLb1EES16_EEDaS11_S12_EUlS11_E_NS1_11comp_targetILNS1_3genE2ELNS1_11target_archE906ELNS1_3gpuE6ELNS1_3repE0EEENS1_30default_config_static_selectorELNS0_4arch9wavefront6targetE0EEEvT1_ ; -- Begin function _ZN7rocprim17ROCPRIM_400000_NS6detail17trampoline_kernelINS0_14default_configENS1_25partition_config_selectorILNS1_17partition_subalgoE6EtNS0_10empty_typeEbEEZZNS1_14partition_implILS5_6ELb0ES3_mN6thrust23THRUST_200600_302600_NS6detail15normal_iteratorINSA_10device_ptrItEEEEPS6_SG_NS0_5tupleIJSF_S6_EEENSH_IJSG_SG_EEES6_PlJ7is_evenItEEEE10hipError_tPvRmT3_T4_T5_T6_T7_T9_mT8_P12ihipStream_tbDpT10_ENKUlT_T0_E_clISt17integral_constantIbLb1EES16_EEDaS11_S12_EUlS11_E_NS1_11comp_targetILNS1_3genE2ELNS1_11target_archE906ELNS1_3gpuE6ELNS1_3repE0EEENS1_30default_config_static_selectorELNS0_4arch9wavefront6targetE0EEEvT1_
	.globl	_ZN7rocprim17ROCPRIM_400000_NS6detail17trampoline_kernelINS0_14default_configENS1_25partition_config_selectorILNS1_17partition_subalgoE6EtNS0_10empty_typeEbEEZZNS1_14partition_implILS5_6ELb0ES3_mN6thrust23THRUST_200600_302600_NS6detail15normal_iteratorINSA_10device_ptrItEEEEPS6_SG_NS0_5tupleIJSF_S6_EEENSH_IJSG_SG_EEES6_PlJ7is_evenItEEEE10hipError_tPvRmT3_T4_T5_T6_T7_T9_mT8_P12ihipStream_tbDpT10_ENKUlT_T0_E_clISt17integral_constantIbLb1EES16_EEDaS11_S12_EUlS11_E_NS1_11comp_targetILNS1_3genE2ELNS1_11target_archE906ELNS1_3gpuE6ELNS1_3repE0EEENS1_30default_config_static_selectorELNS0_4arch9wavefront6targetE0EEEvT1_
	.p2align	8
	.type	_ZN7rocprim17ROCPRIM_400000_NS6detail17trampoline_kernelINS0_14default_configENS1_25partition_config_selectorILNS1_17partition_subalgoE6EtNS0_10empty_typeEbEEZZNS1_14partition_implILS5_6ELb0ES3_mN6thrust23THRUST_200600_302600_NS6detail15normal_iteratorINSA_10device_ptrItEEEEPS6_SG_NS0_5tupleIJSF_S6_EEENSH_IJSG_SG_EEES6_PlJ7is_evenItEEEE10hipError_tPvRmT3_T4_T5_T6_T7_T9_mT8_P12ihipStream_tbDpT10_ENKUlT_T0_E_clISt17integral_constantIbLb1EES16_EEDaS11_S12_EUlS11_E_NS1_11comp_targetILNS1_3genE2ELNS1_11target_archE906ELNS1_3gpuE6ELNS1_3repE0EEENS1_30default_config_static_selectorELNS0_4arch9wavefront6targetE0EEEvT1_,@function
_ZN7rocprim17ROCPRIM_400000_NS6detail17trampoline_kernelINS0_14default_configENS1_25partition_config_selectorILNS1_17partition_subalgoE6EtNS0_10empty_typeEbEEZZNS1_14partition_implILS5_6ELb0ES3_mN6thrust23THRUST_200600_302600_NS6detail15normal_iteratorINSA_10device_ptrItEEEEPS6_SG_NS0_5tupleIJSF_S6_EEENSH_IJSG_SG_EEES6_PlJ7is_evenItEEEE10hipError_tPvRmT3_T4_T5_T6_T7_T9_mT8_P12ihipStream_tbDpT10_ENKUlT_T0_E_clISt17integral_constantIbLb1EES16_EEDaS11_S12_EUlS11_E_NS1_11comp_targetILNS1_3genE2ELNS1_11target_archE906ELNS1_3gpuE6ELNS1_3repE0EEENS1_30default_config_static_selectorELNS0_4arch9wavefront6targetE0EEEvT1_: ; @_ZN7rocprim17ROCPRIM_400000_NS6detail17trampoline_kernelINS0_14default_configENS1_25partition_config_selectorILNS1_17partition_subalgoE6EtNS0_10empty_typeEbEEZZNS1_14partition_implILS5_6ELb0ES3_mN6thrust23THRUST_200600_302600_NS6detail15normal_iteratorINSA_10device_ptrItEEEEPS6_SG_NS0_5tupleIJSF_S6_EEENSH_IJSG_SG_EEES6_PlJ7is_evenItEEEE10hipError_tPvRmT3_T4_T5_T6_T7_T9_mT8_P12ihipStream_tbDpT10_ENKUlT_T0_E_clISt17integral_constantIbLb1EES16_EEDaS11_S12_EUlS11_E_NS1_11comp_targetILNS1_3genE2ELNS1_11target_archE906ELNS1_3gpuE6ELNS1_3repE0EEENS1_30default_config_static_selectorELNS0_4arch9wavefront6targetE0EEEvT1_
; %bb.0:
	.section	.rodata,"a",@progbits
	.p2align	6, 0x0
	.amdhsa_kernel _ZN7rocprim17ROCPRIM_400000_NS6detail17trampoline_kernelINS0_14default_configENS1_25partition_config_selectorILNS1_17partition_subalgoE6EtNS0_10empty_typeEbEEZZNS1_14partition_implILS5_6ELb0ES3_mN6thrust23THRUST_200600_302600_NS6detail15normal_iteratorINSA_10device_ptrItEEEEPS6_SG_NS0_5tupleIJSF_S6_EEENSH_IJSG_SG_EEES6_PlJ7is_evenItEEEE10hipError_tPvRmT3_T4_T5_T6_T7_T9_mT8_P12ihipStream_tbDpT10_ENKUlT_T0_E_clISt17integral_constantIbLb1EES16_EEDaS11_S12_EUlS11_E_NS1_11comp_targetILNS1_3genE2ELNS1_11target_archE906ELNS1_3gpuE6ELNS1_3repE0EEENS1_30default_config_static_selectorELNS0_4arch9wavefront6targetE0EEEvT1_
		.amdhsa_group_segment_fixed_size 0
		.amdhsa_private_segment_fixed_size 0
		.amdhsa_kernarg_size 128
		.amdhsa_user_sgpr_count 15
		.amdhsa_user_sgpr_dispatch_ptr 0
		.amdhsa_user_sgpr_queue_ptr 0
		.amdhsa_user_sgpr_kernarg_segment_ptr 1
		.amdhsa_user_sgpr_dispatch_id 0
		.amdhsa_user_sgpr_private_segment_size 0
		.amdhsa_wavefront_size32 1
		.amdhsa_uses_dynamic_stack 0
		.amdhsa_enable_private_segment 0
		.amdhsa_system_sgpr_workgroup_id_x 1
		.amdhsa_system_sgpr_workgroup_id_y 0
		.amdhsa_system_sgpr_workgroup_id_z 0
		.amdhsa_system_sgpr_workgroup_info 0
		.amdhsa_system_vgpr_workitem_id 0
		.amdhsa_next_free_vgpr 1
		.amdhsa_next_free_sgpr 1
		.amdhsa_reserve_vcc 0
		.amdhsa_float_round_mode_32 0
		.amdhsa_float_round_mode_16_64 0
		.amdhsa_float_denorm_mode_32 3
		.amdhsa_float_denorm_mode_16_64 3
		.amdhsa_dx10_clamp 1
		.amdhsa_ieee_mode 1
		.amdhsa_fp16_overflow 0
		.amdhsa_workgroup_processor_mode 1
		.amdhsa_memory_ordered 1
		.amdhsa_forward_progress 0
		.amdhsa_shared_vgpr_count 0
		.amdhsa_exception_fp_ieee_invalid_op 0
		.amdhsa_exception_fp_denorm_src 0
		.amdhsa_exception_fp_ieee_div_zero 0
		.amdhsa_exception_fp_ieee_overflow 0
		.amdhsa_exception_fp_ieee_underflow 0
		.amdhsa_exception_fp_ieee_inexact 0
		.amdhsa_exception_int_div_zero 0
	.end_amdhsa_kernel
	.section	.text._ZN7rocprim17ROCPRIM_400000_NS6detail17trampoline_kernelINS0_14default_configENS1_25partition_config_selectorILNS1_17partition_subalgoE6EtNS0_10empty_typeEbEEZZNS1_14partition_implILS5_6ELb0ES3_mN6thrust23THRUST_200600_302600_NS6detail15normal_iteratorINSA_10device_ptrItEEEEPS6_SG_NS0_5tupleIJSF_S6_EEENSH_IJSG_SG_EEES6_PlJ7is_evenItEEEE10hipError_tPvRmT3_T4_T5_T6_T7_T9_mT8_P12ihipStream_tbDpT10_ENKUlT_T0_E_clISt17integral_constantIbLb1EES16_EEDaS11_S12_EUlS11_E_NS1_11comp_targetILNS1_3genE2ELNS1_11target_archE906ELNS1_3gpuE6ELNS1_3repE0EEENS1_30default_config_static_selectorELNS0_4arch9wavefront6targetE0EEEvT1_,"axG",@progbits,_ZN7rocprim17ROCPRIM_400000_NS6detail17trampoline_kernelINS0_14default_configENS1_25partition_config_selectorILNS1_17partition_subalgoE6EtNS0_10empty_typeEbEEZZNS1_14partition_implILS5_6ELb0ES3_mN6thrust23THRUST_200600_302600_NS6detail15normal_iteratorINSA_10device_ptrItEEEEPS6_SG_NS0_5tupleIJSF_S6_EEENSH_IJSG_SG_EEES6_PlJ7is_evenItEEEE10hipError_tPvRmT3_T4_T5_T6_T7_T9_mT8_P12ihipStream_tbDpT10_ENKUlT_T0_E_clISt17integral_constantIbLb1EES16_EEDaS11_S12_EUlS11_E_NS1_11comp_targetILNS1_3genE2ELNS1_11target_archE906ELNS1_3gpuE6ELNS1_3repE0EEENS1_30default_config_static_selectorELNS0_4arch9wavefront6targetE0EEEvT1_,comdat
.Lfunc_end340:
	.size	_ZN7rocprim17ROCPRIM_400000_NS6detail17trampoline_kernelINS0_14default_configENS1_25partition_config_selectorILNS1_17partition_subalgoE6EtNS0_10empty_typeEbEEZZNS1_14partition_implILS5_6ELb0ES3_mN6thrust23THRUST_200600_302600_NS6detail15normal_iteratorINSA_10device_ptrItEEEEPS6_SG_NS0_5tupleIJSF_S6_EEENSH_IJSG_SG_EEES6_PlJ7is_evenItEEEE10hipError_tPvRmT3_T4_T5_T6_T7_T9_mT8_P12ihipStream_tbDpT10_ENKUlT_T0_E_clISt17integral_constantIbLb1EES16_EEDaS11_S12_EUlS11_E_NS1_11comp_targetILNS1_3genE2ELNS1_11target_archE906ELNS1_3gpuE6ELNS1_3repE0EEENS1_30default_config_static_selectorELNS0_4arch9wavefront6targetE0EEEvT1_, .Lfunc_end340-_ZN7rocprim17ROCPRIM_400000_NS6detail17trampoline_kernelINS0_14default_configENS1_25partition_config_selectorILNS1_17partition_subalgoE6EtNS0_10empty_typeEbEEZZNS1_14partition_implILS5_6ELb0ES3_mN6thrust23THRUST_200600_302600_NS6detail15normal_iteratorINSA_10device_ptrItEEEEPS6_SG_NS0_5tupleIJSF_S6_EEENSH_IJSG_SG_EEES6_PlJ7is_evenItEEEE10hipError_tPvRmT3_T4_T5_T6_T7_T9_mT8_P12ihipStream_tbDpT10_ENKUlT_T0_E_clISt17integral_constantIbLb1EES16_EEDaS11_S12_EUlS11_E_NS1_11comp_targetILNS1_3genE2ELNS1_11target_archE906ELNS1_3gpuE6ELNS1_3repE0EEENS1_30default_config_static_selectorELNS0_4arch9wavefront6targetE0EEEvT1_
                                        ; -- End function
	.section	.AMDGPU.csdata,"",@progbits
; Kernel info:
; codeLenInByte = 0
; NumSgprs: 0
; NumVgprs: 0
; ScratchSize: 0
; MemoryBound: 0
; FloatMode: 240
; IeeeMode: 1
; LDSByteSize: 0 bytes/workgroup (compile time only)
; SGPRBlocks: 0
; VGPRBlocks: 0
; NumSGPRsForWavesPerEU: 1
; NumVGPRsForWavesPerEU: 1
; Occupancy: 16
; WaveLimiterHint : 0
; COMPUTE_PGM_RSRC2:SCRATCH_EN: 0
; COMPUTE_PGM_RSRC2:USER_SGPR: 15
; COMPUTE_PGM_RSRC2:TRAP_HANDLER: 0
; COMPUTE_PGM_RSRC2:TGID_X_EN: 1
; COMPUTE_PGM_RSRC2:TGID_Y_EN: 0
; COMPUTE_PGM_RSRC2:TGID_Z_EN: 0
; COMPUTE_PGM_RSRC2:TIDIG_COMP_CNT: 0
	.section	.text._ZN7rocprim17ROCPRIM_400000_NS6detail17trampoline_kernelINS0_14default_configENS1_25partition_config_selectorILNS1_17partition_subalgoE6EtNS0_10empty_typeEbEEZZNS1_14partition_implILS5_6ELb0ES3_mN6thrust23THRUST_200600_302600_NS6detail15normal_iteratorINSA_10device_ptrItEEEEPS6_SG_NS0_5tupleIJSF_S6_EEENSH_IJSG_SG_EEES6_PlJ7is_evenItEEEE10hipError_tPvRmT3_T4_T5_T6_T7_T9_mT8_P12ihipStream_tbDpT10_ENKUlT_T0_E_clISt17integral_constantIbLb1EES16_EEDaS11_S12_EUlS11_E_NS1_11comp_targetILNS1_3genE10ELNS1_11target_archE1200ELNS1_3gpuE4ELNS1_3repE0EEENS1_30default_config_static_selectorELNS0_4arch9wavefront6targetE0EEEvT1_,"axG",@progbits,_ZN7rocprim17ROCPRIM_400000_NS6detail17trampoline_kernelINS0_14default_configENS1_25partition_config_selectorILNS1_17partition_subalgoE6EtNS0_10empty_typeEbEEZZNS1_14partition_implILS5_6ELb0ES3_mN6thrust23THRUST_200600_302600_NS6detail15normal_iteratorINSA_10device_ptrItEEEEPS6_SG_NS0_5tupleIJSF_S6_EEENSH_IJSG_SG_EEES6_PlJ7is_evenItEEEE10hipError_tPvRmT3_T4_T5_T6_T7_T9_mT8_P12ihipStream_tbDpT10_ENKUlT_T0_E_clISt17integral_constantIbLb1EES16_EEDaS11_S12_EUlS11_E_NS1_11comp_targetILNS1_3genE10ELNS1_11target_archE1200ELNS1_3gpuE4ELNS1_3repE0EEENS1_30default_config_static_selectorELNS0_4arch9wavefront6targetE0EEEvT1_,comdat
	.protected	_ZN7rocprim17ROCPRIM_400000_NS6detail17trampoline_kernelINS0_14default_configENS1_25partition_config_selectorILNS1_17partition_subalgoE6EtNS0_10empty_typeEbEEZZNS1_14partition_implILS5_6ELb0ES3_mN6thrust23THRUST_200600_302600_NS6detail15normal_iteratorINSA_10device_ptrItEEEEPS6_SG_NS0_5tupleIJSF_S6_EEENSH_IJSG_SG_EEES6_PlJ7is_evenItEEEE10hipError_tPvRmT3_T4_T5_T6_T7_T9_mT8_P12ihipStream_tbDpT10_ENKUlT_T0_E_clISt17integral_constantIbLb1EES16_EEDaS11_S12_EUlS11_E_NS1_11comp_targetILNS1_3genE10ELNS1_11target_archE1200ELNS1_3gpuE4ELNS1_3repE0EEENS1_30default_config_static_selectorELNS0_4arch9wavefront6targetE0EEEvT1_ ; -- Begin function _ZN7rocprim17ROCPRIM_400000_NS6detail17trampoline_kernelINS0_14default_configENS1_25partition_config_selectorILNS1_17partition_subalgoE6EtNS0_10empty_typeEbEEZZNS1_14partition_implILS5_6ELb0ES3_mN6thrust23THRUST_200600_302600_NS6detail15normal_iteratorINSA_10device_ptrItEEEEPS6_SG_NS0_5tupleIJSF_S6_EEENSH_IJSG_SG_EEES6_PlJ7is_evenItEEEE10hipError_tPvRmT3_T4_T5_T6_T7_T9_mT8_P12ihipStream_tbDpT10_ENKUlT_T0_E_clISt17integral_constantIbLb1EES16_EEDaS11_S12_EUlS11_E_NS1_11comp_targetILNS1_3genE10ELNS1_11target_archE1200ELNS1_3gpuE4ELNS1_3repE0EEENS1_30default_config_static_selectorELNS0_4arch9wavefront6targetE0EEEvT1_
	.globl	_ZN7rocprim17ROCPRIM_400000_NS6detail17trampoline_kernelINS0_14default_configENS1_25partition_config_selectorILNS1_17partition_subalgoE6EtNS0_10empty_typeEbEEZZNS1_14partition_implILS5_6ELb0ES3_mN6thrust23THRUST_200600_302600_NS6detail15normal_iteratorINSA_10device_ptrItEEEEPS6_SG_NS0_5tupleIJSF_S6_EEENSH_IJSG_SG_EEES6_PlJ7is_evenItEEEE10hipError_tPvRmT3_T4_T5_T6_T7_T9_mT8_P12ihipStream_tbDpT10_ENKUlT_T0_E_clISt17integral_constantIbLb1EES16_EEDaS11_S12_EUlS11_E_NS1_11comp_targetILNS1_3genE10ELNS1_11target_archE1200ELNS1_3gpuE4ELNS1_3repE0EEENS1_30default_config_static_selectorELNS0_4arch9wavefront6targetE0EEEvT1_
	.p2align	8
	.type	_ZN7rocprim17ROCPRIM_400000_NS6detail17trampoline_kernelINS0_14default_configENS1_25partition_config_selectorILNS1_17partition_subalgoE6EtNS0_10empty_typeEbEEZZNS1_14partition_implILS5_6ELb0ES3_mN6thrust23THRUST_200600_302600_NS6detail15normal_iteratorINSA_10device_ptrItEEEEPS6_SG_NS0_5tupleIJSF_S6_EEENSH_IJSG_SG_EEES6_PlJ7is_evenItEEEE10hipError_tPvRmT3_T4_T5_T6_T7_T9_mT8_P12ihipStream_tbDpT10_ENKUlT_T0_E_clISt17integral_constantIbLb1EES16_EEDaS11_S12_EUlS11_E_NS1_11comp_targetILNS1_3genE10ELNS1_11target_archE1200ELNS1_3gpuE4ELNS1_3repE0EEENS1_30default_config_static_selectorELNS0_4arch9wavefront6targetE0EEEvT1_,@function
_ZN7rocprim17ROCPRIM_400000_NS6detail17trampoline_kernelINS0_14default_configENS1_25partition_config_selectorILNS1_17partition_subalgoE6EtNS0_10empty_typeEbEEZZNS1_14partition_implILS5_6ELb0ES3_mN6thrust23THRUST_200600_302600_NS6detail15normal_iteratorINSA_10device_ptrItEEEEPS6_SG_NS0_5tupleIJSF_S6_EEENSH_IJSG_SG_EEES6_PlJ7is_evenItEEEE10hipError_tPvRmT3_T4_T5_T6_T7_T9_mT8_P12ihipStream_tbDpT10_ENKUlT_T0_E_clISt17integral_constantIbLb1EES16_EEDaS11_S12_EUlS11_E_NS1_11comp_targetILNS1_3genE10ELNS1_11target_archE1200ELNS1_3gpuE4ELNS1_3repE0EEENS1_30default_config_static_selectorELNS0_4arch9wavefront6targetE0EEEvT1_: ; @_ZN7rocprim17ROCPRIM_400000_NS6detail17trampoline_kernelINS0_14default_configENS1_25partition_config_selectorILNS1_17partition_subalgoE6EtNS0_10empty_typeEbEEZZNS1_14partition_implILS5_6ELb0ES3_mN6thrust23THRUST_200600_302600_NS6detail15normal_iteratorINSA_10device_ptrItEEEEPS6_SG_NS0_5tupleIJSF_S6_EEENSH_IJSG_SG_EEES6_PlJ7is_evenItEEEE10hipError_tPvRmT3_T4_T5_T6_T7_T9_mT8_P12ihipStream_tbDpT10_ENKUlT_T0_E_clISt17integral_constantIbLb1EES16_EEDaS11_S12_EUlS11_E_NS1_11comp_targetILNS1_3genE10ELNS1_11target_archE1200ELNS1_3gpuE4ELNS1_3repE0EEENS1_30default_config_static_selectorELNS0_4arch9wavefront6targetE0EEEvT1_
; %bb.0:
	.section	.rodata,"a",@progbits
	.p2align	6, 0x0
	.amdhsa_kernel _ZN7rocprim17ROCPRIM_400000_NS6detail17trampoline_kernelINS0_14default_configENS1_25partition_config_selectorILNS1_17partition_subalgoE6EtNS0_10empty_typeEbEEZZNS1_14partition_implILS5_6ELb0ES3_mN6thrust23THRUST_200600_302600_NS6detail15normal_iteratorINSA_10device_ptrItEEEEPS6_SG_NS0_5tupleIJSF_S6_EEENSH_IJSG_SG_EEES6_PlJ7is_evenItEEEE10hipError_tPvRmT3_T4_T5_T6_T7_T9_mT8_P12ihipStream_tbDpT10_ENKUlT_T0_E_clISt17integral_constantIbLb1EES16_EEDaS11_S12_EUlS11_E_NS1_11comp_targetILNS1_3genE10ELNS1_11target_archE1200ELNS1_3gpuE4ELNS1_3repE0EEENS1_30default_config_static_selectorELNS0_4arch9wavefront6targetE0EEEvT1_
		.amdhsa_group_segment_fixed_size 0
		.amdhsa_private_segment_fixed_size 0
		.amdhsa_kernarg_size 128
		.amdhsa_user_sgpr_count 15
		.amdhsa_user_sgpr_dispatch_ptr 0
		.amdhsa_user_sgpr_queue_ptr 0
		.amdhsa_user_sgpr_kernarg_segment_ptr 1
		.amdhsa_user_sgpr_dispatch_id 0
		.amdhsa_user_sgpr_private_segment_size 0
		.amdhsa_wavefront_size32 1
		.amdhsa_uses_dynamic_stack 0
		.amdhsa_enable_private_segment 0
		.amdhsa_system_sgpr_workgroup_id_x 1
		.amdhsa_system_sgpr_workgroup_id_y 0
		.amdhsa_system_sgpr_workgroup_id_z 0
		.amdhsa_system_sgpr_workgroup_info 0
		.amdhsa_system_vgpr_workitem_id 0
		.amdhsa_next_free_vgpr 1
		.amdhsa_next_free_sgpr 1
		.amdhsa_reserve_vcc 0
		.amdhsa_float_round_mode_32 0
		.amdhsa_float_round_mode_16_64 0
		.amdhsa_float_denorm_mode_32 3
		.amdhsa_float_denorm_mode_16_64 3
		.amdhsa_dx10_clamp 1
		.amdhsa_ieee_mode 1
		.amdhsa_fp16_overflow 0
		.amdhsa_workgroup_processor_mode 1
		.amdhsa_memory_ordered 1
		.amdhsa_forward_progress 0
		.amdhsa_shared_vgpr_count 0
		.amdhsa_exception_fp_ieee_invalid_op 0
		.amdhsa_exception_fp_denorm_src 0
		.amdhsa_exception_fp_ieee_div_zero 0
		.amdhsa_exception_fp_ieee_overflow 0
		.amdhsa_exception_fp_ieee_underflow 0
		.amdhsa_exception_fp_ieee_inexact 0
		.amdhsa_exception_int_div_zero 0
	.end_amdhsa_kernel
	.section	.text._ZN7rocprim17ROCPRIM_400000_NS6detail17trampoline_kernelINS0_14default_configENS1_25partition_config_selectorILNS1_17partition_subalgoE6EtNS0_10empty_typeEbEEZZNS1_14partition_implILS5_6ELb0ES3_mN6thrust23THRUST_200600_302600_NS6detail15normal_iteratorINSA_10device_ptrItEEEEPS6_SG_NS0_5tupleIJSF_S6_EEENSH_IJSG_SG_EEES6_PlJ7is_evenItEEEE10hipError_tPvRmT3_T4_T5_T6_T7_T9_mT8_P12ihipStream_tbDpT10_ENKUlT_T0_E_clISt17integral_constantIbLb1EES16_EEDaS11_S12_EUlS11_E_NS1_11comp_targetILNS1_3genE10ELNS1_11target_archE1200ELNS1_3gpuE4ELNS1_3repE0EEENS1_30default_config_static_selectorELNS0_4arch9wavefront6targetE0EEEvT1_,"axG",@progbits,_ZN7rocprim17ROCPRIM_400000_NS6detail17trampoline_kernelINS0_14default_configENS1_25partition_config_selectorILNS1_17partition_subalgoE6EtNS0_10empty_typeEbEEZZNS1_14partition_implILS5_6ELb0ES3_mN6thrust23THRUST_200600_302600_NS6detail15normal_iteratorINSA_10device_ptrItEEEEPS6_SG_NS0_5tupleIJSF_S6_EEENSH_IJSG_SG_EEES6_PlJ7is_evenItEEEE10hipError_tPvRmT3_T4_T5_T6_T7_T9_mT8_P12ihipStream_tbDpT10_ENKUlT_T0_E_clISt17integral_constantIbLb1EES16_EEDaS11_S12_EUlS11_E_NS1_11comp_targetILNS1_3genE10ELNS1_11target_archE1200ELNS1_3gpuE4ELNS1_3repE0EEENS1_30default_config_static_selectorELNS0_4arch9wavefront6targetE0EEEvT1_,comdat
.Lfunc_end341:
	.size	_ZN7rocprim17ROCPRIM_400000_NS6detail17trampoline_kernelINS0_14default_configENS1_25partition_config_selectorILNS1_17partition_subalgoE6EtNS0_10empty_typeEbEEZZNS1_14partition_implILS5_6ELb0ES3_mN6thrust23THRUST_200600_302600_NS6detail15normal_iteratorINSA_10device_ptrItEEEEPS6_SG_NS0_5tupleIJSF_S6_EEENSH_IJSG_SG_EEES6_PlJ7is_evenItEEEE10hipError_tPvRmT3_T4_T5_T6_T7_T9_mT8_P12ihipStream_tbDpT10_ENKUlT_T0_E_clISt17integral_constantIbLb1EES16_EEDaS11_S12_EUlS11_E_NS1_11comp_targetILNS1_3genE10ELNS1_11target_archE1200ELNS1_3gpuE4ELNS1_3repE0EEENS1_30default_config_static_selectorELNS0_4arch9wavefront6targetE0EEEvT1_, .Lfunc_end341-_ZN7rocprim17ROCPRIM_400000_NS6detail17trampoline_kernelINS0_14default_configENS1_25partition_config_selectorILNS1_17partition_subalgoE6EtNS0_10empty_typeEbEEZZNS1_14partition_implILS5_6ELb0ES3_mN6thrust23THRUST_200600_302600_NS6detail15normal_iteratorINSA_10device_ptrItEEEEPS6_SG_NS0_5tupleIJSF_S6_EEENSH_IJSG_SG_EEES6_PlJ7is_evenItEEEE10hipError_tPvRmT3_T4_T5_T6_T7_T9_mT8_P12ihipStream_tbDpT10_ENKUlT_T0_E_clISt17integral_constantIbLb1EES16_EEDaS11_S12_EUlS11_E_NS1_11comp_targetILNS1_3genE10ELNS1_11target_archE1200ELNS1_3gpuE4ELNS1_3repE0EEENS1_30default_config_static_selectorELNS0_4arch9wavefront6targetE0EEEvT1_
                                        ; -- End function
	.section	.AMDGPU.csdata,"",@progbits
; Kernel info:
; codeLenInByte = 0
; NumSgprs: 0
; NumVgprs: 0
; ScratchSize: 0
; MemoryBound: 0
; FloatMode: 240
; IeeeMode: 1
; LDSByteSize: 0 bytes/workgroup (compile time only)
; SGPRBlocks: 0
; VGPRBlocks: 0
; NumSGPRsForWavesPerEU: 1
; NumVGPRsForWavesPerEU: 1
; Occupancy: 15
; WaveLimiterHint : 0
; COMPUTE_PGM_RSRC2:SCRATCH_EN: 0
; COMPUTE_PGM_RSRC2:USER_SGPR: 15
; COMPUTE_PGM_RSRC2:TRAP_HANDLER: 0
; COMPUTE_PGM_RSRC2:TGID_X_EN: 1
; COMPUTE_PGM_RSRC2:TGID_Y_EN: 0
; COMPUTE_PGM_RSRC2:TGID_Z_EN: 0
; COMPUTE_PGM_RSRC2:TIDIG_COMP_CNT: 0
	.section	.text._ZN7rocprim17ROCPRIM_400000_NS6detail17trampoline_kernelINS0_14default_configENS1_25partition_config_selectorILNS1_17partition_subalgoE6EtNS0_10empty_typeEbEEZZNS1_14partition_implILS5_6ELb0ES3_mN6thrust23THRUST_200600_302600_NS6detail15normal_iteratorINSA_10device_ptrItEEEEPS6_SG_NS0_5tupleIJSF_S6_EEENSH_IJSG_SG_EEES6_PlJ7is_evenItEEEE10hipError_tPvRmT3_T4_T5_T6_T7_T9_mT8_P12ihipStream_tbDpT10_ENKUlT_T0_E_clISt17integral_constantIbLb1EES16_EEDaS11_S12_EUlS11_E_NS1_11comp_targetILNS1_3genE9ELNS1_11target_archE1100ELNS1_3gpuE3ELNS1_3repE0EEENS1_30default_config_static_selectorELNS0_4arch9wavefront6targetE0EEEvT1_,"axG",@progbits,_ZN7rocprim17ROCPRIM_400000_NS6detail17trampoline_kernelINS0_14default_configENS1_25partition_config_selectorILNS1_17partition_subalgoE6EtNS0_10empty_typeEbEEZZNS1_14partition_implILS5_6ELb0ES3_mN6thrust23THRUST_200600_302600_NS6detail15normal_iteratorINSA_10device_ptrItEEEEPS6_SG_NS0_5tupleIJSF_S6_EEENSH_IJSG_SG_EEES6_PlJ7is_evenItEEEE10hipError_tPvRmT3_T4_T5_T6_T7_T9_mT8_P12ihipStream_tbDpT10_ENKUlT_T0_E_clISt17integral_constantIbLb1EES16_EEDaS11_S12_EUlS11_E_NS1_11comp_targetILNS1_3genE9ELNS1_11target_archE1100ELNS1_3gpuE3ELNS1_3repE0EEENS1_30default_config_static_selectorELNS0_4arch9wavefront6targetE0EEEvT1_,comdat
	.protected	_ZN7rocprim17ROCPRIM_400000_NS6detail17trampoline_kernelINS0_14default_configENS1_25partition_config_selectorILNS1_17partition_subalgoE6EtNS0_10empty_typeEbEEZZNS1_14partition_implILS5_6ELb0ES3_mN6thrust23THRUST_200600_302600_NS6detail15normal_iteratorINSA_10device_ptrItEEEEPS6_SG_NS0_5tupleIJSF_S6_EEENSH_IJSG_SG_EEES6_PlJ7is_evenItEEEE10hipError_tPvRmT3_T4_T5_T6_T7_T9_mT8_P12ihipStream_tbDpT10_ENKUlT_T0_E_clISt17integral_constantIbLb1EES16_EEDaS11_S12_EUlS11_E_NS1_11comp_targetILNS1_3genE9ELNS1_11target_archE1100ELNS1_3gpuE3ELNS1_3repE0EEENS1_30default_config_static_selectorELNS0_4arch9wavefront6targetE0EEEvT1_ ; -- Begin function _ZN7rocprim17ROCPRIM_400000_NS6detail17trampoline_kernelINS0_14default_configENS1_25partition_config_selectorILNS1_17partition_subalgoE6EtNS0_10empty_typeEbEEZZNS1_14partition_implILS5_6ELb0ES3_mN6thrust23THRUST_200600_302600_NS6detail15normal_iteratorINSA_10device_ptrItEEEEPS6_SG_NS0_5tupleIJSF_S6_EEENSH_IJSG_SG_EEES6_PlJ7is_evenItEEEE10hipError_tPvRmT3_T4_T5_T6_T7_T9_mT8_P12ihipStream_tbDpT10_ENKUlT_T0_E_clISt17integral_constantIbLb1EES16_EEDaS11_S12_EUlS11_E_NS1_11comp_targetILNS1_3genE9ELNS1_11target_archE1100ELNS1_3gpuE3ELNS1_3repE0EEENS1_30default_config_static_selectorELNS0_4arch9wavefront6targetE0EEEvT1_
	.globl	_ZN7rocprim17ROCPRIM_400000_NS6detail17trampoline_kernelINS0_14default_configENS1_25partition_config_selectorILNS1_17partition_subalgoE6EtNS0_10empty_typeEbEEZZNS1_14partition_implILS5_6ELb0ES3_mN6thrust23THRUST_200600_302600_NS6detail15normal_iteratorINSA_10device_ptrItEEEEPS6_SG_NS0_5tupleIJSF_S6_EEENSH_IJSG_SG_EEES6_PlJ7is_evenItEEEE10hipError_tPvRmT3_T4_T5_T6_T7_T9_mT8_P12ihipStream_tbDpT10_ENKUlT_T0_E_clISt17integral_constantIbLb1EES16_EEDaS11_S12_EUlS11_E_NS1_11comp_targetILNS1_3genE9ELNS1_11target_archE1100ELNS1_3gpuE3ELNS1_3repE0EEENS1_30default_config_static_selectorELNS0_4arch9wavefront6targetE0EEEvT1_
	.p2align	8
	.type	_ZN7rocprim17ROCPRIM_400000_NS6detail17trampoline_kernelINS0_14default_configENS1_25partition_config_selectorILNS1_17partition_subalgoE6EtNS0_10empty_typeEbEEZZNS1_14partition_implILS5_6ELb0ES3_mN6thrust23THRUST_200600_302600_NS6detail15normal_iteratorINSA_10device_ptrItEEEEPS6_SG_NS0_5tupleIJSF_S6_EEENSH_IJSG_SG_EEES6_PlJ7is_evenItEEEE10hipError_tPvRmT3_T4_T5_T6_T7_T9_mT8_P12ihipStream_tbDpT10_ENKUlT_T0_E_clISt17integral_constantIbLb1EES16_EEDaS11_S12_EUlS11_E_NS1_11comp_targetILNS1_3genE9ELNS1_11target_archE1100ELNS1_3gpuE3ELNS1_3repE0EEENS1_30default_config_static_selectorELNS0_4arch9wavefront6targetE0EEEvT1_,@function
_ZN7rocprim17ROCPRIM_400000_NS6detail17trampoline_kernelINS0_14default_configENS1_25partition_config_selectorILNS1_17partition_subalgoE6EtNS0_10empty_typeEbEEZZNS1_14partition_implILS5_6ELb0ES3_mN6thrust23THRUST_200600_302600_NS6detail15normal_iteratorINSA_10device_ptrItEEEEPS6_SG_NS0_5tupleIJSF_S6_EEENSH_IJSG_SG_EEES6_PlJ7is_evenItEEEE10hipError_tPvRmT3_T4_T5_T6_T7_T9_mT8_P12ihipStream_tbDpT10_ENKUlT_T0_E_clISt17integral_constantIbLb1EES16_EEDaS11_S12_EUlS11_E_NS1_11comp_targetILNS1_3genE9ELNS1_11target_archE1100ELNS1_3gpuE3ELNS1_3repE0EEENS1_30default_config_static_selectorELNS0_4arch9wavefront6targetE0EEEvT1_: ; @_ZN7rocprim17ROCPRIM_400000_NS6detail17trampoline_kernelINS0_14default_configENS1_25partition_config_selectorILNS1_17partition_subalgoE6EtNS0_10empty_typeEbEEZZNS1_14partition_implILS5_6ELb0ES3_mN6thrust23THRUST_200600_302600_NS6detail15normal_iteratorINSA_10device_ptrItEEEEPS6_SG_NS0_5tupleIJSF_S6_EEENSH_IJSG_SG_EEES6_PlJ7is_evenItEEEE10hipError_tPvRmT3_T4_T5_T6_T7_T9_mT8_P12ihipStream_tbDpT10_ENKUlT_T0_E_clISt17integral_constantIbLb1EES16_EEDaS11_S12_EUlS11_E_NS1_11comp_targetILNS1_3genE9ELNS1_11target_archE1100ELNS1_3gpuE3ELNS1_3repE0EEENS1_30default_config_static_selectorELNS0_4arch9wavefront6targetE0EEEvT1_
; %bb.0:
	s_clause 0x3
	s_load_b64 s[12:13], s[0:1], 0x28
	s_load_b128 s[8:11], s[0:1], 0x40
	s_load_b64 s[16:17], s[0:1], 0x50
	s_load_b64 s[14:15], s[0:1], 0x60
	v_cmp_eq_u32_e64 s2, 0, v0
	s_delay_alu instid0(VALU_DEP_1)
	s_and_saveexec_b32 s3, s2
	s_cbranch_execz .LBB342_4
; %bb.1:
	s_mov_b32 s5, exec_lo
	s_mov_b32 s4, exec_lo
	v_mbcnt_lo_u32_b32 v1, s5, 0
                                        ; implicit-def: $vgpr2
	s_delay_alu instid0(VALU_DEP_1)
	v_cmpx_eq_u32_e32 0, v1
	s_cbranch_execz .LBB342_3
; %bb.2:
	s_load_b64 s[6:7], s[0:1], 0x70
	s_bcnt1_i32_b32 s5, s5
	s_delay_alu instid0(SALU_CYCLE_1)
	v_dual_mov_b32 v2, 0 :: v_dual_mov_b32 v3, s5
	s_waitcnt lgkmcnt(0)
	global_atomic_add_u32 v2, v2, v3, s[6:7] glc
.LBB342_3:
	s_or_b32 exec_lo, exec_lo, s4
	s_waitcnt vmcnt(0)
	v_readfirstlane_b32 s4, v2
	s_delay_alu instid0(VALU_DEP_1)
	v_dual_mov_b32 v2, 0 :: v_dual_add_nc_u32 v1, s4, v1
	ds_store_b32 v2, v1
.LBB342_4:
	s_or_b32 exec_lo, exec_lo, s3
	v_mov_b32_e32 v2, 0
	s_clause 0x1
	s_load_b128 s[4:7], s[0:1], 0x8
	s_load_b32 s0, s[0:1], 0x68
	s_waitcnt lgkmcnt(0)
	s_barrier
	buffer_gl0_inv
	ds_load_b32 v1, v2
	s_waitcnt lgkmcnt(0)
	s_barrier
	buffer_gl0_inv
	global_load_b64 v[12:13], v2, s[10:11]
	s_lshl_b64 s[10:11], s[6:7], 1
	s_mul_i32 s3, s0, 0xf00
	s_add_u32 s1, s4, s10
	s_addc_u32 s10, s5, s11
	s_add_i32 s5, s3, s6
	v_readfirstlane_b32 s4, v1
	v_mul_lo_u32 v1, 0xf00, v1
	s_add_i32 s11, s0, -1
	s_sub_i32 s0, s16, s5
	s_add_u32 s6, s6, s3
	s_addc_u32 s7, s7, 0
	s_cmp_eq_u32 s4, s11
	v_cmp_ge_u64_e64 s3, s[6:7], s[16:17]
	s_cselect_b32 s5, -1, 0
	v_lshlrev_b64 v[2:3], 1, v[1:2]
	v_lshlrev_b32_e32 v1, 1, v0
	s_delay_alu instid0(VALU_DEP_3) | instskip(NEXT) | instid1(VALU_DEP_2)
	s_and_b32 s3, s3, s5
	v_add_co_u32 v2, vcc_lo, s1, v2
	s_delay_alu instid0(VALU_DEP_3)
	v_add_co_ci_u32_e32 v3, vcc_lo, s10, v3, vcc_lo
	s_xor_b32 s3, s3, -1
	s_mov_b32 s1, -1
	s_and_b32 vcc_lo, exec_lo, s3
	s_cbranch_vccz .LBB342_6
; %bb.5:
	v_add_co_u32 v4, vcc_lo, v2, v1
	v_add_co_ci_u32_e32 v5, vcc_lo, 0, v3, vcc_lo
	s_mov_b32 s1, 0
	s_delay_alu instid0(VALU_DEP_2)
	v_add_co_u32 v6, vcc_lo, 0x1000, v4
	s_clause 0x7
	flat_load_u16 v8, v[4:5]
	flat_load_u16 v9, v[4:5] offset:256
	flat_load_u16 v10, v[4:5] offset:512
	;; [unrolled: 1-line block ×7, first 2 shown]
	v_add_co_ci_u32_e32 v7, vcc_lo, 0, v5, vcc_lo
	s_clause 0x15
	flat_load_u16 v18, v[4:5] offset:2048
	flat_load_u16 v19, v[4:5] offset:2304
	;; [unrolled: 1-line block ×8, first 2 shown]
	flat_load_u16 v5, v[6:7]
	flat_load_u16 v25, v[6:7] offset:256
	flat_load_u16 v26, v[6:7] offset:512
	;; [unrolled: 1-line block ×13, first 2 shown]
	s_waitcnt vmcnt(29) lgkmcnt(29)
	ds_store_b16 v1, v8
	s_waitcnt vmcnt(28) lgkmcnt(29)
	ds_store_b16 v1, v9 offset:256
	s_waitcnt vmcnt(27) lgkmcnt(29)
	ds_store_b16 v1, v10 offset:512
	;; [unrolled: 2-line block ×29, first 2 shown]
	s_waitcnt lgkmcnt(0)
	s_barrier
.LBB342_6:
	s_and_not1_b32 vcc_lo, exec_lo, s1
	s_addk_i32 s0, 0xf00
	s_cbranch_vccnz .LBB342_68
; %bb.7:
	s_mov_b32 s1, exec_lo
                                        ; implicit-def: $vgpr4
	v_cmpx_gt_u32_e64 s0, v0
	s_cbranch_execz .LBB342_9
; %bb.8:
	v_add_co_u32 v4, vcc_lo, v2, v1
	v_add_co_ci_u32_e32 v5, vcc_lo, 0, v3, vcc_lo
	flat_load_u16 v4, v[4:5]
.LBB342_9:
	s_or_b32 exec_lo, exec_lo, s1
	v_or_b32_e32 v5, 0x80, v0
	s_delay_alu instid0(VALU_DEP_1)
	v_cmp_gt_u32_e32 vcc_lo, s0, v5
                                        ; implicit-def: $vgpr5
	s_and_saveexec_b32 s1, vcc_lo
	s_cbranch_execz .LBB342_11
; %bb.10:
	v_add_co_u32 v5, vcc_lo, v2, v1
	v_add_co_ci_u32_e32 v6, vcc_lo, 0, v3, vcc_lo
	flat_load_u16 v5, v[5:6] offset:256
.LBB342_11:
	s_or_b32 exec_lo, exec_lo, s1
	v_or_b32_e32 v6, 0x100, v0
	s_delay_alu instid0(VALU_DEP_1)
	v_cmp_gt_u32_e32 vcc_lo, s0, v6
                                        ; implicit-def: $vgpr6
	s_and_saveexec_b32 s1, vcc_lo
	s_cbranch_execz .LBB342_13
; %bb.12:
	v_add_co_u32 v6, vcc_lo, v2, v1
	v_add_co_ci_u32_e32 v7, vcc_lo, 0, v3, vcc_lo
	flat_load_u16 v6, v[6:7] offset:512
.LBB342_13:
	s_or_b32 exec_lo, exec_lo, s1
	v_or_b32_e32 v7, 0x180, v0
	s_delay_alu instid0(VALU_DEP_1)
	v_cmp_gt_u32_e32 vcc_lo, s0, v7
                                        ; implicit-def: $vgpr7
	s_and_saveexec_b32 s1, vcc_lo
	s_cbranch_execz .LBB342_15
; %bb.14:
	v_add_co_u32 v7, vcc_lo, v2, v1
	v_add_co_ci_u32_e32 v8, vcc_lo, 0, v3, vcc_lo
	flat_load_u16 v7, v[7:8] offset:768
.LBB342_15:
	s_or_b32 exec_lo, exec_lo, s1
	v_or_b32_e32 v8, 0x200, v0
	s_delay_alu instid0(VALU_DEP_1)
	v_cmp_gt_u32_e32 vcc_lo, s0, v8
                                        ; implicit-def: $vgpr8
	s_and_saveexec_b32 s1, vcc_lo
	s_cbranch_execz .LBB342_17
; %bb.16:
	v_add_co_u32 v8, vcc_lo, v2, v1
	v_add_co_ci_u32_e32 v9, vcc_lo, 0, v3, vcc_lo
	flat_load_u16 v8, v[8:9] offset:1024
.LBB342_17:
	s_or_b32 exec_lo, exec_lo, s1
	v_or_b32_e32 v9, 0x280, v0
	s_delay_alu instid0(VALU_DEP_1)
	v_cmp_gt_u32_e32 vcc_lo, s0, v9
                                        ; implicit-def: $vgpr9
	s_and_saveexec_b32 s1, vcc_lo
	s_cbranch_execz .LBB342_19
; %bb.18:
	v_add_co_u32 v9, vcc_lo, v2, v1
	v_add_co_ci_u32_e32 v10, vcc_lo, 0, v3, vcc_lo
	flat_load_u16 v9, v[9:10] offset:1280
.LBB342_19:
	s_or_b32 exec_lo, exec_lo, s1
	v_or_b32_e32 v10, 0x300, v0
	s_delay_alu instid0(VALU_DEP_1)
	v_cmp_gt_u32_e32 vcc_lo, s0, v10
                                        ; implicit-def: $vgpr10
	s_and_saveexec_b32 s1, vcc_lo
	s_cbranch_execz .LBB342_21
; %bb.20:
	v_add_co_u32 v10, vcc_lo, v2, v1
	v_add_co_ci_u32_e32 v11, vcc_lo, 0, v3, vcc_lo
	flat_load_u16 v10, v[10:11] offset:1536
.LBB342_21:
	s_or_b32 exec_lo, exec_lo, s1
	v_or_b32_e32 v11, 0x380, v0
	s_delay_alu instid0(VALU_DEP_1)
	v_cmp_gt_u32_e32 vcc_lo, s0, v11
                                        ; implicit-def: $vgpr11
	s_and_saveexec_b32 s1, vcc_lo
	s_cbranch_execz .LBB342_23
; %bb.22:
	v_add_co_u32 v14, vcc_lo, v2, v1
	v_add_co_ci_u32_e32 v15, vcc_lo, 0, v3, vcc_lo
	flat_load_u16 v11, v[14:15] offset:1792
.LBB342_23:
	s_or_b32 exec_lo, exec_lo, s1
	v_or_b32_e32 v14, 0x400, v0
	s_delay_alu instid0(VALU_DEP_1)
	v_cmp_gt_u32_e32 vcc_lo, s0, v14
                                        ; implicit-def: $vgpr14
	s_and_saveexec_b32 s1, vcc_lo
	s_cbranch_execz .LBB342_25
; %bb.24:
	v_add_co_u32 v14, vcc_lo, v2, v1
	v_add_co_ci_u32_e32 v15, vcc_lo, 0, v3, vcc_lo
	flat_load_u16 v14, v[14:15] offset:2048
.LBB342_25:
	s_or_b32 exec_lo, exec_lo, s1
	v_or_b32_e32 v15, 0x480, v0
	s_delay_alu instid0(VALU_DEP_1)
	v_cmp_gt_u32_e32 vcc_lo, s0, v15
                                        ; implicit-def: $vgpr15
	s_and_saveexec_b32 s1, vcc_lo
	s_cbranch_execz .LBB342_27
; %bb.26:
	v_add_co_u32 v15, vcc_lo, v2, v1
	v_add_co_ci_u32_e32 v16, vcc_lo, 0, v3, vcc_lo
	flat_load_u16 v15, v[15:16] offset:2304
.LBB342_27:
	s_or_b32 exec_lo, exec_lo, s1
	v_or_b32_e32 v16, 0x500, v0
	s_delay_alu instid0(VALU_DEP_1)
	v_cmp_gt_u32_e32 vcc_lo, s0, v16
                                        ; implicit-def: $vgpr16
	s_and_saveexec_b32 s1, vcc_lo
	s_cbranch_execz .LBB342_29
; %bb.28:
	v_add_co_u32 v16, vcc_lo, v2, v1
	v_add_co_ci_u32_e32 v17, vcc_lo, 0, v3, vcc_lo
	flat_load_u16 v16, v[16:17] offset:2560
.LBB342_29:
	s_or_b32 exec_lo, exec_lo, s1
	v_or_b32_e32 v17, 0x580, v0
	s_delay_alu instid0(VALU_DEP_1)
	v_cmp_gt_u32_e32 vcc_lo, s0, v17
                                        ; implicit-def: $vgpr17
	s_and_saveexec_b32 s1, vcc_lo
	s_cbranch_execz .LBB342_31
; %bb.30:
	v_add_co_u32 v17, vcc_lo, v2, v1
	v_add_co_ci_u32_e32 v18, vcc_lo, 0, v3, vcc_lo
	flat_load_u16 v17, v[17:18] offset:2816
.LBB342_31:
	s_or_b32 exec_lo, exec_lo, s1
	v_or_b32_e32 v18, 0x600, v0
	s_delay_alu instid0(VALU_DEP_1)
	v_cmp_gt_u32_e32 vcc_lo, s0, v18
                                        ; implicit-def: $vgpr18
	s_and_saveexec_b32 s1, vcc_lo
	s_cbranch_execz .LBB342_33
; %bb.32:
	v_add_co_u32 v18, vcc_lo, v2, v1
	v_add_co_ci_u32_e32 v19, vcc_lo, 0, v3, vcc_lo
	flat_load_u16 v18, v[18:19] offset:3072
.LBB342_33:
	s_or_b32 exec_lo, exec_lo, s1
	v_or_b32_e32 v19, 0x680, v0
	s_delay_alu instid0(VALU_DEP_1)
	v_cmp_gt_u32_e32 vcc_lo, s0, v19
                                        ; implicit-def: $vgpr19
	s_and_saveexec_b32 s1, vcc_lo
	s_cbranch_execz .LBB342_35
; %bb.34:
	v_add_co_u32 v19, vcc_lo, v2, v1
	v_add_co_ci_u32_e32 v20, vcc_lo, 0, v3, vcc_lo
	flat_load_u16 v19, v[19:20] offset:3328
.LBB342_35:
	s_or_b32 exec_lo, exec_lo, s1
	v_or_b32_e32 v20, 0x700, v0
	s_delay_alu instid0(VALU_DEP_1)
	v_cmp_gt_u32_e32 vcc_lo, s0, v20
                                        ; implicit-def: $vgpr20
	s_and_saveexec_b32 s1, vcc_lo
	s_cbranch_execz .LBB342_37
; %bb.36:
	v_add_co_u32 v20, vcc_lo, v2, v1
	v_add_co_ci_u32_e32 v21, vcc_lo, 0, v3, vcc_lo
	flat_load_u16 v20, v[20:21] offset:3584
.LBB342_37:
	s_or_b32 exec_lo, exec_lo, s1
	v_or_b32_e32 v21, 0x780, v0
	s_delay_alu instid0(VALU_DEP_1)
	v_cmp_gt_u32_e32 vcc_lo, s0, v21
                                        ; implicit-def: $vgpr21
	s_and_saveexec_b32 s1, vcc_lo
	s_cbranch_execz .LBB342_39
; %bb.38:
	v_add_co_u32 v21, vcc_lo, v2, v1
	v_add_co_ci_u32_e32 v22, vcc_lo, 0, v3, vcc_lo
	flat_load_u16 v21, v[21:22] offset:3840
.LBB342_39:
	s_or_b32 exec_lo, exec_lo, s1
	v_or_b32_e32 v23, 0x800, v0
	s_mov_b32 s1, exec_lo
                                        ; implicit-def: $vgpr22
	s_delay_alu instid0(VALU_DEP_1)
	v_cmpx_gt_u32_e64 s0, v23
	s_cbranch_execz .LBB342_41
; %bb.40:
	v_lshlrev_b32_e32 v22, 1, v23
	s_delay_alu instid0(VALU_DEP_1)
	v_add_co_u32 v22, vcc_lo, v2, v22
	v_add_co_ci_u32_e32 v23, vcc_lo, 0, v3, vcc_lo
	flat_load_u16 v22, v[22:23]
.LBB342_41:
	s_or_b32 exec_lo, exec_lo, s1
	v_or_b32_e32 v24, 0x880, v0
	s_mov_b32 s1, exec_lo
                                        ; implicit-def: $vgpr23
	s_delay_alu instid0(VALU_DEP_1)
	v_cmpx_gt_u32_e64 s0, v24
	s_cbranch_execz .LBB342_43
; %bb.42:
	v_lshlrev_b32_e32 v23, 1, v24
	s_delay_alu instid0(VALU_DEP_1)
	v_add_co_u32 v23, vcc_lo, v2, v23
	v_add_co_ci_u32_e32 v24, vcc_lo, 0, v3, vcc_lo
	flat_load_u16 v23, v[23:24]
.LBB342_43:
	s_or_b32 exec_lo, exec_lo, s1
	v_or_b32_e32 v25, 0x900, v0
	s_mov_b32 s1, exec_lo
                                        ; implicit-def: $vgpr24
	s_delay_alu instid0(VALU_DEP_1)
	v_cmpx_gt_u32_e64 s0, v25
	s_cbranch_execz .LBB342_45
; %bb.44:
	v_lshlrev_b32_e32 v24, 1, v25
	s_delay_alu instid0(VALU_DEP_1)
	v_add_co_u32 v24, vcc_lo, v2, v24
	v_add_co_ci_u32_e32 v25, vcc_lo, 0, v3, vcc_lo
	flat_load_u16 v24, v[24:25]
.LBB342_45:
	s_or_b32 exec_lo, exec_lo, s1
	v_or_b32_e32 v26, 0x980, v0
	s_mov_b32 s1, exec_lo
                                        ; implicit-def: $vgpr25
	s_delay_alu instid0(VALU_DEP_1)
	v_cmpx_gt_u32_e64 s0, v26
	s_cbranch_execz .LBB342_47
; %bb.46:
	v_lshlrev_b32_e32 v25, 1, v26
	s_delay_alu instid0(VALU_DEP_1)
	v_add_co_u32 v25, vcc_lo, v2, v25
	v_add_co_ci_u32_e32 v26, vcc_lo, 0, v3, vcc_lo
	flat_load_u16 v25, v[25:26]
.LBB342_47:
	s_or_b32 exec_lo, exec_lo, s1
	v_or_b32_e32 v27, 0xa00, v0
	s_mov_b32 s1, exec_lo
                                        ; implicit-def: $vgpr26
	s_delay_alu instid0(VALU_DEP_1)
	v_cmpx_gt_u32_e64 s0, v27
	s_cbranch_execz .LBB342_49
; %bb.48:
	v_lshlrev_b32_e32 v26, 1, v27
	s_delay_alu instid0(VALU_DEP_1)
	v_add_co_u32 v26, vcc_lo, v2, v26
	v_add_co_ci_u32_e32 v27, vcc_lo, 0, v3, vcc_lo
	flat_load_u16 v26, v[26:27]
.LBB342_49:
	s_or_b32 exec_lo, exec_lo, s1
	v_or_b32_e32 v28, 0xa80, v0
	s_mov_b32 s1, exec_lo
                                        ; implicit-def: $vgpr27
	s_delay_alu instid0(VALU_DEP_1)
	v_cmpx_gt_u32_e64 s0, v28
	s_cbranch_execz .LBB342_51
; %bb.50:
	v_lshlrev_b32_e32 v27, 1, v28
	s_delay_alu instid0(VALU_DEP_1)
	v_add_co_u32 v27, vcc_lo, v2, v27
	v_add_co_ci_u32_e32 v28, vcc_lo, 0, v3, vcc_lo
	flat_load_u16 v27, v[27:28]
.LBB342_51:
	s_or_b32 exec_lo, exec_lo, s1
	v_or_b32_e32 v29, 0xb00, v0
	s_mov_b32 s1, exec_lo
                                        ; implicit-def: $vgpr28
	s_delay_alu instid0(VALU_DEP_1)
	v_cmpx_gt_u32_e64 s0, v29
	s_cbranch_execz .LBB342_53
; %bb.52:
	v_lshlrev_b32_e32 v28, 1, v29
	s_delay_alu instid0(VALU_DEP_1)
	v_add_co_u32 v28, vcc_lo, v2, v28
	v_add_co_ci_u32_e32 v29, vcc_lo, 0, v3, vcc_lo
	flat_load_u16 v28, v[28:29]
.LBB342_53:
	s_or_b32 exec_lo, exec_lo, s1
	v_or_b32_e32 v30, 0xb80, v0
	s_mov_b32 s1, exec_lo
                                        ; implicit-def: $vgpr29
	s_delay_alu instid0(VALU_DEP_1)
	v_cmpx_gt_u32_e64 s0, v30
	s_cbranch_execz .LBB342_55
; %bb.54:
	v_lshlrev_b32_e32 v29, 1, v30
	s_delay_alu instid0(VALU_DEP_1)
	v_add_co_u32 v29, vcc_lo, v2, v29
	v_add_co_ci_u32_e32 v30, vcc_lo, 0, v3, vcc_lo
	flat_load_u16 v29, v[29:30]
.LBB342_55:
	s_or_b32 exec_lo, exec_lo, s1
	v_or_b32_e32 v31, 0xc00, v0
	s_mov_b32 s1, exec_lo
                                        ; implicit-def: $vgpr30
	s_delay_alu instid0(VALU_DEP_1)
	v_cmpx_gt_u32_e64 s0, v31
	s_cbranch_execz .LBB342_57
; %bb.56:
	v_lshlrev_b32_e32 v30, 1, v31
	s_delay_alu instid0(VALU_DEP_1)
	v_add_co_u32 v30, vcc_lo, v2, v30
	v_add_co_ci_u32_e32 v31, vcc_lo, 0, v3, vcc_lo
	flat_load_u16 v30, v[30:31]
.LBB342_57:
	s_or_b32 exec_lo, exec_lo, s1
	v_or_b32_e32 v32, 0xc80, v0
	s_mov_b32 s1, exec_lo
                                        ; implicit-def: $vgpr31
	s_delay_alu instid0(VALU_DEP_1)
	v_cmpx_gt_u32_e64 s0, v32
	s_cbranch_execz .LBB342_59
; %bb.58:
	v_lshlrev_b32_e32 v31, 1, v32
	s_delay_alu instid0(VALU_DEP_1)
	v_add_co_u32 v31, vcc_lo, v2, v31
	v_add_co_ci_u32_e32 v32, vcc_lo, 0, v3, vcc_lo
	flat_load_u16 v31, v[31:32]
.LBB342_59:
	s_or_b32 exec_lo, exec_lo, s1
	v_or_b32_e32 v33, 0xd00, v0
	s_mov_b32 s1, exec_lo
                                        ; implicit-def: $vgpr32
	s_delay_alu instid0(VALU_DEP_1)
	v_cmpx_gt_u32_e64 s0, v33
	s_cbranch_execz .LBB342_61
; %bb.60:
	v_lshlrev_b32_e32 v32, 1, v33
	s_delay_alu instid0(VALU_DEP_1)
	v_add_co_u32 v32, vcc_lo, v2, v32
	v_add_co_ci_u32_e32 v33, vcc_lo, 0, v3, vcc_lo
	flat_load_u16 v32, v[32:33]
.LBB342_61:
	s_or_b32 exec_lo, exec_lo, s1
	v_or_b32_e32 v34, 0xd80, v0
	s_mov_b32 s1, exec_lo
                                        ; implicit-def: $vgpr33
	s_delay_alu instid0(VALU_DEP_1)
	v_cmpx_gt_u32_e64 s0, v34
	s_cbranch_execz .LBB342_63
; %bb.62:
	v_lshlrev_b32_e32 v33, 1, v34
	s_delay_alu instid0(VALU_DEP_1)
	v_add_co_u32 v33, vcc_lo, v2, v33
	v_add_co_ci_u32_e32 v34, vcc_lo, 0, v3, vcc_lo
	flat_load_u16 v33, v[33:34]
.LBB342_63:
	s_or_b32 exec_lo, exec_lo, s1
	v_or_b32_e32 v35, 0xe00, v0
	s_mov_b32 s1, exec_lo
                                        ; implicit-def: $vgpr34
	s_delay_alu instid0(VALU_DEP_1)
	v_cmpx_gt_u32_e64 s0, v35
	s_cbranch_execz .LBB342_65
; %bb.64:
	v_lshlrev_b32_e32 v34, 1, v35
	s_delay_alu instid0(VALU_DEP_1)
	v_add_co_u32 v34, vcc_lo, v2, v34
	v_add_co_ci_u32_e32 v35, vcc_lo, 0, v3, vcc_lo
	flat_load_u16 v34, v[34:35]
.LBB342_65:
	s_or_b32 exec_lo, exec_lo, s1
	v_or_b32_e32 v36, 0xe80, v0
	s_mov_b32 s1, exec_lo
                                        ; implicit-def: $vgpr35
	s_delay_alu instid0(VALU_DEP_1)
	v_cmpx_gt_u32_e64 s0, v36
	s_cbranch_execz .LBB342_67
; %bb.66:
	v_lshlrev_b32_e32 v35, 1, v36
	s_delay_alu instid0(VALU_DEP_1)
	v_add_co_u32 v2, vcc_lo, v2, v35
	v_add_co_ci_u32_e32 v3, vcc_lo, 0, v3, vcc_lo
	flat_load_u16 v35, v[2:3]
.LBB342_67:
	s_or_b32 exec_lo, exec_lo, s1
	s_waitcnt vmcnt(0) lgkmcnt(0)
	ds_store_b16 v1, v4
	ds_store_b16 v1, v5 offset:256
	ds_store_b16 v1, v6 offset:512
	;; [unrolled: 1-line block ×29, first 2 shown]
	s_waitcnt lgkmcnt(0)
	s_barrier
.LBB342_68:
	v_mul_u32_u24_e32 v33, 30, v0
	s_waitcnt vmcnt(0)
	buffer_gl0_inv
	s_and_not1_b32 vcc_lo, exec_lo, s3
	v_lshlrev_b32_e32 v1, 1, v33
	ds_load_b32 v11, v1 offset:56
	ds_load_2addr_b32 v[9:10], v1 offset0:12 offset1:13
	ds_load_2addr_b32 v[14:15], v1 offset0:10 offset1:11
	ds_load_2addr_b32 v[24:25], v1 offset1:1
	ds_load_2addr_b32 v[22:23], v1 offset0:2 offset1:3
	ds_load_2addr_b32 v[20:21], v1 offset0:4 offset1:5
	ds_load_2addr_b32 v[18:19], v1 offset0:6 offset1:7
	ds_load_2addr_b32 v[16:17], v1 offset0:8 offset1:9
	s_waitcnt lgkmcnt(0)
	s_barrier
	buffer_gl0_inv
	v_lshrrev_b32_e32 v86, 16, v11
	v_lshrrev_b32_e32 v88, 16, v9
	;; [unrolled: 1-line block ×15, first 2 shown]
	v_xor_b32_e32 v44, -1, v24
	v_xor_b32_e32 v45, -1, v25
	;; [unrolled: 1-line block ×30, first 2 shown]
	s_cbranch_vccnz .LBB342_70
; %bb.69:
	v_and_b32_e32 v130, 1, v44
	v_and_b32_e32 v129, 1, v48
	;; [unrolled: 1-line block ×30, first 2 shown]
	s_cbranch_execz .LBB342_71
	s_branch .LBB342_72
.LBB342_70:
                                        ; implicit-def: $vgpr130
                                        ; implicit-def: $vgpr129
                                        ; implicit-def: $vgpr128
                                        ; implicit-def: $vgpr127
                                        ; implicit-def: $vgpr125
                                        ; implicit-def: $vgpr126
                                        ; implicit-def: $vgpr124
                                        ; implicit-def: $vgpr123
                                        ; implicit-def: $vgpr122
                                        ; implicit-def: $vgpr120
                                        ; implicit-def: $vgpr121
                                        ; implicit-def: $vgpr119
                                        ; implicit-def: $vgpr118
                                        ; implicit-def: $vgpr117
                                        ; implicit-def: $vgpr115
                                        ; implicit-def: $vgpr116
                                        ; implicit-def: $vgpr114
                                        ; implicit-def: $vgpr112
                                        ; implicit-def: $vgpr111
                                        ; implicit-def: $vgpr108
                                        ; implicit-def: $vgpr110
                                        ; implicit-def: $vgpr107
                                        ; implicit-def: $vgpr106
                                        ; implicit-def: $vgpr104
                                        ; implicit-def: $vgpr102
                                        ; implicit-def: $vgpr103
                                        ; implicit-def: $vgpr101
                                        ; implicit-def: $vgpr99
                                        ; implicit-def: $vgpr98
                                        ; implicit-def: $vgpr96
.LBB342_71:
	v_or_b32_e32 v58, 1, v33
	v_cmp_gt_u32_e32 vcc_lo, s0, v33
	v_add_nc_u32_e32 v49, 29, v33
	v_add_nc_u32_e32 v50, 28, v33
	;; [unrolled: 1-line block ×28, first 2 shown]
	v_cndmask_b32_e64 v33, 0, 1, vcc_lo
	v_cmp_gt_u32_e32 vcc_lo, s0, v58
	s_delay_alu instid0(VALU_DEP_2) | instskip(SKIP_2) | instid1(VALU_DEP_2)
	v_and_b32_e32 v130, v33, v44
	v_cndmask_b32_e64 v58, 0, 1, vcc_lo
	v_cmp_gt_u32_e32 vcc_lo, s0, v59
	v_and_b32_e32 v129, v58, v48
	v_cndmask_b32_e64 v59, 0, 1, vcc_lo
	v_cmp_gt_u32_e32 vcc_lo, s0, v60
	s_delay_alu instid0(VALU_DEP_2) | instskip(SKIP_2) | instid1(VALU_DEP_2)
	v_and_b32_e32 v128, v59, v45
	v_cndmask_b32_e64 v60, 0, 1, vcc_lo
	v_cmp_gt_u32_e32 vcc_lo, s0, v61
	v_and_b32_e32 v127, v60, v47
	;; [unrolled: 7-line block ×14, first 2 shown]
	v_cndmask_b32_e64 v26, 0, 1, vcc_lo
	v_cmp_gt_u32_e32 vcc_lo, s0, v49
	s_delay_alu instid0(VALU_DEP_2) | instskip(SKIP_1) | instid1(VALU_DEP_1)
	v_and_b32_e32 v98, v26, v4
	v_cndmask_b32_e64 v27, 0, 1, vcc_lo
	v_and_b32_e32 v96, v27, v5
.LBB342_72:
	s_delay_alu instid0(VALU_DEP_2) | instskip(NEXT) | instid1(VALU_DEP_2)
	v_and_b32_e32 v84, 0xff, v98
	v_dual_mov_b32 v2, 0 :: v_dual_and_b32 v1, 0xff, v96
	v_and_b32_e32 v85, 0xff, v99
	v_and_b32_e32 v131, 0xff, v101
	;; [unrolled: 1-line block ×3, first 2 shown]
	s_delay_alu instid0(VALU_DEP_4) | instskip(NEXT) | instid1(VALU_DEP_1)
	v_add_co_u32 v1, s0, v84, v1
	v_add_co_ci_u32_e64 v3, null, 0, 0, s0
	v_and_b32_e32 v133, 0xff, v102
	s_delay_alu instid0(VALU_DEP_3) | instskip(NEXT) | instid1(VALU_DEP_3)
	v_add_co_u32 v1, vcc_lo, v1, v85
	v_add_co_ci_u32_e32 v3, vcc_lo, 0, v3, vcc_lo
	v_and_b32_e32 v34, 0xff, v104
	s_delay_alu instid0(VALU_DEP_3) | instskip(NEXT) | instid1(VALU_DEP_3)
	v_add_co_u32 v1, vcc_lo, v1, v131
	v_add_co_ci_u32_e32 v3, vcc_lo, 0, v3, vcc_lo
	v_and_b32_e32 v35, 0xff, v106
	s_delay_alu instid0(VALU_DEP_3) | instskip(NEXT) | instid1(VALU_DEP_3)
	v_add_co_u32 v1, vcc_lo, v1, v132
	v_add_co_ci_u32_e32 v3, vcc_lo, 0, v3, vcc_lo
	v_and_b32_e32 v36, 0xff, v107
	s_delay_alu instid0(VALU_DEP_3) | instskip(NEXT) | instid1(VALU_DEP_3)
	v_add_co_u32 v1, vcc_lo, v1, v133
	v_add_co_ci_u32_e32 v3, vcc_lo, 0, v3, vcc_lo
	v_and_b32_e32 v37, 0xff, v110
	s_delay_alu instid0(VALU_DEP_3) | instskip(NEXT) | instid1(VALU_DEP_3)
	v_add_co_u32 v1, vcc_lo, v1, v34
	v_add_co_ci_u32_e32 v3, vcc_lo, 0, v3, vcc_lo
	v_and_b32_e32 v38, 0xff, v108
	s_delay_alu instid0(VALU_DEP_3) | instskip(NEXT) | instid1(VALU_DEP_3)
	v_add_co_u32 v1, vcc_lo, v1, v35
	v_add_co_ci_u32_e32 v3, vcc_lo, 0, v3, vcc_lo
	v_and_b32_e32 v39, 0xff, v111
	s_delay_alu instid0(VALU_DEP_3) | instskip(NEXT) | instid1(VALU_DEP_3)
	v_add_co_u32 v1, vcc_lo, v1, v36
	v_add_co_ci_u32_e32 v3, vcc_lo, 0, v3, vcc_lo
	v_and_b32_e32 v40, 0xff, v112
	s_delay_alu instid0(VALU_DEP_3) | instskip(NEXT) | instid1(VALU_DEP_3)
	v_add_co_u32 v1, vcc_lo, v1, v37
	v_add_co_ci_u32_e32 v3, vcc_lo, 0, v3, vcc_lo
	v_and_b32_e32 v41, 0xff, v114
	s_delay_alu instid0(VALU_DEP_3) | instskip(NEXT) | instid1(VALU_DEP_3)
	v_add_co_u32 v1, vcc_lo, v1, v38
	v_add_co_ci_u32_e32 v3, vcc_lo, 0, v3, vcc_lo
	v_and_b32_e32 v42, 0xff, v116
	s_delay_alu instid0(VALU_DEP_3) | instskip(NEXT) | instid1(VALU_DEP_3)
	v_add_co_u32 v1, vcc_lo, v1, v39
	v_add_co_ci_u32_e32 v3, vcc_lo, 0, v3, vcc_lo
	v_and_b32_e32 v43, 0xff, v115
	s_delay_alu instid0(VALU_DEP_3) | instskip(NEXT) | instid1(VALU_DEP_3)
	v_add_co_u32 v1, vcc_lo, v1, v40
	v_add_co_ci_u32_e32 v3, vcc_lo, 0, v3, vcc_lo
	v_and_b32_e32 v44, 0xff, v117
	s_delay_alu instid0(VALU_DEP_3) | instskip(NEXT) | instid1(VALU_DEP_3)
	v_add_co_u32 v1, vcc_lo, v1, v41
	v_add_co_ci_u32_e32 v3, vcc_lo, 0, v3, vcc_lo
	v_and_b32_e32 v45, 0xff, v118
	s_delay_alu instid0(VALU_DEP_3) | instskip(NEXT) | instid1(VALU_DEP_3)
	v_add_co_u32 v1, vcc_lo, v1, v42
	v_add_co_ci_u32_e32 v3, vcc_lo, 0, v3, vcc_lo
	v_and_b32_e32 v47, 0xff, v119
	s_delay_alu instid0(VALU_DEP_3) | instskip(NEXT) | instid1(VALU_DEP_3)
	v_add_co_u32 v1, vcc_lo, v1, v43
	v_add_co_ci_u32_e32 v3, vcc_lo, 0, v3, vcc_lo
	v_and_b32_e32 v48, 0xff, v121
	s_delay_alu instid0(VALU_DEP_3) | instskip(NEXT) | instid1(VALU_DEP_3)
	v_add_co_u32 v1, vcc_lo, v1, v44
	v_add_co_ci_u32_e32 v3, vcc_lo, 0, v3, vcc_lo
	v_and_b32_e32 v49, 0xff, v120
	s_delay_alu instid0(VALU_DEP_3) | instskip(NEXT) | instid1(VALU_DEP_3)
	v_add_co_u32 v1, vcc_lo, v1, v45
	v_add_co_ci_u32_e32 v3, vcc_lo, 0, v3, vcc_lo
	v_and_b32_e32 v50, 0xff, v122
	s_delay_alu instid0(VALU_DEP_3) | instskip(NEXT) | instid1(VALU_DEP_3)
	v_add_co_u32 v1, vcc_lo, v1, v47
	v_add_co_ci_u32_e32 v3, vcc_lo, 0, v3, vcc_lo
	v_and_b32_e32 v51, 0xff, v123
	s_delay_alu instid0(VALU_DEP_3) | instskip(NEXT) | instid1(VALU_DEP_3)
	v_add_co_u32 v1, vcc_lo, v1, v48
	v_add_co_ci_u32_e32 v3, vcc_lo, 0, v3, vcc_lo
	v_and_b32_e32 v52, 0xff, v124
	s_delay_alu instid0(VALU_DEP_3) | instskip(NEXT) | instid1(VALU_DEP_3)
	v_add_co_u32 v1, vcc_lo, v1, v49
	v_add_co_ci_u32_e32 v3, vcc_lo, 0, v3, vcc_lo
	v_and_b32_e32 v53, 0xff, v126
	s_delay_alu instid0(VALU_DEP_3) | instskip(NEXT) | instid1(VALU_DEP_3)
	v_add_co_u32 v1, vcc_lo, v1, v50
	v_add_co_ci_u32_e32 v3, vcc_lo, 0, v3, vcc_lo
	v_and_b32_e32 v54, 0xff, v125
	s_delay_alu instid0(VALU_DEP_3) | instskip(NEXT) | instid1(VALU_DEP_3)
	v_add_co_u32 v1, vcc_lo, v1, v51
	v_add_co_ci_u32_e32 v3, vcc_lo, 0, v3, vcc_lo
	v_and_b32_e32 v55, 0xff, v127
	s_delay_alu instid0(VALU_DEP_3) | instskip(NEXT) | instid1(VALU_DEP_3)
	v_add_co_u32 v1, vcc_lo, v1, v52
	v_add_co_ci_u32_e32 v3, vcc_lo, 0, v3, vcc_lo
	v_and_b32_e32 v56, 0xff, v128
	s_delay_alu instid0(VALU_DEP_3) | instskip(NEXT) | instid1(VALU_DEP_3)
	v_add_co_u32 v1, vcc_lo, v1, v53
	v_add_co_ci_u32_e32 v3, vcc_lo, 0, v3, vcc_lo
	v_and_b32_e32 v57, 0xff, v129
	s_delay_alu instid0(VALU_DEP_3) | instskip(NEXT) | instid1(VALU_DEP_3)
	v_add_co_u32 v1, vcc_lo, v1, v54
	v_add_co_ci_u32_e32 v3, vcc_lo, 0, v3, vcc_lo
	v_mbcnt_lo_u32_b32 v58, -1, 0
	s_delay_alu instid0(VALU_DEP_3) | instskip(NEXT) | instid1(VALU_DEP_3)
	v_add_co_u32 v1, vcc_lo, v1, v55
	v_add_co_ci_u32_e32 v3, vcc_lo, 0, v3, vcc_lo
	v_and_b32_e32 v46, 0xff, v130
	s_delay_alu instid0(VALU_DEP_3) | instskip(NEXT) | instid1(VALU_DEP_3)
	v_add_co_u32 v1, vcc_lo, v1, v56
	v_add_co_ci_u32_e32 v3, vcc_lo, 0, v3, vcc_lo
	v_and_b32_e32 v59, 15, v58
	s_delay_alu instid0(VALU_DEP_3) | instskip(NEXT) | instid1(VALU_DEP_3)
	v_add_co_u32 v1, vcc_lo, v1, v57
	v_add_co_ci_u32_e32 v3, vcc_lo, 0, v3, vcc_lo
	s_delay_alu instid0(VALU_DEP_3) | instskip(NEXT) | instid1(VALU_DEP_3)
	v_cmp_ne_u32_e64 s0, 0, v59
	v_add_co_u32 v26, vcc_lo, v1, v46
	s_delay_alu instid0(VALU_DEP_3)
	v_add_co_ci_u32_e32 v27, vcc_lo, 0, v3, vcc_lo
	s_cmp_lg_u32 s4, 0
	s_mov_b32 s1, -1
	s_cbranch_scc0 .LBB342_137
; %bb.73:
	v_mov_b32_e32 v3, v26
	v_mov_b32_dpp v1, v26 row_shr:1 row_mask:0xf bank_mask:0xf
	v_mov_b32_dpp v6, v2 row_shr:1 row_mask:0xf bank_mask:0xf
	v_dual_mov_b32 v5, v26 :: v_dual_mov_b32 v4, v27
	s_and_saveexec_b32 s1, s0
; %bb.74:
	s_delay_alu instid0(VALU_DEP_3) | instskip(SKIP_1) | instid1(VALU_DEP_2)
	v_add_co_u32 v5, vcc_lo, v26, v1
	v_add_co_ci_u32_e32 v2, vcc_lo, 0, v27, vcc_lo
	v_add_co_u32 v1, vcc_lo, 0, v5
	s_delay_alu instid0(VALU_DEP_2) | instskip(NEXT) | instid1(VALU_DEP_1)
	v_add_co_ci_u32_e32 v2, vcc_lo, v6, v2, vcc_lo
	v_dual_mov_b32 v4, v2 :: v_dual_mov_b32 v3, v1
; %bb.75:
	s_or_b32 exec_lo, exec_lo, s1
	v_mov_b32_dpp v1, v5 row_shr:2 row_mask:0xf bank_mask:0xf
	v_mov_b32_dpp v6, v2 row_shr:2 row_mask:0xf bank_mask:0xf
	s_mov_b32 s1, exec_lo
	v_cmpx_lt_u32_e32 1, v59
; %bb.76:
	s_delay_alu instid0(VALU_DEP_3) | instskip(SKIP_1) | instid1(VALU_DEP_2)
	v_add_co_u32 v5, vcc_lo, v3, v1
	v_add_co_ci_u32_e32 v2, vcc_lo, 0, v4, vcc_lo
	v_add_co_u32 v1, vcc_lo, 0, v5
	s_delay_alu instid0(VALU_DEP_2) | instskip(NEXT) | instid1(VALU_DEP_1)
	v_add_co_ci_u32_e32 v2, vcc_lo, v6, v2, vcc_lo
	v_dual_mov_b32 v4, v2 :: v_dual_mov_b32 v3, v1
; %bb.77:
	s_or_b32 exec_lo, exec_lo, s1
	v_mov_b32_dpp v1, v5 row_shr:4 row_mask:0xf bank_mask:0xf
	v_mov_b32_dpp v6, v2 row_shr:4 row_mask:0xf bank_mask:0xf
	s_mov_b32 s1, exec_lo
	v_cmpx_lt_u32_e32 3, v59
; %bb.78:
	s_delay_alu instid0(VALU_DEP_3) | instskip(SKIP_1) | instid1(VALU_DEP_2)
	v_add_co_u32 v5, vcc_lo, v3, v1
	v_add_co_ci_u32_e32 v2, vcc_lo, 0, v4, vcc_lo
	v_add_co_u32 v1, vcc_lo, 0, v5
	s_delay_alu instid0(VALU_DEP_2) | instskip(NEXT) | instid1(VALU_DEP_1)
	v_add_co_ci_u32_e32 v2, vcc_lo, v6, v2, vcc_lo
	v_dual_mov_b32 v4, v2 :: v_dual_mov_b32 v3, v1
; %bb.79:
	s_or_b32 exec_lo, exec_lo, s1
	v_mov_b32_dpp v6, v5 row_shr:8 row_mask:0xf bank_mask:0xf
	v_mov_b32_dpp v1, v2 row_shr:8 row_mask:0xf bank_mask:0xf
	s_mov_b32 s1, exec_lo
	v_cmpx_lt_u32_e32 7, v59
; %bb.80:
	s_delay_alu instid0(VALU_DEP_3) | instskip(SKIP_1) | instid1(VALU_DEP_2)
	v_add_co_u32 v5, vcc_lo, v3, v6
	v_add_co_ci_u32_e32 v2, vcc_lo, 0, v4, vcc_lo
	v_add_co_u32 v3, vcc_lo, 0, v5
	s_delay_alu instid0(VALU_DEP_2) | instskip(NEXT) | instid1(VALU_DEP_1)
	v_add_co_ci_u32_e32 v4, vcc_lo, v1, v2, vcc_lo
	v_mov_b32_e32 v2, v4
; %bb.81:
	s_or_b32 exec_lo, exec_lo, s1
	ds_swizzle_b32 v1, v5 offset:swizzle(BROADCAST,32,15)
	ds_swizzle_b32 v6, v2 offset:swizzle(BROADCAST,32,15)
	v_and_b32_e32 v7, 16, v58
	s_mov_b32 s1, exec_lo
	s_delay_alu instid0(VALU_DEP_1)
	v_cmpx_ne_u32_e32 0, v7
	s_cbranch_execz .LBB342_83
; %bb.82:
	s_waitcnt lgkmcnt(1)
	v_add_co_u32 v5, vcc_lo, v3, v1
	v_add_co_ci_u32_e32 v2, vcc_lo, 0, v4, vcc_lo
	s_delay_alu instid0(VALU_DEP_2) | instskip(SKIP_1) | instid1(VALU_DEP_2)
	v_add_co_u32 v1, vcc_lo, 0, v5
	s_waitcnt lgkmcnt(0)
	v_add_co_ci_u32_e32 v2, vcc_lo, v6, v2, vcc_lo
	s_delay_alu instid0(VALU_DEP_1)
	v_dual_mov_b32 v4, v2 :: v_dual_mov_b32 v3, v1
.LBB342_83:
	s_or_b32 exec_lo, exec_lo, s1
	s_waitcnt lgkmcnt(0)
	v_or_b32_e32 v6, 31, v0
	v_lshrrev_b32_e32 v1, 5, v0
	s_mov_b32 s1, exec_lo
	s_delay_alu instid0(VALU_DEP_2)
	v_cmpx_eq_u32_e64 v6, v0
	s_cbranch_execz .LBB342_85
; %bb.84:
	s_delay_alu instid0(VALU_DEP_2)
	v_lshlrev_b32_e32 v6, 3, v1
	ds_store_b64 v6, v[3:4]
.LBB342_85:
	s_or_b32 exec_lo, exec_lo, s1
	s_delay_alu instid0(SALU_CYCLE_1)
	s_mov_b32 s1, exec_lo
	s_waitcnt lgkmcnt(0)
	s_barrier
	buffer_gl0_inv
	v_cmpx_gt_u32_e32 4, v0
	s_cbranch_execz .LBB342_91
; %bb.86:
	v_lshlrev_b32_e32 v6, 3, v0
	s_mov_b32 s6, exec_lo
	ds_load_b64 v[3:4], v6
	s_waitcnt lgkmcnt(0)
	v_dual_mov_b32 v8, v3 :: v_dual_and_b32 v7, 3, v58
	v_mov_b32_dpp v29, v3 row_shr:1 row_mask:0xf bank_mask:0xf
	v_mov_b32_dpp v28, v4 row_shr:1 row_mask:0xf bank_mask:0xf
	s_delay_alu instid0(VALU_DEP_3)
	v_cmpx_ne_u32_e32 0, v7
; %bb.87:
	s_delay_alu instid0(VALU_DEP_3) | instskip(SKIP_1) | instid1(VALU_DEP_2)
	v_add_co_u32 v8, vcc_lo, v3, v29
	v_add_co_ci_u32_e32 v4, vcc_lo, 0, v4, vcc_lo
	v_add_co_u32 v3, vcc_lo, 0, v8
	s_delay_alu instid0(VALU_DEP_2)
	v_add_co_ci_u32_e32 v4, vcc_lo, v28, v4, vcc_lo
; %bb.88:
	s_or_b32 exec_lo, exec_lo, s6
	v_mov_b32_dpp v28, v8 row_shr:2 row_mask:0xf bank_mask:0xf
	s_delay_alu instid0(VALU_DEP_2)
	v_mov_b32_dpp v8, v4 row_shr:2 row_mask:0xf bank_mask:0xf
	s_mov_b32 s6, exec_lo
	v_cmpx_lt_u32_e32 1, v7
; %bb.89:
	s_delay_alu instid0(VALU_DEP_3) | instskip(SKIP_1) | instid1(VALU_DEP_2)
	v_add_co_u32 v3, vcc_lo, v3, v28
	v_add_co_ci_u32_e32 v4, vcc_lo, 0, v4, vcc_lo
	v_add_co_u32 v3, vcc_lo, v3, 0
	s_delay_alu instid0(VALU_DEP_2)
	v_add_co_ci_u32_e32 v4, vcc_lo, v4, v8, vcc_lo
; %bb.90:
	s_or_b32 exec_lo, exec_lo, s6
	ds_store_b64 v6, v[3:4]
.LBB342_91:
	s_or_b32 exec_lo, exec_lo, s1
	v_cmp_gt_u32_e32 vcc_lo, 32, v0
	s_mov_b32 s6, exec_lo
	s_waitcnt lgkmcnt(0)
	s_barrier
	buffer_gl0_inv
                                        ; implicit-def: $vgpr28_vgpr29
	v_cmpx_lt_u32_e32 31, v0
	s_cbranch_execz .LBB342_93
; %bb.92:
	v_lshl_add_u32 v1, v1, 3, -8
	ds_load_b64 v[28:29], v1
	s_waitcnt lgkmcnt(0)
	v_add_co_u32 v5, s1, v5, v28
	s_delay_alu instid0(VALU_DEP_1)
	v_add_co_ci_u32_e64 v2, s1, v2, v29, s1
.LBB342_93:
	s_or_b32 exec_lo, exec_lo, s6
	v_add_nc_u32_e32 v1, -1, v58
	s_delay_alu instid0(VALU_DEP_1) | instskip(NEXT) | instid1(VALU_DEP_1)
	v_cmp_gt_i32_e64 s1, 0, v1
	v_cndmask_b32_e64 v1, v1, v58, s1
	v_cmp_eq_u32_e64 s1, 0, v58
	s_delay_alu instid0(VALU_DEP_2)
	v_lshlrev_b32_e32 v1, 2, v1
	ds_bpermute_b32 v60, v1, v5
	ds_bpermute_b32 v61, v1, v2
	s_and_saveexec_b32 s6, vcc_lo
	s_cbranch_execz .LBB342_136
; %bb.94:
	v_mov_b32_e32 v4, 0
	ds_load_b64 v[1:2], v4 offset:24
	s_and_saveexec_b32 s7, s1
	s_cbranch_execz .LBB342_96
; %bb.95:
	s_add_i32 s10, s4, 32
	s_mov_b32 s11, 0
	s_delay_alu instid0(SALU_CYCLE_1) | instskip(NEXT) | instid1(SALU_CYCLE_1)
	s_lshl_b64 s[10:11], s[10:11], 4
	s_add_u32 s10, s14, s10
	s_addc_u32 s11, s15, s11
	v_mov_b32_e32 v5, s10
	v_dual_mov_b32 v3, 1 :: v_dual_mov_b32 v6, s11
	s_waitcnt lgkmcnt(0)
	;;#ASMSTART
	global_store_dwordx4 v[5:6], v[1:4] off	
s_waitcnt vmcnt(0)
	;;#ASMEND
.LBB342_96:
	s_or_b32 exec_lo, exec_lo, s7
	v_xad_u32 v30, v58, -1, s4
	s_mov_b32 s10, 0
	s_mov_b32 s7, exec_lo
	s_delay_alu instid0(VALU_DEP_1) | instskip(NEXT) | instid1(VALU_DEP_1)
	v_add_nc_u32_e32 v3, 32, v30
	v_lshlrev_b64 v[3:4], 4, v[3:4]
	s_delay_alu instid0(VALU_DEP_1) | instskip(NEXT) | instid1(VALU_DEP_2)
	v_add_co_u32 v3, vcc_lo, s14, v3
	v_add_co_ci_u32_e32 v4, vcc_lo, s15, v4, vcc_lo
	;;#ASMSTART
	global_load_dwordx4 v[5:8], v[3:4] off glc	
s_waitcnt vmcnt(0)
	;;#ASMEND
	v_and_b32_e32 v8, 0xff, v6
	v_and_b32_e32 v31, 0xff00, v6
	v_or3_b32 v5, v5, 0, 0
	v_and_b32_e32 v32, 0xff000000, v6
	v_and_b32_e32 v6, 0xff0000, v6
	s_delay_alu instid0(VALU_DEP_4) | instskip(SKIP_2) | instid1(VALU_DEP_3)
	v_or3_b32 v8, 0, v8, v31
	v_and_b32_e32 v31, 0xff, v7
	v_or3_b32 v5, v5, 0, 0
	v_or3_b32 v6, v8, v6, v32
	s_delay_alu instid0(VALU_DEP_3)
	v_cmpx_eq_u16_e32 0, v31
	s_cbranch_execz .LBB342_102
; %bb.97:
	s_mov_b32 s11, 1
	.p2align	6
.LBB342_98:                             ; =>This Loop Header: Depth=1
                                        ;     Child Loop BB342_99 Depth 2
	s_delay_alu instid0(SALU_CYCLE_1)
	s_max_u32 s16, s11, 1
.LBB342_99:                             ;   Parent Loop BB342_98 Depth=1
                                        ; =>  This Inner Loop Header: Depth=2
	s_delay_alu instid0(SALU_CYCLE_1)
	s_add_i32 s16, s16, -1
	s_sleep 1
	s_cmp_eq_u32 s16, 0
	s_cbranch_scc0 .LBB342_99
; %bb.100:                              ;   in Loop: Header=BB342_98 Depth=1
	;;#ASMSTART
	global_load_dwordx4 v[5:8], v[3:4] off glc	
s_waitcnt vmcnt(0)
	;;#ASMEND
	v_and_b32_e32 v8, 0xff, v7
	s_cmp_lt_u32 s11, 32
	s_cselect_b32 s16, -1, 0
	s_delay_alu instid0(SALU_CYCLE_1) | instskip(NEXT) | instid1(VALU_DEP_1)
	s_cmp_lg_u32 s16, 0
	v_cmp_ne_u16_e32 vcc_lo, 0, v8
	s_addc_u32 s11, s11, 0
	s_or_b32 s10, vcc_lo, s10
	s_delay_alu instid0(SALU_CYCLE_1)
	s_and_not1_b32 exec_lo, exec_lo, s10
	s_cbranch_execnz .LBB342_98
; %bb.101:
	s_or_b32 exec_lo, exec_lo, s10
.LBB342_102:
	s_delay_alu instid0(SALU_CYCLE_1)
	s_or_b32 exec_lo, exec_lo, s7
	v_cmp_ne_u32_e32 vcc_lo, 31, v58
	v_and_b32_e32 v4, 0xff, v7
	v_lshlrev_b32_e64 v63, v58, -1
	s_mov_b32 s7, exec_lo
	v_add_co_ci_u32_e32 v3, vcc_lo, 0, v58, vcc_lo
	s_delay_alu instid0(VALU_DEP_3) | instskip(SKIP_1) | instid1(VALU_DEP_3)
	v_cmp_eq_u16_e32 vcc_lo, 2, v4
	v_mov_b32_e32 v4, v5
	v_lshlrev_b32_e32 v62, 2, v3
	v_and_or_b32 v3, vcc_lo, v63, 0x80000000
	ds_bpermute_b32 v31, v62, v5
	ds_bpermute_b32 v8, v62, v6
	v_ctz_i32_b32_e32 v3, v3
	s_delay_alu instid0(VALU_DEP_1)
	v_cmpx_lt_u32_e64 v58, v3
	s_cbranch_execz .LBB342_104
; %bb.103:
	s_waitcnt lgkmcnt(1)
	v_add_co_u32 v4, vcc_lo, v5, v31
	v_add_co_ci_u32_e32 v6, vcc_lo, 0, v6, vcc_lo
	s_delay_alu instid0(VALU_DEP_2) | instskip(SKIP_1) | instid1(VALU_DEP_2)
	v_add_co_u32 v5, vcc_lo, 0, v4
	s_waitcnt lgkmcnt(0)
	v_add_co_ci_u32_e32 v6, vcc_lo, v8, v6, vcc_lo
.LBB342_104:
	s_or_b32 exec_lo, exec_lo, s7
	v_cmp_gt_u32_e32 vcc_lo, 30, v58
	v_add_nc_u32_e32 v65, 2, v58
	s_mov_b32 s7, exec_lo
	s_waitcnt lgkmcnt(0)
	v_cndmask_b32_e64 v8, 0, 1, vcc_lo
	s_delay_alu instid0(VALU_DEP_1) | instskip(NEXT) | instid1(VALU_DEP_1)
	v_lshlrev_b32_e32 v8, 1, v8
	v_add_lshl_u32 v64, v8, v58, 2
	ds_bpermute_b32 v31, v64, v4
	ds_bpermute_b32 v8, v64, v6
	v_cmpx_le_u32_e64 v65, v3
	s_cbranch_execz .LBB342_106
; %bb.105:
	s_waitcnt lgkmcnt(1)
	v_add_co_u32 v4, vcc_lo, v5, v31
	v_add_co_ci_u32_e32 v6, vcc_lo, 0, v6, vcc_lo
	s_delay_alu instid0(VALU_DEP_2) | instskip(SKIP_1) | instid1(VALU_DEP_2)
	v_add_co_u32 v5, vcc_lo, 0, v4
	s_waitcnt lgkmcnt(0)
	v_add_co_ci_u32_e32 v6, vcc_lo, v8, v6, vcc_lo
.LBB342_106:
	s_or_b32 exec_lo, exec_lo, s7
	v_cmp_gt_u32_e32 vcc_lo, 28, v58
	v_add_nc_u32_e32 v67, 4, v58
	s_mov_b32 s7, exec_lo
	s_waitcnt lgkmcnt(0)
	v_cndmask_b32_e64 v8, 0, 1, vcc_lo
	s_delay_alu instid0(VALU_DEP_1) | instskip(NEXT) | instid1(VALU_DEP_1)
	v_lshlrev_b32_e32 v8, 2, v8
	v_add_lshl_u32 v66, v8, v58, 2
	ds_bpermute_b32 v31, v66, v4
	ds_bpermute_b32 v8, v66, v6
	v_cmpx_le_u32_e64 v67, v3
	;; [unrolled: 22-line block ×4, first 2 shown]
	s_cbranch_execz .LBB342_112
; %bb.111:
	s_waitcnt lgkmcnt(1)
	v_add_co_u32 v3, vcc_lo, v5, v8
	v_add_co_ci_u32_e32 v6, vcc_lo, 0, v6, vcc_lo
	s_delay_alu instid0(VALU_DEP_2) | instskip(SKIP_1) | instid1(VALU_DEP_2)
	v_add_co_u32 v5, vcc_lo, v3, 0
	s_waitcnt lgkmcnt(0)
	v_add_co_ci_u32_e32 v6, vcc_lo, v6, v4, vcc_lo
.LBB342_112:
	s_or_b32 exec_lo, exec_lo, s7
	v_mov_b32_e32 v31, 0
	s_branch .LBB342_114
.LBB342_113:                            ;   in Loop: Header=BB342_114 Depth=1
	s_or_b32 exec_lo, exec_lo, s7
	v_add_co_u32 v5, vcc_lo, v5, v3
	v_subrev_nc_u32_e32 v30, 32, v30
	v_add_co_ci_u32_e32 v6, vcc_lo, v6, v4, vcc_lo
.LBB342_114:                            ; =>This Loop Header: Depth=1
                                        ;     Child Loop BB342_117 Depth 2
                                        ;       Child Loop BB342_118 Depth 3
	v_and_b32_e32 v3, 0xff, v7
	s_delay_alu instid0(VALU_DEP_1) | instskip(SKIP_2) | instid1(VALU_DEP_1)
	v_cmp_ne_u16_e32 vcc_lo, 2, v3
	v_cndmask_b32_e64 v3, 0, 1, vcc_lo
	;;#ASMSTART
	;;#ASMEND
	v_cmp_ne_u32_e32 vcc_lo, 0, v3
	s_waitcnt lgkmcnt(0)
	v_dual_mov_b32 v3, v5 :: v_dual_mov_b32 v4, v6
	s_cmp_lg_u32 vcc_lo, exec_lo
	s_cbranch_scc1 .LBB342_131
; %bb.115:                              ;   in Loop: Header=BB342_114 Depth=1
	v_lshlrev_b64 v[5:6], 4, v[30:31]
	s_mov_b32 s7, exec_lo
	s_delay_alu instid0(VALU_DEP_1) | instskip(NEXT) | instid1(VALU_DEP_2)
	v_add_co_u32 v32, vcc_lo, s14, v5
	v_add_co_ci_u32_e32 v33, vcc_lo, s15, v6, vcc_lo
	;;#ASMSTART
	global_load_dwordx4 v[5:8], v[32:33] off glc	
s_waitcnt vmcnt(0)
	;;#ASMEND
	v_and_b32_e32 v8, 0xff, v6
	v_and_b32_e32 v72, 0xff00, v6
	v_or3_b32 v5, v5, 0, 0
	v_and_b32_e32 v73, 0xff000000, v6
	v_and_b32_e32 v6, 0xff0000, v6
	s_delay_alu instid0(VALU_DEP_4) | instskip(SKIP_2) | instid1(VALU_DEP_3)
	v_or3_b32 v8, 0, v8, v72
	v_and_b32_e32 v72, 0xff, v7
	v_or3_b32 v5, v5, 0, 0
	v_or3_b32 v6, v8, v6, v73
	s_delay_alu instid0(VALU_DEP_3)
	v_cmpx_eq_u16_e32 0, v72
	s_cbranch_execz .LBB342_121
; %bb.116:                              ;   in Loop: Header=BB342_114 Depth=1
	s_mov_b32 s11, 1
	s_mov_b32 s10, 0
	.p2align	6
.LBB342_117:                            ;   Parent Loop BB342_114 Depth=1
                                        ; =>  This Loop Header: Depth=2
                                        ;       Child Loop BB342_118 Depth 3
	s_max_u32 s16, s11, 1
.LBB342_118:                            ;   Parent Loop BB342_114 Depth=1
                                        ;     Parent Loop BB342_117 Depth=2
                                        ; =>    This Inner Loop Header: Depth=3
	s_delay_alu instid0(SALU_CYCLE_1)
	s_add_i32 s16, s16, -1
	s_sleep 1
	s_cmp_eq_u32 s16, 0
	s_cbranch_scc0 .LBB342_118
; %bb.119:                              ;   in Loop: Header=BB342_117 Depth=2
	;;#ASMSTART
	global_load_dwordx4 v[5:8], v[32:33] off glc	
s_waitcnt vmcnt(0)
	;;#ASMEND
	v_and_b32_e32 v8, 0xff, v7
	s_cmp_lt_u32 s11, 32
	s_cselect_b32 s16, -1, 0
	s_delay_alu instid0(SALU_CYCLE_1) | instskip(NEXT) | instid1(VALU_DEP_1)
	s_cmp_lg_u32 s16, 0
	v_cmp_ne_u16_e32 vcc_lo, 0, v8
	s_addc_u32 s11, s11, 0
	s_or_b32 s10, vcc_lo, s10
	s_delay_alu instid0(SALU_CYCLE_1)
	s_and_not1_b32 exec_lo, exec_lo, s10
	s_cbranch_execnz .LBB342_117
; %bb.120:                              ;   in Loop: Header=BB342_114 Depth=1
	s_or_b32 exec_lo, exec_lo, s10
.LBB342_121:                            ;   in Loop: Header=BB342_114 Depth=1
	s_delay_alu instid0(SALU_CYCLE_1)
	s_or_b32 exec_lo, exec_lo, s7
	v_and_b32_e32 v8, 0xff, v7
	ds_bpermute_b32 v72, v62, v5
	ds_bpermute_b32 v33, v62, v6
	v_mov_b32_e32 v32, v5
	s_mov_b32 s7, exec_lo
	v_cmp_eq_u16_e32 vcc_lo, 2, v8
	v_and_or_b32 v8, vcc_lo, v63, 0x80000000
	s_delay_alu instid0(VALU_DEP_1) | instskip(NEXT) | instid1(VALU_DEP_1)
	v_ctz_i32_b32_e32 v8, v8
	v_cmpx_lt_u32_e64 v58, v8
	s_cbranch_execz .LBB342_123
; %bb.122:                              ;   in Loop: Header=BB342_114 Depth=1
	s_waitcnt lgkmcnt(1)
	v_add_co_u32 v32, vcc_lo, v5, v72
	v_add_co_ci_u32_e32 v6, vcc_lo, 0, v6, vcc_lo
	s_delay_alu instid0(VALU_DEP_2) | instskip(SKIP_1) | instid1(VALU_DEP_2)
	v_add_co_u32 v5, vcc_lo, 0, v32
	s_waitcnt lgkmcnt(0)
	v_add_co_ci_u32_e32 v6, vcc_lo, v33, v6, vcc_lo
.LBB342_123:                            ;   in Loop: Header=BB342_114 Depth=1
	s_or_b32 exec_lo, exec_lo, s7
	s_waitcnt lgkmcnt(1)
	ds_bpermute_b32 v72, v64, v32
	s_waitcnt lgkmcnt(1)
	ds_bpermute_b32 v33, v64, v6
	s_mov_b32 s7, exec_lo
	v_cmpx_le_u32_e64 v65, v8
	s_cbranch_execz .LBB342_125
; %bb.124:                              ;   in Loop: Header=BB342_114 Depth=1
	s_waitcnt lgkmcnt(1)
	v_add_co_u32 v32, vcc_lo, v5, v72
	v_add_co_ci_u32_e32 v6, vcc_lo, 0, v6, vcc_lo
	s_delay_alu instid0(VALU_DEP_2) | instskip(SKIP_1) | instid1(VALU_DEP_2)
	v_add_co_u32 v5, vcc_lo, 0, v32
	s_waitcnt lgkmcnt(0)
	v_add_co_ci_u32_e32 v6, vcc_lo, v33, v6, vcc_lo
.LBB342_125:                            ;   in Loop: Header=BB342_114 Depth=1
	s_or_b32 exec_lo, exec_lo, s7
	s_waitcnt lgkmcnt(1)
	ds_bpermute_b32 v72, v66, v32
	s_waitcnt lgkmcnt(1)
	ds_bpermute_b32 v33, v66, v6
	s_mov_b32 s7, exec_lo
	v_cmpx_le_u32_e64 v67, v8
	s_cbranch_execz .LBB342_127
; %bb.126:                              ;   in Loop: Header=BB342_114 Depth=1
	s_waitcnt lgkmcnt(1)
	v_add_co_u32 v32, vcc_lo, v5, v72
	v_add_co_ci_u32_e32 v6, vcc_lo, 0, v6, vcc_lo
	s_delay_alu instid0(VALU_DEP_2) | instskip(SKIP_1) | instid1(VALU_DEP_2)
	v_add_co_u32 v5, vcc_lo, 0, v32
	s_waitcnt lgkmcnt(0)
	v_add_co_ci_u32_e32 v6, vcc_lo, v33, v6, vcc_lo
.LBB342_127:                            ;   in Loop: Header=BB342_114 Depth=1
	s_or_b32 exec_lo, exec_lo, s7
	s_waitcnt lgkmcnt(1)
	ds_bpermute_b32 v72, v68, v32
	s_waitcnt lgkmcnt(1)
	ds_bpermute_b32 v33, v68, v6
	s_mov_b32 s7, exec_lo
	v_cmpx_le_u32_e64 v69, v8
	s_cbranch_execz .LBB342_129
; %bb.128:                              ;   in Loop: Header=BB342_114 Depth=1
	s_waitcnt lgkmcnt(1)
	v_add_co_u32 v32, vcc_lo, v5, v72
	v_add_co_ci_u32_e32 v6, vcc_lo, 0, v6, vcc_lo
	s_delay_alu instid0(VALU_DEP_2) | instskip(SKIP_1) | instid1(VALU_DEP_2)
	v_add_co_u32 v5, vcc_lo, 0, v32
	s_waitcnt lgkmcnt(0)
	v_add_co_ci_u32_e32 v6, vcc_lo, v33, v6, vcc_lo
.LBB342_129:                            ;   in Loop: Header=BB342_114 Depth=1
	s_or_b32 exec_lo, exec_lo, s7
	s_waitcnt lgkmcnt(0)
	ds_bpermute_b32 v33, v70, v32
	ds_bpermute_b32 v32, v70, v6
	s_mov_b32 s7, exec_lo
	v_cmpx_le_u32_e64 v71, v8
	s_cbranch_execz .LBB342_113
; %bb.130:                              ;   in Loop: Header=BB342_114 Depth=1
	s_waitcnt lgkmcnt(1)
	v_add_co_u32 v5, vcc_lo, v5, v33
	v_add_co_ci_u32_e32 v6, vcc_lo, 0, v6, vcc_lo
	s_delay_alu instid0(VALU_DEP_2) | instskip(SKIP_1) | instid1(VALU_DEP_2)
	v_add_co_u32 v5, vcc_lo, v5, 0
	s_waitcnt lgkmcnt(0)
	v_add_co_ci_u32_e32 v6, vcc_lo, v6, v32, vcc_lo
	s_branch .LBB342_113
.LBB342_131:                            ;   in Loop: Header=BB342_114 Depth=1
                                        ; implicit-def: $vgpr5_vgpr6
	s_cbranch_execz .LBB342_114
; %bb.132:
	s_and_saveexec_b32 s7, s1
	s_cbranch_execz .LBB342_134
; %bb.133:
	s_add_i32 s10, s4, 32
	s_mov_b32 s11, 0
	v_add_co_u32 v5, vcc_lo, v3, v1
	s_lshl_b64 s[10:11], s[10:11], 4
	v_dual_mov_b32 v7, 2 :: v_dual_mov_b32 v8, 0
	s_add_u32 s10, s14, s10
	s_addc_u32 s11, s15, s11
	v_add_co_ci_u32_e32 v6, vcc_lo, v4, v2, vcc_lo
	v_dual_mov_b32 v31, s11 :: v_dual_mov_b32 v30, s10
	;;#ASMSTART
	global_store_dwordx4 v[30:31], v[5:8] off	
s_waitcnt vmcnt(0)
	;;#ASMEND
	ds_store_b128 v8, v[1:4] offset:7680
.LBB342_134:
	s_or_b32 exec_lo, exec_lo, s7
	s_delay_alu instid0(SALU_CYCLE_1)
	s_and_b32 exec_lo, exec_lo, s2
	s_cbranch_execz .LBB342_136
; %bb.135:
	v_mov_b32_e32 v1, 0
	ds_store_b64 v1, v[3:4] offset:24
.LBB342_136:
	s_or_b32 exec_lo, exec_lo, s6
	v_mov_b32_e32 v3, 0
	s_waitcnt lgkmcnt(0)
	s_barrier
	buffer_gl0_inv
	v_cndmask_b32_e64 v8, v61, v29, s1
	ds_load_b64 v[1:2], v3 offset:24
	s_waitcnt lgkmcnt(0)
	s_barrier
	buffer_gl0_inv
	ds_load_b128 v[4:7], v3 offset:7680
	v_cndmask_b32_e64 v3, v60, v28, s1
	v_cndmask_b32_e64 v8, v8, 0, s2
	s_delay_alu instid0(VALU_DEP_2) | instskip(NEXT) | instid1(VALU_DEP_1)
	v_cndmask_b32_e64 v3, v3, 0, s2
	v_add_co_u32 v74, vcc_lo, v1, v3
	s_delay_alu instid0(VALU_DEP_3)
	v_add_co_ci_u32_e32 v75, vcc_lo, v2, v8, vcc_lo
	s_branch .LBB342_161
.LBB342_137:
                                        ; implicit-def: $vgpr6_vgpr7
                                        ; implicit-def: $vgpr74_vgpr75
	s_and_b32 vcc_lo, exec_lo, s1
	s_cbranch_vccz .LBB342_161
; %bb.138:
	v_dual_mov_b32 v2, 0 :: v_dual_mov_b32 v3, v26
	s_waitcnt lgkmcnt(0)
	v_mov_b32_dpp v4, v26 row_shr:1 row_mask:0xf bank_mask:0xf
	s_delay_alu instid0(VALU_DEP_2)
	v_mov_b32_dpp v1, v2 row_shr:1 row_mask:0xf bank_mask:0xf
	s_and_saveexec_b32 s1, s0
; %bb.139:
	s_delay_alu instid0(VALU_DEP_2) | instskip(SKIP_1) | instid1(VALU_DEP_2)
	v_add_co_u32 v3, vcc_lo, v26, v4
	v_add_co_ci_u32_e32 v2, vcc_lo, 0, v27, vcc_lo
	v_add_co_u32 v26, vcc_lo, 0, v3
	s_delay_alu instid0(VALU_DEP_2) | instskip(NEXT) | instid1(VALU_DEP_1)
	v_add_co_ci_u32_e32 v27, vcc_lo, v1, v2, vcc_lo
	v_mov_b32_e32 v2, v27
; %bb.140:
	s_or_b32 exec_lo, exec_lo, s1
	v_mov_b32_dpp v1, v3 row_shr:2 row_mask:0xf bank_mask:0xf
	s_delay_alu instid0(VALU_DEP_2)
	v_mov_b32_dpp v4, v2 row_shr:2 row_mask:0xf bank_mask:0xf
	s_mov_b32 s0, exec_lo
	v_cmpx_lt_u32_e32 1, v59
; %bb.141:
	s_delay_alu instid0(VALU_DEP_3) | instskip(SKIP_1) | instid1(VALU_DEP_2)
	v_add_co_u32 v3, vcc_lo, v26, v1
	v_add_co_ci_u32_e32 v2, vcc_lo, 0, v27, vcc_lo
	v_add_co_u32 v1, vcc_lo, 0, v3
	s_delay_alu instid0(VALU_DEP_2) | instskip(NEXT) | instid1(VALU_DEP_1)
	v_add_co_ci_u32_e32 v2, vcc_lo, v4, v2, vcc_lo
	v_dual_mov_b32 v27, v2 :: v_dual_mov_b32 v26, v1
; %bb.142:
	s_or_b32 exec_lo, exec_lo, s0
	v_mov_b32_dpp v1, v3 row_shr:4 row_mask:0xf bank_mask:0xf
	v_mov_b32_dpp v4, v2 row_shr:4 row_mask:0xf bank_mask:0xf
	s_mov_b32 s0, exec_lo
	v_cmpx_lt_u32_e32 3, v59
; %bb.143:
	s_delay_alu instid0(VALU_DEP_3) | instskip(SKIP_1) | instid1(VALU_DEP_2)
	v_add_co_u32 v3, vcc_lo, v26, v1
	v_add_co_ci_u32_e32 v2, vcc_lo, 0, v27, vcc_lo
	v_add_co_u32 v1, vcc_lo, 0, v3
	s_delay_alu instid0(VALU_DEP_2) | instskip(NEXT) | instid1(VALU_DEP_1)
	v_add_co_ci_u32_e32 v2, vcc_lo, v4, v2, vcc_lo
	v_dual_mov_b32 v27, v2 :: v_dual_mov_b32 v26, v1
; %bb.144:
	s_or_b32 exec_lo, exec_lo, s0
	v_mov_b32_dpp v4, v3 row_shr:8 row_mask:0xf bank_mask:0xf
	v_mov_b32_dpp v1, v2 row_shr:8 row_mask:0xf bank_mask:0xf
	s_mov_b32 s0, exec_lo
	v_cmpx_lt_u32_e32 7, v59
; %bb.145:
	s_delay_alu instid0(VALU_DEP_3) | instskip(SKIP_1) | instid1(VALU_DEP_2)
	v_add_co_u32 v3, vcc_lo, v26, v4
	v_add_co_ci_u32_e32 v2, vcc_lo, 0, v27, vcc_lo
	v_add_co_u32 v26, vcc_lo, 0, v3
	s_delay_alu instid0(VALU_DEP_2) | instskip(NEXT) | instid1(VALU_DEP_1)
	v_add_co_ci_u32_e32 v27, vcc_lo, v1, v2, vcc_lo
	v_mov_b32_e32 v2, v27
; %bb.146:
	s_or_b32 exec_lo, exec_lo, s0
	ds_swizzle_b32 v3, v3 offset:swizzle(BROADCAST,32,15)
	ds_swizzle_b32 v1, v2 offset:swizzle(BROADCAST,32,15)
	v_and_b32_e32 v2, 16, v58
	s_mov_b32 s0, exec_lo
	s_delay_alu instid0(VALU_DEP_1)
	v_cmpx_ne_u32_e32 0, v2
	s_cbranch_execz .LBB342_148
; %bb.147:
	s_waitcnt lgkmcnt(1)
	v_add_co_u32 v2, vcc_lo, v26, v3
	v_add_co_ci_u32_e32 v3, vcc_lo, 0, v27, vcc_lo
	s_delay_alu instid0(VALU_DEP_2) | instskip(SKIP_1) | instid1(VALU_DEP_2)
	v_add_co_u32 v26, vcc_lo, v2, 0
	s_waitcnt lgkmcnt(0)
	v_add_co_ci_u32_e32 v27, vcc_lo, v3, v1, vcc_lo
.LBB342_148:
	s_or_b32 exec_lo, exec_lo, s0
	s_waitcnt lgkmcnt(0)
	v_or_b32_e32 v1, 31, v0
	v_lshrrev_b32_e32 v3, 5, v0
	s_mov_b32 s0, exec_lo
	s_delay_alu instid0(VALU_DEP_2)
	v_cmpx_eq_u32_e64 v1, v0
	s_cbranch_execz .LBB342_150
; %bb.149:
	s_delay_alu instid0(VALU_DEP_2)
	v_lshlrev_b32_e32 v1, 3, v3
	ds_store_b64 v1, v[26:27]
.LBB342_150:
	s_or_b32 exec_lo, exec_lo, s0
	s_delay_alu instid0(SALU_CYCLE_1)
	s_mov_b32 s0, exec_lo
	s_waitcnt lgkmcnt(0)
	s_barrier
	buffer_gl0_inv
	v_cmpx_gt_u32_e32 4, v0
	s_cbranch_execz .LBB342_156
; %bb.151:
	v_lshlrev_b32_e32 v4, 3, v0
	s_mov_b32 s1, exec_lo
	ds_load_b64 v[1:2], v4
	s_waitcnt lgkmcnt(0)
	v_dual_mov_b32 v6, v1 :: v_dual_and_b32 v5, 3, v58
	v_mov_b32_dpp v8, v1 row_shr:1 row_mask:0xf bank_mask:0xf
	v_mov_b32_dpp v7, v2 row_shr:1 row_mask:0xf bank_mask:0xf
	s_delay_alu instid0(VALU_DEP_3)
	v_cmpx_ne_u32_e32 0, v5
; %bb.152:
	s_delay_alu instid0(VALU_DEP_3) | instskip(SKIP_1) | instid1(VALU_DEP_2)
	v_add_co_u32 v6, vcc_lo, v1, v8
	v_add_co_ci_u32_e32 v2, vcc_lo, 0, v2, vcc_lo
	v_add_co_u32 v1, vcc_lo, 0, v6
	s_delay_alu instid0(VALU_DEP_2)
	v_add_co_ci_u32_e32 v2, vcc_lo, v7, v2, vcc_lo
; %bb.153:
	s_or_b32 exec_lo, exec_lo, s1
	v_mov_b32_dpp v7, v6 row_shr:2 row_mask:0xf bank_mask:0xf
	s_delay_alu instid0(VALU_DEP_2)
	v_mov_b32_dpp v6, v2 row_shr:2 row_mask:0xf bank_mask:0xf
	s_mov_b32 s1, exec_lo
	v_cmpx_lt_u32_e32 1, v5
; %bb.154:
	s_delay_alu instid0(VALU_DEP_3) | instskip(SKIP_1) | instid1(VALU_DEP_2)
	v_add_co_u32 v1, vcc_lo, v1, v7
	v_add_co_ci_u32_e32 v2, vcc_lo, 0, v2, vcc_lo
	v_add_co_u32 v1, vcc_lo, v1, 0
	s_delay_alu instid0(VALU_DEP_2)
	v_add_co_ci_u32_e32 v2, vcc_lo, v2, v6, vcc_lo
; %bb.155:
	s_or_b32 exec_lo, exec_lo, s1
	ds_store_b64 v4, v[1:2]
.LBB342_156:
	s_or_b32 exec_lo, exec_lo, s0
	v_mov_b32_e32 v1, 0
	v_mov_b32_e32 v2, 0
	s_mov_b32 s0, exec_lo
	s_waitcnt lgkmcnt(0)
	s_barrier
	buffer_gl0_inv
	v_cmpx_lt_u32_e32 31, v0
	s_cbranch_execz .LBB342_158
; %bb.157:
	v_lshl_add_u32 v1, v3, 3, -8
	ds_load_b64 v[1:2], v1
.LBB342_158:
	s_or_b32 exec_lo, exec_lo, s0
	v_add_nc_u32_e32 v3, -1, v58
	v_mov_b32_e32 v7, 0
	s_delay_alu instid0(VALU_DEP_2) | instskip(SKIP_1) | instid1(VALU_DEP_1)
	v_cmp_gt_i32_e32 vcc_lo, 0, v3
	v_cndmask_b32_e32 v3, v3, v58, vcc_lo
	v_lshlrev_b32_e32 v4, 2, v3
	s_waitcnt lgkmcnt(0)
	v_add_co_u32 v3, vcc_lo, v1, v26
	v_add_co_ci_u32_e32 v5, vcc_lo, v2, v27, vcc_lo
	ds_bpermute_b32 v3, v4, v3
	ds_bpermute_b32 v8, v4, v5
	ds_load_b64 v[4:5], v7 offset:24
	s_and_saveexec_b32 s0, s2
	s_cbranch_execz .LBB342_160
; %bb.159:
	s_add_u32 s6, s14, 0x200
	s_addc_u32 s7, s15, 0
	s_delay_alu instid0(SALU_CYCLE_1)
	v_dual_mov_b32 v6, 2 :: v_dual_mov_b32 v27, s7
	v_mov_b32_e32 v26, s6
	s_waitcnt lgkmcnt(0)
	;;#ASMSTART
	global_store_dwordx4 v[26:27], v[4:7] off	
s_waitcnt vmcnt(0)
	;;#ASMEND
.LBB342_160:
	s_or_b32 exec_lo, exec_lo, s0
	v_cmp_eq_u32_e32 vcc_lo, 0, v58
	v_mov_b32_e32 v6, 0
	v_mov_b32_e32 v7, 0
	s_waitcnt lgkmcnt(0)
	s_barrier
	v_dual_cndmask_b32 v1, v3, v1 :: v_dual_cndmask_b32 v2, v8, v2
	buffer_gl0_inv
	v_cndmask_b32_e64 v74, v1, 0, s2
	v_cndmask_b32_e64 v75, v2, 0, s2
.LBB342_161:
	s_delay_alu instid0(VALU_DEP_2) | instskip(NEXT) | instid1(VALU_DEP_2)
	v_add_co_u32 v82, vcc_lo, v74, v46
	v_add_co_ci_u32_e32 v83, vcc_lo, 0, v75, vcc_lo
	s_delay_alu instid0(VALU_DEP_2) | instskip(NEXT) | instid1(VALU_DEP_2)
	v_add_co_u32 v80, vcc_lo, v82, v57
	v_add_co_ci_u32_e32 v81, vcc_lo, 0, v83, vcc_lo
	;; [unrolled: 3-line block ×27, first 2 shown]
	s_waitcnt lgkmcnt(0)
	v_cmp_gt_u64_e32 vcc_lo, 0x81, v[4:5]
	s_delay_alu instid0(VALU_DEP_3) | instskip(NEXT) | instid1(VALU_DEP_1)
	v_add_co_u32 v28, s0, v26, v85
	v_add_co_ci_u32_e64 v29, s0, 0, v27, s0
	s_delay_alu instid0(VALU_DEP_2) | instskip(NEXT) | instid1(VALU_DEP_1)
	v_add_co_u32 v1, s0, v28, v84
	v_add_co_ci_u32_e64 v2, s0, 0, v29, s0
	s_mov_b32 s0, -1
	s_cbranch_vccnz .LBB342_165
; %bb.162:
	s_and_b32 vcc_lo, exec_lo, s0
	s_cbranch_vccnz .LBB342_256
.LBB342_163:
	s_and_b32 s0, s2, s5
	s_delay_alu instid0(SALU_CYCLE_1)
	s_and_saveexec_b32 s1, s0
	s_cbranch_execnz .LBB342_327
.LBB342_164:
	s_nop 0
	s_sendmsg sendmsg(MSG_DEALLOC_VGPRS)
	s_endpgm
.LBB342_165:
	v_add_co_u32 v84, vcc_lo, v6, v4
	v_add_co_ci_u32_e32 v85, vcc_lo, v7, v5, vcc_lo
	v_lshlrev_b64 v[131:132], 1, v[12:13]
	s_delay_alu instid0(VALU_DEP_2) | instskip(NEXT) | instid1(VALU_DEP_2)
	v_cmp_lt_u64_e32 vcc_lo, v[74:75], v[84:85]
	v_add_co_u32 v3, s0, s12, v131
	s_delay_alu instid0(VALU_DEP_1) | instskip(SKIP_1) | instid1(SALU_CYCLE_1)
	v_add_co_ci_u32_e64 v8, s0, s13, v132, s0
	s_or_b32 s1, s3, vcc_lo
	s_and_saveexec_b32 s0, s1
	s_cbranch_execz .LBB342_168
; %bb.166:
	v_and_b32_e32 v131, 1, v130
	s_delay_alu instid0(VALU_DEP_1)
	v_cmp_eq_u32_e32 vcc_lo, 1, v131
	s_and_b32 exec_lo, exec_lo, vcc_lo
	s_cbranch_execz .LBB342_168
; %bb.167:
	v_lshlrev_b64 v[131:132], 1, v[74:75]
	s_delay_alu instid0(VALU_DEP_1) | instskip(NEXT) | instid1(VALU_DEP_2)
	v_add_co_u32 v131, vcc_lo, v3, v131
	v_add_co_ci_u32_e32 v132, vcc_lo, v8, v132, vcc_lo
	global_store_b16 v[131:132], v24, off
.LBB342_168:
	s_or_b32 exec_lo, exec_lo, s0
	v_cmp_lt_u64_e32 vcc_lo, v[82:83], v[84:85]
	s_or_b32 s1, s3, vcc_lo
	s_delay_alu instid0(SALU_CYCLE_1)
	s_and_saveexec_b32 s0, s1
	s_cbranch_execz .LBB342_171
; %bb.169:
	v_and_b32_e32 v75, 1, v129
	s_delay_alu instid0(VALU_DEP_1)
	v_cmp_eq_u32_e32 vcc_lo, 1, v75
	s_and_b32 exec_lo, exec_lo, vcc_lo
	s_cbranch_execz .LBB342_171
; %bb.170:
	v_lshlrev_b64 v[131:132], 1, v[82:83]
	s_delay_alu instid0(VALU_DEP_1) | instskip(NEXT) | instid1(VALU_DEP_2)
	v_add_co_u32 v131, vcc_lo, v3, v131
	v_add_co_ci_u32_e32 v132, vcc_lo, v8, v132, vcc_lo
	global_store_b16 v[131:132], v113, off
.LBB342_171:
	s_or_b32 exec_lo, exec_lo, s0
	v_cmp_lt_u64_e32 vcc_lo, v[80:81], v[84:85]
	s_or_b32 s1, s3, vcc_lo
	s_delay_alu instid0(SALU_CYCLE_1)
	s_and_saveexec_b32 s0, s1
	s_cbranch_execz .LBB342_174
; %bb.172:
	v_and_b32_e32 v75, 1, v128
	s_delay_alu instid0(VALU_DEP_1)
	v_cmp_eq_u32_e32 vcc_lo, 1, v75
	s_and_b32 exec_lo, exec_lo, vcc_lo
	s_cbranch_execz .LBB342_174
; %bb.173:
	v_lshlrev_b64 v[131:132], 1, v[80:81]
	s_delay_alu instid0(VALU_DEP_1) | instskip(NEXT) | instid1(VALU_DEP_2)
	v_add_co_u32 v131, vcc_lo, v3, v131
	v_add_co_ci_u32_e32 v132, vcc_lo, v8, v132, vcc_lo
	global_store_b16 v[131:132], v25, off
.LBB342_174:
	s_or_b32 exec_lo, exec_lo, s0
	v_cmp_lt_u64_e32 vcc_lo, v[78:79], v[84:85]
	s_or_b32 s1, s3, vcc_lo
	s_delay_alu instid0(SALU_CYCLE_1)
	s_and_saveexec_b32 s0, s1
	s_cbranch_execz .LBB342_177
; %bb.175:
	v_and_b32_e32 v75, 1, v127
	s_delay_alu instid0(VALU_DEP_1)
	v_cmp_eq_u32_e32 vcc_lo, 1, v75
	s_and_b32 exec_lo, exec_lo, vcc_lo
	s_cbranch_execz .LBB342_177
; %bb.176:
	v_lshlrev_b64 v[131:132], 1, v[78:79]
	s_delay_alu instid0(VALU_DEP_1) | instskip(NEXT) | instid1(VALU_DEP_2)
	v_add_co_u32 v131, vcc_lo, v3, v131
	v_add_co_ci_u32_e32 v132, vcc_lo, v8, v132, vcc_lo
	global_store_b16 v[131:132], v109, off
.LBB342_177:
	s_or_b32 exec_lo, exec_lo, s0
	v_cmp_lt_u64_e32 vcc_lo, v[76:77], v[84:85]
	s_or_b32 s1, s3, vcc_lo
	s_delay_alu instid0(SALU_CYCLE_1)
	s_and_saveexec_b32 s0, s1
	s_cbranch_execz .LBB342_180
; %bb.178:
	v_and_b32_e32 v75, 1, v125
	s_delay_alu instid0(VALU_DEP_1)
	v_cmp_eq_u32_e32 vcc_lo, 1, v75
	s_and_b32 exec_lo, exec_lo, vcc_lo
	s_cbranch_execz .LBB342_180
; %bb.179:
	v_lshlrev_b64 v[131:132], 1, v[76:77]
	s_delay_alu instid0(VALU_DEP_1) | instskip(NEXT) | instid1(VALU_DEP_2)
	v_add_co_u32 v131, vcc_lo, v3, v131
	v_add_co_ci_u32_e32 v132, vcc_lo, v8, v132, vcc_lo
	global_store_b16 v[131:132], v22, off
.LBB342_180:
	s_or_b32 exec_lo, exec_lo, s0
	v_cmp_lt_u64_e32 vcc_lo, v[72:73], v[84:85]
	s_or_b32 s1, s3, vcc_lo
	s_delay_alu instid0(SALU_CYCLE_1)
	s_and_saveexec_b32 s0, s1
	s_cbranch_execz .LBB342_183
; %bb.181:
	v_and_b32_e32 v75, 1, v126
	s_delay_alu instid0(VALU_DEP_1)
	v_cmp_eq_u32_e32 vcc_lo, 1, v75
	s_and_b32 exec_lo, exec_lo, vcc_lo
	s_cbranch_execz .LBB342_183
; %bb.182:
	v_lshlrev_b64 v[131:132], 1, v[72:73]
	s_delay_alu instid0(VALU_DEP_1) | instskip(NEXT) | instid1(VALU_DEP_2)
	v_add_co_u32 v131, vcc_lo, v3, v131
	v_add_co_ci_u32_e32 v132, vcc_lo, v8, v132, vcc_lo
	global_store_b16 v[131:132], v105, off
.LBB342_183:
	s_or_b32 exec_lo, exec_lo, s0
	v_cmp_lt_u64_e32 vcc_lo, v[70:71], v[84:85]
	s_or_b32 s1, s3, vcc_lo
	s_delay_alu instid0(SALU_CYCLE_1)
	s_and_saveexec_b32 s0, s1
	s_cbranch_execz .LBB342_186
; %bb.184:
	v_and_b32_e32 v73, 1, v124
	s_delay_alu instid0(VALU_DEP_1)
	v_cmp_eq_u32_e32 vcc_lo, 1, v73
	s_and_b32 exec_lo, exec_lo, vcc_lo
	s_cbranch_execz .LBB342_186
; %bb.185:
	v_lshlrev_b64 v[131:132], 1, v[70:71]
	s_delay_alu instid0(VALU_DEP_1) | instskip(NEXT) | instid1(VALU_DEP_2)
	v_add_co_u32 v131, vcc_lo, v3, v131
	v_add_co_ci_u32_e32 v132, vcc_lo, v8, v132, vcc_lo
	global_store_b16 v[131:132], v23, off
.LBB342_186:
	s_or_b32 exec_lo, exec_lo, s0
	v_cmp_lt_u64_e32 vcc_lo, v[68:69], v[84:85]
	s_or_b32 s1, s3, vcc_lo
	s_delay_alu instid0(SALU_CYCLE_1)
	s_and_saveexec_b32 s0, s1
	s_cbranch_execz .LBB342_189
; %bb.187:
	v_and_b32_e32 v71, 1, v123
	s_delay_alu instid0(VALU_DEP_1)
	v_cmp_eq_u32_e32 vcc_lo, 1, v71
	s_and_b32 exec_lo, exec_lo, vcc_lo
	s_cbranch_execz .LBB342_189
; %bb.188:
	v_lshlrev_b64 v[131:132], 1, v[68:69]
	s_delay_alu instid0(VALU_DEP_1) | instskip(NEXT) | instid1(VALU_DEP_2)
	v_add_co_u32 v131, vcc_lo, v3, v131
	v_add_co_ci_u32_e32 v132, vcc_lo, v8, v132, vcc_lo
	global_store_b16 v[131:132], v100, off
.LBB342_189:
	s_or_b32 exec_lo, exec_lo, s0
	v_cmp_lt_u64_e32 vcc_lo, v[66:67], v[84:85]
	s_or_b32 s1, s3, vcc_lo
	s_delay_alu instid0(SALU_CYCLE_1)
	s_and_saveexec_b32 s0, s1
	s_cbranch_execz .LBB342_192
; %bb.190:
	v_and_b32_e32 v69, 1, v122
	s_delay_alu instid0(VALU_DEP_1)
	v_cmp_eq_u32_e32 vcc_lo, 1, v69
	s_and_b32 exec_lo, exec_lo, vcc_lo
	s_cbranch_execz .LBB342_192
; %bb.191:
	v_lshlrev_b64 v[131:132], 1, v[66:67]
	s_delay_alu instid0(VALU_DEP_1) | instskip(NEXT) | instid1(VALU_DEP_2)
	v_add_co_u32 v131, vcc_lo, v3, v131
	v_add_co_ci_u32_e32 v132, vcc_lo, v8, v132, vcc_lo
	global_store_b16 v[131:132], v20, off
.LBB342_192:
	s_or_b32 exec_lo, exec_lo, s0
	v_cmp_lt_u64_e32 vcc_lo, v[64:65], v[84:85]
	s_or_b32 s1, s3, vcc_lo
	s_delay_alu instid0(SALU_CYCLE_1)
	s_and_saveexec_b32 s0, s1
	s_cbranch_execz .LBB342_195
; %bb.193:
	v_and_b32_e32 v67, 1, v120
	s_delay_alu instid0(VALU_DEP_1)
	v_cmp_eq_u32_e32 vcc_lo, 1, v67
	s_and_b32 exec_lo, exec_lo, vcc_lo
	s_cbranch_execz .LBB342_195
; %bb.194:
	v_lshlrev_b64 v[131:132], 1, v[64:65]
	s_delay_alu instid0(VALU_DEP_1) | instskip(NEXT) | instid1(VALU_DEP_2)
	v_add_co_u32 v131, vcc_lo, v3, v131
	v_add_co_ci_u32_e32 v132, vcc_lo, v8, v132, vcc_lo
	global_store_b16 v[131:132], v97, off
.LBB342_195:
	s_or_b32 exec_lo, exec_lo, s0
	v_cmp_lt_u64_e32 vcc_lo, v[62:63], v[84:85]
	s_or_b32 s1, s3, vcc_lo
	s_delay_alu instid0(SALU_CYCLE_1)
	s_and_saveexec_b32 s0, s1
	s_cbranch_execz .LBB342_198
; %bb.196:
	v_and_b32_e32 v65, 1, v121
	s_delay_alu instid0(VALU_DEP_1)
	v_cmp_eq_u32_e32 vcc_lo, 1, v65
	s_and_b32 exec_lo, exec_lo, vcc_lo
	s_cbranch_execz .LBB342_198
; %bb.197:
	v_lshlrev_b64 v[131:132], 1, v[62:63]
	s_delay_alu instid0(VALU_DEP_1) | instskip(NEXT) | instid1(VALU_DEP_2)
	v_add_co_u32 v131, vcc_lo, v3, v131
	v_add_co_ci_u32_e32 v132, vcc_lo, v8, v132, vcc_lo
	global_store_b16 v[131:132], v21, off
.LBB342_198:
	s_or_b32 exec_lo, exec_lo, s0
	v_cmp_lt_u64_e32 vcc_lo, v[60:61], v[84:85]
	s_or_b32 s1, s3, vcc_lo
	s_delay_alu instid0(SALU_CYCLE_1)
	s_and_saveexec_b32 s0, s1
	s_cbranch_execz .LBB342_201
; %bb.199:
	v_and_b32_e32 v63, 1, v119
	s_delay_alu instid0(VALU_DEP_1)
	v_cmp_eq_u32_e32 vcc_lo, 1, v63
	s_and_b32 exec_lo, exec_lo, vcc_lo
	s_cbranch_execz .LBB342_201
; %bb.200:
	v_lshlrev_b64 v[131:132], 1, v[60:61]
	s_delay_alu instid0(VALU_DEP_1) | instskip(NEXT) | instid1(VALU_DEP_2)
	v_add_co_u32 v131, vcc_lo, v3, v131
	v_add_co_ci_u32_e32 v132, vcc_lo, v8, v132, vcc_lo
	global_store_b16 v[131:132], v95, off
.LBB342_201:
	s_or_b32 exec_lo, exec_lo, s0
	v_cmp_lt_u64_e32 vcc_lo, v[58:59], v[84:85]
	s_or_b32 s1, s3, vcc_lo
	s_delay_alu instid0(SALU_CYCLE_1)
	s_and_saveexec_b32 s0, s1
	s_cbranch_execz .LBB342_204
; %bb.202:
	v_and_b32_e32 v61, 1, v118
	s_delay_alu instid0(VALU_DEP_1)
	v_cmp_eq_u32_e32 vcc_lo, 1, v61
	s_and_b32 exec_lo, exec_lo, vcc_lo
	s_cbranch_execz .LBB342_204
; %bb.203:
	v_lshlrev_b64 v[131:132], 1, v[58:59]
	s_delay_alu instid0(VALU_DEP_1) | instskip(NEXT) | instid1(VALU_DEP_2)
	v_add_co_u32 v131, vcc_lo, v3, v131
	v_add_co_ci_u32_e32 v132, vcc_lo, v8, v132, vcc_lo
	global_store_b16 v[131:132], v18, off
.LBB342_204:
	s_or_b32 exec_lo, exec_lo, s0
	v_cmp_lt_u64_e32 vcc_lo, v[56:57], v[84:85]
	s_or_b32 s1, s3, vcc_lo
	s_delay_alu instid0(SALU_CYCLE_1)
	s_and_saveexec_b32 s0, s1
	s_cbranch_execz .LBB342_207
; %bb.205:
	v_and_b32_e32 v59, 1, v117
	s_delay_alu instid0(VALU_DEP_1)
	v_cmp_eq_u32_e32 vcc_lo, 1, v59
	s_and_b32 exec_lo, exec_lo, vcc_lo
	s_cbranch_execz .LBB342_207
; %bb.206:
	v_lshlrev_b64 v[131:132], 1, v[56:57]
	s_delay_alu instid0(VALU_DEP_1) | instskip(NEXT) | instid1(VALU_DEP_2)
	v_add_co_u32 v131, vcc_lo, v3, v131
	v_add_co_ci_u32_e32 v132, vcc_lo, v8, v132, vcc_lo
	global_store_b16 v[131:132], v94, off
.LBB342_207:
	s_or_b32 exec_lo, exec_lo, s0
	v_cmp_lt_u64_e32 vcc_lo, v[54:55], v[84:85]
	s_or_b32 s1, s3, vcc_lo
	s_delay_alu instid0(SALU_CYCLE_1)
	s_and_saveexec_b32 s0, s1
	s_cbranch_execz .LBB342_210
; %bb.208:
	v_and_b32_e32 v57, 1, v115
	s_delay_alu instid0(VALU_DEP_1)
	v_cmp_eq_u32_e32 vcc_lo, 1, v57
	s_and_b32 exec_lo, exec_lo, vcc_lo
	s_cbranch_execz .LBB342_210
; %bb.209:
	v_lshlrev_b64 v[131:132], 1, v[54:55]
	s_delay_alu instid0(VALU_DEP_1) | instskip(NEXT) | instid1(VALU_DEP_2)
	v_add_co_u32 v131, vcc_lo, v3, v131
	v_add_co_ci_u32_e32 v132, vcc_lo, v8, v132, vcc_lo
	global_store_b16 v[131:132], v19, off
.LBB342_210:
	s_or_b32 exec_lo, exec_lo, s0
	v_cmp_lt_u64_e32 vcc_lo, v[52:53], v[84:85]
	s_or_b32 s1, s3, vcc_lo
	s_delay_alu instid0(SALU_CYCLE_1)
	s_and_saveexec_b32 s0, s1
	s_cbranch_execz .LBB342_213
; %bb.211:
	v_and_b32_e32 v55, 1, v116
	s_delay_alu instid0(VALU_DEP_1)
	v_cmp_eq_u32_e32 vcc_lo, 1, v55
	s_and_b32 exec_lo, exec_lo, vcc_lo
	s_cbranch_execz .LBB342_213
; %bb.212:
	v_lshlrev_b64 v[131:132], 1, v[52:53]
	s_delay_alu instid0(VALU_DEP_1) | instskip(NEXT) | instid1(VALU_DEP_2)
	v_add_co_u32 v131, vcc_lo, v3, v131
	v_add_co_ci_u32_e32 v132, vcc_lo, v8, v132, vcc_lo
	global_store_b16 v[131:132], v93, off
.LBB342_213:
	s_or_b32 exec_lo, exec_lo, s0
	v_cmp_lt_u64_e32 vcc_lo, v[50:51], v[84:85]
	s_or_b32 s1, s3, vcc_lo
	s_delay_alu instid0(SALU_CYCLE_1)
	s_and_saveexec_b32 s0, s1
	s_cbranch_execz .LBB342_216
; %bb.214:
	v_and_b32_e32 v53, 1, v114
	s_delay_alu instid0(VALU_DEP_1)
	v_cmp_eq_u32_e32 vcc_lo, 1, v53
	s_and_b32 exec_lo, exec_lo, vcc_lo
	s_cbranch_execz .LBB342_216
; %bb.215:
	v_lshlrev_b64 v[131:132], 1, v[50:51]
	s_delay_alu instid0(VALU_DEP_1) | instskip(NEXT) | instid1(VALU_DEP_2)
	v_add_co_u32 v131, vcc_lo, v3, v131
	v_add_co_ci_u32_e32 v132, vcc_lo, v8, v132, vcc_lo
	global_store_b16 v[131:132], v16, off
.LBB342_216:
	s_or_b32 exec_lo, exec_lo, s0
	v_cmp_lt_u64_e32 vcc_lo, v[48:49], v[84:85]
	s_or_b32 s1, s3, vcc_lo
	s_delay_alu instid0(SALU_CYCLE_1)
	s_and_saveexec_b32 s0, s1
	s_cbranch_execz .LBB342_219
; %bb.217:
	v_and_b32_e32 v51, 1, v112
	s_delay_alu instid0(VALU_DEP_1)
	v_cmp_eq_u32_e32 vcc_lo, 1, v51
	s_and_b32 exec_lo, exec_lo, vcc_lo
	s_cbranch_execz .LBB342_219
; %bb.218:
	v_lshlrev_b64 v[131:132], 1, v[48:49]
	s_delay_alu instid0(VALU_DEP_1) | instskip(NEXT) | instid1(VALU_DEP_2)
	v_add_co_u32 v131, vcc_lo, v3, v131
	v_add_co_ci_u32_e32 v132, vcc_lo, v8, v132, vcc_lo
	global_store_b16 v[131:132], v92, off
.LBB342_219:
	s_or_b32 exec_lo, exec_lo, s0
	v_cmp_lt_u64_e32 vcc_lo, v[46:47], v[84:85]
	s_or_b32 s1, s3, vcc_lo
	s_delay_alu instid0(SALU_CYCLE_1)
	s_and_saveexec_b32 s0, s1
	s_cbranch_execz .LBB342_222
; %bb.220:
	v_and_b32_e32 v49, 1, v111
	s_delay_alu instid0(VALU_DEP_1)
	v_cmp_eq_u32_e32 vcc_lo, 1, v49
	s_and_b32 exec_lo, exec_lo, vcc_lo
	s_cbranch_execz .LBB342_222
; %bb.221:
	v_lshlrev_b64 v[131:132], 1, v[46:47]
	s_delay_alu instid0(VALU_DEP_1) | instskip(NEXT) | instid1(VALU_DEP_2)
	v_add_co_u32 v131, vcc_lo, v3, v131
	v_add_co_ci_u32_e32 v132, vcc_lo, v8, v132, vcc_lo
	global_store_b16 v[131:132], v17, off
.LBB342_222:
	s_or_b32 exec_lo, exec_lo, s0
	v_cmp_lt_u64_e32 vcc_lo, v[44:45], v[84:85]
	s_or_b32 s1, s3, vcc_lo
	s_delay_alu instid0(SALU_CYCLE_1)
	s_and_saveexec_b32 s0, s1
	s_cbranch_execz .LBB342_225
; %bb.223:
	v_and_b32_e32 v47, 1, v108
	s_delay_alu instid0(VALU_DEP_1)
	v_cmp_eq_u32_e32 vcc_lo, 1, v47
	s_and_b32 exec_lo, exec_lo, vcc_lo
	s_cbranch_execz .LBB342_225
; %bb.224:
	v_lshlrev_b64 v[131:132], 1, v[44:45]
	s_delay_alu instid0(VALU_DEP_1) | instskip(NEXT) | instid1(VALU_DEP_2)
	v_add_co_u32 v131, vcc_lo, v3, v131
	v_add_co_ci_u32_e32 v132, vcc_lo, v8, v132, vcc_lo
	global_store_b16 v[131:132], v91, off
.LBB342_225:
	s_or_b32 exec_lo, exec_lo, s0
	v_cmp_lt_u64_e32 vcc_lo, v[42:43], v[84:85]
	s_or_b32 s1, s3, vcc_lo
	s_delay_alu instid0(SALU_CYCLE_1)
	s_and_saveexec_b32 s0, s1
	s_cbranch_execz .LBB342_228
; %bb.226:
	v_and_b32_e32 v45, 1, v110
	s_delay_alu instid0(VALU_DEP_1)
	v_cmp_eq_u32_e32 vcc_lo, 1, v45
	s_and_b32 exec_lo, exec_lo, vcc_lo
	s_cbranch_execz .LBB342_228
; %bb.227:
	v_lshlrev_b64 v[131:132], 1, v[42:43]
	s_delay_alu instid0(VALU_DEP_1) | instskip(NEXT) | instid1(VALU_DEP_2)
	v_add_co_u32 v131, vcc_lo, v3, v131
	v_add_co_ci_u32_e32 v132, vcc_lo, v8, v132, vcc_lo
	global_store_b16 v[131:132], v14, off
.LBB342_228:
	s_or_b32 exec_lo, exec_lo, s0
	v_cmp_lt_u64_e32 vcc_lo, v[40:41], v[84:85]
	s_or_b32 s1, s3, vcc_lo
	s_delay_alu instid0(SALU_CYCLE_1)
	s_and_saveexec_b32 s0, s1
	s_cbranch_execz .LBB342_231
; %bb.229:
	v_and_b32_e32 v43, 1, v107
	s_delay_alu instid0(VALU_DEP_1)
	v_cmp_eq_u32_e32 vcc_lo, 1, v43
	s_and_b32 exec_lo, exec_lo, vcc_lo
	s_cbranch_execz .LBB342_231
; %bb.230:
	v_lshlrev_b64 v[131:132], 1, v[40:41]
	s_delay_alu instid0(VALU_DEP_1) | instskip(NEXT) | instid1(VALU_DEP_2)
	v_add_co_u32 v131, vcc_lo, v3, v131
	v_add_co_ci_u32_e32 v132, vcc_lo, v8, v132, vcc_lo
	global_store_b16 v[131:132], v90, off
.LBB342_231:
	s_or_b32 exec_lo, exec_lo, s0
	v_cmp_lt_u64_e32 vcc_lo, v[38:39], v[84:85]
	s_or_b32 s1, s3, vcc_lo
	s_delay_alu instid0(SALU_CYCLE_1)
	s_and_saveexec_b32 s0, s1
	s_cbranch_execz .LBB342_234
; %bb.232:
	v_and_b32_e32 v41, 1, v106
	s_delay_alu instid0(VALU_DEP_1)
	v_cmp_eq_u32_e32 vcc_lo, 1, v41
	s_and_b32 exec_lo, exec_lo, vcc_lo
	s_cbranch_execz .LBB342_234
; %bb.233:
	v_lshlrev_b64 v[131:132], 1, v[38:39]
	s_delay_alu instid0(VALU_DEP_1) | instskip(NEXT) | instid1(VALU_DEP_2)
	v_add_co_u32 v131, vcc_lo, v3, v131
	v_add_co_ci_u32_e32 v132, vcc_lo, v8, v132, vcc_lo
	global_store_b16 v[131:132], v15, off
.LBB342_234:
	s_or_b32 exec_lo, exec_lo, s0
	v_cmp_lt_u64_e32 vcc_lo, v[36:37], v[84:85]
	s_or_b32 s1, s3, vcc_lo
	s_delay_alu instid0(SALU_CYCLE_1)
	s_and_saveexec_b32 s0, s1
	s_cbranch_execz .LBB342_237
; %bb.235:
	v_and_b32_e32 v39, 1, v104
	s_delay_alu instid0(VALU_DEP_1)
	v_cmp_eq_u32_e32 vcc_lo, 1, v39
	s_and_b32 exec_lo, exec_lo, vcc_lo
	s_cbranch_execz .LBB342_237
; %bb.236:
	v_lshlrev_b64 v[131:132], 1, v[36:37]
	s_delay_alu instid0(VALU_DEP_1) | instskip(NEXT) | instid1(VALU_DEP_2)
	v_add_co_u32 v131, vcc_lo, v3, v131
	v_add_co_ci_u32_e32 v132, vcc_lo, v8, v132, vcc_lo
	global_store_b16 v[131:132], v89, off
.LBB342_237:
	s_or_b32 exec_lo, exec_lo, s0
	v_cmp_lt_u64_e32 vcc_lo, v[34:35], v[84:85]
	s_or_b32 s1, s3, vcc_lo
	s_delay_alu instid0(SALU_CYCLE_1)
	s_and_saveexec_b32 s0, s1
	s_cbranch_execz .LBB342_240
; %bb.238:
	v_and_b32_e32 v37, 1, v102
	s_delay_alu instid0(VALU_DEP_1)
	v_cmp_eq_u32_e32 vcc_lo, 1, v37
	s_and_b32 exec_lo, exec_lo, vcc_lo
	s_cbranch_execz .LBB342_240
; %bb.239:
	v_lshlrev_b64 v[131:132], 1, v[34:35]
	s_delay_alu instid0(VALU_DEP_1) | instskip(NEXT) | instid1(VALU_DEP_2)
	v_add_co_u32 v131, vcc_lo, v3, v131
	v_add_co_ci_u32_e32 v132, vcc_lo, v8, v132, vcc_lo
	global_store_b16 v[131:132], v9, off
.LBB342_240:
	s_or_b32 exec_lo, exec_lo, s0
	v_cmp_lt_u64_e32 vcc_lo, v[32:33], v[84:85]
	s_or_b32 s1, s3, vcc_lo
	s_delay_alu instid0(SALU_CYCLE_1)
	s_and_saveexec_b32 s0, s1
	s_cbranch_execz .LBB342_243
; %bb.241:
	v_and_b32_e32 v35, 1, v103
	s_delay_alu instid0(VALU_DEP_1)
	v_cmp_eq_u32_e32 vcc_lo, 1, v35
	s_and_b32 exec_lo, exec_lo, vcc_lo
	s_cbranch_execz .LBB342_243
; %bb.242:
	v_lshlrev_b64 v[131:132], 1, v[32:33]
	s_delay_alu instid0(VALU_DEP_1) | instskip(NEXT) | instid1(VALU_DEP_2)
	v_add_co_u32 v131, vcc_lo, v3, v131
	v_add_co_ci_u32_e32 v132, vcc_lo, v8, v132, vcc_lo
	global_store_b16 v[131:132], v88, off
.LBB342_243:
	s_or_b32 exec_lo, exec_lo, s0
	v_cmp_lt_u64_e32 vcc_lo, v[30:31], v[84:85]
	s_or_b32 s1, s3, vcc_lo
	s_delay_alu instid0(SALU_CYCLE_1)
	s_and_saveexec_b32 s0, s1
	s_cbranch_execz .LBB342_246
; %bb.244:
	v_and_b32_e32 v33, 1, v101
	s_delay_alu instid0(VALU_DEP_1)
	v_cmp_eq_u32_e32 vcc_lo, 1, v33
	s_and_b32 exec_lo, exec_lo, vcc_lo
	s_cbranch_execz .LBB342_246
; %bb.245:
	v_lshlrev_b64 v[131:132], 1, v[30:31]
	s_delay_alu instid0(VALU_DEP_1) | instskip(NEXT) | instid1(VALU_DEP_2)
	v_add_co_u32 v131, vcc_lo, v3, v131
	v_add_co_ci_u32_e32 v132, vcc_lo, v8, v132, vcc_lo
	global_store_b16 v[131:132], v10, off
.LBB342_246:
	s_or_b32 exec_lo, exec_lo, s0
	v_cmp_lt_u64_e32 vcc_lo, v[26:27], v[84:85]
	s_or_b32 s1, s3, vcc_lo
	s_delay_alu instid0(SALU_CYCLE_1)
	s_and_saveexec_b32 s0, s1
	s_cbranch_execz .LBB342_249
; %bb.247:
	v_and_b32_e32 v31, 1, v99
	s_delay_alu instid0(VALU_DEP_1)
	v_cmp_eq_u32_e32 vcc_lo, 1, v31
	s_and_b32 exec_lo, exec_lo, vcc_lo
	s_cbranch_execz .LBB342_249
; %bb.248:
	v_lshlrev_b64 v[131:132], 1, v[26:27]
	s_delay_alu instid0(VALU_DEP_1) | instskip(NEXT) | instid1(VALU_DEP_2)
	v_add_co_u32 v131, vcc_lo, v3, v131
	v_add_co_ci_u32_e32 v132, vcc_lo, v8, v132, vcc_lo
	global_store_b16 v[131:132], v87, off
.LBB342_249:
	s_or_b32 exec_lo, exec_lo, s0
	v_cmp_lt_u64_e32 vcc_lo, v[28:29], v[84:85]
	s_or_b32 s1, s3, vcc_lo
	s_delay_alu instid0(SALU_CYCLE_1)
	s_and_saveexec_b32 s0, s1
	s_cbranch_execz .LBB342_252
; %bb.250:
	v_and_b32_e32 v27, 1, v98
	s_delay_alu instid0(VALU_DEP_1)
	v_cmp_eq_u32_e32 vcc_lo, 1, v27
	s_and_b32 exec_lo, exec_lo, vcc_lo
	s_cbranch_execz .LBB342_252
; %bb.251:
	v_lshlrev_b64 v[131:132], 1, v[28:29]
	s_delay_alu instid0(VALU_DEP_1) | instskip(NEXT) | instid1(VALU_DEP_2)
	v_add_co_u32 v131, vcc_lo, v3, v131
	v_add_co_ci_u32_e32 v132, vcc_lo, v8, v132, vcc_lo
	global_store_b16 v[131:132], v11, off
.LBB342_252:
	s_or_b32 exec_lo, exec_lo, s0
	v_cmp_lt_u64_e32 vcc_lo, v[1:2], v[84:85]
	s_or_b32 s1, s3, vcc_lo
	s_delay_alu instid0(SALU_CYCLE_1)
	s_and_saveexec_b32 s0, s1
	s_cbranch_execz .LBB342_255
; %bb.253:
	v_and_b32_e32 v27, 1, v96
	s_delay_alu instid0(VALU_DEP_1)
	v_cmp_eq_u32_e32 vcc_lo, 1, v27
	s_and_b32 exec_lo, exec_lo, vcc_lo
	s_cbranch_execz .LBB342_255
; %bb.254:
	v_lshlrev_b64 v[83:84], 1, v[1:2]
	s_delay_alu instid0(VALU_DEP_1) | instskip(NEXT) | instid1(VALU_DEP_2)
	v_add_co_u32 v2, vcc_lo, v3, v83
	v_add_co_ci_u32_e32 v3, vcc_lo, v8, v84, vcc_lo
	global_store_b16 v[2:3], v86, off
.LBB342_255:
	s_or_b32 exec_lo, exec_lo, s0
	s_branch .LBB342_163
.LBB342_256:
	v_and_b32_e32 v2, 1, v130
	s_mov_b32 s0, exec_lo
	s_delay_alu instid0(VALU_DEP_1)
	v_cmpx_eq_u32_e32 1, v2
	s_cbranch_execz .LBB342_258
; %bb.257:
	v_sub_nc_u32_e32 v2, v74, v6
	s_delay_alu instid0(VALU_DEP_1)
	v_lshlrev_b32_e32 v2, 1, v2
	ds_store_b16 v2, v24
.LBB342_258:
	s_or_b32 exec_lo, exec_lo, s0
	v_and_b32_e32 v2, 1, v129
	s_mov_b32 s0, exec_lo
	s_delay_alu instid0(VALU_DEP_1)
	v_cmpx_eq_u32_e32 1, v2
	s_cbranch_execz .LBB342_260
; %bb.259:
	v_sub_nc_u32_e32 v2, v82, v6
	s_delay_alu instid0(VALU_DEP_1)
	v_lshlrev_b32_e32 v2, 1, v2
	ds_store_b16 v2, v113
.LBB342_260:
	s_or_b32 exec_lo, exec_lo, s0
	;; [unrolled: 12-line block ×30, first 2 shown]
	v_mov_b32_e32 v1, 0
	s_mov_b32 s10, exec_lo
	s_waitcnt lgkmcnt(0)
	s_waitcnt_vscnt null, 0x0
	s_barrier
	buffer_gl0_inv
	v_cmpx_gt_u64_e64 v[4:5], v[0:1]
	s_cbranch_execz .LBB342_326
; %bb.317:
	v_not_b32_e32 v2, v0
	v_not_b32_e32 v3, 0
	s_mov_b32 s11, exec_lo
	s_delay_alu instid0(VALU_DEP_2) | instskip(NEXT) | instid1(VALU_DEP_2)
	v_add_co_u32 v8, vcc_lo, v4, v2
	v_add_co_ci_u32_e32 v9, vcc_lo, v5, v3, vcc_lo
	v_dual_mov_b32 v3, v1 :: v_dual_mov_b32 v2, v0
	s_delay_alu instid0(VALU_DEP_2)
	v_cmp_gt_u64_e32 vcc_lo, 0x1a80, v[8:9]
	v_cmpx_lt_u64_e32 0x1a7f, v[8:9]
	s_cbranch_execz .LBB342_323
; %bb.318:
	v_alignbit_b32 v2, v9, v8, 7
	v_not_b32_e32 v3, v0
	v_xor_b32_e32 v10, 0xffffff7f, v0
	s_movk_i32 s7, 0x7f
	s_mov_b32 s6, -1
	v_lshlrev_b32_e32 v11, 7, v2
	v_cmp_lt_u64_e64 s0, s[6:7], v[8:9]
	v_cmp_lt_u32_e64 s1, 0x1ffffff, v2
	s_delay_alu instid0(VALU_DEP_3) | instskip(SKIP_2) | instid1(VALU_DEP_4)
	v_cmp_gt_u32_e64 s3, v11, v3
	v_dual_mov_b32 v3, v1 :: v_dual_mov_b32 v2, v0
	v_cmp_lt_u32_e64 s4, v10, v11
	s_or_b32 s0, s1, s0
	s_delay_alu instid0(VALU_DEP_3) | instskip(NEXT) | instid1(VALU_DEP_1)
	s_or_b32 s1, s3, s1
	s_or_b32 s0, s0, s4
	s_delay_alu instid0(SALU_CYCLE_1) | instskip(NEXT) | instid1(SALU_CYCLE_1)
	s_or_b32 s0, s1, s0
	s_xor_b32 s0, s0, -1
	s_delay_alu instid0(SALU_CYCLE_1)
	s_and_saveexec_b32 s3, s0
	s_cbranch_execz .LBB342_322
; %bb.319:
	v_lshrrev_b64 v[2:3], 7, v[8:9]
	v_lshlrev_b64 v[8:9], 1, v[6:7]
	s_mov_b32 s4, 0
	s_delay_alu instid0(VALU_DEP_2) | instskip(NEXT) | instid1(VALU_DEP_1)
	v_add_co_u32 v14, s0, v2, 1
	v_add_co_ci_u32_e64 v15, s0, 0, v3, s0
	v_lshlrev_b64 v[2:3], 1, v[12:13]
	s_delay_alu instid0(VALU_DEP_2) | instskip(NEXT) | instid1(VALU_DEP_2)
	v_dual_mov_b32 v17, v15 :: v_dual_and_b32 v16, -2, v14
	v_add_co_u32 v2, s0, v8, v2
	s_delay_alu instid0(VALU_DEP_1) | instskip(SKIP_1) | instid1(VALU_DEP_3)
	v_add_co_ci_u32_e64 v3, s0, v9, v3, s0
	v_lshlrev_b32_e32 v8, 1, v0
	v_add_co_u32 v9, s0, s12, v2
	s_delay_alu instid0(VALU_DEP_1) | instskip(SKIP_1) | instid1(VALU_DEP_3)
	v_add_co_ci_u32_e64 v3, s0, s13, v3, s0
	v_or_b32_e32 v2, 0x80, v0
	v_add_co_u32 v8, s0, v9, v8
	s_delay_alu instid0(VALU_DEP_1) | instskip(SKIP_1) | instid1(VALU_DEP_3)
	v_add_co_ci_u32_e64 v9, s0, 0, v3, s0
	v_mov_b32_e32 v3, v1
	v_add_co_u32 v18, s0, 0x100, v8
	s_delay_alu instid0(VALU_DEP_1) | instskip(NEXT) | instid1(VALU_DEP_3)
	v_add_co_ci_u32_e64 v19, s0, 0, v9, s0
	v_dual_mov_b32 v11, v3 :: v_dual_mov_b32 v10, v2
	v_dual_mov_b32 v21, v17 :: v_dual_mov_b32 v20, v16
	v_dual_mov_b32 v9, v1 :: v_dual_mov_b32 v8, v0
	s_set_inst_prefetch_distance 0x1
	.p2align	6
.LBB342_320:                            ; =>This Inner Loop Header: Depth=1
	s_delay_alu instid0(VALU_DEP_1) | instskip(SKIP_2) | instid1(VALU_DEP_1)
	v_lshlrev_b32_e32 v1, 1, v8
	v_lshlrev_b32_e32 v2, 1, v10
	v_add_co_u32 v10, s0, 0x100, v10
	v_add_co_ci_u32_e64 v11, s0, 0, v11, s0
	ds_load_u16 v1, v1
	ds_load_u16 v2, v2
	v_add_co_u32 v20, s0, v20, -2
	s_delay_alu instid0(VALU_DEP_1) | instskip(SKIP_1) | instid1(VALU_DEP_1)
	v_add_co_ci_u32_e64 v21, s0, -1, v21, s0
	v_add_co_u32 v8, s0, 0x100, v8
	v_add_co_ci_u32_e64 v9, s0, 0, v9, s0
	s_delay_alu instid0(VALU_DEP_3)
	v_cmp_eq_u64_e64 s0, 0, v[20:21]
	s_waitcnt lgkmcnt(1)
	global_store_b16 v[18:19], v1, off offset:-256
	s_waitcnt lgkmcnt(0)
	global_store_b16 v[18:19], v2, off
	v_add_co_u32 v18, s1, 0x200, v18
	s_delay_alu instid0(VALU_DEP_1) | instskip(SKIP_1) | instid1(SALU_CYCLE_1)
	v_add_co_ci_u32_e64 v19, s1, 0, v19, s1
	s_or_b32 s4, s0, s4
	s_and_not1_b32 exec_lo, exec_lo, s4
	s_cbranch_execnz .LBB342_320
; %bb.321:
	s_set_inst_prefetch_distance 0x2
	s_or_b32 exec_lo, exec_lo, s4
	v_lshlrev_b64 v[1:2], 7, v[16:17]
	v_cmp_ne_u64_e64 s0, v[14:15], v[16:17]
	s_delay_alu instid0(VALU_DEP_2) | instskip(NEXT) | instid1(VALU_DEP_3)
	v_or_b32_e32 v3, 0, v2
	v_or_b32_e32 v2, v1, v0
	v_lshl_or_b32 v0, v16, 7, v0
	s_delay_alu instid0(VALU_DEP_4)
	s_or_not1_b32 s6, s0, exec_lo
.LBB342_322:
	s_or_b32 exec_lo, exec_lo, s3
	s_delay_alu instid0(SALU_CYCLE_1) | instskip(SKIP_1) | instid1(SALU_CYCLE_1)
	s_and_not1_b32 s0, vcc_lo, exec_lo
	s_and_b32 s1, s6, exec_lo
	s_or_b32 vcc_lo, s0, s1
.LBB342_323:
	s_or_b32 exec_lo, exec_lo, s11
	s_delay_alu instid0(SALU_CYCLE_1)
	s_and_b32 exec_lo, exec_lo, vcc_lo
	s_cbranch_execz .LBB342_326
; %bb.324:
	v_lshlrev_b64 v[8:9], 1, v[6:7]
	v_lshlrev_b64 v[10:11], 1, v[12:13]
	v_add_nc_u32_e32 v0, 0x80, v0
	s_mov_b32 s1, 0
	s_delay_alu instid0(VALU_DEP_3) | instskip(NEXT) | instid1(VALU_DEP_4)
	v_add_co_u32 v1, vcc_lo, s12, v8
	v_add_co_ci_u32_e32 v9, vcc_lo, s13, v9, vcc_lo
	s_delay_alu instid0(VALU_DEP_2) | instskip(SKIP_1) | instid1(VALU_DEP_3)
	v_add_co_u32 v8, vcc_lo, v1, v10
	v_mov_b32_e32 v1, 0
	v_add_co_ci_u32_e32 v9, vcc_lo, v9, v11, vcc_lo
	.p2align	6
.LBB342_325:                            ; =>This Inner Loop Header: Depth=1
	v_lshlrev_b32_e32 v10, 1, v2
	s_delay_alu instid0(VALU_DEP_3)
	v_cmp_le_u64_e32 vcc_lo, v[4:5], v[0:1]
	ds_load_u16 v14, v10
	v_lshlrev_b64 v[10:11], 1, v[2:3]
	v_dual_mov_b32 v3, v1 :: v_dual_mov_b32 v2, v0
	v_add_nc_u32_e32 v0, 0x80, v0
	s_or_b32 s1, vcc_lo, s1
	s_delay_alu instid0(VALU_DEP_3) | instskip(NEXT) | instid1(VALU_DEP_1)
	v_add_co_u32 v10, s0, v8, v10
	v_add_co_ci_u32_e64 v11, s0, v9, v11, s0
	s_waitcnt lgkmcnt(0)
	global_store_b16 v[10:11], v14, off
	s_and_not1_b32 exec_lo, exec_lo, s1
	s_cbranch_execnz .LBB342_325
.LBB342_326:
	s_or_b32 exec_lo, exec_lo, s10
	s_and_b32 s0, s2, s5
	s_delay_alu instid0(SALU_CYCLE_1)
	s_and_saveexec_b32 s1, s0
	s_cbranch_execz .LBB342_164
.LBB342_327:
	v_add_co_u32 v0, vcc_lo, v6, v4
	v_add_co_ci_u32_e32 v1, vcc_lo, v7, v5, vcc_lo
	v_mov_b32_e32 v2, 0
	s_delay_alu instid0(VALU_DEP_3) | instskip(NEXT) | instid1(VALU_DEP_3)
	v_add_co_u32 v0, vcc_lo, v0, v12
	v_add_co_ci_u32_e32 v1, vcc_lo, v1, v13, vcc_lo
	global_store_b64 v2, v[0:1], s[8:9]
	s_nop 0
	s_sendmsg sendmsg(MSG_DEALLOC_VGPRS)
	s_endpgm
	.section	.rodata,"a",@progbits
	.p2align	6, 0x0
	.amdhsa_kernel _ZN7rocprim17ROCPRIM_400000_NS6detail17trampoline_kernelINS0_14default_configENS1_25partition_config_selectorILNS1_17partition_subalgoE6EtNS0_10empty_typeEbEEZZNS1_14partition_implILS5_6ELb0ES3_mN6thrust23THRUST_200600_302600_NS6detail15normal_iteratorINSA_10device_ptrItEEEEPS6_SG_NS0_5tupleIJSF_S6_EEENSH_IJSG_SG_EEES6_PlJ7is_evenItEEEE10hipError_tPvRmT3_T4_T5_T6_T7_T9_mT8_P12ihipStream_tbDpT10_ENKUlT_T0_E_clISt17integral_constantIbLb1EES16_EEDaS11_S12_EUlS11_E_NS1_11comp_targetILNS1_3genE9ELNS1_11target_archE1100ELNS1_3gpuE3ELNS1_3repE0EEENS1_30default_config_static_selectorELNS0_4arch9wavefront6targetE0EEEvT1_
		.amdhsa_group_segment_fixed_size 7696
		.amdhsa_private_segment_fixed_size 0
		.amdhsa_kernarg_size 128
		.amdhsa_user_sgpr_count 15
		.amdhsa_user_sgpr_dispatch_ptr 0
		.amdhsa_user_sgpr_queue_ptr 0
		.amdhsa_user_sgpr_kernarg_segment_ptr 1
		.amdhsa_user_sgpr_dispatch_id 0
		.amdhsa_user_sgpr_private_segment_size 0
		.amdhsa_wavefront_size32 1
		.amdhsa_uses_dynamic_stack 0
		.amdhsa_enable_private_segment 0
		.amdhsa_system_sgpr_workgroup_id_x 1
		.amdhsa_system_sgpr_workgroup_id_y 0
		.amdhsa_system_sgpr_workgroup_id_z 0
		.amdhsa_system_sgpr_workgroup_info 0
		.amdhsa_system_vgpr_workitem_id 0
		.amdhsa_next_free_vgpr 134
		.amdhsa_next_free_sgpr 18
		.amdhsa_reserve_vcc 1
		.amdhsa_float_round_mode_32 0
		.amdhsa_float_round_mode_16_64 0
		.amdhsa_float_denorm_mode_32 3
		.amdhsa_float_denorm_mode_16_64 3
		.amdhsa_dx10_clamp 1
		.amdhsa_ieee_mode 1
		.amdhsa_fp16_overflow 0
		.amdhsa_workgroup_processor_mode 1
		.amdhsa_memory_ordered 1
		.amdhsa_forward_progress 0
		.amdhsa_shared_vgpr_count 0
		.amdhsa_exception_fp_ieee_invalid_op 0
		.amdhsa_exception_fp_denorm_src 0
		.amdhsa_exception_fp_ieee_div_zero 0
		.amdhsa_exception_fp_ieee_overflow 0
		.amdhsa_exception_fp_ieee_underflow 0
		.amdhsa_exception_fp_ieee_inexact 0
		.amdhsa_exception_int_div_zero 0
	.end_amdhsa_kernel
	.section	.text._ZN7rocprim17ROCPRIM_400000_NS6detail17trampoline_kernelINS0_14default_configENS1_25partition_config_selectorILNS1_17partition_subalgoE6EtNS0_10empty_typeEbEEZZNS1_14partition_implILS5_6ELb0ES3_mN6thrust23THRUST_200600_302600_NS6detail15normal_iteratorINSA_10device_ptrItEEEEPS6_SG_NS0_5tupleIJSF_S6_EEENSH_IJSG_SG_EEES6_PlJ7is_evenItEEEE10hipError_tPvRmT3_T4_T5_T6_T7_T9_mT8_P12ihipStream_tbDpT10_ENKUlT_T0_E_clISt17integral_constantIbLb1EES16_EEDaS11_S12_EUlS11_E_NS1_11comp_targetILNS1_3genE9ELNS1_11target_archE1100ELNS1_3gpuE3ELNS1_3repE0EEENS1_30default_config_static_selectorELNS0_4arch9wavefront6targetE0EEEvT1_,"axG",@progbits,_ZN7rocprim17ROCPRIM_400000_NS6detail17trampoline_kernelINS0_14default_configENS1_25partition_config_selectorILNS1_17partition_subalgoE6EtNS0_10empty_typeEbEEZZNS1_14partition_implILS5_6ELb0ES3_mN6thrust23THRUST_200600_302600_NS6detail15normal_iteratorINSA_10device_ptrItEEEEPS6_SG_NS0_5tupleIJSF_S6_EEENSH_IJSG_SG_EEES6_PlJ7is_evenItEEEE10hipError_tPvRmT3_T4_T5_T6_T7_T9_mT8_P12ihipStream_tbDpT10_ENKUlT_T0_E_clISt17integral_constantIbLb1EES16_EEDaS11_S12_EUlS11_E_NS1_11comp_targetILNS1_3genE9ELNS1_11target_archE1100ELNS1_3gpuE3ELNS1_3repE0EEENS1_30default_config_static_selectorELNS0_4arch9wavefront6targetE0EEEvT1_,comdat
.Lfunc_end342:
	.size	_ZN7rocprim17ROCPRIM_400000_NS6detail17trampoline_kernelINS0_14default_configENS1_25partition_config_selectorILNS1_17partition_subalgoE6EtNS0_10empty_typeEbEEZZNS1_14partition_implILS5_6ELb0ES3_mN6thrust23THRUST_200600_302600_NS6detail15normal_iteratorINSA_10device_ptrItEEEEPS6_SG_NS0_5tupleIJSF_S6_EEENSH_IJSG_SG_EEES6_PlJ7is_evenItEEEE10hipError_tPvRmT3_T4_T5_T6_T7_T9_mT8_P12ihipStream_tbDpT10_ENKUlT_T0_E_clISt17integral_constantIbLb1EES16_EEDaS11_S12_EUlS11_E_NS1_11comp_targetILNS1_3genE9ELNS1_11target_archE1100ELNS1_3gpuE3ELNS1_3repE0EEENS1_30default_config_static_selectorELNS0_4arch9wavefront6targetE0EEEvT1_, .Lfunc_end342-_ZN7rocprim17ROCPRIM_400000_NS6detail17trampoline_kernelINS0_14default_configENS1_25partition_config_selectorILNS1_17partition_subalgoE6EtNS0_10empty_typeEbEEZZNS1_14partition_implILS5_6ELb0ES3_mN6thrust23THRUST_200600_302600_NS6detail15normal_iteratorINSA_10device_ptrItEEEEPS6_SG_NS0_5tupleIJSF_S6_EEENSH_IJSG_SG_EEES6_PlJ7is_evenItEEEE10hipError_tPvRmT3_T4_T5_T6_T7_T9_mT8_P12ihipStream_tbDpT10_ENKUlT_T0_E_clISt17integral_constantIbLb1EES16_EEDaS11_S12_EUlS11_E_NS1_11comp_targetILNS1_3genE9ELNS1_11target_archE1100ELNS1_3gpuE3ELNS1_3repE0EEENS1_30default_config_static_selectorELNS0_4arch9wavefront6targetE0EEEvT1_
                                        ; -- End function
	.section	.AMDGPU.csdata,"",@progbits
; Kernel info:
; codeLenInByte = 13376
; NumSgprs: 20
; NumVgprs: 134
; ScratchSize: 0
; MemoryBound: 0
; FloatMode: 240
; IeeeMode: 1
; LDSByteSize: 7696 bytes/workgroup (compile time only)
; SGPRBlocks: 2
; VGPRBlocks: 16
; NumSGPRsForWavesPerEU: 20
; NumVGPRsForWavesPerEU: 134
; Occupancy: 10
; WaveLimiterHint : 1
; COMPUTE_PGM_RSRC2:SCRATCH_EN: 0
; COMPUTE_PGM_RSRC2:USER_SGPR: 15
; COMPUTE_PGM_RSRC2:TRAP_HANDLER: 0
; COMPUTE_PGM_RSRC2:TGID_X_EN: 1
; COMPUTE_PGM_RSRC2:TGID_Y_EN: 0
; COMPUTE_PGM_RSRC2:TGID_Z_EN: 0
; COMPUTE_PGM_RSRC2:TIDIG_COMP_CNT: 0
	.section	.text._ZN7rocprim17ROCPRIM_400000_NS6detail17trampoline_kernelINS0_14default_configENS1_25partition_config_selectorILNS1_17partition_subalgoE6EtNS0_10empty_typeEbEEZZNS1_14partition_implILS5_6ELb0ES3_mN6thrust23THRUST_200600_302600_NS6detail15normal_iteratorINSA_10device_ptrItEEEEPS6_SG_NS0_5tupleIJSF_S6_EEENSH_IJSG_SG_EEES6_PlJ7is_evenItEEEE10hipError_tPvRmT3_T4_T5_T6_T7_T9_mT8_P12ihipStream_tbDpT10_ENKUlT_T0_E_clISt17integral_constantIbLb1EES16_EEDaS11_S12_EUlS11_E_NS1_11comp_targetILNS1_3genE8ELNS1_11target_archE1030ELNS1_3gpuE2ELNS1_3repE0EEENS1_30default_config_static_selectorELNS0_4arch9wavefront6targetE0EEEvT1_,"axG",@progbits,_ZN7rocprim17ROCPRIM_400000_NS6detail17trampoline_kernelINS0_14default_configENS1_25partition_config_selectorILNS1_17partition_subalgoE6EtNS0_10empty_typeEbEEZZNS1_14partition_implILS5_6ELb0ES3_mN6thrust23THRUST_200600_302600_NS6detail15normal_iteratorINSA_10device_ptrItEEEEPS6_SG_NS0_5tupleIJSF_S6_EEENSH_IJSG_SG_EEES6_PlJ7is_evenItEEEE10hipError_tPvRmT3_T4_T5_T6_T7_T9_mT8_P12ihipStream_tbDpT10_ENKUlT_T0_E_clISt17integral_constantIbLb1EES16_EEDaS11_S12_EUlS11_E_NS1_11comp_targetILNS1_3genE8ELNS1_11target_archE1030ELNS1_3gpuE2ELNS1_3repE0EEENS1_30default_config_static_selectorELNS0_4arch9wavefront6targetE0EEEvT1_,comdat
	.protected	_ZN7rocprim17ROCPRIM_400000_NS6detail17trampoline_kernelINS0_14default_configENS1_25partition_config_selectorILNS1_17partition_subalgoE6EtNS0_10empty_typeEbEEZZNS1_14partition_implILS5_6ELb0ES3_mN6thrust23THRUST_200600_302600_NS6detail15normal_iteratorINSA_10device_ptrItEEEEPS6_SG_NS0_5tupleIJSF_S6_EEENSH_IJSG_SG_EEES6_PlJ7is_evenItEEEE10hipError_tPvRmT3_T4_T5_T6_T7_T9_mT8_P12ihipStream_tbDpT10_ENKUlT_T0_E_clISt17integral_constantIbLb1EES16_EEDaS11_S12_EUlS11_E_NS1_11comp_targetILNS1_3genE8ELNS1_11target_archE1030ELNS1_3gpuE2ELNS1_3repE0EEENS1_30default_config_static_selectorELNS0_4arch9wavefront6targetE0EEEvT1_ ; -- Begin function _ZN7rocprim17ROCPRIM_400000_NS6detail17trampoline_kernelINS0_14default_configENS1_25partition_config_selectorILNS1_17partition_subalgoE6EtNS0_10empty_typeEbEEZZNS1_14partition_implILS5_6ELb0ES3_mN6thrust23THRUST_200600_302600_NS6detail15normal_iteratorINSA_10device_ptrItEEEEPS6_SG_NS0_5tupleIJSF_S6_EEENSH_IJSG_SG_EEES6_PlJ7is_evenItEEEE10hipError_tPvRmT3_T4_T5_T6_T7_T9_mT8_P12ihipStream_tbDpT10_ENKUlT_T0_E_clISt17integral_constantIbLb1EES16_EEDaS11_S12_EUlS11_E_NS1_11comp_targetILNS1_3genE8ELNS1_11target_archE1030ELNS1_3gpuE2ELNS1_3repE0EEENS1_30default_config_static_selectorELNS0_4arch9wavefront6targetE0EEEvT1_
	.globl	_ZN7rocprim17ROCPRIM_400000_NS6detail17trampoline_kernelINS0_14default_configENS1_25partition_config_selectorILNS1_17partition_subalgoE6EtNS0_10empty_typeEbEEZZNS1_14partition_implILS5_6ELb0ES3_mN6thrust23THRUST_200600_302600_NS6detail15normal_iteratorINSA_10device_ptrItEEEEPS6_SG_NS0_5tupleIJSF_S6_EEENSH_IJSG_SG_EEES6_PlJ7is_evenItEEEE10hipError_tPvRmT3_T4_T5_T6_T7_T9_mT8_P12ihipStream_tbDpT10_ENKUlT_T0_E_clISt17integral_constantIbLb1EES16_EEDaS11_S12_EUlS11_E_NS1_11comp_targetILNS1_3genE8ELNS1_11target_archE1030ELNS1_3gpuE2ELNS1_3repE0EEENS1_30default_config_static_selectorELNS0_4arch9wavefront6targetE0EEEvT1_
	.p2align	8
	.type	_ZN7rocprim17ROCPRIM_400000_NS6detail17trampoline_kernelINS0_14default_configENS1_25partition_config_selectorILNS1_17partition_subalgoE6EtNS0_10empty_typeEbEEZZNS1_14partition_implILS5_6ELb0ES3_mN6thrust23THRUST_200600_302600_NS6detail15normal_iteratorINSA_10device_ptrItEEEEPS6_SG_NS0_5tupleIJSF_S6_EEENSH_IJSG_SG_EEES6_PlJ7is_evenItEEEE10hipError_tPvRmT3_T4_T5_T6_T7_T9_mT8_P12ihipStream_tbDpT10_ENKUlT_T0_E_clISt17integral_constantIbLb1EES16_EEDaS11_S12_EUlS11_E_NS1_11comp_targetILNS1_3genE8ELNS1_11target_archE1030ELNS1_3gpuE2ELNS1_3repE0EEENS1_30default_config_static_selectorELNS0_4arch9wavefront6targetE0EEEvT1_,@function
_ZN7rocprim17ROCPRIM_400000_NS6detail17trampoline_kernelINS0_14default_configENS1_25partition_config_selectorILNS1_17partition_subalgoE6EtNS0_10empty_typeEbEEZZNS1_14partition_implILS5_6ELb0ES3_mN6thrust23THRUST_200600_302600_NS6detail15normal_iteratorINSA_10device_ptrItEEEEPS6_SG_NS0_5tupleIJSF_S6_EEENSH_IJSG_SG_EEES6_PlJ7is_evenItEEEE10hipError_tPvRmT3_T4_T5_T6_T7_T9_mT8_P12ihipStream_tbDpT10_ENKUlT_T0_E_clISt17integral_constantIbLb1EES16_EEDaS11_S12_EUlS11_E_NS1_11comp_targetILNS1_3genE8ELNS1_11target_archE1030ELNS1_3gpuE2ELNS1_3repE0EEENS1_30default_config_static_selectorELNS0_4arch9wavefront6targetE0EEEvT1_: ; @_ZN7rocprim17ROCPRIM_400000_NS6detail17trampoline_kernelINS0_14default_configENS1_25partition_config_selectorILNS1_17partition_subalgoE6EtNS0_10empty_typeEbEEZZNS1_14partition_implILS5_6ELb0ES3_mN6thrust23THRUST_200600_302600_NS6detail15normal_iteratorINSA_10device_ptrItEEEEPS6_SG_NS0_5tupleIJSF_S6_EEENSH_IJSG_SG_EEES6_PlJ7is_evenItEEEE10hipError_tPvRmT3_T4_T5_T6_T7_T9_mT8_P12ihipStream_tbDpT10_ENKUlT_T0_E_clISt17integral_constantIbLb1EES16_EEDaS11_S12_EUlS11_E_NS1_11comp_targetILNS1_3genE8ELNS1_11target_archE1030ELNS1_3gpuE2ELNS1_3repE0EEENS1_30default_config_static_selectorELNS0_4arch9wavefront6targetE0EEEvT1_
; %bb.0:
	.section	.rodata,"a",@progbits
	.p2align	6, 0x0
	.amdhsa_kernel _ZN7rocprim17ROCPRIM_400000_NS6detail17trampoline_kernelINS0_14default_configENS1_25partition_config_selectorILNS1_17partition_subalgoE6EtNS0_10empty_typeEbEEZZNS1_14partition_implILS5_6ELb0ES3_mN6thrust23THRUST_200600_302600_NS6detail15normal_iteratorINSA_10device_ptrItEEEEPS6_SG_NS0_5tupleIJSF_S6_EEENSH_IJSG_SG_EEES6_PlJ7is_evenItEEEE10hipError_tPvRmT3_T4_T5_T6_T7_T9_mT8_P12ihipStream_tbDpT10_ENKUlT_T0_E_clISt17integral_constantIbLb1EES16_EEDaS11_S12_EUlS11_E_NS1_11comp_targetILNS1_3genE8ELNS1_11target_archE1030ELNS1_3gpuE2ELNS1_3repE0EEENS1_30default_config_static_selectorELNS0_4arch9wavefront6targetE0EEEvT1_
		.amdhsa_group_segment_fixed_size 0
		.amdhsa_private_segment_fixed_size 0
		.amdhsa_kernarg_size 128
		.amdhsa_user_sgpr_count 15
		.amdhsa_user_sgpr_dispatch_ptr 0
		.amdhsa_user_sgpr_queue_ptr 0
		.amdhsa_user_sgpr_kernarg_segment_ptr 1
		.amdhsa_user_sgpr_dispatch_id 0
		.amdhsa_user_sgpr_private_segment_size 0
		.amdhsa_wavefront_size32 1
		.amdhsa_uses_dynamic_stack 0
		.amdhsa_enable_private_segment 0
		.amdhsa_system_sgpr_workgroup_id_x 1
		.amdhsa_system_sgpr_workgroup_id_y 0
		.amdhsa_system_sgpr_workgroup_id_z 0
		.amdhsa_system_sgpr_workgroup_info 0
		.amdhsa_system_vgpr_workitem_id 0
		.amdhsa_next_free_vgpr 1
		.amdhsa_next_free_sgpr 1
		.amdhsa_reserve_vcc 0
		.amdhsa_float_round_mode_32 0
		.amdhsa_float_round_mode_16_64 0
		.amdhsa_float_denorm_mode_32 3
		.amdhsa_float_denorm_mode_16_64 3
		.amdhsa_dx10_clamp 1
		.amdhsa_ieee_mode 1
		.amdhsa_fp16_overflow 0
		.amdhsa_workgroup_processor_mode 1
		.amdhsa_memory_ordered 1
		.amdhsa_forward_progress 0
		.amdhsa_shared_vgpr_count 0
		.amdhsa_exception_fp_ieee_invalid_op 0
		.amdhsa_exception_fp_denorm_src 0
		.amdhsa_exception_fp_ieee_div_zero 0
		.amdhsa_exception_fp_ieee_overflow 0
		.amdhsa_exception_fp_ieee_underflow 0
		.amdhsa_exception_fp_ieee_inexact 0
		.amdhsa_exception_int_div_zero 0
	.end_amdhsa_kernel
	.section	.text._ZN7rocprim17ROCPRIM_400000_NS6detail17trampoline_kernelINS0_14default_configENS1_25partition_config_selectorILNS1_17partition_subalgoE6EtNS0_10empty_typeEbEEZZNS1_14partition_implILS5_6ELb0ES3_mN6thrust23THRUST_200600_302600_NS6detail15normal_iteratorINSA_10device_ptrItEEEEPS6_SG_NS0_5tupleIJSF_S6_EEENSH_IJSG_SG_EEES6_PlJ7is_evenItEEEE10hipError_tPvRmT3_T4_T5_T6_T7_T9_mT8_P12ihipStream_tbDpT10_ENKUlT_T0_E_clISt17integral_constantIbLb1EES16_EEDaS11_S12_EUlS11_E_NS1_11comp_targetILNS1_3genE8ELNS1_11target_archE1030ELNS1_3gpuE2ELNS1_3repE0EEENS1_30default_config_static_selectorELNS0_4arch9wavefront6targetE0EEEvT1_,"axG",@progbits,_ZN7rocprim17ROCPRIM_400000_NS6detail17trampoline_kernelINS0_14default_configENS1_25partition_config_selectorILNS1_17partition_subalgoE6EtNS0_10empty_typeEbEEZZNS1_14partition_implILS5_6ELb0ES3_mN6thrust23THRUST_200600_302600_NS6detail15normal_iteratorINSA_10device_ptrItEEEEPS6_SG_NS0_5tupleIJSF_S6_EEENSH_IJSG_SG_EEES6_PlJ7is_evenItEEEE10hipError_tPvRmT3_T4_T5_T6_T7_T9_mT8_P12ihipStream_tbDpT10_ENKUlT_T0_E_clISt17integral_constantIbLb1EES16_EEDaS11_S12_EUlS11_E_NS1_11comp_targetILNS1_3genE8ELNS1_11target_archE1030ELNS1_3gpuE2ELNS1_3repE0EEENS1_30default_config_static_selectorELNS0_4arch9wavefront6targetE0EEEvT1_,comdat
.Lfunc_end343:
	.size	_ZN7rocprim17ROCPRIM_400000_NS6detail17trampoline_kernelINS0_14default_configENS1_25partition_config_selectorILNS1_17partition_subalgoE6EtNS0_10empty_typeEbEEZZNS1_14partition_implILS5_6ELb0ES3_mN6thrust23THRUST_200600_302600_NS6detail15normal_iteratorINSA_10device_ptrItEEEEPS6_SG_NS0_5tupleIJSF_S6_EEENSH_IJSG_SG_EEES6_PlJ7is_evenItEEEE10hipError_tPvRmT3_T4_T5_T6_T7_T9_mT8_P12ihipStream_tbDpT10_ENKUlT_T0_E_clISt17integral_constantIbLb1EES16_EEDaS11_S12_EUlS11_E_NS1_11comp_targetILNS1_3genE8ELNS1_11target_archE1030ELNS1_3gpuE2ELNS1_3repE0EEENS1_30default_config_static_selectorELNS0_4arch9wavefront6targetE0EEEvT1_, .Lfunc_end343-_ZN7rocprim17ROCPRIM_400000_NS6detail17trampoline_kernelINS0_14default_configENS1_25partition_config_selectorILNS1_17partition_subalgoE6EtNS0_10empty_typeEbEEZZNS1_14partition_implILS5_6ELb0ES3_mN6thrust23THRUST_200600_302600_NS6detail15normal_iteratorINSA_10device_ptrItEEEEPS6_SG_NS0_5tupleIJSF_S6_EEENSH_IJSG_SG_EEES6_PlJ7is_evenItEEEE10hipError_tPvRmT3_T4_T5_T6_T7_T9_mT8_P12ihipStream_tbDpT10_ENKUlT_T0_E_clISt17integral_constantIbLb1EES16_EEDaS11_S12_EUlS11_E_NS1_11comp_targetILNS1_3genE8ELNS1_11target_archE1030ELNS1_3gpuE2ELNS1_3repE0EEENS1_30default_config_static_selectorELNS0_4arch9wavefront6targetE0EEEvT1_
                                        ; -- End function
	.section	.AMDGPU.csdata,"",@progbits
; Kernel info:
; codeLenInByte = 0
; NumSgprs: 0
; NumVgprs: 0
; ScratchSize: 0
; MemoryBound: 0
; FloatMode: 240
; IeeeMode: 1
; LDSByteSize: 0 bytes/workgroup (compile time only)
; SGPRBlocks: 0
; VGPRBlocks: 0
; NumSGPRsForWavesPerEU: 1
; NumVGPRsForWavesPerEU: 1
; Occupancy: 16
; WaveLimiterHint : 0
; COMPUTE_PGM_RSRC2:SCRATCH_EN: 0
; COMPUTE_PGM_RSRC2:USER_SGPR: 15
; COMPUTE_PGM_RSRC2:TRAP_HANDLER: 0
; COMPUTE_PGM_RSRC2:TGID_X_EN: 1
; COMPUTE_PGM_RSRC2:TGID_Y_EN: 0
; COMPUTE_PGM_RSRC2:TGID_Z_EN: 0
; COMPUTE_PGM_RSRC2:TIDIG_COMP_CNT: 0
	.section	.text._ZN7rocprim17ROCPRIM_400000_NS6detail17trampoline_kernelINS0_14default_configENS1_25partition_config_selectorILNS1_17partition_subalgoE6EtNS0_10empty_typeEbEEZZNS1_14partition_implILS5_6ELb0ES3_mN6thrust23THRUST_200600_302600_NS6detail15normal_iteratorINSA_10device_ptrItEEEEPS6_SG_NS0_5tupleIJSF_S6_EEENSH_IJSG_SG_EEES6_PlJ7is_evenItEEEE10hipError_tPvRmT3_T4_T5_T6_T7_T9_mT8_P12ihipStream_tbDpT10_ENKUlT_T0_E_clISt17integral_constantIbLb1EES15_IbLb0EEEEDaS11_S12_EUlS11_E_NS1_11comp_targetILNS1_3genE0ELNS1_11target_archE4294967295ELNS1_3gpuE0ELNS1_3repE0EEENS1_30default_config_static_selectorELNS0_4arch9wavefront6targetE0EEEvT1_,"axG",@progbits,_ZN7rocprim17ROCPRIM_400000_NS6detail17trampoline_kernelINS0_14default_configENS1_25partition_config_selectorILNS1_17partition_subalgoE6EtNS0_10empty_typeEbEEZZNS1_14partition_implILS5_6ELb0ES3_mN6thrust23THRUST_200600_302600_NS6detail15normal_iteratorINSA_10device_ptrItEEEEPS6_SG_NS0_5tupleIJSF_S6_EEENSH_IJSG_SG_EEES6_PlJ7is_evenItEEEE10hipError_tPvRmT3_T4_T5_T6_T7_T9_mT8_P12ihipStream_tbDpT10_ENKUlT_T0_E_clISt17integral_constantIbLb1EES15_IbLb0EEEEDaS11_S12_EUlS11_E_NS1_11comp_targetILNS1_3genE0ELNS1_11target_archE4294967295ELNS1_3gpuE0ELNS1_3repE0EEENS1_30default_config_static_selectorELNS0_4arch9wavefront6targetE0EEEvT1_,comdat
	.protected	_ZN7rocprim17ROCPRIM_400000_NS6detail17trampoline_kernelINS0_14default_configENS1_25partition_config_selectorILNS1_17partition_subalgoE6EtNS0_10empty_typeEbEEZZNS1_14partition_implILS5_6ELb0ES3_mN6thrust23THRUST_200600_302600_NS6detail15normal_iteratorINSA_10device_ptrItEEEEPS6_SG_NS0_5tupleIJSF_S6_EEENSH_IJSG_SG_EEES6_PlJ7is_evenItEEEE10hipError_tPvRmT3_T4_T5_T6_T7_T9_mT8_P12ihipStream_tbDpT10_ENKUlT_T0_E_clISt17integral_constantIbLb1EES15_IbLb0EEEEDaS11_S12_EUlS11_E_NS1_11comp_targetILNS1_3genE0ELNS1_11target_archE4294967295ELNS1_3gpuE0ELNS1_3repE0EEENS1_30default_config_static_selectorELNS0_4arch9wavefront6targetE0EEEvT1_ ; -- Begin function _ZN7rocprim17ROCPRIM_400000_NS6detail17trampoline_kernelINS0_14default_configENS1_25partition_config_selectorILNS1_17partition_subalgoE6EtNS0_10empty_typeEbEEZZNS1_14partition_implILS5_6ELb0ES3_mN6thrust23THRUST_200600_302600_NS6detail15normal_iteratorINSA_10device_ptrItEEEEPS6_SG_NS0_5tupleIJSF_S6_EEENSH_IJSG_SG_EEES6_PlJ7is_evenItEEEE10hipError_tPvRmT3_T4_T5_T6_T7_T9_mT8_P12ihipStream_tbDpT10_ENKUlT_T0_E_clISt17integral_constantIbLb1EES15_IbLb0EEEEDaS11_S12_EUlS11_E_NS1_11comp_targetILNS1_3genE0ELNS1_11target_archE4294967295ELNS1_3gpuE0ELNS1_3repE0EEENS1_30default_config_static_selectorELNS0_4arch9wavefront6targetE0EEEvT1_
	.globl	_ZN7rocprim17ROCPRIM_400000_NS6detail17trampoline_kernelINS0_14default_configENS1_25partition_config_selectorILNS1_17partition_subalgoE6EtNS0_10empty_typeEbEEZZNS1_14partition_implILS5_6ELb0ES3_mN6thrust23THRUST_200600_302600_NS6detail15normal_iteratorINSA_10device_ptrItEEEEPS6_SG_NS0_5tupleIJSF_S6_EEENSH_IJSG_SG_EEES6_PlJ7is_evenItEEEE10hipError_tPvRmT3_T4_T5_T6_T7_T9_mT8_P12ihipStream_tbDpT10_ENKUlT_T0_E_clISt17integral_constantIbLb1EES15_IbLb0EEEEDaS11_S12_EUlS11_E_NS1_11comp_targetILNS1_3genE0ELNS1_11target_archE4294967295ELNS1_3gpuE0ELNS1_3repE0EEENS1_30default_config_static_selectorELNS0_4arch9wavefront6targetE0EEEvT1_
	.p2align	8
	.type	_ZN7rocprim17ROCPRIM_400000_NS6detail17trampoline_kernelINS0_14default_configENS1_25partition_config_selectorILNS1_17partition_subalgoE6EtNS0_10empty_typeEbEEZZNS1_14partition_implILS5_6ELb0ES3_mN6thrust23THRUST_200600_302600_NS6detail15normal_iteratorINSA_10device_ptrItEEEEPS6_SG_NS0_5tupleIJSF_S6_EEENSH_IJSG_SG_EEES6_PlJ7is_evenItEEEE10hipError_tPvRmT3_T4_T5_T6_T7_T9_mT8_P12ihipStream_tbDpT10_ENKUlT_T0_E_clISt17integral_constantIbLb1EES15_IbLb0EEEEDaS11_S12_EUlS11_E_NS1_11comp_targetILNS1_3genE0ELNS1_11target_archE4294967295ELNS1_3gpuE0ELNS1_3repE0EEENS1_30default_config_static_selectorELNS0_4arch9wavefront6targetE0EEEvT1_,@function
_ZN7rocprim17ROCPRIM_400000_NS6detail17trampoline_kernelINS0_14default_configENS1_25partition_config_selectorILNS1_17partition_subalgoE6EtNS0_10empty_typeEbEEZZNS1_14partition_implILS5_6ELb0ES3_mN6thrust23THRUST_200600_302600_NS6detail15normal_iteratorINSA_10device_ptrItEEEEPS6_SG_NS0_5tupleIJSF_S6_EEENSH_IJSG_SG_EEES6_PlJ7is_evenItEEEE10hipError_tPvRmT3_T4_T5_T6_T7_T9_mT8_P12ihipStream_tbDpT10_ENKUlT_T0_E_clISt17integral_constantIbLb1EES15_IbLb0EEEEDaS11_S12_EUlS11_E_NS1_11comp_targetILNS1_3genE0ELNS1_11target_archE4294967295ELNS1_3gpuE0ELNS1_3repE0EEENS1_30default_config_static_selectorELNS0_4arch9wavefront6targetE0EEEvT1_: ; @_ZN7rocprim17ROCPRIM_400000_NS6detail17trampoline_kernelINS0_14default_configENS1_25partition_config_selectorILNS1_17partition_subalgoE6EtNS0_10empty_typeEbEEZZNS1_14partition_implILS5_6ELb0ES3_mN6thrust23THRUST_200600_302600_NS6detail15normal_iteratorINSA_10device_ptrItEEEEPS6_SG_NS0_5tupleIJSF_S6_EEENSH_IJSG_SG_EEES6_PlJ7is_evenItEEEE10hipError_tPvRmT3_T4_T5_T6_T7_T9_mT8_P12ihipStream_tbDpT10_ENKUlT_T0_E_clISt17integral_constantIbLb1EES15_IbLb0EEEEDaS11_S12_EUlS11_E_NS1_11comp_targetILNS1_3genE0ELNS1_11target_archE4294967295ELNS1_3gpuE0ELNS1_3repE0EEENS1_30default_config_static_selectorELNS0_4arch9wavefront6targetE0EEEvT1_
; %bb.0:
	.section	.rodata,"a",@progbits
	.p2align	6, 0x0
	.amdhsa_kernel _ZN7rocprim17ROCPRIM_400000_NS6detail17trampoline_kernelINS0_14default_configENS1_25partition_config_selectorILNS1_17partition_subalgoE6EtNS0_10empty_typeEbEEZZNS1_14partition_implILS5_6ELb0ES3_mN6thrust23THRUST_200600_302600_NS6detail15normal_iteratorINSA_10device_ptrItEEEEPS6_SG_NS0_5tupleIJSF_S6_EEENSH_IJSG_SG_EEES6_PlJ7is_evenItEEEE10hipError_tPvRmT3_T4_T5_T6_T7_T9_mT8_P12ihipStream_tbDpT10_ENKUlT_T0_E_clISt17integral_constantIbLb1EES15_IbLb0EEEEDaS11_S12_EUlS11_E_NS1_11comp_targetILNS1_3genE0ELNS1_11target_archE4294967295ELNS1_3gpuE0ELNS1_3repE0EEENS1_30default_config_static_selectorELNS0_4arch9wavefront6targetE0EEEvT1_
		.amdhsa_group_segment_fixed_size 0
		.amdhsa_private_segment_fixed_size 0
		.amdhsa_kernarg_size 112
		.amdhsa_user_sgpr_count 15
		.amdhsa_user_sgpr_dispatch_ptr 0
		.amdhsa_user_sgpr_queue_ptr 0
		.amdhsa_user_sgpr_kernarg_segment_ptr 1
		.amdhsa_user_sgpr_dispatch_id 0
		.amdhsa_user_sgpr_private_segment_size 0
		.amdhsa_wavefront_size32 1
		.amdhsa_uses_dynamic_stack 0
		.amdhsa_enable_private_segment 0
		.amdhsa_system_sgpr_workgroup_id_x 1
		.amdhsa_system_sgpr_workgroup_id_y 0
		.amdhsa_system_sgpr_workgroup_id_z 0
		.amdhsa_system_sgpr_workgroup_info 0
		.amdhsa_system_vgpr_workitem_id 0
		.amdhsa_next_free_vgpr 1
		.amdhsa_next_free_sgpr 1
		.amdhsa_reserve_vcc 0
		.amdhsa_float_round_mode_32 0
		.amdhsa_float_round_mode_16_64 0
		.amdhsa_float_denorm_mode_32 3
		.amdhsa_float_denorm_mode_16_64 3
		.amdhsa_dx10_clamp 1
		.amdhsa_ieee_mode 1
		.amdhsa_fp16_overflow 0
		.amdhsa_workgroup_processor_mode 1
		.amdhsa_memory_ordered 1
		.amdhsa_forward_progress 0
		.amdhsa_shared_vgpr_count 0
		.amdhsa_exception_fp_ieee_invalid_op 0
		.amdhsa_exception_fp_denorm_src 0
		.amdhsa_exception_fp_ieee_div_zero 0
		.amdhsa_exception_fp_ieee_overflow 0
		.amdhsa_exception_fp_ieee_underflow 0
		.amdhsa_exception_fp_ieee_inexact 0
		.amdhsa_exception_int_div_zero 0
	.end_amdhsa_kernel
	.section	.text._ZN7rocprim17ROCPRIM_400000_NS6detail17trampoline_kernelINS0_14default_configENS1_25partition_config_selectorILNS1_17partition_subalgoE6EtNS0_10empty_typeEbEEZZNS1_14partition_implILS5_6ELb0ES3_mN6thrust23THRUST_200600_302600_NS6detail15normal_iteratorINSA_10device_ptrItEEEEPS6_SG_NS0_5tupleIJSF_S6_EEENSH_IJSG_SG_EEES6_PlJ7is_evenItEEEE10hipError_tPvRmT3_T4_T5_T6_T7_T9_mT8_P12ihipStream_tbDpT10_ENKUlT_T0_E_clISt17integral_constantIbLb1EES15_IbLb0EEEEDaS11_S12_EUlS11_E_NS1_11comp_targetILNS1_3genE0ELNS1_11target_archE4294967295ELNS1_3gpuE0ELNS1_3repE0EEENS1_30default_config_static_selectorELNS0_4arch9wavefront6targetE0EEEvT1_,"axG",@progbits,_ZN7rocprim17ROCPRIM_400000_NS6detail17trampoline_kernelINS0_14default_configENS1_25partition_config_selectorILNS1_17partition_subalgoE6EtNS0_10empty_typeEbEEZZNS1_14partition_implILS5_6ELb0ES3_mN6thrust23THRUST_200600_302600_NS6detail15normal_iteratorINSA_10device_ptrItEEEEPS6_SG_NS0_5tupleIJSF_S6_EEENSH_IJSG_SG_EEES6_PlJ7is_evenItEEEE10hipError_tPvRmT3_T4_T5_T6_T7_T9_mT8_P12ihipStream_tbDpT10_ENKUlT_T0_E_clISt17integral_constantIbLb1EES15_IbLb0EEEEDaS11_S12_EUlS11_E_NS1_11comp_targetILNS1_3genE0ELNS1_11target_archE4294967295ELNS1_3gpuE0ELNS1_3repE0EEENS1_30default_config_static_selectorELNS0_4arch9wavefront6targetE0EEEvT1_,comdat
.Lfunc_end344:
	.size	_ZN7rocprim17ROCPRIM_400000_NS6detail17trampoline_kernelINS0_14default_configENS1_25partition_config_selectorILNS1_17partition_subalgoE6EtNS0_10empty_typeEbEEZZNS1_14partition_implILS5_6ELb0ES3_mN6thrust23THRUST_200600_302600_NS6detail15normal_iteratorINSA_10device_ptrItEEEEPS6_SG_NS0_5tupleIJSF_S6_EEENSH_IJSG_SG_EEES6_PlJ7is_evenItEEEE10hipError_tPvRmT3_T4_T5_T6_T7_T9_mT8_P12ihipStream_tbDpT10_ENKUlT_T0_E_clISt17integral_constantIbLb1EES15_IbLb0EEEEDaS11_S12_EUlS11_E_NS1_11comp_targetILNS1_3genE0ELNS1_11target_archE4294967295ELNS1_3gpuE0ELNS1_3repE0EEENS1_30default_config_static_selectorELNS0_4arch9wavefront6targetE0EEEvT1_, .Lfunc_end344-_ZN7rocprim17ROCPRIM_400000_NS6detail17trampoline_kernelINS0_14default_configENS1_25partition_config_selectorILNS1_17partition_subalgoE6EtNS0_10empty_typeEbEEZZNS1_14partition_implILS5_6ELb0ES3_mN6thrust23THRUST_200600_302600_NS6detail15normal_iteratorINSA_10device_ptrItEEEEPS6_SG_NS0_5tupleIJSF_S6_EEENSH_IJSG_SG_EEES6_PlJ7is_evenItEEEE10hipError_tPvRmT3_T4_T5_T6_T7_T9_mT8_P12ihipStream_tbDpT10_ENKUlT_T0_E_clISt17integral_constantIbLb1EES15_IbLb0EEEEDaS11_S12_EUlS11_E_NS1_11comp_targetILNS1_3genE0ELNS1_11target_archE4294967295ELNS1_3gpuE0ELNS1_3repE0EEENS1_30default_config_static_selectorELNS0_4arch9wavefront6targetE0EEEvT1_
                                        ; -- End function
	.section	.AMDGPU.csdata,"",@progbits
; Kernel info:
; codeLenInByte = 0
; NumSgprs: 0
; NumVgprs: 0
; ScratchSize: 0
; MemoryBound: 0
; FloatMode: 240
; IeeeMode: 1
; LDSByteSize: 0 bytes/workgroup (compile time only)
; SGPRBlocks: 0
; VGPRBlocks: 0
; NumSGPRsForWavesPerEU: 1
; NumVGPRsForWavesPerEU: 1
; Occupancy: 16
; WaveLimiterHint : 0
; COMPUTE_PGM_RSRC2:SCRATCH_EN: 0
; COMPUTE_PGM_RSRC2:USER_SGPR: 15
; COMPUTE_PGM_RSRC2:TRAP_HANDLER: 0
; COMPUTE_PGM_RSRC2:TGID_X_EN: 1
; COMPUTE_PGM_RSRC2:TGID_Y_EN: 0
; COMPUTE_PGM_RSRC2:TGID_Z_EN: 0
; COMPUTE_PGM_RSRC2:TIDIG_COMP_CNT: 0
	.section	.text._ZN7rocprim17ROCPRIM_400000_NS6detail17trampoline_kernelINS0_14default_configENS1_25partition_config_selectorILNS1_17partition_subalgoE6EtNS0_10empty_typeEbEEZZNS1_14partition_implILS5_6ELb0ES3_mN6thrust23THRUST_200600_302600_NS6detail15normal_iteratorINSA_10device_ptrItEEEEPS6_SG_NS0_5tupleIJSF_S6_EEENSH_IJSG_SG_EEES6_PlJ7is_evenItEEEE10hipError_tPvRmT3_T4_T5_T6_T7_T9_mT8_P12ihipStream_tbDpT10_ENKUlT_T0_E_clISt17integral_constantIbLb1EES15_IbLb0EEEEDaS11_S12_EUlS11_E_NS1_11comp_targetILNS1_3genE5ELNS1_11target_archE942ELNS1_3gpuE9ELNS1_3repE0EEENS1_30default_config_static_selectorELNS0_4arch9wavefront6targetE0EEEvT1_,"axG",@progbits,_ZN7rocprim17ROCPRIM_400000_NS6detail17trampoline_kernelINS0_14default_configENS1_25partition_config_selectorILNS1_17partition_subalgoE6EtNS0_10empty_typeEbEEZZNS1_14partition_implILS5_6ELb0ES3_mN6thrust23THRUST_200600_302600_NS6detail15normal_iteratorINSA_10device_ptrItEEEEPS6_SG_NS0_5tupleIJSF_S6_EEENSH_IJSG_SG_EEES6_PlJ7is_evenItEEEE10hipError_tPvRmT3_T4_T5_T6_T7_T9_mT8_P12ihipStream_tbDpT10_ENKUlT_T0_E_clISt17integral_constantIbLb1EES15_IbLb0EEEEDaS11_S12_EUlS11_E_NS1_11comp_targetILNS1_3genE5ELNS1_11target_archE942ELNS1_3gpuE9ELNS1_3repE0EEENS1_30default_config_static_selectorELNS0_4arch9wavefront6targetE0EEEvT1_,comdat
	.protected	_ZN7rocprim17ROCPRIM_400000_NS6detail17trampoline_kernelINS0_14default_configENS1_25partition_config_selectorILNS1_17partition_subalgoE6EtNS0_10empty_typeEbEEZZNS1_14partition_implILS5_6ELb0ES3_mN6thrust23THRUST_200600_302600_NS6detail15normal_iteratorINSA_10device_ptrItEEEEPS6_SG_NS0_5tupleIJSF_S6_EEENSH_IJSG_SG_EEES6_PlJ7is_evenItEEEE10hipError_tPvRmT3_T4_T5_T6_T7_T9_mT8_P12ihipStream_tbDpT10_ENKUlT_T0_E_clISt17integral_constantIbLb1EES15_IbLb0EEEEDaS11_S12_EUlS11_E_NS1_11comp_targetILNS1_3genE5ELNS1_11target_archE942ELNS1_3gpuE9ELNS1_3repE0EEENS1_30default_config_static_selectorELNS0_4arch9wavefront6targetE0EEEvT1_ ; -- Begin function _ZN7rocprim17ROCPRIM_400000_NS6detail17trampoline_kernelINS0_14default_configENS1_25partition_config_selectorILNS1_17partition_subalgoE6EtNS0_10empty_typeEbEEZZNS1_14partition_implILS5_6ELb0ES3_mN6thrust23THRUST_200600_302600_NS6detail15normal_iteratorINSA_10device_ptrItEEEEPS6_SG_NS0_5tupleIJSF_S6_EEENSH_IJSG_SG_EEES6_PlJ7is_evenItEEEE10hipError_tPvRmT3_T4_T5_T6_T7_T9_mT8_P12ihipStream_tbDpT10_ENKUlT_T0_E_clISt17integral_constantIbLb1EES15_IbLb0EEEEDaS11_S12_EUlS11_E_NS1_11comp_targetILNS1_3genE5ELNS1_11target_archE942ELNS1_3gpuE9ELNS1_3repE0EEENS1_30default_config_static_selectorELNS0_4arch9wavefront6targetE0EEEvT1_
	.globl	_ZN7rocprim17ROCPRIM_400000_NS6detail17trampoline_kernelINS0_14default_configENS1_25partition_config_selectorILNS1_17partition_subalgoE6EtNS0_10empty_typeEbEEZZNS1_14partition_implILS5_6ELb0ES3_mN6thrust23THRUST_200600_302600_NS6detail15normal_iteratorINSA_10device_ptrItEEEEPS6_SG_NS0_5tupleIJSF_S6_EEENSH_IJSG_SG_EEES6_PlJ7is_evenItEEEE10hipError_tPvRmT3_T4_T5_T6_T7_T9_mT8_P12ihipStream_tbDpT10_ENKUlT_T0_E_clISt17integral_constantIbLb1EES15_IbLb0EEEEDaS11_S12_EUlS11_E_NS1_11comp_targetILNS1_3genE5ELNS1_11target_archE942ELNS1_3gpuE9ELNS1_3repE0EEENS1_30default_config_static_selectorELNS0_4arch9wavefront6targetE0EEEvT1_
	.p2align	8
	.type	_ZN7rocprim17ROCPRIM_400000_NS6detail17trampoline_kernelINS0_14default_configENS1_25partition_config_selectorILNS1_17partition_subalgoE6EtNS0_10empty_typeEbEEZZNS1_14partition_implILS5_6ELb0ES3_mN6thrust23THRUST_200600_302600_NS6detail15normal_iteratorINSA_10device_ptrItEEEEPS6_SG_NS0_5tupleIJSF_S6_EEENSH_IJSG_SG_EEES6_PlJ7is_evenItEEEE10hipError_tPvRmT3_T4_T5_T6_T7_T9_mT8_P12ihipStream_tbDpT10_ENKUlT_T0_E_clISt17integral_constantIbLb1EES15_IbLb0EEEEDaS11_S12_EUlS11_E_NS1_11comp_targetILNS1_3genE5ELNS1_11target_archE942ELNS1_3gpuE9ELNS1_3repE0EEENS1_30default_config_static_selectorELNS0_4arch9wavefront6targetE0EEEvT1_,@function
_ZN7rocprim17ROCPRIM_400000_NS6detail17trampoline_kernelINS0_14default_configENS1_25partition_config_selectorILNS1_17partition_subalgoE6EtNS0_10empty_typeEbEEZZNS1_14partition_implILS5_6ELb0ES3_mN6thrust23THRUST_200600_302600_NS6detail15normal_iteratorINSA_10device_ptrItEEEEPS6_SG_NS0_5tupleIJSF_S6_EEENSH_IJSG_SG_EEES6_PlJ7is_evenItEEEE10hipError_tPvRmT3_T4_T5_T6_T7_T9_mT8_P12ihipStream_tbDpT10_ENKUlT_T0_E_clISt17integral_constantIbLb1EES15_IbLb0EEEEDaS11_S12_EUlS11_E_NS1_11comp_targetILNS1_3genE5ELNS1_11target_archE942ELNS1_3gpuE9ELNS1_3repE0EEENS1_30default_config_static_selectorELNS0_4arch9wavefront6targetE0EEEvT1_: ; @_ZN7rocprim17ROCPRIM_400000_NS6detail17trampoline_kernelINS0_14default_configENS1_25partition_config_selectorILNS1_17partition_subalgoE6EtNS0_10empty_typeEbEEZZNS1_14partition_implILS5_6ELb0ES3_mN6thrust23THRUST_200600_302600_NS6detail15normal_iteratorINSA_10device_ptrItEEEEPS6_SG_NS0_5tupleIJSF_S6_EEENSH_IJSG_SG_EEES6_PlJ7is_evenItEEEE10hipError_tPvRmT3_T4_T5_T6_T7_T9_mT8_P12ihipStream_tbDpT10_ENKUlT_T0_E_clISt17integral_constantIbLb1EES15_IbLb0EEEEDaS11_S12_EUlS11_E_NS1_11comp_targetILNS1_3genE5ELNS1_11target_archE942ELNS1_3gpuE9ELNS1_3repE0EEENS1_30default_config_static_selectorELNS0_4arch9wavefront6targetE0EEEvT1_
; %bb.0:
	.section	.rodata,"a",@progbits
	.p2align	6, 0x0
	.amdhsa_kernel _ZN7rocprim17ROCPRIM_400000_NS6detail17trampoline_kernelINS0_14default_configENS1_25partition_config_selectorILNS1_17partition_subalgoE6EtNS0_10empty_typeEbEEZZNS1_14partition_implILS5_6ELb0ES3_mN6thrust23THRUST_200600_302600_NS6detail15normal_iteratorINSA_10device_ptrItEEEEPS6_SG_NS0_5tupleIJSF_S6_EEENSH_IJSG_SG_EEES6_PlJ7is_evenItEEEE10hipError_tPvRmT3_T4_T5_T6_T7_T9_mT8_P12ihipStream_tbDpT10_ENKUlT_T0_E_clISt17integral_constantIbLb1EES15_IbLb0EEEEDaS11_S12_EUlS11_E_NS1_11comp_targetILNS1_3genE5ELNS1_11target_archE942ELNS1_3gpuE9ELNS1_3repE0EEENS1_30default_config_static_selectorELNS0_4arch9wavefront6targetE0EEEvT1_
		.amdhsa_group_segment_fixed_size 0
		.amdhsa_private_segment_fixed_size 0
		.amdhsa_kernarg_size 112
		.amdhsa_user_sgpr_count 15
		.amdhsa_user_sgpr_dispatch_ptr 0
		.amdhsa_user_sgpr_queue_ptr 0
		.amdhsa_user_sgpr_kernarg_segment_ptr 1
		.amdhsa_user_sgpr_dispatch_id 0
		.amdhsa_user_sgpr_private_segment_size 0
		.amdhsa_wavefront_size32 1
		.amdhsa_uses_dynamic_stack 0
		.amdhsa_enable_private_segment 0
		.amdhsa_system_sgpr_workgroup_id_x 1
		.amdhsa_system_sgpr_workgroup_id_y 0
		.amdhsa_system_sgpr_workgroup_id_z 0
		.amdhsa_system_sgpr_workgroup_info 0
		.amdhsa_system_vgpr_workitem_id 0
		.amdhsa_next_free_vgpr 1
		.amdhsa_next_free_sgpr 1
		.amdhsa_reserve_vcc 0
		.amdhsa_float_round_mode_32 0
		.amdhsa_float_round_mode_16_64 0
		.amdhsa_float_denorm_mode_32 3
		.amdhsa_float_denorm_mode_16_64 3
		.amdhsa_dx10_clamp 1
		.amdhsa_ieee_mode 1
		.amdhsa_fp16_overflow 0
		.amdhsa_workgroup_processor_mode 1
		.amdhsa_memory_ordered 1
		.amdhsa_forward_progress 0
		.amdhsa_shared_vgpr_count 0
		.amdhsa_exception_fp_ieee_invalid_op 0
		.amdhsa_exception_fp_denorm_src 0
		.amdhsa_exception_fp_ieee_div_zero 0
		.amdhsa_exception_fp_ieee_overflow 0
		.amdhsa_exception_fp_ieee_underflow 0
		.amdhsa_exception_fp_ieee_inexact 0
		.amdhsa_exception_int_div_zero 0
	.end_amdhsa_kernel
	.section	.text._ZN7rocprim17ROCPRIM_400000_NS6detail17trampoline_kernelINS0_14default_configENS1_25partition_config_selectorILNS1_17partition_subalgoE6EtNS0_10empty_typeEbEEZZNS1_14partition_implILS5_6ELb0ES3_mN6thrust23THRUST_200600_302600_NS6detail15normal_iteratorINSA_10device_ptrItEEEEPS6_SG_NS0_5tupleIJSF_S6_EEENSH_IJSG_SG_EEES6_PlJ7is_evenItEEEE10hipError_tPvRmT3_T4_T5_T6_T7_T9_mT8_P12ihipStream_tbDpT10_ENKUlT_T0_E_clISt17integral_constantIbLb1EES15_IbLb0EEEEDaS11_S12_EUlS11_E_NS1_11comp_targetILNS1_3genE5ELNS1_11target_archE942ELNS1_3gpuE9ELNS1_3repE0EEENS1_30default_config_static_selectorELNS0_4arch9wavefront6targetE0EEEvT1_,"axG",@progbits,_ZN7rocprim17ROCPRIM_400000_NS6detail17trampoline_kernelINS0_14default_configENS1_25partition_config_selectorILNS1_17partition_subalgoE6EtNS0_10empty_typeEbEEZZNS1_14partition_implILS5_6ELb0ES3_mN6thrust23THRUST_200600_302600_NS6detail15normal_iteratorINSA_10device_ptrItEEEEPS6_SG_NS0_5tupleIJSF_S6_EEENSH_IJSG_SG_EEES6_PlJ7is_evenItEEEE10hipError_tPvRmT3_T4_T5_T6_T7_T9_mT8_P12ihipStream_tbDpT10_ENKUlT_T0_E_clISt17integral_constantIbLb1EES15_IbLb0EEEEDaS11_S12_EUlS11_E_NS1_11comp_targetILNS1_3genE5ELNS1_11target_archE942ELNS1_3gpuE9ELNS1_3repE0EEENS1_30default_config_static_selectorELNS0_4arch9wavefront6targetE0EEEvT1_,comdat
.Lfunc_end345:
	.size	_ZN7rocprim17ROCPRIM_400000_NS6detail17trampoline_kernelINS0_14default_configENS1_25partition_config_selectorILNS1_17partition_subalgoE6EtNS0_10empty_typeEbEEZZNS1_14partition_implILS5_6ELb0ES3_mN6thrust23THRUST_200600_302600_NS6detail15normal_iteratorINSA_10device_ptrItEEEEPS6_SG_NS0_5tupleIJSF_S6_EEENSH_IJSG_SG_EEES6_PlJ7is_evenItEEEE10hipError_tPvRmT3_T4_T5_T6_T7_T9_mT8_P12ihipStream_tbDpT10_ENKUlT_T0_E_clISt17integral_constantIbLb1EES15_IbLb0EEEEDaS11_S12_EUlS11_E_NS1_11comp_targetILNS1_3genE5ELNS1_11target_archE942ELNS1_3gpuE9ELNS1_3repE0EEENS1_30default_config_static_selectorELNS0_4arch9wavefront6targetE0EEEvT1_, .Lfunc_end345-_ZN7rocprim17ROCPRIM_400000_NS6detail17trampoline_kernelINS0_14default_configENS1_25partition_config_selectorILNS1_17partition_subalgoE6EtNS0_10empty_typeEbEEZZNS1_14partition_implILS5_6ELb0ES3_mN6thrust23THRUST_200600_302600_NS6detail15normal_iteratorINSA_10device_ptrItEEEEPS6_SG_NS0_5tupleIJSF_S6_EEENSH_IJSG_SG_EEES6_PlJ7is_evenItEEEE10hipError_tPvRmT3_T4_T5_T6_T7_T9_mT8_P12ihipStream_tbDpT10_ENKUlT_T0_E_clISt17integral_constantIbLb1EES15_IbLb0EEEEDaS11_S12_EUlS11_E_NS1_11comp_targetILNS1_3genE5ELNS1_11target_archE942ELNS1_3gpuE9ELNS1_3repE0EEENS1_30default_config_static_selectorELNS0_4arch9wavefront6targetE0EEEvT1_
                                        ; -- End function
	.section	.AMDGPU.csdata,"",@progbits
; Kernel info:
; codeLenInByte = 0
; NumSgprs: 0
; NumVgprs: 0
; ScratchSize: 0
; MemoryBound: 0
; FloatMode: 240
; IeeeMode: 1
; LDSByteSize: 0 bytes/workgroup (compile time only)
; SGPRBlocks: 0
; VGPRBlocks: 0
; NumSGPRsForWavesPerEU: 1
; NumVGPRsForWavesPerEU: 1
; Occupancy: 16
; WaveLimiterHint : 0
; COMPUTE_PGM_RSRC2:SCRATCH_EN: 0
; COMPUTE_PGM_RSRC2:USER_SGPR: 15
; COMPUTE_PGM_RSRC2:TRAP_HANDLER: 0
; COMPUTE_PGM_RSRC2:TGID_X_EN: 1
; COMPUTE_PGM_RSRC2:TGID_Y_EN: 0
; COMPUTE_PGM_RSRC2:TGID_Z_EN: 0
; COMPUTE_PGM_RSRC2:TIDIG_COMP_CNT: 0
	.section	.text._ZN7rocprim17ROCPRIM_400000_NS6detail17trampoline_kernelINS0_14default_configENS1_25partition_config_selectorILNS1_17partition_subalgoE6EtNS0_10empty_typeEbEEZZNS1_14partition_implILS5_6ELb0ES3_mN6thrust23THRUST_200600_302600_NS6detail15normal_iteratorINSA_10device_ptrItEEEEPS6_SG_NS0_5tupleIJSF_S6_EEENSH_IJSG_SG_EEES6_PlJ7is_evenItEEEE10hipError_tPvRmT3_T4_T5_T6_T7_T9_mT8_P12ihipStream_tbDpT10_ENKUlT_T0_E_clISt17integral_constantIbLb1EES15_IbLb0EEEEDaS11_S12_EUlS11_E_NS1_11comp_targetILNS1_3genE4ELNS1_11target_archE910ELNS1_3gpuE8ELNS1_3repE0EEENS1_30default_config_static_selectorELNS0_4arch9wavefront6targetE0EEEvT1_,"axG",@progbits,_ZN7rocprim17ROCPRIM_400000_NS6detail17trampoline_kernelINS0_14default_configENS1_25partition_config_selectorILNS1_17partition_subalgoE6EtNS0_10empty_typeEbEEZZNS1_14partition_implILS5_6ELb0ES3_mN6thrust23THRUST_200600_302600_NS6detail15normal_iteratorINSA_10device_ptrItEEEEPS6_SG_NS0_5tupleIJSF_S6_EEENSH_IJSG_SG_EEES6_PlJ7is_evenItEEEE10hipError_tPvRmT3_T4_T5_T6_T7_T9_mT8_P12ihipStream_tbDpT10_ENKUlT_T0_E_clISt17integral_constantIbLb1EES15_IbLb0EEEEDaS11_S12_EUlS11_E_NS1_11comp_targetILNS1_3genE4ELNS1_11target_archE910ELNS1_3gpuE8ELNS1_3repE0EEENS1_30default_config_static_selectorELNS0_4arch9wavefront6targetE0EEEvT1_,comdat
	.protected	_ZN7rocprim17ROCPRIM_400000_NS6detail17trampoline_kernelINS0_14default_configENS1_25partition_config_selectorILNS1_17partition_subalgoE6EtNS0_10empty_typeEbEEZZNS1_14partition_implILS5_6ELb0ES3_mN6thrust23THRUST_200600_302600_NS6detail15normal_iteratorINSA_10device_ptrItEEEEPS6_SG_NS0_5tupleIJSF_S6_EEENSH_IJSG_SG_EEES6_PlJ7is_evenItEEEE10hipError_tPvRmT3_T4_T5_T6_T7_T9_mT8_P12ihipStream_tbDpT10_ENKUlT_T0_E_clISt17integral_constantIbLb1EES15_IbLb0EEEEDaS11_S12_EUlS11_E_NS1_11comp_targetILNS1_3genE4ELNS1_11target_archE910ELNS1_3gpuE8ELNS1_3repE0EEENS1_30default_config_static_selectorELNS0_4arch9wavefront6targetE0EEEvT1_ ; -- Begin function _ZN7rocprim17ROCPRIM_400000_NS6detail17trampoline_kernelINS0_14default_configENS1_25partition_config_selectorILNS1_17partition_subalgoE6EtNS0_10empty_typeEbEEZZNS1_14partition_implILS5_6ELb0ES3_mN6thrust23THRUST_200600_302600_NS6detail15normal_iteratorINSA_10device_ptrItEEEEPS6_SG_NS0_5tupleIJSF_S6_EEENSH_IJSG_SG_EEES6_PlJ7is_evenItEEEE10hipError_tPvRmT3_T4_T5_T6_T7_T9_mT8_P12ihipStream_tbDpT10_ENKUlT_T0_E_clISt17integral_constantIbLb1EES15_IbLb0EEEEDaS11_S12_EUlS11_E_NS1_11comp_targetILNS1_3genE4ELNS1_11target_archE910ELNS1_3gpuE8ELNS1_3repE0EEENS1_30default_config_static_selectorELNS0_4arch9wavefront6targetE0EEEvT1_
	.globl	_ZN7rocprim17ROCPRIM_400000_NS6detail17trampoline_kernelINS0_14default_configENS1_25partition_config_selectorILNS1_17partition_subalgoE6EtNS0_10empty_typeEbEEZZNS1_14partition_implILS5_6ELb0ES3_mN6thrust23THRUST_200600_302600_NS6detail15normal_iteratorINSA_10device_ptrItEEEEPS6_SG_NS0_5tupleIJSF_S6_EEENSH_IJSG_SG_EEES6_PlJ7is_evenItEEEE10hipError_tPvRmT3_T4_T5_T6_T7_T9_mT8_P12ihipStream_tbDpT10_ENKUlT_T0_E_clISt17integral_constantIbLb1EES15_IbLb0EEEEDaS11_S12_EUlS11_E_NS1_11comp_targetILNS1_3genE4ELNS1_11target_archE910ELNS1_3gpuE8ELNS1_3repE0EEENS1_30default_config_static_selectorELNS0_4arch9wavefront6targetE0EEEvT1_
	.p2align	8
	.type	_ZN7rocprim17ROCPRIM_400000_NS6detail17trampoline_kernelINS0_14default_configENS1_25partition_config_selectorILNS1_17partition_subalgoE6EtNS0_10empty_typeEbEEZZNS1_14partition_implILS5_6ELb0ES3_mN6thrust23THRUST_200600_302600_NS6detail15normal_iteratorINSA_10device_ptrItEEEEPS6_SG_NS0_5tupleIJSF_S6_EEENSH_IJSG_SG_EEES6_PlJ7is_evenItEEEE10hipError_tPvRmT3_T4_T5_T6_T7_T9_mT8_P12ihipStream_tbDpT10_ENKUlT_T0_E_clISt17integral_constantIbLb1EES15_IbLb0EEEEDaS11_S12_EUlS11_E_NS1_11comp_targetILNS1_3genE4ELNS1_11target_archE910ELNS1_3gpuE8ELNS1_3repE0EEENS1_30default_config_static_selectorELNS0_4arch9wavefront6targetE0EEEvT1_,@function
_ZN7rocprim17ROCPRIM_400000_NS6detail17trampoline_kernelINS0_14default_configENS1_25partition_config_selectorILNS1_17partition_subalgoE6EtNS0_10empty_typeEbEEZZNS1_14partition_implILS5_6ELb0ES3_mN6thrust23THRUST_200600_302600_NS6detail15normal_iteratorINSA_10device_ptrItEEEEPS6_SG_NS0_5tupleIJSF_S6_EEENSH_IJSG_SG_EEES6_PlJ7is_evenItEEEE10hipError_tPvRmT3_T4_T5_T6_T7_T9_mT8_P12ihipStream_tbDpT10_ENKUlT_T0_E_clISt17integral_constantIbLb1EES15_IbLb0EEEEDaS11_S12_EUlS11_E_NS1_11comp_targetILNS1_3genE4ELNS1_11target_archE910ELNS1_3gpuE8ELNS1_3repE0EEENS1_30default_config_static_selectorELNS0_4arch9wavefront6targetE0EEEvT1_: ; @_ZN7rocprim17ROCPRIM_400000_NS6detail17trampoline_kernelINS0_14default_configENS1_25partition_config_selectorILNS1_17partition_subalgoE6EtNS0_10empty_typeEbEEZZNS1_14partition_implILS5_6ELb0ES3_mN6thrust23THRUST_200600_302600_NS6detail15normal_iteratorINSA_10device_ptrItEEEEPS6_SG_NS0_5tupleIJSF_S6_EEENSH_IJSG_SG_EEES6_PlJ7is_evenItEEEE10hipError_tPvRmT3_T4_T5_T6_T7_T9_mT8_P12ihipStream_tbDpT10_ENKUlT_T0_E_clISt17integral_constantIbLb1EES15_IbLb0EEEEDaS11_S12_EUlS11_E_NS1_11comp_targetILNS1_3genE4ELNS1_11target_archE910ELNS1_3gpuE8ELNS1_3repE0EEENS1_30default_config_static_selectorELNS0_4arch9wavefront6targetE0EEEvT1_
; %bb.0:
	.section	.rodata,"a",@progbits
	.p2align	6, 0x0
	.amdhsa_kernel _ZN7rocprim17ROCPRIM_400000_NS6detail17trampoline_kernelINS0_14default_configENS1_25partition_config_selectorILNS1_17partition_subalgoE6EtNS0_10empty_typeEbEEZZNS1_14partition_implILS5_6ELb0ES3_mN6thrust23THRUST_200600_302600_NS6detail15normal_iteratorINSA_10device_ptrItEEEEPS6_SG_NS0_5tupleIJSF_S6_EEENSH_IJSG_SG_EEES6_PlJ7is_evenItEEEE10hipError_tPvRmT3_T4_T5_T6_T7_T9_mT8_P12ihipStream_tbDpT10_ENKUlT_T0_E_clISt17integral_constantIbLb1EES15_IbLb0EEEEDaS11_S12_EUlS11_E_NS1_11comp_targetILNS1_3genE4ELNS1_11target_archE910ELNS1_3gpuE8ELNS1_3repE0EEENS1_30default_config_static_selectorELNS0_4arch9wavefront6targetE0EEEvT1_
		.amdhsa_group_segment_fixed_size 0
		.amdhsa_private_segment_fixed_size 0
		.amdhsa_kernarg_size 112
		.amdhsa_user_sgpr_count 15
		.amdhsa_user_sgpr_dispatch_ptr 0
		.amdhsa_user_sgpr_queue_ptr 0
		.amdhsa_user_sgpr_kernarg_segment_ptr 1
		.amdhsa_user_sgpr_dispatch_id 0
		.amdhsa_user_sgpr_private_segment_size 0
		.amdhsa_wavefront_size32 1
		.amdhsa_uses_dynamic_stack 0
		.amdhsa_enable_private_segment 0
		.amdhsa_system_sgpr_workgroup_id_x 1
		.amdhsa_system_sgpr_workgroup_id_y 0
		.amdhsa_system_sgpr_workgroup_id_z 0
		.amdhsa_system_sgpr_workgroup_info 0
		.amdhsa_system_vgpr_workitem_id 0
		.amdhsa_next_free_vgpr 1
		.amdhsa_next_free_sgpr 1
		.amdhsa_reserve_vcc 0
		.amdhsa_float_round_mode_32 0
		.amdhsa_float_round_mode_16_64 0
		.amdhsa_float_denorm_mode_32 3
		.amdhsa_float_denorm_mode_16_64 3
		.amdhsa_dx10_clamp 1
		.amdhsa_ieee_mode 1
		.amdhsa_fp16_overflow 0
		.amdhsa_workgroup_processor_mode 1
		.amdhsa_memory_ordered 1
		.amdhsa_forward_progress 0
		.amdhsa_shared_vgpr_count 0
		.amdhsa_exception_fp_ieee_invalid_op 0
		.amdhsa_exception_fp_denorm_src 0
		.amdhsa_exception_fp_ieee_div_zero 0
		.amdhsa_exception_fp_ieee_overflow 0
		.amdhsa_exception_fp_ieee_underflow 0
		.amdhsa_exception_fp_ieee_inexact 0
		.amdhsa_exception_int_div_zero 0
	.end_amdhsa_kernel
	.section	.text._ZN7rocprim17ROCPRIM_400000_NS6detail17trampoline_kernelINS0_14default_configENS1_25partition_config_selectorILNS1_17partition_subalgoE6EtNS0_10empty_typeEbEEZZNS1_14partition_implILS5_6ELb0ES3_mN6thrust23THRUST_200600_302600_NS6detail15normal_iteratorINSA_10device_ptrItEEEEPS6_SG_NS0_5tupleIJSF_S6_EEENSH_IJSG_SG_EEES6_PlJ7is_evenItEEEE10hipError_tPvRmT3_T4_T5_T6_T7_T9_mT8_P12ihipStream_tbDpT10_ENKUlT_T0_E_clISt17integral_constantIbLb1EES15_IbLb0EEEEDaS11_S12_EUlS11_E_NS1_11comp_targetILNS1_3genE4ELNS1_11target_archE910ELNS1_3gpuE8ELNS1_3repE0EEENS1_30default_config_static_selectorELNS0_4arch9wavefront6targetE0EEEvT1_,"axG",@progbits,_ZN7rocprim17ROCPRIM_400000_NS6detail17trampoline_kernelINS0_14default_configENS1_25partition_config_selectorILNS1_17partition_subalgoE6EtNS0_10empty_typeEbEEZZNS1_14partition_implILS5_6ELb0ES3_mN6thrust23THRUST_200600_302600_NS6detail15normal_iteratorINSA_10device_ptrItEEEEPS6_SG_NS0_5tupleIJSF_S6_EEENSH_IJSG_SG_EEES6_PlJ7is_evenItEEEE10hipError_tPvRmT3_T4_T5_T6_T7_T9_mT8_P12ihipStream_tbDpT10_ENKUlT_T0_E_clISt17integral_constantIbLb1EES15_IbLb0EEEEDaS11_S12_EUlS11_E_NS1_11comp_targetILNS1_3genE4ELNS1_11target_archE910ELNS1_3gpuE8ELNS1_3repE0EEENS1_30default_config_static_selectorELNS0_4arch9wavefront6targetE0EEEvT1_,comdat
.Lfunc_end346:
	.size	_ZN7rocprim17ROCPRIM_400000_NS6detail17trampoline_kernelINS0_14default_configENS1_25partition_config_selectorILNS1_17partition_subalgoE6EtNS0_10empty_typeEbEEZZNS1_14partition_implILS5_6ELb0ES3_mN6thrust23THRUST_200600_302600_NS6detail15normal_iteratorINSA_10device_ptrItEEEEPS6_SG_NS0_5tupleIJSF_S6_EEENSH_IJSG_SG_EEES6_PlJ7is_evenItEEEE10hipError_tPvRmT3_T4_T5_T6_T7_T9_mT8_P12ihipStream_tbDpT10_ENKUlT_T0_E_clISt17integral_constantIbLb1EES15_IbLb0EEEEDaS11_S12_EUlS11_E_NS1_11comp_targetILNS1_3genE4ELNS1_11target_archE910ELNS1_3gpuE8ELNS1_3repE0EEENS1_30default_config_static_selectorELNS0_4arch9wavefront6targetE0EEEvT1_, .Lfunc_end346-_ZN7rocprim17ROCPRIM_400000_NS6detail17trampoline_kernelINS0_14default_configENS1_25partition_config_selectorILNS1_17partition_subalgoE6EtNS0_10empty_typeEbEEZZNS1_14partition_implILS5_6ELb0ES3_mN6thrust23THRUST_200600_302600_NS6detail15normal_iteratorINSA_10device_ptrItEEEEPS6_SG_NS0_5tupleIJSF_S6_EEENSH_IJSG_SG_EEES6_PlJ7is_evenItEEEE10hipError_tPvRmT3_T4_T5_T6_T7_T9_mT8_P12ihipStream_tbDpT10_ENKUlT_T0_E_clISt17integral_constantIbLb1EES15_IbLb0EEEEDaS11_S12_EUlS11_E_NS1_11comp_targetILNS1_3genE4ELNS1_11target_archE910ELNS1_3gpuE8ELNS1_3repE0EEENS1_30default_config_static_selectorELNS0_4arch9wavefront6targetE0EEEvT1_
                                        ; -- End function
	.section	.AMDGPU.csdata,"",@progbits
; Kernel info:
; codeLenInByte = 0
; NumSgprs: 0
; NumVgprs: 0
; ScratchSize: 0
; MemoryBound: 0
; FloatMode: 240
; IeeeMode: 1
; LDSByteSize: 0 bytes/workgroup (compile time only)
; SGPRBlocks: 0
; VGPRBlocks: 0
; NumSGPRsForWavesPerEU: 1
; NumVGPRsForWavesPerEU: 1
; Occupancy: 16
; WaveLimiterHint : 0
; COMPUTE_PGM_RSRC2:SCRATCH_EN: 0
; COMPUTE_PGM_RSRC2:USER_SGPR: 15
; COMPUTE_PGM_RSRC2:TRAP_HANDLER: 0
; COMPUTE_PGM_RSRC2:TGID_X_EN: 1
; COMPUTE_PGM_RSRC2:TGID_Y_EN: 0
; COMPUTE_PGM_RSRC2:TGID_Z_EN: 0
; COMPUTE_PGM_RSRC2:TIDIG_COMP_CNT: 0
	.section	.text._ZN7rocprim17ROCPRIM_400000_NS6detail17trampoline_kernelINS0_14default_configENS1_25partition_config_selectorILNS1_17partition_subalgoE6EtNS0_10empty_typeEbEEZZNS1_14partition_implILS5_6ELb0ES3_mN6thrust23THRUST_200600_302600_NS6detail15normal_iteratorINSA_10device_ptrItEEEEPS6_SG_NS0_5tupleIJSF_S6_EEENSH_IJSG_SG_EEES6_PlJ7is_evenItEEEE10hipError_tPvRmT3_T4_T5_T6_T7_T9_mT8_P12ihipStream_tbDpT10_ENKUlT_T0_E_clISt17integral_constantIbLb1EES15_IbLb0EEEEDaS11_S12_EUlS11_E_NS1_11comp_targetILNS1_3genE3ELNS1_11target_archE908ELNS1_3gpuE7ELNS1_3repE0EEENS1_30default_config_static_selectorELNS0_4arch9wavefront6targetE0EEEvT1_,"axG",@progbits,_ZN7rocprim17ROCPRIM_400000_NS6detail17trampoline_kernelINS0_14default_configENS1_25partition_config_selectorILNS1_17partition_subalgoE6EtNS0_10empty_typeEbEEZZNS1_14partition_implILS5_6ELb0ES3_mN6thrust23THRUST_200600_302600_NS6detail15normal_iteratorINSA_10device_ptrItEEEEPS6_SG_NS0_5tupleIJSF_S6_EEENSH_IJSG_SG_EEES6_PlJ7is_evenItEEEE10hipError_tPvRmT3_T4_T5_T6_T7_T9_mT8_P12ihipStream_tbDpT10_ENKUlT_T0_E_clISt17integral_constantIbLb1EES15_IbLb0EEEEDaS11_S12_EUlS11_E_NS1_11comp_targetILNS1_3genE3ELNS1_11target_archE908ELNS1_3gpuE7ELNS1_3repE0EEENS1_30default_config_static_selectorELNS0_4arch9wavefront6targetE0EEEvT1_,comdat
	.protected	_ZN7rocprim17ROCPRIM_400000_NS6detail17trampoline_kernelINS0_14default_configENS1_25partition_config_selectorILNS1_17partition_subalgoE6EtNS0_10empty_typeEbEEZZNS1_14partition_implILS5_6ELb0ES3_mN6thrust23THRUST_200600_302600_NS6detail15normal_iteratorINSA_10device_ptrItEEEEPS6_SG_NS0_5tupleIJSF_S6_EEENSH_IJSG_SG_EEES6_PlJ7is_evenItEEEE10hipError_tPvRmT3_T4_T5_T6_T7_T9_mT8_P12ihipStream_tbDpT10_ENKUlT_T0_E_clISt17integral_constantIbLb1EES15_IbLb0EEEEDaS11_S12_EUlS11_E_NS1_11comp_targetILNS1_3genE3ELNS1_11target_archE908ELNS1_3gpuE7ELNS1_3repE0EEENS1_30default_config_static_selectorELNS0_4arch9wavefront6targetE0EEEvT1_ ; -- Begin function _ZN7rocprim17ROCPRIM_400000_NS6detail17trampoline_kernelINS0_14default_configENS1_25partition_config_selectorILNS1_17partition_subalgoE6EtNS0_10empty_typeEbEEZZNS1_14partition_implILS5_6ELb0ES3_mN6thrust23THRUST_200600_302600_NS6detail15normal_iteratorINSA_10device_ptrItEEEEPS6_SG_NS0_5tupleIJSF_S6_EEENSH_IJSG_SG_EEES6_PlJ7is_evenItEEEE10hipError_tPvRmT3_T4_T5_T6_T7_T9_mT8_P12ihipStream_tbDpT10_ENKUlT_T0_E_clISt17integral_constantIbLb1EES15_IbLb0EEEEDaS11_S12_EUlS11_E_NS1_11comp_targetILNS1_3genE3ELNS1_11target_archE908ELNS1_3gpuE7ELNS1_3repE0EEENS1_30default_config_static_selectorELNS0_4arch9wavefront6targetE0EEEvT1_
	.globl	_ZN7rocprim17ROCPRIM_400000_NS6detail17trampoline_kernelINS0_14default_configENS1_25partition_config_selectorILNS1_17partition_subalgoE6EtNS0_10empty_typeEbEEZZNS1_14partition_implILS5_6ELb0ES3_mN6thrust23THRUST_200600_302600_NS6detail15normal_iteratorINSA_10device_ptrItEEEEPS6_SG_NS0_5tupleIJSF_S6_EEENSH_IJSG_SG_EEES6_PlJ7is_evenItEEEE10hipError_tPvRmT3_T4_T5_T6_T7_T9_mT8_P12ihipStream_tbDpT10_ENKUlT_T0_E_clISt17integral_constantIbLb1EES15_IbLb0EEEEDaS11_S12_EUlS11_E_NS1_11comp_targetILNS1_3genE3ELNS1_11target_archE908ELNS1_3gpuE7ELNS1_3repE0EEENS1_30default_config_static_selectorELNS0_4arch9wavefront6targetE0EEEvT1_
	.p2align	8
	.type	_ZN7rocprim17ROCPRIM_400000_NS6detail17trampoline_kernelINS0_14default_configENS1_25partition_config_selectorILNS1_17partition_subalgoE6EtNS0_10empty_typeEbEEZZNS1_14partition_implILS5_6ELb0ES3_mN6thrust23THRUST_200600_302600_NS6detail15normal_iteratorINSA_10device_ptrItEEEEPS6_SG_NS0_5tupleIJSF_S6_EEENSH_IJSG_SG_EEES6_PlJ7is_evenItEEEE10hipError_tPvRmT3_T4_T5_T6_T7_T9_mT8_P12ihipStream_tbDpT10_ENKUlT_T0_E_clISt17integral_constantIbLb1EES15_IbLb0EEEEDaS11_S12_EUlS11_E_NS1_11comp_targetILNS1_3genE3ELNS1_11target_archE908ELNS1_3gpuE7ELNS1_3repE0EEENS1_30default_config_static_selectorELNS0_4arch9wavefront6targetE0EEEvT1_,@function
_ZN7rocprim17ROCPRIM_400000_NS6detail17trampoline_kernelINS0_14default_configENS1_25partition_config_selectorILNS1_17partition_subalgoE6EtNS0_10empty_typeEbEEZZNS1_14partition_implILS5_6ELb0ES3_mN6thrust23THRUST_200600_302600_NS6detail15normal_iteratorINSA_10device_ptrItEEEEPS6_SG_NS0_5tupleIJSF_S6_EEENSH_IJSG_SG_EEES6_PlJ7is_evenItEEEE10hipError_tPvRmT3_T4_T5_T6_T7_T9_mT8_P12ihipStream_tbDpT10_ENKUlT_T0_E_clISt17integral_constantIbLb1EES15_IbLb0EEEEDaS11_S12_EUlS11_E_NS1_11comp_targetILNS1_3genE3ELNS1_11target_archE908ELNS1_3gpuE7ELNS1_3repE0EEENS1_30default_config_static_selectorELNS0_4arch9wavefront6targetE0EEEvT1_: ; @_ZN7rocprim17ROCPRIM_400000_NS6detail17trampoline_kernelINS0_14default_configENS1_25partition_config_selectorILNS1_17partition_subalgoE6EtNS0_10empty_typeEbEEZZNS1_14partition_implILS5_6ELb0ES3_mN6thrust23THRUST_200600_302600_NS6detail15normal_iteratorINSA_10device_ptrItEEEEPS6_SG_NS0_5tupleIJSF_S6_EEENSH_IJSG_SG_EEES6_PlJ7is_evenItEEEE10hipError_tPvRmT3_T4_T5_T6_T7_T9_mT8_P12ihipStream_tbDpT10_ENKUlT_T0_E_clISt17integral_constantIbLb1EES15_IbLb0EEEEDaS11_S12_EUlS11_E_NS1_11comp_targetILNS1_3genE3ELNS1_11target_archE908ELNS1_3gpuE7ELNS1_3repE0EEENS1_30default_config_static_selectorELNS0_4arch9wavefront6targetE0EEEvT1_
; %bb.0:
	.section	.rodata,"a",@progbits
	.p2align	6, 0x0
	.amdhsa_kernel _ZN7rocprim17ROCPRIM_400000_NS6detail17trampoline_kernelINS0_14default_configENS1_25partition_config_selectorILNS1_17partition_subalgoE6EtNS0_10empty_typeEbEEZZNS1_14partition_implILS5_6ELb0ES3_mN6thrust23THRUST_200600_302600_NS6detail15normal_iteratorINSA_10device_ptrItEEEEPS6_SG_NS0_5tupleIJSF_S6_EEENSH_IJSG_SG_EEES6_PlJ7is_evenItEEEE10hipError_tPvRmT3_T4_T5_T6_T7_T9_mT8_P12ihipStream_tbDpT10_ENKUlT_T0_E_clISt17integral_constantIbLb1EES15_IbLb0EEEEDaS11_S12_EUlS11_E_NS1_11comp_targetILNS1_3genE3ELNS1_11target_archE908ELNS1_3gpuE7ELNS1_3repE0EEENS1_30default_config_static_selectorELNS0_4arch9wavefront6targetE0EEEvT1_
		.amdhsa_group_segment_fixed_size 0
		.amdhsa_private_segment_fixed_size 0
		.amdhsa_kernarg_size 112
		.amdhsa_user_sgpr_count 15
		.amdhsa_user_sgpr_dispatch_ptr 0
		.amdhsa_user_sgpr_queue_ptr 0
		.amdhsa_user_sgpr_kernarg_segment_ptr 1
		.amdhsa_user_sgpr_dispatch_id 0
		.amdhsa_user_sgpr_private_segment_size 0
		.amdhsa_wavefront_size32 1
		.amdhsa_uses_dynamic_stack 0
		.amdhsa_enable_private_segment 0
		.amdhsa_system_sgpr_workgroup_id_x 1
		.amdhsa_system_sgpr_workgroup_id_y 0
		.amdhsa_system_sgpr_workgroup_id_z 0
		.amdhsa_system_sgpr_workgroup_info 0
		.amdhsa_system_vgpr_workitem_id 0
		.amdhsa_next_free_vgpr 1
		.amdhsa_next_free_sgpr 1
		.amdhsa_reserve_vcc 0
		.amdhsa_float_round_mode_32 0
		.amdhsa_float_round_mode_16_64 0
		.amdhsa_float_denorm_mode_32 3
		.amdhsa_float_denorm_mode_16_64 3
		.amdhsa_dx10_clamp 1
		.amdhsa_ieee_mode 1
		.amdhsa_fp16_overflow 0
		.amdhsa_workgroup_processor_mode 1
		.amdhsa_memory_ordered 1
		.amdhsa_forward_progress 0
		.amdhsa_shared_vgpr_count 0
		.amdhsa_exception_fp_ieee_invalid_op 0
		.amdhsa_exception_fp_denorm_src 0
		.amdhsa_exception_fp_ieee_div_zero 0
		.amdhsa_exception_fp_ieee_overflow 0
		.amdhsa_exception_fp_ieee_underflow 0
		.amdhsa_exception_fp_ieee_inexact 0
		.amdhsa_exception_int_div_zero 0
	.end_amdhsa_kernel
	.section	.text._ZN7rocprim17ROCPRIM_400000_NS6detail17trampoline_kernelINS0_14default_configENS1_25partition_config_selectorILNS1_17partition_subalgoE6EtNS0_10empty_typeEbEEZZNS1_14partition_implILS5_6ELb0ES3_mN6thrust23THRUST_200600_302600_NS6detail15normal_iteratorINSA_10device_ptrItEEEEPS6_SG_NS0_5tupleIJSF_S6_EEENSH_IJSG_SG_EEES6_PlJ7is_evenItEEEE10hipError_tPvRmT3_T4_T5_T6_T7_T9_mT8_P12ihipStream_tbDpT10_ENKUlT_T0_E_clISt17integral_constantIbLb1EES15_IbLb0EEEEDaS11_S12_EUlS11_E_NS1_11comp_targetILNS1_3genE3ELNS1_11target_archE908ELNS1_3gpuE7ELNS1_3repE0EEENS1_30default_config_static_selectorELNS0_4arch9wavefront6targetE0EEEvT1_,"axG",@progbits,_ZN7rocprim17ROCPRIM_400000_NS6detail17trampoline_kernelINS0_14default_configENS1_25partition_config_selectorILNS1_17partition_subalgoE6EtNS0_10empty_typeEbEEZZNS1_14partition_implILS5_6ELb0ES3_mN6thrust23THRUST_200600_302600_NS6detail15normal_iteratorINSA_10device_ptrItEEEEPS6_SG_NS0_5tupleIJSF_S6_EEENSH_IJSG_SG_EEES6_PlJ7is_evenItEEEE10hipError_tPvRmT3_T4_T5_T6_T7_T9_mT8_P12ihipStream_tbDpT10_ENKUlT_T0_E_clISt17integral_constantIbLb1EES15_IbLb0EEEEDaS11_S12_EUlS11_E_NS1_11comp_targetILNS1_3genE3ELNS1_11target_archE908ELNS1_3gpuE7ELNS1_3repE0EEENS1_30default_config_static_selectorELNS0_4arch9wavefront6targetE0EEEvT1_,comdat
.Lfunc_end347:
	.size	_ZN7rocprim17ROCPRIM_400000_NS6detail17trampoline_kernelINS0_14default_configENS1_25partition_config_selectorILNS1_17partition_subalgoE6EtNS0_10empty_typeEbEEZZNS1_14partition_implILS5_6ELb0ES3_mN6thrust23THRUST_200600_302600_NS6detail15normal_iteratorINSA_10device_ptrItEEEEPS6_SG_NS0_5tupleIJSF_S6_EEENSH_IJSG_SG_EEES6_PlJ7is_evenItEEEE10hipError_tPvRmT3_T4_T5_T6_T7_T9_mT8_P12ihipStream_tbDpT10_ENKUlT_T0_E_clISt17integral_constantIbLb1EES15_IbLb0EEEEDaS11_S12_EUlS11_E_NS1_11comp_targetILNS1_3genE3ELNS1_11target_archE908ELNS1_3gpuE7ELNS1_3repE0EEENS1_30default_config_static_selectorELNS0_4arch9wavefront6targetE0EEEvT1_, .Lfunc_end347-_ZN7rocprim17ROCPRIM_400000_NS6detail17trampoline_kernelINS0_14default_configENS1_25partition_config_selectorILNS1_17partition_subalgoE6EtNS0_10empty_typeEbEEZZNS1_14partition_implILS5_6ELb0ES3_mN6thrust23THRUST_200600_302600_NS6detail15normal_iteratorINSA_10device_ptrItEEEEPS6_SG_NS0_5tupleIJSF_S6_EEENSH_IJSG_SG_EEES6_PlJ7is_evenItEEEE10hipError_tPvRmT3_T4_T5_T6_T7_T9_mT8_P12ihipStream_tbDpT10_ENKUlT_T0_E_clISt17integral_constantIbLb1EES15_IbLb0EEEEDaS11_S12_EUlS11_E_NS1_11comp_targetILNS1_3genE3ELNS1_11target_archE908ELNS1_3gpuE7ELNS1_3repE0EEENS1_30default_config_static_selectorELNS0_4arch9wavefront6targetE0EEEvT1_
                                        ; -- End function
	.section	.AMDGPU.csdata,"",@progbits
; Kernel info:
; codeLenInByte = 0
; NumSgprs: 0
; NumVgprs: 0
; ScratchSize: 0
; MemoryBound: 0
; FloatMode: 240
; IeeeMode: 1
; LDSByteSize: 0 bytes/workgroup (compile time only)
; SGPRBlocks: 0
; VGPRBlocks: 0
; NumSGPRsForWavesPerEU: 1
; NumVGPRsForWavesPerEU: 1
; Occupancy: 16
; WaveLimiterHint : 0
; COMPUTE_PGM_RSRC2:SCRATCH_EN: 0
; COMPUTE_PGM_RSRC2:USER_SGPR: 15
; COMPUTE_PGM_RSRC2:TRAP_HANDLER: 0
; COMPUTE_PGM_RSRC2:TGID_X_EN: 1
; COMPUTE_PGM_RSRC2:TGID_Y_EN: 0
; COMPUTE_PGM_RSRC2:TGID_Z_EN: 0
; COMPUTE_PGM_RSRC2:TIDIG_COMP_CNT: 0
	.section	.text._ZN7rocprim17ROCPRIM_400000_NS6detail17trampoline_kernelINS0_14default_configENS1_25partition_config_selectorILNS1_17partition_subalgoE6EtNS0_10empty_typeEbEEZZNS1_14partition_implILS5_6ELb0ES3_mN6thrust23THRUST_200600_302600_NS6detail15normal_iteratorINSA_10device_ptrItEEEEPS6_SG_NS0_5tupleIJSF_S6_EEENSH_IJSG_SG_EEES6_PlJ7is_evenItEEEE10hipError_tPvRmT3_T4_T5_T6_T7_T9_mT8_P12ihipStream_tbDpT10_ENKUlT_T0_E_clISt17integral_constantIbLb1EES15_IbLb0EEEEDaS11_S12_EUlS11_E_NS1_11comp_targetILNS1_3genE2ELNS1_11target_archE906ELNS1_3gpuE6ELNS1_3repE0EEENS1_30default_config_static_selectorELNS0_4arch9wavefront6targetE0EEEvT1_,"axG",@progbits,_ZN7rocprim17ROCPRIM_400000_NS6detail17trampoline_kernelINS0_14default_configENS1_25partition_config_selectorILNS1_17partition_subalgoE6EtNS0_10empty_typeEbEEZZNS1_14partition_implILS5_6ELb0ES3_mN6thrust23THRUST_200600_302600_NS6detail15normal_iteratorINSA_10device_ptrItEEEEPS6_SG_NS0_5tupleIJSF_S6_EEENSH_IJSG_SG_EEES6_PlJ7is_evenItEEEE10hipError_tPvRmT3_T4_T5_T6_T7_T9_mT8_P12ihipStream_tbDpT10_ENKUlT_T0_E_clISt17integral_constantIbLb1EES15_IbLb0EEEEDaS11_S12_EUlS11_E_NS1_11comp_targetILNS1_3genE2ELNS1_11target_archE906ELNS1_3gpuE6ELNS1_3repE0EEENS1_30default_config_static_selectorELNS0_4arch9wavefront6targetE0EEEvT1_,comdat
	.protected	_ZN7rocprim17ROCPRIM_400000_NS6detail17trampoline_kernelINS0_14default_configENS1_25partition_config_selectorILNS1_17partition_subalgoE6EtNS0_10empty_typeEbEEZZNS1_14partition_implILS5_6ELb0ES3_mN6thrust23THRUST_200600_302600_NS6detail15normal_iteratorINSA_10device_ptrItEEEEPS6_SG_NS0_5tupleIJSF_S6_EEENSH_IJSG_SG_EEES6_PlJ7is_evenItEEEE10hipError_tPvRmT3_T4_T5_T6_T7_T9_mT8_P12ihipStream_tbDpT10_ENKUlT_T0_E_clISt17integral_constantIbLb1EES15_IbLb0EEEEDaS11_S12_EUlS11_E_NS1_11comp_targetILNS1_3genE2ELNS1_11target_archE906ELNS1_3gpuE6ELNS1_3repE0EEENS1_30default_config_static_selectorELNS0_4arch9wavefront6targetE0EEEvT1_ ; -- Begin function _ZN7rocprim17ROCPRIM_400000_NS6detail17trampoline_kernelINS0_14default_configENS1_25partition_config_selectorILNS1_17partition_subalgoE6EtNS0_10empty_typeEbEEZZNS1_14partition_implILS5_6ELb0ES3_mN6thrust23THRUST_200600_302600_NS6detail15normal_iteratorINSA_10device_ptrItEEEEPS6_SG_NS0_5tupleIJSF_S6_EEENSH_IJSG_SG_EEES6_PlJ7is_evenItEEEE10hipError_tPvRmT3_T4_T5_T6_T7_T9_mT8_P12ihipStream_tbDpT10_ENKUlT_T0_E_clISt17integral_constantIbLb1EES15_IbLb0EEEEDaS11_S12_EUlS11_E_NS1_11comp_targetILNS1_3genE2ELNS1_11target_archE906ELNS1_3gpuE6ELNS1_3repE0EEENS1_30default_config_static_selectorELNS0_4arch9wavefront6targetE0EEEvT1_
	.globl	_ZN7rocprim17ROCPRIM_400000_NS6detail17trampoline_kernelINS0_14default_configENS1_25partition_config_selectorILNS1_17partition_subalgoE6EtNS0_10empty_typeEbEEZZNS1_14partition_implILS5_6ELb0ES3_mN6thrust23THRUST_200600_302600_NS6detail15normal_iteratorINSA_10device_ptrItEEEEPS6_SG_NS0_5tupleIJSF_S6_EEENSH_IJSG_SG_EEES6_PlJ7is_evenItEEEE10hipError_tPvRmT3_T4_T5_T6_T7_T9_mT8_P12ihipStream_tbDpT10_ENKUlT_T0_E_clISt17integral_constantIbLb1EES15_IbLb0EEEEDaS11_S12_EUlS11_E_NS1_11comp_targetILNS1_3genE2ELNS1_11target_archE906ELNS1_3gpuE6ELNS1_3repE0EEENS1_30default_config_static_selectorELNS0_4arch9wavefront6targetE0EEEvT1_
	.p2align	8
	.type	_ZN7rocprim17ROCPRIM_400000_NS6detail17trampoline_kernelINS0_14default_configENS1_25partition_config_selectorILNS1_17partition_subalgoE6EtNS0_10empty_typeEbEEZZNS1_14partition_implILS5_6ELb0ES3_mN6thrust23THRUST_200600_302600_NS6detail15normal_iteratorINSA_10device_ptrItEEEEPS6_SG_NS0_5tupleIJSF_S6_EEENSH_IJSG_SG_EEES6_PlJ7is_evenItEEEE10hipError_tPvRmT3_T4_T5_T6_T7_T9_mT8_P12ihipStream_tbDpT10_ENKUlT_T0_E_clISt17integral_constantIbLb1EES15_IbLb0EEEEDaS11_S12_EUlS11_E_NS1_11comp_targetILNS1_3genE2ELNS1_11target_archE906ELNS1_3gpuE6ELNS1_3repE0EEENS1_30default_config_static_selectorELNS0_4arch9wavefront6targetE0EEEvT1_,@function
_ZN7rocprim17ROCPRIM_400000_NS6detail17trampoline_kernelINS0_14default_configENS1_25partition_config_selectorILNS1_17partition_subalgoE6EtNS0_10empty_typeEbEEZZNS1_14partition_implILS5_6ELb0ES3_mN6thrust23THRUST_200600_302600_NS6detail15normal_iteratorINSA_10device_ptrItEEEEPS6_SG_NS0_5tupleIJSF_S6_EEENSH_IJSG_SG_EEES6_PlJ7is_evenItEEEE10hipError_tPvRmT3_T4_T5_T6_T7_T9_mT8_P12ihipStream_tbDpT10_ENKUlT_T0_E_clISt17integral_constantIbLb1EES15_IbLb0EEEEDaS11_S12_EUlS11_E_NS1_11comp_targetILNS1_3genE2ELNS1_11target_archE906ELNS1_3gpuE6ELNS1_3repE0EEENS1_30default_config_static_selectorELNS0_4arch9wavefront6targetE0EEEvT1_: ; @_ZN7rocprim17ROCPRIM_400000_NS6detail17trampoline_kernelINS0_14default_configENS1_25partition_config_selectorILNS1_17partition_subalgoE6EtNS0_10empty_typeEbEEZZNS1_14partition_implILS5_6ELb0ES3_mN6thrust23THRUST_200600_302600_NS6detail15normal_iteratorINSA_10device_ptrItEEEEPS6_SG_NS0_5tupleIJSF_S6_EEENSH_IJSG_SG_EEES6_PlJ7is_evenItEEEE10hipError_tPvRmT3_T4_T5_T6_T7_T9_mT8_P12ihipStream_tbDpT10_ENKUlT_T0_E_clISt17integral_constantIbLb1EES15_IbLb0EEEEDaS11_S12_EUlS11_E_NS1_11comp_targetILNS1_3genE2ELNS1_11target_archE906ELNS1_3gpuE6ELNS1_3repE0EEENS1_30default_config_static_selectorELNS0_4arch9wavefront6targetE0EEEvT1_
; %bb.0:
	.section	.rodata,"a",@progbits
	.p2align	6, 0x0
	.amdhsa_kernel _ZN7rocprim17ROCPRIM_400000_NS6detail17trampoline_kernelINS0_14default_configENS1_25partition_config_selectorILNS1_17partition_subalgoE6EtNS0_10empty_typeEbEEZZNS1_14partition_implILS5_6ELb0ES3_mN6thrust23THRUST_200600_302600_NS6detail15normal_iteratorINSA_10device_ptrItEEEEPS6_SG_NS0_5tupleIJSF_S6_EEENSH_IJSG_SG_EEES6_PlJ7is_evenItEEEE10hipError_tPvRmT3_T4_T5_T6_T7_T9_mT8_P12ihipStream_tbDpT10_ENKUlT_T0_E_clISt17integral_constantIbLb1EES15_IbLb0EEEEDaS11_S12_EUlS11_E_NS1_11comp_targetILNS1_3genE2ELNS1_11target_archE906ELNS1_3gpuE6ELNS1_3repE0EEENS1_30default_config_static_selectorELNS0_4arch9wavefront6targetE0EEEvT1_
		.amdhsa_group_segment_fixed_size 0
		.amdhsa_private_segment_fixed_size 0
		.amdhsa_kernarg_size 112
		.amdhsa_user_sgpr_count 15
		.amdhsa_user_sgpr_dispatch_ptr 0
		.amdhsa_user_sgpr_queue_ptr 0
		.amdhsa_user_sgpr_kernarg_segment_ptr 1
		.amdhsa_user_sgpr_dispatch_id 0
		.amdhsa_user_sgpr_private_segment_size 0
		.amdhsa_wavefront_size32 1
		.amdhsa_uses_dynamic_stack 0
		.amdhsa_enable_private_segment 0
		.amdhsa_system_sgpr_workgroup_id_x 1
		.amdhsa_system_sgpr_workgroup_id_y 0
		.amdhsa_system_sgpr_workgroup_id_z 0
		.amdhsa_system_sgpr_workgroup_info 0
		.amdhsa_system_vgpr_workitem_id 0
		.amdhsa_next_free_vgpr 1
		.amdhsa_next_free_sgpr 1
		.amdhsa_reserve_vcc 0
		.amdhsa_float_round_mode_32 0
		.amdhsa_float_round_mode_16_64 0
		.amdhsa_float_denorm_mode_32 3
		.amdhsa_float_denorm_mode_16_64 3
		.amdhsa_dx10_clamp 1
		.amdhsa_ieee_mode 1
		.amdhsa_fp16_overflow 0
		.amdhsa_workgroup_processor_mode 1
		.amdhsa_memory_ordered 1
		.amdhsa_forward_progress 0
		.amdhsa_shared_vgpr_count 0
		.amdhsa_exception_fp_ieee_invalid_op 0
		.amdhsa_exception_fp_denorm_src 0
		.amdhsa_exception_fp_ieee_div_zero 0
		.amdhsa_exception_fp_ieee_overflow 0
		.amdhsa_exception_fp_ieee_underflow 0
		.amdhsa_exception_fp_ieee_inexact 0
		.amdhsa_exception_int_div_zero 0
	.end_amdhsa_kernel
	.section	.text._ZN7rocprim17ROCPRIM_400000_NS6detail17trampoline_kernelINS0_14default_configENS1_25partition_config_selectorILNS1_17partition_subalgoE6EtNS0_10empty_typeEbEEZZNS1_14partition_implILS5_6ELb0ES3_mN6thrust23THRUST_200600_302600_NS6detail15normal_iteratorINSA_10device_ptrItEEEEPS6_SG_NS0_5tupleIJSF_S6_EEENSH_IJSG_SG_EEES6_PlJ7is_evenItEEEE10hipError_tPvRmT3_T4_T5_T6_T7_T9_mT8_P12ihipStream_tbDpT10_ENKUlT_T0_E_clISt17integral_constantIbLb1EES15_IbLb0EEEEDaS11_S12_EUlS11_E_NS1_11comp_targetILNS1_3genE2ELNS1_11target_archE906ELNS1_3gpuE6ELNS1_3repE0EEENS1_30default_config_static_selectorELNS0_4arch9wavefront6targetE0EEEvT1_,"axG",@progbits,_ZN7rocprim17ROCPRIM_400000_NS6detail17trampoline_kernelINS0_14default_configENS1_25partition_config_selectorILNS1_17partition_subalgoE6EtNS0_10empty_typeEbEEZZNS1_14partition_implILS5_6ELb0ES3_mN6thrust23THRUST_200600_302600_NS6detail15normal_iteratorINSA_10device_ptrItEEEEPS6_SG_NS0_5tupleIJSF_S6_EEENSH_IJSG_SG_EEES6_PlJ7is_evenItEEEE10hipError_tPvRmT3_T4_T5_T6_T7_T9_mT8_P12ihipStream_tbDpT10_ENKUlT_T0_E_clISt17integral_constantIbLb1EES15_IbLb0EEEEDaS11_S12_EUlS11_E_NS1_11comp_targetILNS1_3genE2ELNS1_11target_archE906ELNS1_3gpuE6ELNS1_3repE0EEENS1_30default_config_static_selectorELNS0_4arch9wavefront6targetE0EEEvT1_,comdat
.Lfunc_end348:
	.size	_ZN7rocprim17ROCPRIM_400000_NS6detail17trampoline_kernelINS0_14default_configENS1_25partition_config_selectorILNS1_17partition_subalgoE6EtNS0_10empty_typeEbEEZZNS1_14partition_implILS5_6ELb0ES3_mN6thrust23THRUST_200600_302600_NS6detail15normal_iteratorINSA_10device_ptrItEEEEPS6_SG_NS0_5tupleIJSF_S6_EEENSH_IJSG_SG_EEES6_PlJ7is_evenItEEEE10hipError_tPvRmT3_T4_T5_T6_T7_T9_mT8_P12ihipStream_tbDpT10_ENKUlT_T0_E_clISt17integral_constantIbLb1EES15_IbLb0EEEEDaS11_S12_EUlS11_E_NS1_11comp_targetILNS1_3genE2ELNS1_11target_archE906ELNS1_3gpuE6ELNS1_3repE0EEENS1_30default_config_static_selectorELNS0_4arch9wavefront6targetE0EEEvT1_, .Lfunc_end348-_ZN7rocprim17ROCPRIM_400000_NS6detail17trampoline_kernelINS0_14default_configENS1_25partition_config_selectorILNS1_17partition_subalgoE6EtNS0_10empty_typeEbEEZZNS1_14partition_implILS5_6ELb0ES3_mN6thrust23THRUST_200600_302600_NS6detail15normal_iteratorINSA_10device_ptrItEEEEPS6_SG_NS0_5tupleIJSF_S6_EEENSH_IJSG_SG_EEES6_PlJ7is_evenItEEEE10hipError_tPvRmT3_T4_T5_T6_T7_T9_mT8_P12ihipStream_tbDpT10_ENKUlT_T0_E_clISt17integral_constantIbLb1EES15_IbLb0EEEEDaS11_S12_EUlS11_E_NS1_11comp_targetILNS1_3genE2ELNS1_11target_archE906ELNS1_3gpuE6ELNS1_3repE0EEENS1_30default_config_static_selectorELNS0_4arch9wavefront6targetE0EEEvT1_
                                        ; -- End function
	.section	.AMDGPU.csdata,"",@progbits
; Kernel info:
; codeLenInByte = 0
; NumSgprs: 0
; NumVgprs: 0
; ScratchSize: 0
; MemoryBound: 0
; FloatMode: 240
; IeeeMode: 1
; LDSByteSize: 0 bytes/workgroup (compile time only)
; SGPRBlocks: 0
; VGPRBlocks: 0
; NumSGPRsForWavesPerEU: 1
; NumVGPRsForWavesPerEU: 1
; Occupancy: 16
; WaveLimiterHint : 0
; COMPUTE_PGM_RSRC2:SCRATCH_EN: 0
; COMPUTE_PGM_RSRC2:USER_SGPR: 15
; COMPUTE_PGM_RSRC2:TRAP_HANDLER: 0
; COMPUTE_PGM_RSRC2:TGID_X_EN: 1
; COMPUTE_PGM_RSRC2:TGID_Y_EN: 0
; COMPUTE_PGM_RSRC2:TGID_Z_EN: 0
; COMPUTE_PGM_RSRC2:TIDIG_COMP_CNT: 0
	.section	.text._ZN7rocprim17ROCPRIM_400000_NS6detail17trampoline_kernelINS0_14default_configENS1_25partition_config_selectorILNS1_17partition_subalgoE6EtNS0_10empty_typeEbEEZZNS1_14partition_implILS5_6ELb0ES3_mN6thrust23THRUST_200600_302600_NS6detail15normal_iteratorINSA_10device_ptrItEEEEPS6_SG_NS0_5tupleIJSF_S6_EEENSH_IJSG_SG_EEES6_PlJ7is_evenItEEEE10hipError_tPvRmT3_T4_T5_T6_T7_T9_mT8_P12ihipStream_tbDpT10_ENKUlT_T0_E_clISt17integral_constantIbLb1EES15_IbLb0EEEEDaS11_S12_EUlS11_E_NS1_11comp_targetILNS1_3genE10ELNS1_11target_archE1200ELNS1_3gpuE4ELNS1_3repE0EEENS1_30default_config_static_selectorELNS0_4arch9wavefront6targetE0EEEvT1_,"axG",@progbits,_ZN7rocprim17ROCPRIM_400000_NS6detail17trampoline_kernelINS0_14default_configENS1_25partition_config_selectorILNS1_17partition_subalgoE6EtNS0_10empty_typeEbEEZZNS1_14partition_implILS5_6ELb0ES3_mN6thrust23THRUST_200600_302600_NS6detail15normal_iteratorINSA_10device_ptrItEEEEPS6_SG_NS0_5tupleIJSF_S6_EEENSH_IJSG_SG_EEES6_PlJ7is_evenItEEEE10hipError_tPvRmT3_T4_T5_T6_T7_T9_mT8_P12ihipStream_tbDpT10_ENKUlT_T0_E_clISt17integral_constantIbLb1EES15_IbLb0EEEEDaS11_S12_EUlS11_E_NS1_11comp_targetILNS1_3genE10ELNS1_11target_archE1200ELNS1_3gpuE4ELNS1_3repE0EEENS1_30default_config_static_selectorELNS0_4arch9wavefront6targetE0EEEvT1_,comdat
	.protected	_ZN7rocprim17ROCPRIM_400000_NS6detail17trampoline_kernelINS0_14default_configENS1_25partition_config_selectorILNS1_17partition_subalgoE6EtNS0_10empty_typeEbEEZZNS1_14partition_implILS5_6ELb0ES3_mN6thrust23THRUST_200600_302600_NS6detail15normal_iteratorINSA_10device_ptrItEEEEPS6_SG_NS0_5tupleIJSF_S6_EEENSH_IJSG_SG_EEES6_PlJ7is_evenItEEEE10hipError_tPvRmT3_T4_T5_T6_T7_T9_mT8_P12ihipStream_tbDpT10_ENKUlT_T0_E_clISt17integral_constantIbLb1EES15_IbLb0EEEEDaS11_S12_EUlS11_E_NS1_11comp_targetILNS1_3genE10ELNS1_11target_archE1200ELNS1_3gpuE4ELNS1_3repE0EEENS1_30default_config_static_selectorELNS0_4arch9wavefront6targetE0EEEvT1_ ; -- Begin function _ZN7rocprim17ROCPRIM_400000_NS6detail17trampoline_kernelINS0_14default_configENS1_25partition_config_selectorILNS1_17partition_subalgoE6EtNS0_10empty_typeEbEEZZNS1_14partition_implILS5_6ELb0ES3_mN6thrust23THRUST_200600_302600_NS6detail15normal_iteratorINSA_10device_ptrItEEEEPS6_SG_NS0_5tupleIJSF_S6_EEENSH_IJSG_SG_EEES6_PlJ7is_evenItEEEE10hipError_tPvRmT3_T4_T5_T6_T7_T9_mT8_P12ihipStream_tbDpT10_ENKUlT_T0_E_clISt17integral_constantIbLb1EES15_IbLb0EEEEDaS11_S12_EUlS11_E_NS1_11comp_targetILNS1_3genE10ELNS1_11target_archE1200ELNS1_3gpuE4ELNS1_3repE0EEENS1_30default_config_static_selectorELNS0_4arch9wavefront6targetE0EEEvT1_
	.globl	_ZN7rocprim17ROCPRIM_400000_NS6detail17trampoline_kernelINS0_14default_configENS1_25partition_config_selectorILNS1_17partition_subalgoE6EtNS0_10empty_typeEbEEZZNS1_14partition_implILS5_6ELb0ES3_mN6thrust23THRUST_200600_302600_NS6detail15normal_iteratorINSA_10device_ptrItEEEEPS6_SG_NS0_5tupleIJSF_S6_EEENSH_IJSG_SG_EEES6_PlJ7is_evenItEEEE10hipError_tPvRmT3_T4_T5_T6_T7_T9_mT8_P12ihipStream_tbDpT10_ENKUlT_T0_E_clISt17integral_constantIbLb1EES15_IbLb0EEEEDaS11_S12_EUlS11_E_NS1_11comp_targetILNS1_3genE10ELNS1_11target_archE1200ELNS1_3gpuE4ELNS1_3repE0EEENS1_30default_config_static_selectorELNS0_4arch9wavefront6targetE0EEEvT1_
	.p2align	8
	.type	_ZN7rocprim17ROCPRIM_400000_NS6detail17trampoline_kernelINS0_14default_configENS1_25partition_config_selectorILNS1_17partition_subalgoE6EtNS0_10empty_typeEbEEZZNS1_14partition_implILS5_6ELb0ES3_mN6thrust23THRUST_200600_302600_NS6detail15normal_iteratorINSA_10device_ptrItEEEEPS6_SG_NS0_5tupleIJSF_S6_EEENSH_IJSG_SG_EEES6_PlJ7is_evenItEEEE10hipError_tPvRmT3_T4_T5_T6_T7_T9_mT8_P12ihipStream_tbDpT10_ENKUlT_T0_E_clISt17integral_constantIbLb1EES15_IbLb0EEEEDaS11_S12_EUlS11_E_NS1_11comp_targetILNS1_3genE10ELNS1_11target_archE1200ELNS1_3gpuE4ELNS1_3repE0EEENS1_30default_config_static_selectorELNS0_4arch9wavefront6targetE0EEEvT1_,@function
_ZN7rocprim17ROCPRIM_400000_NS6detail17trampoline_kernelINS0_14default_configENS1_25partition_config_selectorILNS1_17partition_subalgoE6EtNS0_10empty_typeEbEEZZNS1_14partition_implILS5_6ELb0ES3_mN6thrust23THRUST_200600_302600_NS6detail15normal_iteratorINSA_10device_ptrItEEEEPS6_SG_NS0_5tupleIJSF_S6_EEENSH_IJSG_SG_EEES6_PlJ7is_evenItEEEE10hipError_tPvRmT3_T4_T5_T6_T7_T9_mT8_P12ihipStream_tbDpT10_ENKUlT_T0_E_clISt17integral_constantIbLb1EES15_IbLb0EEEEDaS11_S12_EUlS11_E_NS1_11comp_targetILNS1_3genE10ELNS1_11target_archE1200ELNS1_3gpuE4ELNS1_3repE0EEENS1_30default_config_static_selectorELNS0_4arch9wavefront6targetE0EEEvT1_: ; @_ZN7rocprim17ROCPRIM_400000_NS6detail17trampoline_kernelINS0_14default_configENS1_25partition_config_selectorILNS1_17partition_subalgoE6EtNS0_10empty_typeEbEEZZNS1_14partition_implILS5_6ELb0ES3_mN6thrust23THRUST_200600_302600_NS6detail15normal_iteratorINSA_10device_ptrItEEEEPS6_SG_NS0_5tupleIJSF_S6_EEENSH_IJSG_SG_EEES6_PlJ7is_evenItEEEE10hipError_tPvRmT3_T4_T5_T6_T7_T9_mT8_P12ihipStream_tbDpT10_ENKUlT_T0_E_clISt17integral_constantIbLb1EES15_IbLb0EEEEDaS11_S12_EUlS11_E_NS1_11comp_targetILNS1_3genE10ELNS1_11target_archE1200ELNS1_3gpuE4ELNS1_3repE0EEENS1_30default_config_static_selectorELNS0_4arch9wavefront6targetE0EEEvT1_
; %bb.0:
	.section	.rodata,"a",@progbits
	.p2align	6, 0x0
	.amdhsa_kernel _ZN7rocprim17ROCPRIM_400000_NS6detail17trampoline_kernelINS0_14default_configENS1_25partition_config_selectorILNS1_17partition_subalgoE6EtNS0_10empty_typeEbEEZZNS1_14partition_implILS5_6ELb0ES3_mN6thrust23THRUST_200600_302600_NS6detail15normal_iteratorINSA_10device_ptrItEEEEPS6_SG_NS0_5tupleIJSF_S6_EEENSH_IJSG_SG_EEES6_PlJ7is_evenItEEEE10hipError_tPvRmT3_T4_T5_T6_T7_T9_mT8_P12ihipStream_tbDpT10_ENKUlT_T0_E_clISt17integral_constantIbLb1EES15_IbLb0EEEEDaS11_S12_EUlS11_E_NS1_11comp_targetILNS1_3genE10ELNS1_11target_archE1200ELNS1_3gpuE4ELNS1_3repE0EEENS1_30default_config_static_selectorELNS0_4arch9wavefront6targetE0EEEvT1_
		.amdhsa_group_segment_fixed_size 0
		.amdhsa_private_segment_fixed_size 0
		.amdhsa_kernarg_size 112
		.amdhsa_user_sgpr_count 15
		.amdhsa_user_sgpr_dispatch_ptr 0
		.amdhsa_user_sgpr_queue_ptr 0
		.amdhsa_user_sgpr_kernarg_segment_ptr 1
		.amdhsa_user_sgpr_dispatch_id 0
		.amdhsa_user_sgpr_private_segment_size 0
		.amdhsa_wavefront_size32 1
		.amdhsa_uses_dynamic_stack 0
		.amdhsa_enable_private_segment 0
		.amdhsa_system_sgpr_workgroup_id_x 1
		.amdhsa_system_sgpr_workgroup_id_y 0
		.amdhsa_system_sgpr_workgroup_id_z 0
		.amdhsa_system_sgpr_workgroup_info 0
		.amdhsa_system_vgpr_workitem_id 0
		.amdhsa_next_free_vgpr 1
		.amdhsa_next_free_sgpr 1
		.amdhsa_reserve_vcc 0
		.amdhsa_float_round_mode_32 0
		.amdhsa_float_round_mode_16_64 0
		.amdhsa_float_denorm_mode_32 3
		.amdhsa_float_denorm_mode_16_64 3
		.amdhsa_dx10_clamp 1
		.amdhsa_ieee_mode 1
		.amdhsa_fp16_overflow 0
		.amdhsa_workgroup_processor_mode 1
		.amdhsa_memory_ordered 1
		.amdhsa_forward_progress 0
		.amdhsa_shared_vgpr_count 0
		.amdhsa_exception_fp_ieee_invalid_op 0
		.amdhsa_exception_fp_denorm_src 0
		.amdhsa_exception_fp_ieee_div_zero 0
		.amdhsa_exception_fp_ieee_overflow 0
		.amdhsa_exception_fp_ieee_underflow 0
		.amdhsa_exception_fp_ieee_inexact 0
		.amdhsa_exception_int_div_zero 0
	.end_amdhsa_kernel
	.section	.text._ZN7rocprim17ROCPRIM_400000_NS6detail17trampoline_kernelINS0_14default_configENS1_25partition_config_selectorILNS1_17partition_subalgoE6EtNS0_10empty_typeEbEEZZNS1_14partition_implILS5_6ELb0ES3_mN6thrust23THRUST_200600_302600_NS6detail15normal_iteratorINSA_10device_ptrItEEEEPS6_SG_NS0_5tupleIJSF_S6_EEENSH_IJSG_SG_EEES6_PlJ7is_evenItEEEE10hipError_tPvRmT3_T4_T5_T6_T7_T9_mT8_P12ihipStream_tbDpT10_ENKUlT_T0_E_clISt17integral_constantIbLb1EES15_IbLb0EEEEDaS11_S12_EUlS11_E_NS1_11comp_targetILNS1_3genE10ELNS1_11target_archE1200ELNS1_3gpuE4ELNS1_3repE0EEENS1_30default_config_static_selectorELNS0_4arch9wavefront6targetE0EEEvT1_,"axG",@progbits,_ZN7rocprim17ROCPRIM_400000_NS6detail17trampoline_kernelINS0_14default_configENS1_25partition_config_selectorILNS1_17partition_subalgoE6EtNS0_10empty_typeEbEEZZNS1_14partition_implILS5_6ELb0ES3_mN6thrust23THRUST_200600_302600_NS6detail15normal_iteratorINSA_10device_ptrItEEEEPS6_SG_NS0_5tupleIJSF_S6_EEENSH_IJSG_SG_EEES6_PlJ7is_evenItEEEE10hipError_tPvRmT3_T4_T5_T6_T7_T9_mT8_P12ihipStream_tbDpT10_ENKUlT_T0_E_clISt17integral_constantIbLb1EES15_IbLb0EEEEDaS11_S12_EUlS11_E_NS1_11comp_targetILNS1_3genE10ELNS1_11target_archE1200ELNS1_3gpuE4ELNS1_3repE0EEENS1_30default_config_static_selectorELNS0_4arch9wavefront6targetE0EEEvT1_,comdat
.Lfunc_end349:
	.size	_ZN7rocprim17ROCPRIM_400000_NS6detail17trampoline_kernelINS0_14default_configENS1_25partition_config_selectorILNS1_17partition_subalgoE6EtNS0_10empty_typeEbEEZZNS1_14partition_implILS5_6ELb0ES3_mN6thrust23THRUST_200600_302600_NS6detail15normal_iteratorINSA_10device_ptrItEEEEPS6_SG_NS0_5tupleIJSF_S6_EEENSH_IJSG_SG_EEES6_PlJ7is_evenItEEEE10hipError_tPvRmT3_T4_T5_T6_T7_T9_mT8_P12ihipStream_tbDpT10_ENKUlT_T0_E_clISt17integral_constantIbLb1EES15_IbLb0EEEEDaS11_S12_EUlS11_E_NS1_11comp_targetILNS1_3genE10ELNS1_11target_archE1200ELNS1_3gpuE4ELNS1_3repE0EEENS1_30default_config_static_selectorELNS0_4arch9wavefront6targetE0EEEvT1_, .Lfunc_end349-_ZN7rocprim17ROCPRIM_400000_NS6detail17trampoline_kernelINS0_14default_configENS1_25partition_config_selectorILNS1_17partition_subalgoE6EtNS0_10empty_typeEbEEZZNS1_14partition_implILS5_6ELb0ES3_mN6thrust23THRUST_200600_302600_NS6detail15normal_iteratorINSA_10device_ptrItEEEEPS6_SG_NS0_5tupleIJSF_S6_EEENSH_IJSG_SG_EEES6_PlJ7is_evenItEEEE10hipError_tPvRmT3_T4_T5_T6_T7_T9_mT8_P12ihipStream_tbDpT10_ENKUlT_T0_E_clISt17integral_constantIbLb1EES15_IbLb0EEEEDaS11_S12_EUlS11_E_NS1_11comp_targetILNS1_3genE10ELNS1_11target_archE1200ELNS1_3gpuE4ELNS1_3repE0EEENS1_30default_config_static_selectorELNS0_4arch9wavefront6targetE0EEEvT1_
                                        ; -- End function
	.section	.AMDGPU.csdata,"",@progbits
; Kernel info:
; codeLenInByte = 0
; NumSgprs: 0
; NumVgprs: 0
; ScratchSize: 0
; MemoryBound: 0
; FloatMode: 240
; IeeeMode: 1
; LDSByteSize: 0 bytes/workgroup (compile time only)
; SGPRBlocks: 0
; VGPRBlocks: 0
; NumSGPRsForWavesPerEU: 1
; NumVGPRsForWavesPerEU: 1
; Occupancy: 15
; WaveLimiterHint : 0
; COMPUTE_PGM_RSRC2:SCRATCH_EN: 0
; COMPUTE_PGM_RSRC2:USER_SGPR: 15
; COMPUTE_PGM_RSRC2:TRAP_HANDLER: 0
; COMPUTE_PGM_RSRC2:TGID_X_EN: 1
; COMPUTE_PGM_RSRC2:TGID_Y_EN: 0
; COMPUTE_PGM_RSRC2:TGID_Z_EN: 0
; COMPUTE_PGM_RSRC2:TIDIG_COMP_CNT: 0
	.section	.text._ZN7rocprim17ROCPRIM_400000_NS6detail17trampoline_kernelINS0_14default_configENS1_25partition_config_selectorILNS1_17partition_subalgoE6EtNS0_10empty_typeEbEEZZNS1_14partition_implILS5_6ELb0ES3_mN6thrust23THRUST_200600_302600_NS6detail15normal_iteratorINSA_10device_ptrItEEEEPS6_SG_NS0_5tupleIJSF_S6_EEENSH_IJSG_SG_EEES6_PlJ7is_evenItEEEE10hipError_tPvRmT3_T4_T5_T6_T7_T9_mT8_P12ihipStream_tbDpT10_ENKUlT_T0_E_clISt17integral_constantIbLb1EES15_IbLb0EEEEDaS11_S12_EUlS11_E_NS1_11comp_targetILNS1_3genE9ELNS1_11target_archE1100ELNS1_3gpuE3ELNS1_3repE0EEENS1_30default_config_static_selectorELNS0_4arch9wavefront6targetE0EEEvT1_,"axG",@progbits,_ZN7rocprim17ROCPRIM_400000_NS6detail17trampoline_kernelINS0_14default_configENS1_25partition_config_selectorILNS1_17partition_subalgoE6EtNS0_10empty_typeEbEEZZNS1_14partition_implILS5_6ELb0ES3_mN6thrust23THRUST_200600_302600_NS6detail15normal_iteratorINSA_10device_ptrItEEEEPS6_SG_NS0_5tupleIJSF_S6_EEENSH_IJSG_SG_EEES6_PlJ7is_evenItEEEE10hipError_tPvRmT3_T4_T5_T6_T7_T9_mT8_P12ihipStream_tbDpT10_ENKUlT_T0_E_clISt17integral_constantIbLb1EES15_IbLb0EEEEDaS11_S12_EUlS11_E_NS1_11comp_targetILNS1_3genE9ELNS1_11target_archE1100ELNS1_3gpuE3ELNS1_3repE0EEENS1_30default_config_static_selectorELNS0_4arch9wavefront6targetE0EEEvT1_,comdat
	.protected	_ZN7rocprim17ROCPRIM_400000_NS6detail17trampoline_kernelINS0_14default_configENS1_25partition_config_selectorILNS1_17partition_subalgoE6EtNS0_10empty_typeEbEEZZNS1_14partition_implILS5_6ELb0ES3_mN6thrust23THRUST_200600_302600_NS6detail15normal_iteratorINSA_10device_ptrItEEEEPS6_SG_NS0_5tupleIJSF_S6_EEENSH_IJSG_SG_EEES6_PlJ7is_evenItEEEE10hipError_tPvRmT3_T4_T5_T6_T7_T9_mT8_P12ihipStream_tbDpT10_ENKUlT_T0_E_clISt17integral_constantIbLb1EES15_IbLb0EEEEDaS11_S12_EUlS11_E_NS1_11comp_targetILNS1_3genE9ELNS1_11target_archE1100ELNS1_3gpuE3ELNS1_3repE0EEENS1_30default_config_static_selectorELNS0_4arch9wavefront6targetE0EEEvT1_ ; -- Begin function _ZN7rocprim17ROCPRIM_400000_NS6detail17trampoline_kernelINS0_14default_configENS1_25partition_config_selectorILNS1_17partition_subalgoE6EtNS0_10empty_typeEbEEZZNS1_14partition_implILS5_6ELb0ES3_mN6thrust23THRUST_200600_302600_NS6detail15normal_iteratorINSA_10device_ptrItEEEEPS6_SG_NS0_5tupleIJSF_S6_EEENSH_IJSG_SG_EEES6_PlJ7is_evenItEEEE10hipError_tPvRmT3_T4_T5_T6_T7_T9_mT8_P12ihipStream_tbDpT10_ENKUlT_T0_E_clISt17integral_constantIbLb1EES15_IbLb0EEEEDaS11_S12_EUlS11_E_NS1_11comp_targetILNS1_3genE9ELNS1_11target_archE1100ELNS1_3gpuE3ELNS1_3repE0EEENS1_30default_config_static_selectorELNS0_4arch9wavefront6targetE0EEEvT1_
	.globl	_ZN7rocprim17ROCPRIM_400000_NS6detail17trampoline_kernelINS0_14default_configENS1_25partition_config_selectorILNS1_17partition_subalgoE6EtNS0_10empty_typeEbEEZZNS1_14partition_implILS5_6ELb0ES3_mN6thrust23THRUST_200600_302600_NS6detail15normal_iteratorINSA_10device_ptrItEEEEPS6_SG_NS0_5tupleIJSF_S6_EEENSH_IJSG_SG_EEES6_PlJ7is_evenItEEEE10hipError_tPvRmT3_T4_T5_T6_T7_T9_mT8_P12ihipStream_tbDpT10_ENKUlT_T0_E_clISt17integral_constantIbLb1EES15_IbLb0EEEEDaS11_S12_EUlS11_E_NS1_11comp_targetILNS1_3genE9ELNS1_11target_archE1100ELNS1_3gpuE3ELNS1_3repE0EEENS1_30default_config_static_selectorELNS0_4arch9wavefront6targetE0EEEvT1_
	.p2align	8
	.type	_ZN7rocprim17ROCPRIM_400000_NS6detail17trampoline_kernelINS0_14default_configENS1_25partition_config_selectorILNS1_17partition_subalgoE6EtNS0_10empty_typeEbEEZZNS1_14partition_implILS5_6ELb0ES3_mN6thrust23THRUST_200600_302600_NS6detail15normal_iteratorINSA_10device_ptrItEEEEPS6_SG_NS0_5tupleIJSF_S6_EEENSH_IJSG_SG_EEES6_PlJ7is_evenItEEEE10hipError_tPvRmT3_T4_T5_T6_T7_T9_mT8_P12ihipStream_tbDpT10_ENKUlT_T0_E_clISt17integral_constantIbLb1EES15_IbLb0EEEEDaS11_S12_EUlS11_E_NS1_11comp_targetILNS1_3genE9ELNS1_11target_archE1100ELNS1_3gpuE3ELNS1_3repE0EEENS1_30default_config_static_selectorELNS0_4arch9wavefront6targetE0EEEvT1_,@function
_ZN7rocprim17ROCPRIM_400000_NS6detail17trampoline_kernelINS0_14default_configENS1_25partition_config_selectorILNS1_17partition_subalgoE6EtNS0_10empty_typeEbEEZZNS1_14partition_implILS5_6ELb0ES3_mN6thrust23THRUST_200600_302600_NS6detail15normal_iteratorINSA_10device_ptrItEEEEPS6_SG_NS0_5tupleIJSF_S6_EEENSH_IJSG_SG_EEES6_PlJ7is_evenItEEEE10hipError_tPvRmT3_T4_T5_T6_T7_T9_mT8_P12ihipStream_tbDpT10_ENKUlT_T0_E_clISt17integral_constantIbLb1EES15_IbLb0EEEEDaS11_S12_EUlS11_E_NS1_11comp_targetILNS1_3genE9ELNS1_11target_archE1100ELNS1_3gpuE3ELNS1_3repE0EEENS1_30default_config_static_selectorELNS0_4arch9wavefront6targetE0EEEvT1_: ; @_ZN7rocprim17ROCPRIM_400000_NS6detail17trampoline_kernelINS0_14default_configENS1_25partition_config_selectorILNS1_17partition_subalgoE6EtNS0_10empty_typeEbEEZZNS1_14partition_implILS5_6ELb0ES3_mN6thrust23THRUST_200600_302600_NS6detail15normal_iteratorINSA_10device_ptrItEEEEPS6_SG_NS0_5tupleIJSF_S6_EEENSH_IJSG_SG_EEES6_PlJ7is_evenItEEEE10hipError_tPvRmT3_T4_T5_T6_T7_T9_mT8_P12ihipStream_tbDpT10_ENKUlT_T0_E_clISt17integral_constantIbLb1EES15_IbLb0EEEEDaS11_S12_EUlS11_E_NS1_11comp_targetILNS1_3genE9ELNS1_11target_archE1100ELNS1_3gpuE3ELNS1_3repE0EEENS1_30default_config_static_selectorELNS0_4arch9wavefront6targetE0EEEvT1_
; %bb.0:
	s_clause 0x3
	s_load_b128 s[8:11], s[0:1], 0x8
	s_load_b128 s[4:7], s[0:1], 0x40
	s_load_b32 s14, s[0:1], 0x68
	s_load_b64 s[12:13], s[0:1], 0x50
	v_lshlrev_b32_e32 v1, 1, v0
	s_waitcnt lgkmcnt(0)
	s_lshl_b64 s[2:3], s[10:11], 1
	s_load_b64 s[6:7], s[6:7], 0x0
	s_mul_i32 s16, s14, 0xf00
	s_add_u32 s17, s8, s2
	s_addc_u32 s18, s9, s3
	s_add_i32 s2, s16, s10
	s_add_i32 s14, s14, -1
	s_sub_i32 s2, s12, s2
	s_add_u32 s8, s10, s16
	s_addc_u32 s9, s11, 0
	s_cmp_eq_u32 s15, s14
	v_cmp_ge_u64_e64 s3, s[8:9], s[12:13]
	s_cselect_b32 s14, -1, 0
	s_mov_b32 s9, 0
	s_mul_i32 s8, s15, 0xf00
	s_delay_alu instid0(SALU_CYCLE_1) | instskip(NEXT) | instid1(VALU_DEP_1)
	s_lshl_b64 s[8:9], s[8:9], 1
	s_and_b32 s3, s14, s3
	s_delay_alu instid0(SALU_CYCLE_1)
	s_xor_b32 s16, s3, -1
	s_add_u32 s3, s17, s8
	s_addc_u32 s8, s18, s9
	s_and_b32 vcc_lo, exec_lo, s16
	s_mov_b32 s9, -1
	s_cbranch_vccz .LBB350_2
; %bb.1:
	v_add_co_u32 v2, s9, s3, v1
	s_delay_alu instid0(VALU_DEP_1) | instskip(SKIP_1) | instid1(VALU_DEP_2)
	v_add_co_ci_u32_e64 v3, null, s8, 0, s9
	s_mov_b32 s9, 0
	v_add_co_u32 v4, vcc_lo, 0x1000, v2
	s_clause 0x7
	flat_load_u16 v6, v[2:3]
	flat_load_u16 v7, v[2:3] offset:256
	flat_load_u16 v8, v[2:3] offset:512
	;; [unrolled: 1-line block ×7, first 2 shown]
	v_add_co_ci_u32_e32 v5, vcc_lo, 0, v3, vcc_lo
	s_clause 0x15
	flat_load_u16 v14, v[2:3] offset:2048
	flat_load_u16 v15, v[2:3] offset:2304
	;; [unrolled: 1-line block ×8, first 2 shown]
	flat_load_u16 v3, v[4:5]
	flat_load_u16 v21, v[4:5] offset:256
	flat_load_u16 v22, v[4:5] offset:512
	;; [unrolled: 1-line block ×13, first 2 shown]
	s_waitcnt vmcnt(29) lgkmcnt(0)
	ds_store_b16 v1, v6
	s_waitcnt vmcnt(28)
	ds_store_b16 v1, v7 offset:256
	s_waitcnt vmcnt(27)
	ds_store_b16 v1, v8 offset:512
	;; [unrolled: 2-line block ×29, first 2 shown]
	s_waitcnt lgkmcnt(0)
	s_barrier
.LBB350_2:
	s_and_not1_b32 vcc_lo, exec_lo, s9
	s_addk_i32 s2, 0xf00
	s_cbranch_vccnz .LBB350_64
; %bb.3:
	s_mov_b32 s9, exec_lo
                                        ; implicit-def: $vgpr2
	v_cmpx_gt_u32_e64 s2, v0
	s_cbranch_execz .LBB350_5
; %bb.4:
	v_add_co_u32 v2, s10, s3, v1
	s_delay_alu instid0(VALU_DEP_1)
	v_add_co_ci_u32_e64 v3, null, s8, 0, s10
	flat_load_u16 v2, v[2:3]
.LBB350_5:
	s_or_b32 exec_lo, exec_lo, s9
	v_or_b32_e32 v3, 0x80, v0
	s_delay_alu instid0(VALU_DEP_1)
	v_cmp_gt_u32_e32 vcc_lo, s2, v3
                                        ; implicit-def: $vgpr3
	s_and_saveexec_b32 s9, vcc_lo
	s_cbranch_execz .LBB350_7
; %bb.6:
	v_add_co_u32 v3, s10, s3, v1
	s_delay_alu instid0(VALU_DEP_1)
	v_add_co_ci_u32_e64 v4, null, s8, 0, s10
	flat_load_u16 v3, v[3:4] offset:256
.LBB350_7:
	s_or_b32 exec_lo, exec_lo, s9
	v_or_b32_e32 v4, 0x100, v0
	s_delay_alu instid0(VALU_DEP_1)
	v_cmp_gt_u32_e32 vcc_lo, s2, v4
                                        ; implicit-def: $vgpr4
	s_and_saveexec_b32 s9, vcc_lo
	s_cbranch_execz .LBB350_9
; %bb.8:
	v_add_co_u32 v4, s10, s3, v1
	s_delay_alu instid0(VALU_DEP_1)
	v_add_co_ci_u32_e64 v5, null, s8, 0, s10
	flat_load_u16 v4, v[4:5] offset:512
.LBB350_9:
	s_or_b32 exec_lo, exec_lo, s9
	v_or_b32_e32 v5, 0x180, v0
	s_delay_alu instid0(VALU_DEP_1)
	v_cmp_gt_u32_e32 vcc_lo, s2, v5
                                        ; implicit-def: $vgpr5
	s_and_saveexec_b32 s9, vcc_lo
	s_cbranch_execz .LBB350_11
; %bb.10:
	v_add_co_u32 v5, s10, s3, v1
	s_delay_alu instid0(VALU_DEP_1)
	v_add_co_ci_u32_e64 v6, null, s8, 0, s10
	flat_load_u16 v5, v[5:6] offset:768
.LBB350_11:
	s_or_b32 exec_lo, exec_lo, s9
	v_or_b32_e32 v6, 0x200, v0
	s_delay_alu instid0(VALU_DEP_1)
	v_cmp_gt_u32_e32 vcc_lo, s2, v6
                                        ; implicit-def: $vgpr6
	s_and_saveexec_b32 s9, vcc_lo
	s_cbranch_execz .LBB350_13
; %bb.12:
	v_add_co_u32 v6, s10, s3, v1
	s_delay_alu instid0(VALU_DEP_1)
	v_add_co_ci_u32_e64 v7, null, s8, 0, s10
	flat_load_u16 v6, v[6:7] offset:1024
.LBB350_13:
	s_or_b32 exec_lo, exec_lo, s9
	v_or_b32_e32 v7, 0x280, v0
	s_delay_alu instid0(VALU_DEP_1)
	v_cmp_gt_u32_e32 vcc_lo, s2, v7
                                        ; implicit-def: $vgpr7
	s_and_saveexec_b32 s9, vcc_lo
	s_cbranch_execz .LBB350_15
; %bb.14:
	v_add_co_u32 v7, s10, s3, v1
	s_delay_alu instid0(VALU_DEP_1)
	v_add_co_ci_u32_e64 v8, null, s8, 0, s10
	flat_load_u16 v7, v[7:8] offset:1280
.LBB350_15:
	s_or_b32 exec_lo, exec_lo, s9
	v_or_b32_e32 v8, 0x300, v0
	s_delay_alu instid0(VALU_DEP_1)
	v_cmp_gt_u32_e32 vcc_lo, s2, v8
                                        ; implicit-def: $vgpr8
	s_and_saveexec_b32 s9, vcc_lo
	s_cbranch_execz .LBB350_17
; %bb.16:
	v_add_co_u32 v8, s10, s3, v1
	s_delay_alu instid0(VALU_DEP_1)
	v_add_co_ci_u32_e64 v9, null, s8, 0, s10
	flat_load_u16 v8, v[8:9] offset:1536
.LBB350_17:
	s_or_b32 exec_lo, exec_lo, s9
	v_or_b32_e32 v9, 0x380, v0
	s_delay_alu instid0(VALU_DEP_1)
	v_cmp_gt_u32_e32 vcc_lo, s2, v9
                                        ; implicit-def: $vgpr9
	s_and_saveexec_b32 s9, vcc_lo
	s_cbranch_execz .LBB350_19
; %bb.18:
	v_add_co_u32 v9, s10, s3, v1
	s_delay_alu instid0(VALU_DEP_1)
	v_add_co_ci_u32_e64 v10, null, s8, 0, s10
	flat_load_u16 v9, v[9:10] offset:1792
.LBB350_19:
	s_or_b32 exec_lo, exec_lo, s9
	v_or_b32_e32 v10, 0x400, v0
	s_delay_alu instid0(VALU_DEP_1)
	v_cmp_gt_u32_e32 vcc_lo, s2, v10
                                        ; implicit-def: $vgpr10
	s_and_saveexec_b32 s9, vcc_lo
	s_cbranch_execz .LBB350_21
; %bb.20:
	v_add_co_u32 v10, s10, s3, v1
	s_delay_alu instid0(VALU_DEP_1)
	v_add_co_ci_u32_e64 v11, null, s8, 0, s10
	flat_load_u16 v10, v[10:11] offset:2048
.LBB350_21:
	s_or_b32 exec_lo, exec_lo, s9
	v_or_b32_e32 v11, 0x480, v0
	s_delay_alu instid0(VALU_DEP_1)
	v_cmp_gt_u32_e32 vcc_lo, s2, v11
                                        ; implicit-def: $vgpr11
	s_and_saveexec_b32 s9, vcc_lo
	s_cbranch_execz .LBB350_23
; %bb.22:
	v_add_co_u32 v11, s10, s3, v1
	s_delay_alu instid0(VALU_DEP_1)
	v_add_co_ci_u32_e64 v12, null, s8, 0, s10
	flat_load_u16 v11, v[11:12] offset:2304
.LBB350_23:
	s_or_b32 exec_lo, exec_lo, s9
	v_or_b32_e32 v12, 0x500, v0
	s_delay_alu instid0(VALU_DEP_1)
	v_cmp_gt_u32_e32 vcc_lo, s2, v12
                                        ; implicit-def: $vgpr12
	s_and_saveexec_b32 s9, vcc_lo
	s_cbranch_execz .LBB350_25
; %bb.24:
	v_add_co_u32 v12, s10, s3, v1
	s_delay_alu instid0(VALU_DEP_1)
	v_add_co_ci_u32_e64 v13, null, s8, 0, s10
	flat_load_u16 v12, v[12:13] offset:2560
.LBB350_25:
	s_or_b32 exec_lo, exec_lo, s9
	v_or_b32_e32 v13, 0x580, v0
	s_delay_alu instid0(VALU_DEP_1)
	v_cmp_gt_u32_e32 vcc_lo, s2, v13
                                        ; implicit-def: $vgpr13
	s_and_saveexec_b32 s9, vcc_lo
	s_cbranch_execz .LBB350_27
; %bb.26:
	v_add_co_u32 v13, s10, s3, v1
	s_delay_alu instid0(VALU_DEP_1)
	v_add_co_ci_u32_e64 v14, null, s8, 0, s10
	flat_load_u16 v13, v[13:14] offset:2816
.LBB350_27:
	s_or_b32 exec_lo, exec_lo, s9
	v_or_b32_e32 v14, 0x600, v0
	s_delay_alu instid0(VALU_DEP_1)
	v_cmp_gt_u32_e32 vcc_lo, s2, v14
                                        ; implicit-def: $vgpr14
	s_and_saveexec_b32 s9, vcc_lo
	s_cbranch_execz .LBB350_29
; %bb.28:
	v_add_co_u32 v14, s10, s3, v1
	s_delay_alu instid0(VALU_DEP_1)
	v_add_co_ci_u32_e64 v15, null, s8, 0, s10
	flat_load_u16 v14, v[14:15] offset:3072
.LBB350_29:
	s_or_b32 exec_lo, exec_lo, s9
	v_or_b32_e32 v15, 0x680, v0
	s_delay_alu instid0(VALU_DEP_1)
	v_cmp_gt_u32_e32 vcc_lo, s2, v15
                                        ; implicit-def: $vgpr15
	s_and_saveexec_b32 s9, vcc_lo
	s_cbranch_execz .LBB350_31
; %bb.30:
	v_add_co_u32 v15, s10, s3, v1
	s_delay_alu instid0(VALU_DEP_1)
	v_add_co_ci_u32_e64 v16, null, s8, 0, s10
	flat_load_u16 v15, v[15:16] offset:3328
.LBB350_31:
	s_or_b32 exec_lo, exec_lo, s9
	v_or_b32_e32 v16, 0x700, v0
	s_delay_alu instid0(VALU_DEP_1)
	v_cmp_gt_u32_e32 vcc_lo, s2, v16
                                        ; implicit-def: $vgpr16
	s_and_saveexec_b32 s9, vcc_lo
	s_cbranch_execz .LBB350_33
; %bb.32:
	v_add_co_u32 v16, s10, s3, v1
	s_delay_alu instid0(VALU_DEP_1)
	v_add_co_ci_u32_e64 v17, null, s8, 0, s10
	flat_load_u16 v16, v[16:17] offset:3584
.LBB350_33:
	s_or_b32 exec_lo, exec_lo, s9
	v_or_b32_e32 v17, 0x780, v0
	s_delay_alu instid0(VALU_DEP_1)
	v_cmp_gt_u32_e32 vcc_lo, s2, v17
                                        ; implicit-def: $vgpr17
	s_and_saveexec_b32 s9, vcc_lo
	s_cbranch_execz .LBB350_35
; %bb.34:
	v_add_co_u32 v17, s10, s3, v1
	s_delay_alu instid0(VALU_DEP_1)
	v_add_co_ci_u32_e64 v18, null, s8, 0, s10
	flat_load_u16 v17, v[17:18] offset:3840
.LBB350_35:
	s_or_b32 exec_lo, exec_lo, s9
	v_or_b32_e32 v19, 0x800, v0
	s_mov_b32 s9, exec_lo
                                        ; implicit-def: $vgpr18
	s_delay_alu instid0(VALU_DEP_1)
	v_cmpx_gt_u32_e64 s2, v19
	s_cbranch_execz .LBB350_37
; %bb.36:
	v_lshlrev_b32_e32 v18, 1, v19
	s_delay_alu instid0(VALU_DEP_1) | instskip(NEXT) | instid1(VALU_DEP_1)
	v_add_co_u32 v18, s10, s3, v18
	v_add_co_ci_u32_e64 v19, null, s8, 0, s10
	flat_load_u16 v18, v[18:19]
.LBB350_37:
	s_or_b32 exec_lo, exec_lo, s9
	v_or_b32_e32 v20, 0x880, v0
	s_mov_b32 s9, exec_lo
                                        ; implicit-def: $vgpr19
	s_delay_alu instid0(VALU_DEP_1)
	v_cmpx_gt_u32_e64 s2, v20
	s_cbranch_execz .LBB350_39
; %bb.38:
	v_lshlrev_b32_e32 v19, 1, v20
	s_delay_alu instid0(VALU_DEP_1) | instskip(NEXT) | instid1(VALU_DEP_1)
	v_add_co_u32 v19, s10, s3, v19
	v_add_co_ci_u32_e64 v20, null, s8, 0, s10
	flat_load_u16 v19, v[19:20]
.LBB350_39:
	s_or_b32 exec_lo, exec_lo, s9
	v_or_b32_e32 v21, 0x900, v0
	s_mov_b32 s9, exec_lo
                                        ; implicit-def: $vgpr20
	s_delay_alu instid0(VALU_DEP_1)
	v_cmpx_gt_u32_e64 s2, v21
	s_cbranch_execz .LBB350_41
; %bb.40:
	v_lshlrev_b32_e32 v20, 1, v21
	s_delay_alu instid0(VALU_DEP_1) | instskip(NEXT) | instid1(VALU_DEP_1)
	v_add_co_u32 v20, s10, s3, v20
	v_add_co_ci_u32_e64 v21, null, s8, 0, s10
	flat_load_u16 v20, v[20:21]
.LBB350_41:
	s_or_b32 exec_lo, exec_lo, s9
	v_or_b32_e32 v22, 0x980, v0
	s_mov_b32 s9, exec_lo
                                        ; implicit-def: $vgpr21
	s_delay_alu instid0(VALU_DEP_1)
	v_cmpx_gt_u32_e64 s2, v22
	s_cbranch_execz .LBB350_43
; %bb.42:
	v_lshlrev_b32_e32 v21, 1, v22
	s_delay_alu instid0(VALU_DEP_1) | instskip(NEXT) | instid1(VALU_DEP_1)
	v_add_co_u32 v21, s10, s3, v21
	v_add_co_ci_u32_e64 v22, null, s8, 0, s10
	flat_load_u16 v21, v[21:22]
.LBB350_43:
	s_or_b32 exec_lo, exec_lo, s9
	v_or_b32_e32 v23, 0xa00, v0
	s_mov_b32 s9, exec_lo
                                        ; implicit-def: $vgpr22
	s_delay_alu instid0(VALU_DEP_1)
	v_cmpx_gt_u32_e64 s2, v23
	s_cbranch_execz .LBB350_45
; %bb.44:
	v_lshlrev_b32_e32 v22, 1, v23
	s_delay_alu instid0(VALU_DEP_1) | instskip(NEXT) | instid1(VALU_DEP_1)
	v_add_co_u32 v22, s10, s3, v22
	v_add_co_ci_u32_e64 v23, null, s8, 0, s10
	flat_load_u16 v22, v[22:23]
.LBB350_45:
	s_or_b32 exec_lo, exec_lo, s9
	v_or_b32_e32 v24, 0xa80, v0
	s_mov_b32 s9, exec_lo
                                        ; implicit-def: $vgpr23
	s_delay_alu instid0(VALU_DEP_1)
	v_cmpx_gt_u32_e64 s2, v24
	s_cbranch_execz .LBB350_47
; %bb.46:
	v_lshlrev_b32_e32 v23, 1, v24
	s_delay_alu instid0(VALU_DEP_1) | instskip(NEXT) | instid1(VALU_DEP_1)
	v_add_co_u32 v23, s10, s3, v23
	v_add_co_ci_u32_e64 v24, null, s8, 0, s10
	flat_load_u16 v23, v[23:24]
.LBB350_47:
	s_or_b32 exec_lo, exec_lo, s9
	v_or_b32_e32 v25, 0xb00, v0
	s_mov_b32 s9, exec_lo
                                        ; implicit-def: $vgpr24
	s_delay_alu instid0(VALU_DEP_1)
	v_cmpx_gt_u32_e64 s2, v25
	s_cbranch_execz .LBB350_49
; %bb.48:
	v_lshlrev_b32_e32 v24, 1, v25
	s_delay_alu instid0(VALU_DEP_1) | instskip(NEXT) | instid1(VALU_DEP_1)
	v_add_co_u32 v24, s10, s3, v24
	v_add_co_ci_u32_e64 v25, null, s8, 0, s10
	flat_load_u16 v24, v[24:25]
.LBB350_49:
	s_or_b32 exec_lo, exec_lo, s9
	v_or_b32_e32 v26, 0xb80, v0
	s_mov_b32 s9, exec_lo
                                        ; implicit-def: $vgpr25
	s_delay_alu instid0(VALU_DEP_1)
	v_cmpx_gt_u32_e64 s2, v26
	s_cbranch_execz .LBB350_51
; %bb.50:
	v_lshlrev_b32_e32 v25, 1, v26
	s_delay_alu instid0(VALU_DEP_1) | instskip(NEXT) | instid1(VALU_DEP_1)
	v_add_co_u32 v25, s10, s3, v25
	v_add_co_ci_u32_e64 v26, null, s8, 0, s10
	flat_load_u16 v25, v[25:26]
.LBB350_51:
	s_or_b32 exec_lo, exec_lo, s9
	v_or_b32_e32 v27, 0xc00, v0
	s_mov_b32 s9, exec_lo
                                        ; implicit-def: $vgpr26
	s_delay_alu instid0(VALU_DEP_1)
	v_cmpx_gt_u32_e64 s2, v27
	s_cbranch_execz .LBB350_53
; %bb.52:
	v_lshlrev_b32_e32 v26, 1, v27
	s_delay_alu instid0(VALU_DEP_1) | instskip(NEXT) | instid1(VALU_DEP_1)
	v_add_co_u32 v26, s10, s3, v26
	v_add_co_ci_u32_e64 v27, null, s8, 0, s10
	flat_load_u16 v26, v[26:27]
.LBB350_53:
	s_or_b32 exec_lo, exec_lo, s9
	v_or_b32_e32 v28, 0xc80, v0
	s_mov_b32 s9, exec_lo
                                        ; implicit-def: $vgpr27
	s_delay_alu instid0(VALU_DEP_1)
	v_cmpx_gt_u32_e64 s2, v28
	s_cbranch_execz .LBB350_55
; %bb.54:
	v_lshlrev_b32_e32 v27, 1, v28
	s_delay_alu instid0(VALU_DEP_1) | instskip(NEXT) | instid1(VALU_DEP_1)
	v_add_co_u32 v27, s10, s3, v27
	v_add_co_ci_u32_e64 v28, null, s8, 0, s10
	flat_load_u16 v27, v[27:28]
.LBB350_55:
	s_or_b32 exec_lo, exec_lo, s9
	v_or_b32_e32 v29, 0xd00, v0
	s_mov_b32 s9, exec_lo
                                        ; implicit-def: $vgpr28
	s_delay_alu instid0(VALU_DEP_1)
	v_cmpx_gt_u32_e64 s2, v29
	s_cbranch_execz .LBB350_57
; %bb.56:
	v_lshlrev_b32_e32 v28, 1, v29
	s_delay_alu instid0(VALU_DEP_1) | instskip(NEXT) | instid1(VALU_DEP_1)
	v_add_co_u32 v28, s10, s3, v28
	v_add_co_ci_u32_e64 v29, null, s8, 0, s10
	flat_load_u16 v28, v[28:29]
.LBB350_57:
	s_or_b32 exec_lo, exec_lo, s9
	v_or_b32_e32 v30, 0xd80, v0
	s_mov_b32 s9, exec_lo
                                        ; implicit-def: $vgpr29
	s_delay_alu instid0(VALU_DEP_1)
	v_cmpx_gt_u32_e64 s2, v30
	s_cbranch_execz .LBB350_59
; %bb.58:
	v_lshlrev_b32_e32 v29, 1, v30
	s_delay_alu instid0(VALU_DEP_1) | instskip(NEXT) | instid1(VALU_DEP_1)
	v_add_co_u32 v29, s10, s3, v29
	v_add_co_ci_u32_e64 v30, null, s8, 0, s10
	flat_load_u16 v29, v[29:30]
.LBB350_59:
	s_or_b32 exec_lo, exec_lo, s9
	v_or_b32_e32 v31, 0xe00, v0
	s_mov_b32 s9, exec_lo
                                        ; implicit-def: $vgpr30
	s_delay_alu instid0(VALU_DEP_1)
	v_cmpx_gt_u32_e64 s2, v31
	s_cbranch_execz .LBB350_61
; %bb.60:
	v_lshlrev_b32_e32 v30, 1, v31
	s_delay_alu instid0(VALU_DEP_1) | instskip(NEXT) | instid1(VALU_DEP_1)
	v_add_co_u32 v30, s10, s3, v30
	v_add_co_ci_u32_e64 v31, null, s8, 0, s10
	flat_load_u16 v30, v[30:31]
.LBB350_61:
	s_or_b32 exec_lo, exec_lo, s9
	v_or_b32_e32 v32, 0xe80, v0
	s_mov_b32 s9, exec_lo
                                        ; implicit-def: $vgpr31
	s_delay_alu instid0(VALU_DEP_1)
	v_cmpx_gt_u32_e64 s2, v32
	s_cbranch_execz .LBB350_63
; %bb.62:
	v_lshlrev_b32_e32 v31, 1, v32
	s_delay_alu instid0(VALU_DEP_1) | instskip(NEXT) | instid1(VALU_DEP_1)
	v_add_co_u32 v31, s3, s3, v31
	v_add_co_ci_u32_e64 v32, null, s8, 0, s3
	flat_load_u16 v31, v[31:32]
.LBB350_63:
	s_or_b32 exec_lo, exec_lo, s9
	s_waitcnt vmcnt(0) lgkmcnt(0)
	ds_store_b16 v1, v2
	ds_store_b16 v1, v3 offset:256
	ds_store_b16 v1, v4 offset:512
	;; [unrolled: 1-line block ×29, first 2 shown]
	s_waitcnt lgkmcnt(0)
	s_barrier
.LBB350_64:
	v_mul_u32_u24_e32 v30, 30, v0
	s_waitcnt lgkmcnt(0)
	buffer_gl0_inv
	s_and_not1_b32 vcc_lo, exec_lo, s16
	v_lshlrev_b32_e32 v1, 1, v30
	ds_load_b32 v81, v1 offset:56
	ds_load_2addr_b32 v[9:10], v1 offset0:12 offset1:13
	ds_load_2addr_b32 v[11:12], v1 offset0:10 offset1:11
	ds_load_2addr_b32 v[21:22], v1 offset1:1
	ds_load_2addr_b32 v[19:20], v1 offset0:2 offset1:3
	ds_load_2addr_b32 v[17:18], v1 offset0:4 offset1:5
	;; [unrolled: 1-line block ×4, first 2 shown]
	s_waitcnt lgkmcnt(0)
	s_barrier
	buffer_gl0_inv
	v_lshrrev_b32_e32 v82, 16, v81
	v_lshrrev_b32_e32 v84, 16, v9
	;; [unrolled: 1-line block ×15, first 2 shown]
	v_xor_b32_e32 v41, -1, v21
	v_xor_b32_e32 v42, -1, v22
	;; [unrolled: 1-line block ×30, first 2 shown]
	s_cbranch_vccnz .LBB350_66
; %bb.65:
	v_and_b32_e32 v126, 1, v41
	v_and_b32_e32 v125, 1, v45
	;; [unrolled: 1-line block ×30, first 2 shown]
	s_load_b64 s[10:11], s[0:1], 0x60
	s_cbranch_execz .LBB350_67
	s_branch .LBB350_68
.LBB350_66:
                                        ; implicit-def: $vgpr126
                                        ; implicit-def: $vgpr125
                                        ; implicit-def: $vgpr124
                                        ; implicit-def: $vgpr123
                                        ; implicit-def: $vgpr121
                                        ; implicit-def: $vgpr122
                                        ; implicit-def: $vgpr120
                                        ; implicit-def: $vgpr119
                                        ; implicit-def: $vgpr118
                                        ; implicit-def: $vgpr116
                                        ; implicit-def: $vgpr117
                                        ; implicit-def: $vgpr115
                                        ; implicit-def: $vgpr114
                                        ; implicit-def: $vgpr113
                                        ; implicit-def: $vgpr111
                                        ; implicit-def: $vgpr112
                                        ; implicit-def: $vgpr110
                                        ; implicit-def: $vgpr108
                                        ; implicit-def: $vgpr107
                                        ; implicit-def: $vgpr104
                                        ; implicit-def: $vgpr106
                                        ; implicit-def: $vgpr103
                                        ; implicit-def: $vgpr102
                                        ; implicit-def: $vgpr100
                                        ; implicit-def: $vgpr98
                                        ; implicit-def: $vgpr99
                                        ; implicit-def: $vgpr97
                                        ; implicit-def: $vgpr95
                                        ; implicit-def: $vgpr94
                                        ; implicit-def: $vgpr92
	s_load_b64 s[10:11], s[0:1], 0x60
.LBB350_67:
	v_or_b32_e32 v55, 1, v30
	v_cmp_gt_u32_e32 vcc_lo, s2, v30
	v_add_nc_u32_e32 v46, 29, v30
	v_add_nc_u32_e32 v47, 28, v30
	;; [unrolled: 1-line block ×28, first 2 shown]
	v_cndmask_b32_e64 v30, 0, 1, vcc_lo
	v_cmp_gt_u32_e32 vcc_lo, s2, v55
	s_delay_alu instid0(VALU_DEP_2) | instskip(SKIP_2) | instid1(VALU_DEP_2)
	v_and_b32_e32 v126, v30, v41
	v_cndmask_b32_e64 v55, 0, 1, vcc_lo
	v_cmp_gt_u32_e32 vcc_lo, s2, v56
	v_and_b32_e32 v125, v55, v45
	v_cndmask_b32_e64 v56, 0, 1, vcc_lo
	v_cmp_gt_u32_e32 vcc_lo, s2, v57
	s_delay_alu instid0(VALU_DEP_2) | instskip(SKIP_2) | instid1(VALU_DEP_2)
	v_and_b32_e32 v124, v56, v42
	v_cndmask_b32_e64 v57, 0, 1, vcc_lo
	v_cmp_gt_u32_e32 vcc_lo, s2, v58
	v_and_b32_e32 v123, v57, v44
	;; [unrolled: 7-line block ×14, first 2 shown]
	v_cndmask_b32_e64 v23, 0, 1, vcc_lo
	v_cmp_gt_u32_e32 vcc_lo, s2, v46
	s_delay_alu instid0(VALU_DEP_2) | instskip(SKIP_1) | instid1(VALU_DEP_1)
	v_and_b32_e32 v94, v23, v4
	v_cndmask_b32_e64 v24, 0, 1, vcc_lo
	v_and_b32_e32 v92, v24, v5
.LBB350_68:
	s_delay_alu instid0(VALU_DEP_3) | instskip(NEXT) | instid1(VALU_DEP_2)
	v_dual_mov_b32 v2, 0 :: v_dual_and_b32 v79, 0xff, v94
	v_and_b32_e32 v1, 0xff, v92
	v_and_b32_e32 v80, 0xff, v95
	;; [unrolled: 1-line block ×5, first 2 shown]
	v_add_co_u32 v1, s2, v79, v1
	s_delay_alu instid0(VALU_DEP_1) | instskip(SKIP_1) | instid1(VALU_DEP_3)
	v_add_co_ci_u32_e64 v3, null, 0, 0, s2
	v_and_b32_e32 v130, 0xff, v100
	v_add_co_u32 v1, vcc_lo, v1, v80
	s_delay_alu instid0(VALU_DEP_3) | instskip(SKIP_1) | instid1(VALU_DEP_3)
	v_add_co_ci_u32_e32 v3, vcc_lo, 0, v3, vcc_lo
	v_and_b32_e32 v31, 0xff, v102
	v_add_co_u32 v1, vcc_lo, v1, v127
	s_delay_alu instid0(VALU_DEP_3) | instskip(SKIP_1) | instid1(VALU_DEP_3)
	v_add_co_ci_u32_e32 v3, vcc_lo, 0, v3, vcc_lo
	;; [unrolled: 4-line block ×23, first 2 shown]
	v_mbcnt_lo_u32_b32 v54, -1, 0
	v_add_co_u32 v1, vcc_lo, v1, v50
	s_delay_alu instid0(VALU_DEP_3) | instskip(SKIP_1) | instid1(VALU_DEP_3)
	v_add_co_ci_u32_e32 v3, vcc_lo, 0, v3, vcc_lo
	v_and_b32_e32 v42, 0xff, v126
	v_add_co_u32 v1, vcc_lo, v1, v51
	s_delay_alu instid0(VALU_DEP_3) | instskip(SKIP_1) | instid1(VALU_DEP_3)
	v_add_co_ci_u32_e32 v3, vcc_lo, 0, v3, vcc_lo
	v_and_b32_e32 v55, 15, v54
	v_add_co_u32 v1, vcc_lo, v1, v52
	s_delay_alu instid0(VALU_DEP_3) | instskip(NEXT) | instid1(VALU_DEP_3)
	v_add_co_ci_u32_e32 v3, vcc_lo, 0, v3, vcc_lo
	v_cmp_ne_u32_e64 s2, 0, v55
	s_delay_alu instid0(VALU_DEP_3) | instskip(NEXT) | instid1(VALU_DEP_3)
	v_add_co_u32 v1, vcc_lo, v1, v53
	v_add_co_ci_u32_e32 v3, vcc_lo, 0, v3, vcc_lo
	s_cmp_lg_u32 s15, 0
	s_delay_alu instid0(VALU_DEP_2) | instskip(NEXT) | instid1(VALU_DEP_2)
	v_add_co_u32 v23, vcc_lo, v1, v42
	v_add_co_ci_u32_e32 v24, vcc_lo, 0, v3, vcc_lo
	s_mov_b32 s3, -1
	s_cbranch_scc0 .LBB350_133
; %bb.69:
	s_delay_alu instid0(VALU_DEP_2)
	v_mov_b32_e32 v3, v23
	v_mov_b32_dpp v1, v23 row_shr:1 row_mask:0xf bank_mask:0xf
	v_mov_b32_dpp v6, v2 row_shr:1 row_mask:0xf bank_mask:0xf
	v_dual_mov_b32 v5, v23 :: v_dual_mov_b32 v4, v24
	s_and_saveexec_b32 s3, s2
; %bb.70:
	s_delay_alu instid0(VALU_DEP_3) | instskip(SKIP_1) | instid1(VALU_DEP_2)
	v_add_co_u32 v5, vcc_lo, v23, v1
	v_add_co_ci_u32_e32 v2, vcc_lo, 0, v24, vcc_lo
	v_add_co_u32 v1, vcc_lo, 0, v5
	s_delay_alu instid0(VALU_DEP_2) | instskip(NEXT) | instid1(VALU_DEP_1)
	v_add_co_ci_u32_e32 v2, vcc_lo, v6, v2, vcc_lo
	v_dual_mov_b32 v4, v2 :: v_dual_mov_b32 v3, v1
; %bb.71:
	s_or_b32 exec_lo, exec_lo, s3
	v_mov_b32_dpp v1, v5 row_shr:2 row_mask:0xf bank_mask:0xf
	v_mov_b32_dpp v6, v2 row_shr:2 row_mask:0xf bank_mask:0xf
	s_mov_b32 s3, exec_lo
	v_cmpx_lt_u32_e32 1, v55
; %bb.72:
	s_delay_alu instid0(VALU_DEP_3) | instskip(SKIP_1) | instid1(VALU_DEP_2)
	v_add_co_u32 v5, vcc_lo, v3, v1
	v_add_co_ci_u32_e32 v2, vcc_lo, 0, v4, vcc_lo
	v_add_co_u32 v1, vcc_lo, 0, v5
	s_delay_alu instid0(VALU_DEP_2) | instskip(NEXT) | instid1(VALU_DEP_1)
	v_add_co_ci_u32_e32 v2, vcc_lo, v6, v2, vcc_lo
	v_dual_mov_b32 v4, v2 :: v_dual_mov_b32 v3, v1
; %bb.73:
	s_or_b32 exec_lo, exec_lo, s3
	v_mov_b32_dpp v1, v5 row_shr:4 row_mask:0xf bank_mask:0xf
	v_mov_b32_dpp v6, v2 row_shr:4 row_mask:0xf bank_mask:0xf
	s_mov_b32 s3, exec_lo
	v_cmpx_lt_u32_e32 3, v55
	;; [unrolled: 14-line block ×3, first 2 shown]
; %bb.76:
	s_delay_alu instid0(VALU_DEP_3) | instskip(SKIP_1) | instid1(VALU_DEP_2)
	v_add_co_u32 v5, vcc_lo, v3, v6
	v_add_co_ci_u32_e32 v2, vcc_lo, 0, v4, vcc_lo
	v_add_co_u32 v3, vcc_lo, 0, v5
	s_delay_alu instid0(VALU_DEP_2) | instskip(NEXT) | instid1(VALU_DEP_1)
	v_add_co_ci_u32_e32 v4, vcc_lo, v1, v2, vcc_lo
	v_mov_b32_e32 v2, v4
; %bb.77:
	s_or_b32 exec_lo, exec_lo, s3
	ds_swizzle_b32 v1, v5 offset:swizzle(BROADCAST,32,15)
	ds_swizzle_b32 v6, v2 offset:swizzle(BROADCAST,32,15)
	v_and_b32_e32 v7, 16, v54
	s_mov_b32 s3, exec_lo
	s_delay_alu instid0(VALU_DEP_1)
	v_cmpx_ne_u32_e32 0, v7
	s_cbranch_execz .LBB350_79
; %bb.78:
	s_waitcnt lgkmcnt(0)
	v_add_co_u32 v5, vcc_lo, v3, v1
	v_add_co_ci_u32_e32 v2, vcc_lo, 0, v4, vcc_lo
	s_delay_alu instid0(VALU_DEP_2) | instskip(NEXT) | instid1(VALU_DEP_2)
	v_add_co_u32 v1, vcc_lo, 0, v5
	v_add_co_ci_u32_e32 v2, vcc_lo, v6, v2, vcc_lo
	s_delay_alu instid0(VALU_DEP_1)
	v_dual_mov_b32 v4, v2 :: v_dual_mov_b32 v3, v1
.LBB350_79:
	s_or_b32 exec_lo, exec_lo, s3
	s_waitcnt lgkmcnt(0)
	v_or_b32_e32 v6, 31, v0
	v_lshrrev_b32_e32 v1, 5, v0
	s_mov_b32 s3, exec_lo
	s_delay_alu instid0(VALU_DEP_2)
	v_cmpx_eq_u32_e64 v6, v0
	s_cbranch_execz .LBB350_81
; %bb.80:
	s_delay_alu instid0(VALU_DEP_2)
	v_lshlrev_b32_e32 v6, 3, v1
	ds_store_b64 v6, v[3:4]
.LBB350_81:
	s_or_b32 exec_lo, exec_lo, s3
	s_delay_alu instid0(SALU_CYCLE_1)
	s_mov_b32 s3, exec_lo
	s_waitcnt lgkmcnt(0)
	s_barrier
	buffer_gl0_inv
	v_cmpx_gt_u32_e32 4, v0
	s_cbranch_execz .LBB350_87
; %bb.82:
	v_lshlrev_b32_e32 v6, 3, v0
	s_mov_b32 s8, exec_lo
	ds_load_b64 v[3:4], v6
	s_waitcnt lgkmcnt(0)
	v_dual_mov_b32 v8, v3 :: v_dual_and_b32 v7, 3, v54
	v_mov_b32_dpp v26, v3 row_shr:1 row_mask:0xf bank_mask:0xf
	v_mov_b32_dpp v25, v4 row_shr:1 row_mask:0xf bank_mask:0xf
	s_delay_alu instid0(VALU_DEP_3)
	v_cmpx_ne_u32_e32 0, v7
; %bb.83:
	s_delay_alu instid0(VALU_DEP_3) | instskip(SKIP_1) | instid1(VALU_DEP_2)
	v_add_co_u32 v8, vcc_lo, v3, v26
	v_add_co_ci_u32_e32 v4, vcc_lo, 0, v4, vcc_lo
	v_add_co_u32 v3, vcc_lo, 0, v8
	s_delay_alu instid0(VALU_DEP_2)
	v_add_co_ci_u32_e32 v4, vcc_lo, v25, v4, vcc_lo
; %bb.84:
	s_or_b32 exec_lo, exec_lo, s8
	v_mov_b32_dpp v25, v8 row_shr:2 row_mask:0xf bank_mask:0xf
	s_delay_alu instid0(VALU_DEP_2)
	v_mov_b32_dpp v8, v4 row_shr:2 row_mask:0xf bank_mask:0xf
	s_mov_b32 s8, exec_lo
	v_cmpx_lt_u32_e32 1, v7
; %bb.85:
	s_delay_alu instid0(VALU_DEP_3) | instskip(SKIP_1) | instid1(VALU_DEP_2)
	v_add_co_u32 v3, vcc_lo, v3, v25
	v_add_co_ci_u32_e32 v4, vcc_lo, 0, v4, vcc_lo
	v_add_co_u32 v3, vcc_lo, v3, 0
	s_delay_alu instid0(VALU_DEP_2)
	v_add_co_ci_u32_e32 v4, vcc_lo, v4, v8, vcc_lo
; %bb.86:
	s_or_b32 exec_lo, exec_lo, s8
	ds_store_b64 v6, v[3:4]
.LBB350_87:
	s_or_b32 exec_lo, exec_lo, s3
	v_cmp_gt_u32_e32 vcc_lo, 32, v0
	s_mov_b32 s8, exec_lo
	s_waitcnt lgkmcnt(0)
	s_barrier
	buffer_gl0_inv
                                        ; implicit-def: $vgpr25_vgpr26
	v_cmpx_lt_u32_e32 31, v0
	s_cbranch_execz .LBB350_89
; %bb.88:
	v_lshl_add_u32 v1, v1, 3, -8
	ds_load_b64 v[25:26], v1
	s_waitcnt lgkmcnt(0)
	v_add_co_u32 v5, s3, v5, v25
	s_delay_alu instid0(VALU_DEP_1)
	v_add_co_ci_u32_e64 v2, s3, v2, v26, s3
.LBB350_89:
	s_or_b32 exec_lo, exec_lo, s8
	v_add_nc_u32_e32 v1, -1, v54
	s_delay_alu instid0(VALU_DEP_1) | instskip(NEXT) | instid1(VALU_DEP_1)
	v_cmp_gt_i32_e64 s3, 0, v1
	v_cndmask_b32_e64 v1, v1, v54, s3
	v_cmp_eq_u32_e64 s3, 0, v54
	s_delay_alu instid0(VALU_DEP_2)
	v_lshlrev_b32_e32 v1, 2, v1
	ds_bpermute_b32 v56, v1, v5
	ds_bpermute_b32 v57, v1, v2
	s_and_saveexec_b32 s8, vcc_lo
	s_cbranch_execz .LBB350_132
; %bb.90:
	v_mov_b32_e32 v4, 0
	ds_load_b64 v[1:2], v4 offset:24
	s_and_saveexec_b32 s9, s3
	s_cbranch_execz .LBB350_92
; %bb.91:
	s_add_i32 s12, s15, 32
	s_mov_b32 s13, 0
	s_delay_alu instid0(SALU_CYCLE_1) | instskip(NEXT) | instid1(SALU_CYCLE_1)
	s_lshl_b64 s[12:13], s[12:13], 4
	s_add_u32 s12, s10, s12
	s_addc_u32 s13, s11, s13
	v_mov_b32_e32 v5, s12
	v_dual_mov_b32 v3, 1 :: v_dual_mov_b32 v6, s13
	s_waitcnt lgkmcnt(0)
	;;#ASMSTART
	global_store_dwordx4 v[5:6], v[1:4] off	
s_waitcnt vmcnt(0)
	;;#ASMEND
.LBB350_92:
	s_or_b32 exec_lo, exec_lo, s9
	v_xad_u32 v27, v54, -1, s15
	s_mov_b32 s12, 0
	s_mov_b32 s9, exec_lo
	s_delay_alu instid0(VALU_DEP_1) | instskip(NEXT) | instid1(VALU_DEP_1)
	v_add_nc_u32_e32 v3, 32, v27
	v_lshlrev_b64 v[3:4], 4, v[3:4]
	s_delay_alu instid0(VALU_DEP_1) | instskip(NEXT) | instid1(VALU_DEP_2)
	v_add_co_u32 v3, vcc_lo, s10, v3
	v_add_co_ci_u32_e32 v4, vcc_lo, s11, v4, vcc_lo
	;;#ASMSTART
	global_load_dwordx4 v[5:8], v[3:4] off glc	
s_waitcnt vmcnt(0)
	;;#ASMEND
	v_and_b32_e32 v8, 0xff, v6
	v_and_b32_e32 v28, 0xff00, v6
	v_or3_b32 v5, v5, 0, 0
	v_and_b32_e32 v29, 0xff000000, v6
	v_and_b32_e32 v6, 0xff0000, v6
	s_delay_alu instid0(VALU_DEP_4) | instskip(SKIP_2) | instid1(VALU_DEP_3)
	v_or3_b32 v8, 0, v8, v28
	v_and_b32_e32 v28, 0xff, v7
	v_or3_b32 v5, v5, 0, 0
	v_or3_b32 v6, v8, v6, v29
	s_delay_alu instid0(VALU_DEP_3)
	v_cmpx_eq_u16_e32 0, v28
	s_cbranch_execz .LBB350_98
; %bb.93:
	s_mov_b32 s13, 1
	.p2align	6
.LBB350_94:                             ; =>This Loop Header: Depth=1
                                        ;     Child Loop BB350_95 Depth 2
	s_delay_alu instid0(SALU_CYCLE_1)
	s_max_u32 s17, s13, 1
.LBB350_95:                             ;   Parent Loop BB350_94 Depth=1
                                        ; =>  This Inner Loop Header: Depth=2
	s_delay_alu instid0(SALU_CYCLE_1)
	s_add_i32 s17, s17, -1
	s_sleep 1
	s_cmp_eq_u32 s17, 0
	s_cbranch_scc0 .LBB350_95
; %bb.96:                               ;   in Loop: Header=BB350_94 Depth=1
	;;#ASMSTART
	global_load_dwordx4 v[5:8], v[3:4] off glc	
s_waitcnt vmcnt(0)
	;;#ASMEND
	v_and_b32_e32 v8, 0xff, v7
	s_cmp_lt_u32 s13, 32
	s_cselect_b32 s17, -1, 0
	s_delay_alu instid0(SALU_CYCLE_1) | instskip(NEXT) | instid1(VALU_DEP_1)
	s_cmp_lg_u32 s17, 0
	v_cmp_ne_u16_e32 vcc_lo, 0, v8
	s_addc_u32 s13, s13, 0
	s_or_b32 s12, vcc_lo, s12
	s_delay_alu instid0(SALU_CYCLE_1)
	s_and_not1_b32 exec_lo, exec_lo, s12
	s_cbranch_execnz .LBB350_94
; %bb.97:
	s_or_b32 exec_lo, exec_lo, s12
.LBB350_98:
	s_delay_alu instid0(SALU_CYCLE_1)
	s_or_b32 exec_lo, exec_lo, s9
	v_cmp_ne_u32_e32 vcc_lo, 31, v54
	v_and_b32_e32 v4, 0xff, v7
	v_lshlrev_b32_e64 v59, v54, -1
	s_mov_b32 s9, exec_lo
	v_add_co_ci_u32_e32 v3, vcc_lo, 0, v54, vcc_lo
	s_delay_alu instid0(VALU_DEP_3) | instskip(SKIP_1) | instid1(VALU_DEP_3)
	v_cmp_eq_u16_e32 vcc_lo, 2, v4
	v_mov_b32_e32 v4, v5
	v_lshlrev_b32_e32 v58, 2, v3
	v_and_or_b32 v3, vcc_lo, v59, 0x80000000
	ds_bpermute_b32 v28, v58, v5
	ds_bpermute_b32 v8, v58, v6
	v_ctz_i32_b32_e32 v3, v3
	s_delay_alu instid0(VALU_DEP_1)
	v_cmpx_lt_u32_e64 v54, v3
	s_cbranch_execz .LBB350_100
; %bb.99:
	s_waitcnt lgkmcnt(1)
	v_add_co_u32 v4, vcc_lo, v5, v28
	v_add_co_ci_u32_e32 v6, vcc_lo, 0, v6, vcc_lo
	s_delay_alu instid0(VALU_DEP_2) | instskip(SKIP_1) | instid1(VALU_DEP_2)
	v_add_co_u32 v5, vcc_lo, 0, v4
	s_waitcnt lgkmcnt(0)
	v_add_co_ci_u32_e32 v6, vcc_lo, v8, v6, vcc_lo
.LBB350_100:
	s_or_b32 exec_lo, exec_lo, s9
	v_cmp_gt_u32_e32 vcc_lo, 30, v54
	v_add_nc_u32_e32 v61, 2, v54
	s_mov_b32 s9, exec_lo
	s_waitcnt lgkmcnt(0)
	v_cndmask_b32_e64 v8, 0, 1, vcc_lo
	s_delay_alu instid0(VALU_DEP_1) | instskip(NEXT) | instid1(VALU_DEP_1)
	v_lshlrev_b32_e32 v8, 1, v8
	v_add_lshl_u32 v60, v8, v54, 2
	ds_bpermute_b32 v28, v60, v4
	ds_bpermute_b32 v8, v60, v6
	v_cmpx_le_u32_e64 v61, v3
	s_cbranch_execz .LBB350_102
; %bb.101:
	s_waitcnt lgkmcnt(1)
	v_add_co_u32 v4, vcc_lo, v5, v28
	v_add_co_ci_u32_e32 v6, vcc_lo, 0, v6, vcc_lo
	s_delay_alu instid0(VALU_DEP_2) | instskip(SKIP_1) | instid1(VALU_DEP_2)
	v_add_co_u32 v5, vcc_lo, 0, v4
	s_waitcnt lgkmcnt(0)
	v_add_co_ci_u32_e32 v6, vcc_lo, v8, v6, vcc_lo
.LBB350_102:
	s_or_b32 exec_lo, exec_lo, s9
	v_cmp_gt_u32_e32 vcc_lo, 28, v54
	v_add_nc_u32_e32 v63, 4, v54
	s_mov_b32 s9, exec_lo
	s_waitcnt lgkmcnt(0)
	v_cndmask_b32_e64 v8, 0, 1, vcc_lo
	s_delay_alu instid0(VALU_DEP_1) | instskip(NEXT) | instid1(VALU_DEP_1)
	v_lshlrev_b32_e32 v8, 2, v8
	v_add_lshl_u32 v62, v8, v54, 2
	ds_bpermute_b32 v28, v62, v4
	ds_bpermute_b32 v8, v62, v6
	v_cmpx_le_u32_e64 v63, v3
	;; [unrolled: 22-line block ×4, first 2 shown]
	s_cbranch_execz .LBB350_108
; %bb.107:
	s_waitcnt lgkmcnt(1)
	v_add_co_u32 v3, vcc_lo, v5, v8
	v_add_co_ci_u32_e32 v6, vcc_lo, 0, v6, vcc_lo
	s_delay_alu instid0(VALU_DEP_2) | instskip(SKIP_1) | instid1(VALU_DEP_2)
	v_add_co_u32 v5, vcc_lo, v3, 0
	s_waitcnt lgkmcnt(0)
	v_add_co_ci_u32_e32 v6, vcc_lo, v6, v4, vcc_lo
.LBB350_108:
	s_or_b32 exec_lo, exec_lo, s9
	v_mov_b32_e32 v28, 0
	s_branch .LBB350_110
.LBB350_109:                            ;   in Loop: Header=BB350_110 Depth=1
	s_or_b32 exec_lo, exec_lo, s9
	v_add_co_u32 v5, vcc_lo, v5, v3
	v_subrev_nc_u32_e32 v27, 32, v27
	v_add_co_ci_u32_e32 v6, vcc_lo, v6, v4, vcc_lo
.LBB350_110:                            ; =>This Loop Header: Depth=1
                                        ;     Child Loop BB350_113 Depth 2
                                        ;       Child Loop BB350_114 Depth 3
	v_and_b32_e32 v3, 0xff, v7
	s_delay_alu instid0(VALU_DEP_1) | instskip(SKIP_2) | instid1(VALU_DEP_1)
	v_cmp_ne_u16_e32 vcc_lo, 2, v3
	v_cndmask_b32_e64 v3, 0, 1, vcc_lo
	;;#ASMSTART
	;;#ASMEND
	v_cmp_ne_u32_e32 vcc_lo, 0, v3
	s_waitcnt lgkmcnt(0)
	v_dual_mov_b32 v3, v5 :: v_dual_mov_b32 v4, v6
	s_cmp_lg_u32 vcc_lo, exec_lo
	s_cbranch_scc1 .LBB350_127
; %bb.111:                              ;   in Loop: Header=BB350_110 Depth=1
	v_lshlrev_b64 v[5:6], 4, v[27:28]
	s_mov_b32 s9, exec_lo
	s_delay_alu instid0(VALU_DEP_1) | instskip(NEXT) | instid1(VALU_DEP_2)
	v_add_co_u32 v29, vcc_lo, s10, v5
	v_add_co_ci_u32_e32 v30, vcc_lo, s11, v6, vcc_lo
	;;#ASMSTART
	global_load_dwordx4 v[5:8], v[29:30] off glc	
s_waitcnt vmcnt(0)
	;;#ASMEND
	v_and_b32_e32 v8, 0xff, v6
	v_and_b32_e32 v68, 0xff00, v6
	v_or3_b32 v5, v5, 0, 0
	v_and_b32_e32 v69, 0xff000000, v6
	v_and_b32_e32 v6, 0xff0000, v6
	s_delay_alu instid0(VALU_DEP_4) | instskip(SKIP_2) | instid1(VALU_DEP_3)
	v_or3_b32 v8, 0, v8, v68
	v_and_b32_e32 v68, 0xff, v7
	v_or3_b32 v5, v5, 0, 0
	v_or3_b32 v6, v8, v6, v69
	s_delay_alu instid0(VALU_DEP_3)
	v_cmpx_eq_u16_e32 0, v68
	s_cbranch_execz .LBB350_117
; %bb.112:                              ;   in Loop: Header=BB350_110 Depth=1
	s_mov_b32 s13, 1
	s_mov_b32 s12, 0
	.p2align	6
.LBB350_113:                            ;   Parent Loop BB350_110 Depth=1
                                        ; =>  This Loop Header: Depth=2
                                        ;       Child Loop BB350_114 Depth 3
	s_max_u32 s17, s13, 1
.LBB350_114:                            ;   Parent Loop BB350_110 Depth=1
                                        ;     Parent Loop BB350_113 Depth=2
                                        ; =>    This Inner Loop Header: Depth=3
	s_delay_alu instid0(SALU_CYCLE_1)
	s_add_i32 s17, s17, -1
	s_sleep 1
	s_cmp_eq_u32 s17, 0
	s_cbranch_scc0 .LBB350_114
; %bb.115:                              ;   in Loop: Header=BB350_113 Depth=2
	;;#ASMSTART
	global_load_dwordx4 v[5:8], v[29:30] off glc	
s_waitcnt vmcnt(0)
	;;#ASMEND
	v_and_b32_e32 v8, 0xff, v7
	s_cmp_lt_u32 s13, 32
	s_cselect_b32 s17, -1, 0
	s_delay_alu instid0(SALU_CYCLE_1) | instskip(NEXT) | instid1(VALU_DEP_1)
	s_cmp_lg_u32 s17, 0
	v_cmp_ne_u16_e32 vcc_lo, 0, v8
	s_addc_u32 s13, s13, 0
	s_or_b32 s12, vcc_lo, s12
	s_delay_alu instid0(SALU_CYCLE_1)
	s_and_not1_b32 exec_lo, exec_lo, s12
	s_cbranch_execnz .LBB350_113
; %bb.116:                              ;   in Loop: Header=BB350_110 Depth=1
	s_or_b32 exec_lo, exec_lo, s12
.LBB350_117:                            ;   in Loop: Header=BB350_110 Depth=1
	s_delay_alu instid0(SALU_CYCLE_1)
	s_or_b32 exec_lo, exec_lo, s9
	v_dual_mov_b32 v29, v5 :: v_dual_and_b32 v8, 0xff, v7
	ds_bpermute_b32 v68, v58, v5
	ds_bpermute_b32 v30, v58, v6
	s_mov_b32 s9, exec_lo
	v_cmp_eq_u16_e32 vcc_lo, 2, v8
	v_and_or_b32 v8, vcc_lo, v59, 0x80000000
	s_delay_alu instid0(VALU_DEP_1) | instskip(NEXT) | instid1(VALU_DEP_1)
	v_ctz_i32_b32_e32 v8, v8
	v_cmpx_lt_u32_e64 v54, v8
	s_cbranch_execz .LBB350_119
; %bb.118:                              ;   in Loop: Header=BB350_110 Depth=1
	s_waitcnt lgkmcnt(1)
	v_add_co_u32 v29, vcc_lo, v5, v68
	v_add_co_ci_u32_e32 v6, vcc_lo, 0, v6, vcc_lo
	s_delay_alu instid0(VALU_DEP_2) | instskip(SKIP_1) | instid1(VALU_DEP_2)
	v_add_co_u32 v5, vcc_lo, 0, v29
	s_waitcnt lgkmcnt(0)
	v_add_co_ci_u32_e32 v6, vcc_lo, v30, v6, vcc_lo
.LBB350_119:                            ;   in Loop: Header=BB350_110 Depth=1
	s_or_b32 exec_lo, exec_lo, s9
	s_waitcnt lgkmcnt(1)
	ds_bpermute_b32 v68, v60, v29
	s_waitcnt lgkmcnt(1)
	ds_bpermute_b32 v30, v60, v6
	s_mov_b32 s9, exec_lo
	v_cmpx_le_u32_e64 v61, v8
	s_cbranch_execz .LBB350_121
; %bb.120:                              ;   in Loop: Header=BB350_110 Depth=1
	s_waitcnt lgkmcnt(1)
	v_add_co_u32 v29, vcc_lo, v5, v68
	v_add_co_ci_u32_e32 v6, vcc_lo, 0, v6, vcc_lo
	s_delay_alu instid0(VALU_DEP_2) | instskip(SKIP_1) | instid1(VALU_DEP_2)
	v_add_co_u32 v5, vcc_lo, 0, v29
	s_waitcnt lgkmcnt(0)
	v_add_co_ci_u32_e32 v6, vcc_lo, v30, v6, vcc_lo
.LBB350_121:                            ;   in Loop: Header=BB350_110 Depth=1
	s_or_b32 exec_lo, exec_lo, s9
	s_waitcnt lgkmcnt(1)
	ds_bpermute_b32 v68, v62, v29
	s_waitcnt lgkmcnt(1)
	ds_bpermute_b32 v30, v62, v6
	s_mov_b32 s9, exec_lo
	v_cmpx_le_u32_e64 v63, v8
	;; [unrolled: 17-line block ×3, first 2 shown]
	s_cbranch_execz .LBB350_125
; %bb.124:                              ;   in Loop: Header=BB350_110 Depth=1
	s_waitcnt lgkmcnt(1)
	v_add_co_u32 v29, vcc_lo, v5, v68
	v_add_co_ci_u32_e32 v6, vcc_lo, 0, v6, vcc_lo
	s_delay_alu instid0(VALU_DEP_2) | instskip(SKIP_1) | instid1(VALU_DEP_2)
	v_add_co_u32 v5, vcc_lo, 0, v29
	s_waitcnt lgkmcnt(0)
	v_add_co_ci_u32_e32 v6, vcc_lo, v30, v6, vcc_lo
.LBB350_125:                            ;   in Loop: Header=BB350_110 Depth=1
	s_or_b32 exec_lo, exec_lo, s9
	s_waitcnt lgkmcnt(0)
	ds_bpermute_b32 v30, v66, v29
	ds_bpermute_b32 v29, v66, v6
	s_mov_b32 s9, exec_lo
	v_cmpx_le_u32_e64 v67, v8
	s_cbranch_execz .LBB350_109
; %bb.126:                              ;   in Loop: Header=BB350_110 Depth=1
	s_waitcnt lgkmcnt(1)
	v_add_co_u32 v5, vcc_lo, v5, v30
	v_add_co_ci_u32_e32 v6, vcc_lo, 0, v6, vcc_lo
	s_delay_alu instid0(VALU_DEP_2) | instskip(SKIP_1) | instid1(VALU_DEP_2)
	v_add_co_u32 v5, vcc_lo, v5, 0
	s_waitcnt lgkmcnt(0)
	v_add_co_ci_u32_e32 v6, vcc_lo, v6, v29, vcc_lo
	s_branch .LBB350_109
.LBB350_127:                            ;   in Loop: Header=BB350_110 Depth=1
                                        ; implicit-def: $vgpr5_vgpr6
	s_cbranch_execz .LBB350_110
; %bb.128:
	s_and_saveexec_b32 s9, s3
	s_cbranch_execz .LBB350_130
; %bb.129:
	s_add_i32 s12, s15, 32
	s_mov_b32 s13, 0
	v_add_co_u32 v5, vcc_lo, v3, v1
	s_lshl_b64 s[12:13], s[12:13], 4
	v_dual_mov_b32 v7, 2 :: v_dual_mov_b32 v8, 0
	s_add_u32 s12, s10, s12
	s_addc_u32 s13, s11, s13
	v_add_co_ci_u32_e32 v6, vcc_lo, v4, v2, vcc_lo
	v_dual_mov_b32 v28, s13 :: v_dual_mov_b32 v27, s12
	;;#ASMSTART
	global_store_dwordx4 v[27:28], v[5:8] off	
s_waitcnt vmcnt(0)
	;;#ASMEND
	ds_store_b128 v8, v[1:4] offset:7680
.LBB350_130:
	s_or_b32 exec_lo, exec_lo, s9
	v_cmp_eq_u32_e32 vcc_lo, 0, v0
	s_and_b32 exec_lo, exec_lo, vcc_lo
	s_cbranch_execz .LBB350_132
; %bb.131:
	v_mov_b32_e32 v1, 0
	ds_store_b64 v1, v[3:4] offset:24
.LBB350_132:
	s_or_b32 exec_lo, exec_lo, s8
	s_waitcnt lgkmcnt(0)
	v_cndmask_b32_e64 v8, v57, v26, s3
	v_cmp_ne_u32_e32 vcc_lo, 0, v0
	v_mov_b32_e32 v3, 0
	s_barrier
	buffer_gl0_inv
	v_cndmask_b32_e32 v8, 0, v8, vcc_lo
	ds_load_b64 v[1:2], v3 offset:24
	s_waitcnt lgkmcnt(0)
	s_barrier
	buffer_gl0_inv
	ds_load_b128 v[4:7], v3 offset:7680
	v_cndmask_b32_e64 v3, v56, v25, s3
	s_delay_alu instid0(VALU_DEP_1) | instskip(NEXT) | instid1(VALU_DEP_1)
	v_cndmask_b32_e32 v3, 0, v3, vcc_lo
	v_add_co_u32 v67, vcc_lo, v1, v3
	v_add_co_ci_u32_e32 v68, vcc_lo, v2, v8, vcc_lo
	s_waitcnt lgkmcnt(0)
	v_readfirstlane_b32 s13, v7
	v_readfirstlane_b32 s12, v6
	s_load_b64 s[8:9], s[0:1], 0x28
	s_branch .LBB350_157
.LBB350_133:
                                        ; implicit-def: $sgpr12_sgpr13
                                        ; implicit-def: $vgpr4_vgpr5
                                        ; implicit-def: $vgpr67_vgpr68
	s_load_b64 s[8:9], s[0:1], 0x28
	s_and_b32 vcc_lo, exec_lo, s3
	s_cbranch_vccz .LBB350_157
; %bb.134:
	v_dual_mov_b32 v2, 0 :: v_dual_mov_b32 v3, v23
	v_mov_b32_dpp v4, v23 row_shr:1 row_mask:0xf bank_mask:0xf
	s_delay_alu instid0(VALU_DEP_2)
	v_mov_b32_dpp v1, v2 row_shr:1 row_mask:0xf bank_mask:0xf
	s_and_saveexec_b32 s0, s2
; %bb.135:
	s_delay_alu instid0(VALU_DEP_2) | instskip(SKIP_1) | instid1(VALU_DEP_2)
	v_add_co_u32 v3, vcc_lo, v23, v4
	v_add_co_ci_u32_e32 v2, vcc_lo, 0, v24, vcc_lo
	v_add_co_u32 v23, vcc_lo, 0, v3
	s_delay_alu instid0(VALU_DEP_2) | instskip(NEXT) | instid1(VALU_DEP_1)
	v_add_co_ci_u32_e32 v24, vcc_lo, v1, v2, vcc_lo
	v_mov_b32_e32 v2, v24
; %bb.136:
	s_or_b32 exec_lo, exec_lo, s0
	v_mov_b32_dpp v1, v3 row_shr:2 row_mask:0xf bank_mask:0xf
	s_delay_alu instid0(VALU_DEP_2)
	v_mov_b32_dpp v4, v2 row_shr:2 row_mask:0xf bank_mask:0xf
	s_mov_b32 s0, exec_lo
	v_cmpx_lt_u32_e32 1, v55
; %bb.137:
	s_delay_alu instid0(VALU_DEP_3) | instskip(SKIP_1) | instid1(VALU_DEP_2)
	v_add_co_u32 v3, vcc_lo, v23, v1
	v_add_co_ci_u32_e32 v2, vcc_lo, 0, v24, vcc_lo
	v_add_co_u32 v1, vcc_lo, 0, v3
	s_delay_alu instid0(VALU_DEP_2) | instskip(NEXT) | instid1(VALU_DEP_1)
	v_add_co_ci_u32_e32 v2, vcc_lo, v4, v2, vcc_lo
	v_dual_mov_b32 v24, v2 :: v_dual_mov_b32 v23, v1
; %bb.138:
	s_or_b32 exec_lo, exec_lo, s0
	v_mov_b32_dpp v1, v3 row_shr:4 row_mask:0xf bank_mask:0xf
	v_mov_b32_dpp v4, v2 row_shr:4 row_mask:0xf bank_mask:0xf
	s_mov_b32 s0, exec_lo
	v_cmpx_lt_u32_e32 3, v55
; %bb.139:
	s_delay_alu instid0(VALU_DEP_3) | instskip(SKIP_1) | instid1(VALU_DEP_2)
	v_add_co_u32 v3, vcc_lo, v23, v1
	v_add_co_ci_u32_e32 v2, vcc_lo, 0, v24, vcc_lo
	v_add_co_u32 v1, vcc_lo, 0, v3
	s_delay_alu instid0(VALU_DEP_2) | instskip(NEXT) | instid1(VALU_DEP_1)
	v_add_co_ci_u32_e32 v2, vcc_lo, v4, v2, vcc_lo
	v_dual_mov_b32 v24, v2 :: v_dual_mov_b32 v23, v1
; %bb.140:
	s_or_b32 exec_lo, exec_lo, s0
	v_mov_b32_dpp v4, v3 row_shr:8 row_mask:0xf bank_mask:0xf
	v_mov_b32_dpp v1, v2 row_shr:8 row_mask:0xf bank_mask:0xf
	s_mov_b32 s0, exec_lo
	v_cmpx_lt_u32_e32 7, v55
; %bb.141:
	s_delay_alu instid0(VALU_DEP_3) | instskip(SKIP_1) | instid1(VALU_DEP_2)
	v_add_co_u32 v3, vcc_lo, v23, v4
	v_add_co_ci_u32_e32 v2, vcc_lo, 0, v24, vcc_lo
	v_add_co_u32 v23, vcc_lo, 0, v3
	s_delay_alu instid0(VALU_DEP_2) | instskip(NEXT) | instid1(VALU_DEP_1)
	v_add_co_ci_u32_e32 v24, vcc_lo, v1, v2, vcc_lo
	v_mov_b32_e32 v2, v24
; %bb.142:
	s_or_b32 exec_lo, exec_lo, s0
	ds_swizzle_b32 v3, v3 offset:swizzle(BROADCAST,32,15)
	ds_swizzle_b32 v1, v2 offset:swizzle(BROADCAST,32,15)
	v_and_b32_e32 v2, 16, v54
	s_mov_b32 s0, exec_lo
	s_delay_alu instid0(VALU_DEP_1)
	v_cmpx_ne_u32_e32 0, v2
	s_cbranch_execz .LBB350_144
; %bb.143:
	s_waitcnt lgkmcnt(0)
	v_add_co_u32 v2, vcc_lo, v23, v3
	v_add_co_ci_u32_e32 v3, vcc_lo, 0, v24, vcc_lo
	s_delay_alu instid0(VALU_DEP_2) | instskip(NEXT) | instid1(VALU_DEP_2)
	v_add_co_u32 v23, vcc_lo, v2, 0
	v_add_co_ci_u32_e32 v24, vcc_lo, v3, v1, vcc_lo
.LBB350_144:
	s_or_b32 exec_lo, exec_lo, s0
	s_waitcnt lgkmcnt(0)
	v_or_b32_e32 v1, 31, v0
	v_lshrrev_b32_e32 v3, 5, v0
	s_mov_b32 s0, exec_lo
	s_delay_alu instid0(VALU_DEP_2)
	v_cmpx_eq_u32_e64 v1, v0
	s_cbranch_execz .LBB350_146
; %bb.145:
	s_delay_alu instid0(VALU_DEP_2)
	v_lshlrev_b32_e32 v1, 3, v3
	ds_store_b64 v1, v[23:24]
.LBB350_146:
	s_or_b32 exec_lo, exec_lo, s0
	s_delay_alu instid0(SALU_CYCLE_1)
	s_mov_b32 s0, exec_lo
	s_waitcnt lgkmcnt(0)
	s_barrier
	buffer_gl0_inv
	v_cmpx_gt_u32_e32 4, v0
	s_cbranch_execz .LBB350_152
; %bb.147:
	v_lshlrev_b32_e32 v4, 3, v0
	s_mov_b32 s1, exec_lo
	ds_load_b64 v[1:2], v4
	s_waitcnt lgkmcnt(0)
	v_dual_mov_b32 v6, v1 :: v_dual_and_b32 v5, 3, v54
	v_mov_b32_dpp v8, v1 row_shr:1 row_mask:0xf bank_mask:0xf
	v_mov_b32_dpp v7, v2 row_shr:1 row_mask:0xf bank_mask:0xf
	s_delay_alu instid0(VALU_DEP_3)
	v_cmpx_ne_u32_e32 0, v5
; %bb.148:
	s_delay_alu instid0(VALU_DEP_3) | instskip(SKIP_1) | instid1(VALU_DEP_2)
	v_add_co_u32 v6, vcc_lo, v1, v8
	v_add_co_ci_u32_e32 v2, vcc_lo, 0, v2, vcc_lo
	v_add_co_u32 v1, vcc_lo, 0, v6
	s_delay_alu instid0(VALU_DEP_2)
	v_add_co_ci_u32_e32 v2, vcc_lo, v7, v2, vcc_lo
; %bb.149:
	s_or_b32 exec_lo, exec_lo, s1
	v_mov_b32_dpp v7, v6 row_shr:2 row_mask:0xf bank_mask:0xf
	s_delay_alu instid0(VALU_DEP_2)
	v_mov_b32_dpp v6, v2 row_shr:2 row_mask:0xf bank_mask:0xf
	s_mov_b32 s1, exec_lo
	v_cmpx_lt_u32_e32 1, v5
; %bb.150:
	s_delay_alu instid0(VALU_DEP_3) | instskip(SKIP_1) | instid1(VALU_DEP_2)
	v_add_co_u32 v1, vcc_lo, v1, v7
	v_add_co_ci_u32_e32 v2, vcc_lo, 0, v2, vcc_lo
	v_add_co_u32 v1, vcc_lo, v1, 0
	s_delay_alu instid0(VALU_DEP_2)
	v_add_co_ci_u32_e32 v2, vcc_lo, v2, v6, vcc_lo
; %bb.151:
	s_or_b32 exec_lo, exec_lo, s1
	ds_store_b64 v4, v[1:2]
.LBB350_152:
	s_or_b32 exec_lo, exec_lo, s0
	v_mov_b32_e32 v1, 0
	v_mov_b32_e32 v2, 0
	s_mov_b32 s0, exec_lo
	s_waitcnt lgkmcnt(0)
	s_barrier
	buffer_gl0_inv
	v_cmpx_lt_u32_e32 31, v0
	s_cbranch_execz .LBB350_154
; %bb.153:
	v_lshl_add_u32 v1, v3, 3, -8
	ds_load_b64 v[1:2], v1
.LBB350_154:
	s_or_b32 exec_lo, exec_lo, s0
	v_add_nc_u32_e32 v3, -1, v54
	v_mov_b32_e32 v7, 0
	s_delay_alu instid0(VALU_DEP_2) | instskip(SKIP_1) | instid1(VALU_DEP_1)
	v_cmp_gt_i32_e32 vcc_lo, 0, v3
	v_cndmask_b32_e32 v3, v3, v54, vcc_lo
	v_lshlrev_b32_e32 v4, 2, v3
	s_waitcnt lgkmcnt(0)
	v_add_co_u32 v3, vcc_lo, v1, v23
	v_add_co_ci_u32_e32 v5, vcc_lo, v2, v24, vcc_lo
	v_cmp_eq_u32_e32 vcc_lo, 0, v0
	ds_bpermute_b32 v3, v4, v3
	ds_bpermute_b32 v8, v4, v5
	ds_load_b64 v[4:5], v7 offset:24
	s_and_saveexec_b32 s0, vcc_lo
	s_cbranch_execz .LBB350_156
; %bb.155:
	s_add_u32 s2, s10, 0x200
	s_addc_u32 s3, s11, 0
	v_mov_b32_e32 v6, 2
	v_dual_mov_b32 v24, s3 :: v_dual_mov_b32 v23, s2
	s_waitcnt lgkmcnt(0)
	;;#ASMSTART
	global_store_dwordx4 v[23:24], v[4:7] off	
s_waitcnt vmcnt(0)
	;;#ASMEND
.LBB350_156:
	s_or_b32 exec_lo, exec_lo, s0
	v_cmp_eq_u32_e64 s0, 0, v54
	s_waitcnt lgkmcnt(0)
	s_barrier
	s_mov_b64 s[12:13], 0
	buffer_gl0_inv
	v_cndmask_b32_e64 v1, v3, v1, s0
	v_cndmask_b32_e64 v2, v8, v2, s0
	s_delay_alu instid0(VALU_DEP_2) | instskip(NEXT) | instid1(VALU_DEP_2)
	v_cndmask_b32_e64 v67, v1, 0, vcc_lo
	v_cndmask_b32_e64 v68, v2, 0, vcc_lo
.LBB350_157:
	s_delay_alu instid0(VALU_DEP_2) | instskip(NEXT) | instid1(VALU_DEP_2)
	v_add_co_u32 v77, vcc_lo, v67, v42
	v_add_co_ci_u32_e32 v78, vcc_lo, 0, v68, vcc_lo
	s_delay_alu instid0(VALU_DEP_2) | instskip(NEXT) | instid1(VALU_DEP_2)
	v_add_co_u32 v75, vcc_lo, v77, v53
	v_add_co_ci_u32_e32 v76, vcc_lo, 0, v78, vcc_lo
	;; [unrolled: 3-line block ×27, first 2 shown]
	v_cmp_gt_u64_e32 vcc_lo, 0x81, v[4:5]
	s_delay_alu instid0(VALU_DEP_3) | instskip(NEXT) | instid1(VALU_DEP_1)
	v_add_co_u32 v23, s0, v6, v80
	v_add_co_ci_u32_e64 v24, s0, 0, v7, s0
	s_delay_alu instid0(VALU_DEP_2) | instskip(NEXT) | instid1(VALU_DEP_1)
	v_add_co_u32 v1, s0, v23, v79
	v_add_co_ci_u32_e64 v2, s0, 0, v24, s0
	s_mov_b32 s0, -1
	s_cbranch_vccnz .LBB350_161
; %bb.158:
	s_and_b32 vcc_lo, exec_lo, s0
	s_cbranch_vccnz .LBB350_252
.LBB350_159:
	v_cmp_eq_u32_e32 vcc_lo, 0, v0
	s_and_b32 s0, vcc_lo, s14
	s_delay_alu instid0(SALU_CYCLE_1)
	s_and_saveexec_b32 s1, s0
	s_cbranch_execnz .LBB350_323
.LBB350_160:
	s_nop 0
	s_sendmsg sendmsg(MSG_DEALLOC_VGPRS)
	s_endpgm
.LBB350_161:
	v_add_co_u32 v79, vcc_lo, s12, v4
	v_add_co_ci_u32_e32 v80, vcc_lo, s13, v5, vcc_lo
	s_lshl_b64 s[0:1], s[6:7], 1
	s_waitcnt lgkmcnt(0)
	s_add_u32 s0, s8, s0
	s_delay_alu instid0(VALU_DEP_1) | instskip(SKIP_2) | instid1(SALU_CYCLE_1)
	v_cmp_lt_u64_e32 vcc_lo, v[67:68], v[79:80]
	s_addc_u32 s1, s9, s1
	s_or_b32 s3, s16, vcc_lo
	s_and_saveexec_b32 s2, s3
	s_cbranch_execz .LBB350_164
; %bb.162:
	v_and_b32_e32 v3, 1, v126
	s_delay_alu instid0(VALU_DEP_1)
	v_cmp_eq_u32_e32 vcc_lo, 1, v3
	s_and_b32 exec_lo, exec_lo, vcc_lo
	s_cbranch_execz .LBB350_164
; %bb.163:
	v_lshlrev_b64 v[127:128], 1, v[67:68]
	s_delay_alu instid0(VALU_DEP_1) | instskip(NEXT) | instid1(VALU_DEP_2)
	v_add_co_u32 v127, vcc_lo, s0, v127
	v_add_co_ci_u32_e32 v128, vcc_lo, s1, v128, vcc_lo
	global_store_b16 v[127:128], v21, off
.LBB350_164:
	s_or_b32 exec_lo, exec_lo, s2
	v_cmp_lt_u64_e32 vcc_lo, v[77:78], v[79:80]
	s_or_b32 s3, s16, vcc_lo
	s_delay_alu instid0(SALU_CYCLE_1)
	s_and_saveexec_b32 s2, s3
	s_cbranch_execz .LBB350_167
; %bb.165:
	v_and_b32_e32 v3, 1, v125
	s_delay_alu instid0(VALU_DEP_1)
	v_cmp_eq_u32_e32 vcc_lo, 1, v3
	s_and_b32 exec_lo, exec_lo, vcc_lo
	s_cbranch_execz .LBB350_167
; %bb.166:
	v_lshlrev_b64 v[127:128], 1, v[77:78]
	s_delay_alu instid0(VALU_DEP_1) | instskip(NEXT) | instid1(VALU_DEP_2)
	v_add_co_u32 v127, vcc_lo, s0, v127
	v_add_co_ci_u32_e32 v128, vcc_lo, s1, v128, vcc_lo
	global_store_b16 v[127:128], v109, off
.LBB350_167:
	s_or_b32 exec_lo, exec_lo, s2
	v_cmp_lt_u64_e32 vcc_lo, v[75:76], v[79:80]
	s_or_b32 s3, s16, vcc_lo
	s_delay_alu instid0(SALU_CYCLE_1)
	;; [unrolled: 19-line block ×29, first 2 shown]
	s_and_saveexec_b32 s2, s3
	s_cbranch_execz .LBB350_251
; %bb.249:
	v_and_b32_e32 v3, 1, v92
	s_delay_alu instid0(VALU_DEP_1)
	v_cmp_eq_u32_e32 vcc_lo, 1, v3
	s_and_b32 exec_lo, exec_lo, vcc_lo
	s_cbranch_execz .LBB350_251
; %bb.250:
	v_lshlrev_b64 v[2:3], 1, v[1:2]
	s_delay_alu instid0(VALU_DEP_1) | instskip(NEXT) | instid1(VALU_DEP_2)
	v_add_co_u32 v2, vcc_lo, s0, v2
	v_add_co_ci_u32_e32 v3, vcc_lo, s1, v3, vcc_lo
	global_store_b16 v[2:3], v82, off
.LBB350_251:
	s_or_b32 exec_lo, exec_lo, s2
	s_branch .LBB350_159
.LBB350_252:
	v_and_b32_e32 v2, 1, v126
	s_mov_b32 s0, exec_lo
	s_delay_alu instid0(VALU_DEP_1)
	v_cmpx_eq_u32_e32 1, v2
	s_cbranch_execz .LBB350_254
; %bb.253:
	v_subrev_nc_u32_e32 v2, s12, v67
	s_delay_alu instid0(VALU_DEP_1)
	v_lshlrev_b32_e32 v2, 1, v2
	ds_store_b16 v2, v21
.LBB350_254:
	s_or_b32 exec_lo, exec_lo, s0
	v_and_b32_e32 v2, 1, v125
	s_mov_b32 s0, exec_lo
	s_delay_alu instid0(VALU_DEP_1)
	v_cmpx_eq_u32_e32 1, v2
	s_cbranch_execz .LBB350_256
; %bb.255:
	v_subrev_nc_u32_e32 v2, s12, v77
	s_delay_alu instid0(VALU_DEP_1)
	v_lshlrev_b32_e32 v2, 1, v2
	ds_store_b16 v2, v109
.LBB350_256:
	s_or_b32 exec_lo, exec_lo, s0
	;; [unrolled: 12-line block ×30, first 2 shown]
	v_mov_b32_e32 v1, 0
	s_mov_b32 s15, exec_lo
	s_waitcnt lgkmcnt(0)
	s_waitcnt_vscnt null, 0x0
	s_barrier
	buffer_gl0_inv
	v_cmpx_gt_u64_e64 v[4:5], v[0:1]
	s_cbranch_execz .LBB350_322
; %bb.313:
	v_not_b32_e32 v2, v0
	v_not_b32_e32 v3, 0
	v_mov_b32_e32 v8, v0
	s_mov_b32 s16, exec_lo
	s_delay_alu instid0(VALU_DEP_3) | instskip(NEXT) | instid1(VALU_DEP_3)
	v_add_co_u32 v6, vcc_lo, v4, v2
	v_add_co_ci_u32_e32 v7, vcc_lo, v5, v3, vcc_lo
	v_dual_mov_b32 v3, v1 :: v_dual_mov_b32 v2, v0
	s_delay_alu instid0(VALU_DEP_2)
	v_cmp_gt_u64_e32 vcc_lo, 0x1a80, v[6:7]
	v_cmpx_lt_u64_e32 0x1a7f, v[6:7]
	s_cbranch_execz .LBB350_319
; %bb.314:
	v_alignbit_b32 v2, v7, v6, 7
	v_not_b32_e32 v3, v0
	v_xor_b32_e32 v8, 0xffffff7f, v0
	s_movk_i32 s11, 0x7f
	s_mov_b32 s10, -1
	v_lshlrev_b32_e32 v9, 7, v2
	v_cmp_lt_u64_e64 s0, s[10:11], v[6:7]
	v_cmp_lt_u32_e64 s1, 0x1ffffff, v2
	s_delay_alu instid0(VALU_DEP_3) | instskip(SKIP_2) | instid1(VALU_DEP_4)
	v_cmp_lt_u32_e64 s3, v8, v9
	v_mov_b32_e32 v8, v0
	v_cmp_gt_u32_e64 s2, v9, v3
	s_or_b32 s0, s1, s0
	v_dual_mov_b32 v3, v1 :: v_dual_mov_b32 v2, v0
	s_or_b32 s0, s0, s3
	s_delay_alu instid0(VALU_DEP_2) | instskip(NEXT) | instid1(SALU_CYCLE_1)
	s_or_b32 s1, s2, s1
	s_or_b32 s0, s1, s0
	s_delay_alu instid0(SALU_CYCLE_1) | instskip(NEXT) | instid1(SALU_CYCLE_1)
	s_xor_b32 s0, s0, -1
	s_and_saveexec_b32 s2, s0
	s_cbranch_execz .LBB350_318
; %bb.315:
	v_lshrrev_b64 v[6:7], 7, v[6:7]
	s_lshl_b64 s[10:11], s[12:13], 1
	v_or_b32_e32 v2, 0x80, v0
	s_mov_b32 s3, 0
	s_delay_alu instid0(VALU_DEP_2) | instskip(NEXT) | instid1(VALU_DEP_1)
	v_add_co_u32 v10, s0, v6, 1
	v_add_co_ci_u32_e64 v11, s0, 0, v7, s0
	s_lshl_b64 s[0:1], s[6:7], 1
	s_delay_alu instid0(VALU_DEP_2) | instskip(SKIP_1) | instid1(VALU_DEP_2)
	v_and_b32_e32 v12, -2, v10
	s_add_u32 s0, s10, s0
	v_mov_b32_e32 v13, v11
	v_lshlrev_b32_e32 v3, 1, v0
	s_addc_u32 s1, s11, s1
	s_add_u32 s0, s8, s0
	s_addc_u32 s1, s9, s1
	v_dual_mov_b32 v17, v13 :: v_dual_mov_b32 v16, v12
	v_add_co_u32 v6, s0, s0, v3
	s_delay_alu instid0(VALU_DEP_1) | instskip(SKIP_1) | instid1(VALU_DEP_3)
	v_add_co_ci_u32_e64 v7, null, s1, 0, s0
	v_mov_b32_e32 v3, v1
	v_add_co_u32 v14, s0, 0x100, v6
	s_delay_alu instid0(VALU_DEP_1) | instskip(NEXT) | instid1(VALU_DEP_3)
	v_add_co_ci_u32_e64 v15, s0, 0, v7, s0
	v_dual_mov_b32 v9, v3 :: v_dual_mov_b32 v6, v0
	v_dual_mov_b32 v8, v2 :: v_dual_mov_b32 v7, v1
	s_set_inst_prefetch_distance 0x1
	.p2align	6
.LBB350_316:                            ; =>This Inner Loop Header: Depth=1
	s_delay_alu instid0(VALU_DEP_2) | instskip(NEXT) | instid1(VALU_DEP_2)
	v_lshlrev_b32_e32 v1, 1, v6
	v_lshlrev_b32_e32 v2, 1, v8
	v_add_co_u32 v8, s0, 0x100, v8
	s_delay_alu instid0(VALU_DEP_1) | instskip(SKIP_3) | instid1(VALU_DEP_1)
	v_add_co_ci_u32_e64 v9, s0, 0, v9, s0
	ds_load_u16 v1, v1
	ds_load_u16 v2, v2
	v_add_co_u32 v16, s0, v16, -2
	v_add_co_ci_u32_e64 v17, s0, -1, v17, s0
	v_add_co_u32 v6, s0, 0x100, v6
	s_delay_alu instid0(VALU_DEP_1) | instskip(NEXT) | instid1(VALU_DEP_3)
	v_add_co_ci_u32_e64 v7, s0, 0, v7, s0
	v_cmp_eq_u64_e64 s0, 0, v[16:17]
	s_waitcnt lgkmcnt(1)
	global_store_b16 v[14:15], v1, off offset:-256
	s_waitcnt lgkmcnt(0)
	global_store_b16 v[14:15], v2, off
	v_add_co_u32 v14, s1, 0x200, v14
	s_delay_alu instid0(VALU_DEP_1) | instskip(SKIP_1) | instid1(SALU_CYCLE_1)
	v_add_co_ci_u32_e64 v15, s1, 0, v15, s1
	s_or_b32 s3, s0, s3
	s_and_not1_b32 exec_lo, exec_lo, s3
	s_cbranch_execnz .LBB350_316
; %bb.317:
	s_set_inst_prefetch_distance 0x2
	s_or_b32 exec_lo, exec_lo, s3
	v_lshlrev_b64 v[1:2], 7, v[12:13]
	v_cmp_ne_u64_e64 s0, v[10:11], v[12:13]
	v_lshl_or_b32 v8, v12, 7, v0
	s_delay_alu instid0(VALU_DEP_3) | instskip(NEXT) | instid1(VALU_DEP_4)
	v_or_b32_e32 v3, 0, v2
	v_or_b32_e32 v2, v1, v0
	s_delay_alu instid0(VALU_DEP_4)
	s_or_not1_b32 s10, s0, exec_lo
.LBB350_318:
	s_or_b32 exec_lo, exec_lo, s2
	s_delay_alu instid0(SALU_CYCLE_1) | instskip(SKIP_1) | instid1(SALU_CYCLE_1)
	s_and_not1_b32 s0, vcc_lo, exec_lo
	s_and_b32 s1, s10, exec_lo
	s_or_b32 vcc_lo, s0, s1
.LBB350_319:
	s_or_b32 exec_lo, exec_lo, s16
	s_delay_alu instid0(SALU_CYCLE_1)
	s_and_b32 exec_lo, exec_lo, vcc_lo
	s_cbranch_execz .LBB350_322
; %bb.320:
	s_lshl_b64 s[0:1], s[12:13], 1
	v_dual_mov_b32 v7, 0 :: v_dual_add_nc_u32 v6, 0x80, v8
	s_add_u32 s0, s8, s0
	s_addc_u32 s8, s9, s1
	s_lshl_b64 s[2:3], s[6:7], 1
	s_delay_alu instid0(SALU_CYCLE_1)
	s_add_u32 s1, s0, s2
	s_addc_u32 s2, s8, s3
	s_mov_b32 s3, 0
	.p2align	6
.LBB350_321:                            ; =>This Inner Loop Header: Depth=1
	v_lshlrev_b32_e32 v1, 1, v2
	v_lshlrev_b64 v[8:9], 1, v[2:3]
	v_mov_b32_e32 v2, v6
	v_cmp_le_u64_e32 vcc_lo, v[4:5], v[6:7]
	v_dual_mov_b32 v3, v7 :: v_dual_add_nc_u32 v6, 0x80, v6
	ds_load_u16 v1, v1
	v_add_co_u32 v8, s0, s1, v8
	s_delay_alu instid0(VALU_DEP_1)
	v_add_co_ci_u32_e64 v9, s0, s2, v9, s0
	s_or_b32 s3, vcc_lo, s3
	s_waitcnt lgkmcnt(0)
	global_store_b16 v[8:9], v1, off
	s_and_not1_b32 exec_lo, exec_lo, s3
	s_cbranch_execnz .LBB350_321
.LBB350_322:
	s_or_b32 exec_lo, exec_lo, s15
	v_cmp_eq_u32_e32 vcc_lo, 0, v0
	s_and_b32 s0, vcc_lo, s14
	s_delay_alu instid0(SALU_CYCLE_1)
	s_and_saveexec_b32 s1, s0
	s_cbranch_execz .LBB350_160
.LBB350_323:
	v_add_co_u32 v0, vcc_lo, s12, v4
	v_add_co_ci_u32_e32 v1, vcc_lo, s13, v5, vcc_lo
	v_mov_b32_e32 v2, 0
	s_delay_alu instid0(VALU_DEP_3) | instskip(NEXT) | instid1(VALU_DEP_3)
	v_add_co_u32 v0, vcc_lo, v0, s6
	v_add_co_ci_u32_e32 v1, vcc_lo, s7, v1, vcc_lo
	global_store_b64 v2, v[0:1], s[4:5]
	s_nop 0
	s_sendmsg sendmsg(MSG_DEALLOC_VGPRS)
	s_endpgm
	.section	.rodata,"a",@progbits
	.p2align	6, 0x0
	.amdhsa_kernel _ZN7rocprim17ROCPRIM_400000_NS6detail17trampoline_kernelINS0_14default_configENS1_25partition_config_selectorILNS1_17partition_subalgoE6EtNS0_10empty_typeEbEEZZNS1_14partition_implILS5_6ELb0ES3_mN6thrust23THRUST_200600_302600_NS6detail15normal_iteratorINSA_10device_ptrItEEEEPS6_SG_NS0_5tupleIJSF_S6_EEENSH_IJSG_SG_EEES6_PlJ7is_evenItEEEE10hipError_tPvRmT3_T4_T5_T6_T7_T9_mT8_P12ihipStream_tbDpT10_ENKUlT_T0_E_clISt17integral_constantIbLb1EES15_IbLb0EEEEDaS11_S12_EUlS11_E_NS1_11comp_targetILNS1_3genE9ELNS1_11target_archE1100ELNS1_3gpuE3ELNS1_3repE0EEENS1_30default_config_static_selectorELNS0_4arch9wavefront6targetE0EEEvT1_
		.amdhsa_group_segment_fixed_size 7696
		.amdhsa_private_segment_fixed_size 0
		.amdhsa_kernarg_size 112
		.amdhsa_user_sgpr_count 15
		.amdhsa_user_sgpr_dispatch_ptr 0
		.amdhsa_user_sgpr_queue_ptr 0
		.amdhsa_user_sgpr_kernarg_segment_ptr 1
		.amdhsa_user_sgpr_dispatch_id 0
		.amdhsa_user_sgpr_private_segment_size 0
		.amdhsa_wavefront_size32 1
		.amdhsa_uses_dynamic_stack 0
		.amdhsa_enable_private_segment 0
		.amdhsa_system_sgpr_workgroup_id_x 1
		.amdhsa_system_sgpr_workgroup_id_y 0
		.amdhsa_system_sgpr_workgroup_id_z 0
		.amdhsa_system_sgpr_workgroup_info 0
		.amdhsa_system_vgpr_workitem_id 0
		.amdhsa_next_free_vgpr 131
		.amdhsa_next_free_sgpr 19
		.amdhsa_reserve_vcc 1
		.amdhsa_float_round_mode_32 0
		.amdhsa_float_round_mode_16_64 0
		.amdhsa_float_denorm_mode_32 3
		.amdhsa_float_denorm_mode_16_64 3
		.amdhsa_dx10_clamp 1
		.amdhsa_ieee_mode 1
		.amdhsa_fp16_overflow 0
		.amdhsa_workgroup_processor_mode 1
		.amdhsa_memory_ordered 1
		.amdhsa_forward_progress 0
		.amdhsa_shared_vgpr_count 0
		.amdhsa_exception_fp_ieee_invalid_op 0
		.amdhsa_exception_fp_denorm_src 0
		.amdhsa_exception_fp_ieee_div_zero 0
		.amdhsa_exception_fp_ieee_overflow 0
		.amdhsa_exception_fp_ieee_underflow 0
		.amdhsa_exception_fp_ieee_inexact 0
		.amdhsa_exception_int_div_zero 0
	.end_amdhsa_kernel
	.section	.text._ZN7rocprim17ROCPRIM_400000_NS6detail17trampoline_kernelINS0_14default_configENS1_25partition_config_selectorILNS1_17partition_subalgoE6EtNS0_10empty_typeEbEEZZNS1_14partition_implILS5_6ELb0ES3_mN6thrust23THRUST_200600_302600_NS6detail15normal_iteratorINSA_10device_ptrItEEEEPS6_SG_NS0_5tupleIJSF_S6_EEENSH_IJSG_SG_EEES6_PlJ7is_evenItEEEE10hipError_tPvRmT3_T4_T5_T6_T7_T9_mT8_P12ihipStream_tbDpT10_ENKUlT_T0_E_clISt17integral_constantIbLb1EES15_IbLb0EEEEDaS11_S12_EUlS11_E_NS1_11comp_targetILNS1_3genE9ELNS1_11target_archE1100ELNS1_3gpuE3ELNS1_3repE0EEENS1_30default_config_static_selectorELNS0_4arch9wavefront6targetE0EEEvT1_,"axG",@progbits,_ZN7rocprim17ROCPRIM_400000_NS6detail17trampoline_kernelINS0_14default_configENS1_25partition_config_selectorILNS1_17partition_subalgoE6EtNS0_10empty_typeEbEEZZNS1_14partition_implILS5_6ELb0ES3_mN6thrust23THRUST_200600_302600_NS6detail15normal_iteratorINSA_10device_ptrItEEEEPS6_SG_NS0_5tupleIJSF_S6_EEENSH_IJSG_SG_EEES6_PlJ7is_evenItEEEE10hipError_tPvRmT3_T4_T5_T6_T7_T9_mT8_P12ihipStream_tbDpT10_ENKUlT_T0_E_clISt17integral_constantIbLb1EES15_IbLb0EEEEDaS11_S12_EUlS11_E_NS1_11comp_targetILNS1_3genE9ELNS1_11target_archE1100ELNS1_3gpuE3ELNS1_3repE0EEENS1_30default_config_static_selectorELNS0_4arch9wavefront6targetE0EEEvT1_,comdat
.Lfunc_end350:
	.size	_ZN7rocprim17ROCPRIM_400000_NS6detail17trampoline_kernelINS0_14default_configENS1_25partition_config_selectorILNS1_17partition_subalgoE6EtNS0_10empty_typeEbEEZZNS1_14partition_implILS5_6ELb0ES3_mN6thrust23THRUST_200600_302600_NS6detail15normal_iteratorINSA_10device_ptrItEEEEPS6_SG_NS0_5tupleIJSF_S6_EEENSH_IJSG_SG_EEES6_PlJ7is_evenItEEEE10hipError_tPvRmT3_T4_T5_T6_T7_T9_mT8_P12ihipStream_tbDpT10_ENKUlT_T0_E_clISt17integral_constantIbLb1EES15_IbLb0EEEEDaS11_S12_EUlS11_E_NS1_11comp_targetILNS1_3genE9ELNS1_11target_archE1100ELNS1_3gpuE3ELNS1_3repE0EEENS1_30default_config_static_selectorELNS0_4arch9wavefront6targetE0EEEvT1_, .Lfunc_end350-_ZN7rocprim17ROCPRIM_400000_NS6detail17trampoline_kernelINS0_14default_configENS1_25partition_config_selectorILNS1_17partition_subalgoE6EtNS0_10empty_typeEbEEZZNS1_14partition_implILS5_6ELb0ES3_mN6thrust23THRUST_200600_302600_NS6detail15normal_iteratorINSA_10device_ptrItEEEEPS6_SG_NS0_5tupleIJSF_S6_EEENSH_IJSG_SG_EEES6_PlJ7is_evenItEEEE10hipError_tPvRmT3_T4_T5_T6_T7_T9_mT8_P12ihipStream_tbDpT10_ENKUlT_T0_E_clISt17integral_constantIbLb1EES15_IbLb0EEEEDaS11_S12_EUlS11_E_NS1_11comp_targetILNS1_3genE9ELNS1_11target_archE1100ELNS1_3gpuE3ELNS1_3repE0EEENS1_30default_config_static_selectorELNS0_4arch9wavefront6targetE0EEEvT1_
                                        ; -- End function
	.section	.AMDGPU.csdata,"",@progbits
; Kernel info:
; codeLenInByte = 13348
; NumSgprs: 21
; NumVgprs: 131
; ScratchSize: 0
; MemoryBound: 0
; FloatMode: 240
; IeeeMode: 1
; LDSByteSize: 7696 bytes/workgroup (compile time only)
; SGPRBlocks: 2
; VGPRBlocks: 16
; NumSGPRsForWavesPerEU: 21
; NumVGPRsForWavesPerEU: 131
; Occupancy: 10
; WaveLimiterHint : 1
; COMPUTE_PGM_RSRC2:SCRATCH_EN: 0
; COMPUTE_PGM_RSRC2:USER_SGPR: 15
; COMPUTE_PGM_RSRC2:TRAP_HANDLER: 0
; COMPUTE_PGM_RSRC2:TGID_X_EN: 1
; COMPUTE_PGM_RSRC2:TGID_Y_EN: 0
; COMPUTE_PGM_RSRC2:TGID_Z_EN: 0
; COMPUTE_PGM_RSRC2:TIDIG_COMP_CNT: 0
	.section	.text._ZN7rocprim17ROCPRIM_400000_NS6detail17trampoline_kernelINS0_14default_configENS1_25partition_config_selectorILNS1_17partition_subalgoE6EtNS0_10empty_typeEbEEZZNS1_14partition_implILS5_6ELb0ES3_mN6thrust23THRUST_200600_302600_NS6detail15normal_iteratorINSA_10device_ptrItEEEEPS6_SG_NS0_5tupleIJSF_S6_EEENSH_IJSG_SG_EEES6_PlJ7is_evenItEEEE10hipError_tPvRmT3_T4_T5_T6_T7_T9_mT8_P12ihipStream_tbDpT10_ENKUlT_T0_E_clISt17integral_constantIbLb1EES15_IbLb0EEEEDaS11_S12_EUlS11_E_NS1_11comp_targetILNS1_3genE8ELNS1_11target_archE1030ELNS1_3gpuE2ELNS1_3repE0EEENS1_30default_config_static_selectorELNS0_4arch9wavefront6targetE0EEEvT1_,"axG",@progbits,_ZN7rocprim17ROCPRIM_400000_NS6detail17trampoline_kernelINS0_14default_configENS1_25partition_config_selectorILNS1_17partition_subalgoE6EtNS0_10empty_typeEbEEZZNS1_14partition_implILS5_6ELb0ES3_mN6thrust23THRUST_200600_302600_NS6detail15normal_iteratorINSA_10device_ptrItEEEEPS6_SG_NS0_5tupleIJSF_S6_EEENSH_IJSG_SG_EEES6_PlJ7is_evenItEEEE10hipError_tPvRmT3_T4_T5_T6_T7_T9_mT8_P12ihipStream_tbDpT10_ENKUlT_T0_E_clISt17integral_constantIbLb1EES15_IbLb0EEEEDaS11_S12_EUlS11_E_NS1_11comp_targetILNS1_3genE8ELNS1_11target_archE1030ELNS1_3gpuE2ELNS1_3repE0EEENS1_30default_config_static_selectorELNS0_4arch9wavefront6targetE0EEEvT1_,comdat
	.protected	_ZN7rocprim17ROCPRIM_400000_NS6detail17trampoline_kernelINS0_14default_configENS1_25partition_config_selectorILNS1_17partition_subalgoE6EtNS0_10empty_typeEbEEZZNS1_14partition_implILS5_6ELb0ES3_mN6thrust23THRUST_200600_302600_NS6detail15normal_iteratorINSA_10device_ptrItEEEEPS6_SG_NS0_5tupleIJSF_S6_EEENSH_IJSG_SG_EEES6_PlJ7is_evenItEEEE10hipError_tPvRmT3_T4_T5_T6_T7_T9_mT8_P12ihipStream_tbDpT10_ENKUlT_T0_E_clISt17integral_constantIbLb1EES15_IbLb0EEEEDaS11_S12_EUlS11_E_NS1_11comp_targetILNS1_3genE8ELNS1_11target_archE1030ELNS1_3gpuE2ELNS1_3repE0EEENS1_30default_config_static_selectorELNS0_4arch9wavefront6targetE0EEEvT1_ ; -- Begin function _ZN7rocprim17ROCPRIM_400000_NS6detail17trampoline_kernelINS0_14default_configENS1_25partition_config_selectorILNS1_17partition_subalgoE6EtNS0_10empty_typeEbEEZZNS1_14partition_implILS5_6ELb0ES3_mN6thrust23THRUST_200600_302600_NS6detail15normal_iteratorINSA_10device_ptrItEEEEPS6_SG_NS0_5tupleIJSF_S6_EEENSH_IJSG_SG_EEES6_PlJ7is_evenItEEEE10hipError_tPvRmT3_T4_T5_T6_T7_T9_mT8_P12ihipStream_tbDpT10_ENKUlT_T0_E_clISt17integral_constantIbLb1EES15_IbLb0EEEEDaS11_S12_EUlS11_E_NS1_11comp_targetILNS1_3genE8ELNS1_11target_archE1030ELNS1_3gpuE2ELNS1_3repE0EEENS1_30default_config_static_selectorELNS0_4arch9wavefront6targetE0EEEvT1_
	.globl	_ZN7rocprim17ROCPRIM_400000_NS6detail17trampoline_kernelINS0_14default_configENS1_25partition_config_selectorILNS1_17partition_subalgoE6EtNS0_10empty_typeEbEEZZNS1_14partition_implILS5_6ELb0ES3_mN6thrust23THRUST_200600_302600_NS6detail15normal_iteratorINSA_10device_ptrItEEEEPS6_SG_NS0_5tupleIJSF_S6_EEENSH_IJSG_SG_EEES6_PlJ7is_evenItEEEE10hipError_tPvRmT3_T4_T5_T6_T7_T9_mT8_P12ihipStream_tbDpT10_ENKUlT_T0_E_clISt17integral_constantIbLb1EES15_IbLb0EEEEDaS11_S12_EUlS11_E_NS1_11comp_targetILNS1_3genE8ELNS1_11target_archE1030ELNS1_3gpuE2ELNS1_3repE0EEENS1_30default_config_static_selectorELNS0_4arch9wavefront6targetE0EEEvT1_
	.p2align	8
	.type	_ZN7rocprim17ROCPRIM_400000_NS6detail17trampoline_kernelINS0_14default_configENS1_25partition_config_selectorILNS1_17partition_subalgoE6EtNS0_10empty_typeEbEEZZNS1_14partition_implILS5_6ELb0ES3_mN6thrust23THRUST_200600_302600_NS6detail15normal_iteratorINSA_10device_ptrItEEEEPS6_SG_NS0_5tupleIJSF_S6_EEENSH_IJSG_SG_EEES6_PlJ7is_evenItEEEE10hipError_tPvRmT3_T4_T5_T6_T7_T9_mT8_P12ihipStream_tbDpT10_ENKUlT_T0_E_clISt17integral_constantIbLb1EES15_IbLb0EEEEDaS11_S12_EUlS11_E_NS1_11comp_targetILNS1_3genE8ELNS1_11target_archE1030ELNS1_3gpuE2ELNS1_3repE0EEENS1_30default_config_static_selectorELNS0_4arch9wavefront6targetE0EEEvT1_,@function
_ZN7rocprim17ROCPRIM_400000_NS6detail17trampoline_kernelINS0_14default_configENS1_25partition_config_selectorILNS1_17partition_subalgoE6EtNS0_10empty_typeEbEEZZNS1_14partition_implILS5_6ELb0ES3_mN6thrust23THRUST_200600_302600_NS6detail15normal_iteratorINSA_10device_ptrItEEEEPS6_SG_NS0_5tupleIJSF_S6_EEENSH_IJSG_SG_EEES6_PlJ7is_evenItEEEE10hipError_tPvRmT3_T4_T5_T6_T7_T9_mT8_P12ihipStream_tbDpT10_ENKUlT_T0_E_clISt17integral_constantIbLb1EES15_IbLb0EEEEDaS11_S12_EUlS11_E_NS1_11comp_targetILNS1_3genE8ELNS1_11target_archE1030ELNS1_3gpuE2ELNS1_3repE0EEENS1_30default_config_static_selectorELNS0_4arch9wavefront6targetE0EEEvT1_: ; @_ZN7rocprim17ROCPRIM_400000_NS6detail17trampoline_kernelINS0_14default_configENS1_25partition_config_selectorILNS1_17partition_subalgoE6EtNS0_10empty_typeEbEEZZNS1_14partition_implILS5_6ELb0ES3_mN6thrust23THRUST_200600_302600_NS6detail15normal_iteratorINSA_10device_ptrItEEEEPS6_SG_NS0_5tupleIJSF_S6_EEENSH_IJSG_SG_EEES6_PlJ7is_evenItEEEE10hipError_tPvRmT3_T4_T5_T6_T7_T9_mT8_P12ihipStream_tbDpT10_ENKUlT_T0_E_clISt17integral_constantIbLb1EES15_IbLb0EEEEDaS11_S12_EUlS11_E_NS1_11comp_targetILNS1_3genE8ELNS1_11target_archE1030ELNS1_3gpuE2ELNS1_3repE0EEENS1_30default_config_static_selectorELNS0_4arch9wavefront6targetE0EEEvT1_
; %bb.0:
	.section	.rodata,"a",@progbits
	.p2align	6, 0x0
	.amdhsa_kernel _ZN7rocprim17ROCPRIM_400000_NS6detail17trampoline_kernelINS0_14default_configENS1_25partition_config_selectorILNS1_17partition_subalgoE6EtNS0_10empty_typeEbEEZZNS1_14partition_implILS5_6ELb0ES3_mN6thrust23THRUST_200600_302600_NS6detail15normal_iteratorINSA_10device_ptrItEEEEPS6_SG_NS0_5tupleIJSF_S6_EEENSH_IJSG_SG_EEES6_PlJ7is_evenItEEEE10hipError_tPvRmT3_T4_T5_T6_T7_T9_mT8_P12ihipStream_tbDpT10_ENKUlT_T0_E_clISt17integral_constantIbLb1EES15_IbLb0EEEEDaS11_S12_EUlS11_E_NS1_11comp_targetILNS1_3genE8ELNS1_11target_archE1030ELNS1_3gpuE2ELNS1_3repE0EEENS1_30default_config_static_selectorELNS0_4arch9wavefront6targetE0EEEvT1_
		.amdhsa_group_segment_fixed_size 0
		.amdhsa_private_segment_fixed_size 0
		.amdhsa_kernarg_size 112
		.amdhsa_user_sgpr_count 15
		.amdhsa_user_sgpr_dispatch_ptr 0
		.amdhsa_user_sgpr_queue_ptr 0
		.amdhsa_user_sgpr_kernarg_segment_ptr 1
		.amdhsa_user_sgpr_dispatch_id 0
		.amdhsa_user_sgpr_private_segment_size 0
		.amdhsa_wavefront_size32 1
		.amdhsa_uses_dynamic_stack 0
		.amdhsa_enable_private_segment 0
		.amdhsa_system_sgpr_workgroup_id_x 1
		.amdhsa_system_sgpr_workgroup_id_y 0
		.amdhsa_system_sgpr_workgroup_id_z 0
		.amdhsa_system_sgpr_workgroup_info 0
		.amdhsa_system_vgpr_workitem_id 0
		.amdhsa_next_free_vgpr 1
		.amdhsa_next_free_sgpr 1
		.amdhsa_reserve_vcc 0
		.amdhsa_float_round_mode_32 0
		.amdhsa_float_round_mode_16_64 0
		.amdhsa_float_denorm_mode_32 3
		.amdhsa_float_denorm_mode_16_64 3
		.amdhsa_dx10_clamp 1
		.amdhsa_ieee_mode 1
		.amdhsa_fp16_overflow 0
		.amdhsa_workgroup_processor_mode 1
		.amdhsa_memory_ordered 1
		.amdhsa_forward_progress 0
		.amdhsa_shared_vgpr_count 0
		.amdhsa_exception_fp_ieee_invalid_op 0
		.amdhsa_exception_fp_denorm_src 0
		.amdhsa_exception_fp_ieee_div_zero 0
		.amdhsa_exception_fp_ieee_overflow 0
		.amdhsa_exception_fp_ieee_underflow 0
		.amdhsa_exception_fp_ieee_inexact 0
		.amdhsa_exception_int_div_zero 0
	.end_amdhsa_kernel
	.section	.text._ZN7rocprim17ROCPRIM_400000_NS6detail17trampoline_kernelINS0_14default_configENS1_25partition_config_selectorILNS1_17partition_subalgoE6EtNS0_10empty_typeEbEEZZNS1_14partition_implILS5_6ELb0ES3_mN6thrust23THRUST_200600_302600_NS6detail15normal_iteratorINSA_10device_ptrItEEEEPS6_SG_NS0_5tupleIJSF_S6_EEENSH_IJSG_SG_EEES6_PlJ7is_evenItEEEE10hipError_tPvRmT3_T4_T5_T6_T7_T9_mT8_P12ihipStream_tbDpT10_ENKUlT_T0_E_clISt17integral_constantIbLb1EES15_IbLb0EEEEDaS11_S12_EUlS11_E_NS1_11comp_targetILNS1_3genE8ELNS1_11target_archE1030ELNS1_3gpuE2ELNS1_3repE0EEENS1_30default_config_static_selectorELNS0_4arch9wavefront6targetE0EEEvT1_,"axG",@progbits,_ZN7rocprim17ROCPRIM_400000_NS6detail17trampoline_kernelINS0_14default_configENS1_25partition_config_selectorILNS1_17partition_subalgoE6EtNS0_10empty_typeEbEEZZNS1_14partition_implILS5_6ELb0ES3_mN6thrust23THRUST_200600_302600_NS6detail15normal_iteratorINSA_10device_ptrItEEEEPS6_SG_NS0_5tupleIJSF_S6_EEENSH_IJSG_SG_EEES6_PlJ7is_evenItEEEE10hipError_tPvRmT3_T4_T5_T6_T7_T9_mT8_P12ihipStream_tbDpT10_ENKUlT_T0_E_clISt17integral_constantIbLb1EES15_IbLb0EEEEDaS11_S12_EUlS11_E_NS1_11comp_targetILNS1_3genE8ELNS1_11target_archE1030ELNS1_3gpuE2ELNS1_3repE0EEENS1_30default_config_static_selectorELNS0_4arch9wavefront6targetE0EEEvT1_,comdat
.Lfunc_end351:
	.size	_ZN7rocprim17ROCPRIM_400000_NS6detail17trampoline_kernelINS0_14default_configENS1_25partition_config_selectorILNS1_17partition_subalgoE6EtNS0_10empty_typeEbEEZZNS1_14partition_implILS5_6ELb0ES3_mN6thrust23THRUST_200600_302600_NS6detail15normal_iteratorINSA_10device_ptrItEEEEPS6_SG_NS0_5tupleIJSF_S6_EEENSH_IJSG_SG_EEES6_PlJ7is_evenItEEEE10hipError_tPvRmT3_T4_T5_T6_T7_T9_mT8_P12ihipStream_tbDpT10_ENKUlT_T0_E_clISt17integral_constantIbLb1EES15_IbLb0EEEEDaS11_S12_EUlS11_E_NS1_11comp_targetILNS1_3genE8ELNS1_11target_archE1030ELNS1_3gpuE2ELNS1_3repE0EEENS1_30default_config_static_selectorELNS0_4arch9wavefront6targetE0EEEvT1_, .Lfunc_end351-_ZN7rocprim17ROCPRIM_400000_NS6detail17trampoline_kernelINS0_14default_configENS1_25partition_config_selectorILNS1_17partition_subalgoE6EtNS0_10empty_typeEbEEZZNS1_14partition_implILS5_6ELb0ES3_mN6thrust23THRUST_200600_302600_NS6detail15normal_iteratorINSA_10device_ptrItEEEEPS6_SG_NS0_5tupleIJSF_S6_EEENSH_IJSG_SG_EEES6_PlJ7is_evenItEEEE10hipError_tPvRmT3_T4_T5_T6_T7_T9_mT8_P12ihipStream_tbDpT10_ENKUlT_T0_E_clISt17integral_constantIbLb1EES15_IbLb0EEEEDaS11_S12_EUlS11_E_NS1_11comp_targetILNS1_3genE8ELNS1_11target_archE1030ELNS1_3gpuE2ELNS1_3repE0EEENS1_30default_config_static_selectorELNS0_4arch9wavefront6targetE0EEEvT1_
                                        ; -- End function
	.section	.AMDGPU.csdata,"",@progbits
; Kernel info:
; codeLenInByte = 0
; NumSgprs: 0
; NumVgprs: 0
; ScratchSize: 0
; MemoryBound: 0
; FloatMode: 240
; IeeeMode: 1
; LDSByteSize: 0 bytes/workgroup (compile time only)
; SGPRBlocks: 0
; VGPRBlocks: 0
; NumSGPRsForWavesPerEU: 1
; NumVGPRsForWavesPerEU: 1
; Occupancy: 16
; WaveLimiterHint : 0
; COMPUTE_PGM_RSRC2:SCRATCH_EN: 0
; COMPUTE_PGM_RSRC2:USER_SGPR: 15
; COMPUTE_PGM_RSRC2:TRAP_HANDLER: 0
; COMPUTE_PGM_RSRC2:TGID_X_EN: 1
; COMPUTE_PGM_RSRC2:TGID_Y_EN: 0
; COMPUTE_PGM_RSRC2:TGID_Z_EN: 0
; COMPUTE_PGM_RSRC2:TIDIG_COMP_CNT: 0
	.section	.text._ZN7rocprim17ROCPRIM_400000_NS6detail17trampoline_kernelINS0_14default_configENS1_25partition_config_selectorILNS1_17partition_subalgoE6EtNS0_10empty_typeEbEEZZNS1_14partition_implILS5_6ELb0ES3_mN6thrust23THRUST_200600_302600_NS6detail15normal_iteratorINSA_10device_ptrItEEEEPS6_SG_NS0_5tupleIJSF_S6_EEENSH_IJSG_SG_EEES6_PlJ7is_evenItEEEE10hipError_tPvRmT3_T4_T5_T6_T7_T9_mT8_P12ihipStream_tbDpT10_ENKUlT_T0_E_clISt17integral_constantIbLb0EES15_IbLb1EEEEDaS11_S12_EUlS11_E_NS1_11comp_targetILNS1_3genE0ELNS1_11target_archE4294967295ELNS1_3gpuE0ELNS1_3repE0EEENS1_30default_config_static_selectorELNS0_4arch9wavefront6targetE0EEEvT1_,"axG",@progbits,_ZN7rocprim17ROCPRIM_400000_NS6detail17trampoline_kernelINS0_14default_configENS1_25partition_config_selectorILNS1_17partition_subalgoE6EtNS0_10empty_typeEbEEZZNS1_14partition_implILS5_6ELb0ES3_mN6thrust23THRUST_200600_302600_NS6detail15normal_iteratorINSA_10device_ptrItEEEEPS6_SG_NS0_5tupleIJSF_S6_EEENSH_IJSG_SG_EEES6_PlJ7is_evenItEEEE10hipError_tPvRmT3_T4_T5_T6_T7_T9_mT8_P12ihipStream_tbDpT10_ENKUlT_T0_E_clISt17integral_constantIbLb0EES15_IbLb1EEEEDaS11_S12_EUlS11_E_NS1_11comp_targetILNS1_3genE0ELNS1_11target_archE4294967295ELNS1_3gpuE0ELNS1_3repE0EEENS1_30default_config_static_selectorELNS0_4arch9wavefront6targetE0EEEvT1_,comdat
	.protected	_ZN7rocprim17ROCPRIM_400000_NS6detail17trampoline_kernelINS0_14default_configENS1_25partition_config_selectorILNS1_17partition_subalgoE6EtNS0_10empty_typeEbEEZZNS1_14partition_implILS5_6ELb0ES3_mN6thrust23THRUST_200600_302600_NS6detail15normal_iteratorINSA_10device_ptrItEEEEPS6_SG_NS0_5tupleIJSF_S6_EEENSH_IJSG_SG_EEES6_PlJ7is_evenItEEEE10hipError_tPvRmT3_T4_T5_T6_T7_T9_mT8_P12ihipStream_tbDpT10_ENKUlT_T0_E_clISt17integral_constantIbLb0EES15_IbLb1EEEEDaS11_S12_EUlS11_E_NS1_11comp_targetILNS1_3genE0ELNS1_11target_archE4294967295ELNS1_3gpuE0ELNS1_3repE0EEENS1_30default_config_static_selectorELNS0_4arch9wavefront6targetE0EEEvT1_ ; -- Begin function _ZN7rocprim17ROCPRIM_400000_NS6detail17trampoline_kernelINS0_14default_configENS1_25partition_config_selectorILNS1_17partition_subalgoE6EtNS0_10empty_typeEbEEZZNS1_14partition_implILS5_6ELb0ES3_mN6thrust23THRUST_200600_302600_NS6detail15normal_iteratorINSA_10device_ptrItEEEEPS6_SG_NS0_5tupleIJSF_S6_EEENSH_IJSG_SG_EEES6_PlJ7is_evenItEEEE10hipError_tPvRmT3_T4_T5_T6_T7_T9_mT8_P12ihipStream_tbDpT10_ENKUlT_T0_E_clISt17integral_constantIbLb0EES15_IbLb1EEEEDaS11_S12_EUlS11_E_NS1_11comp_targetILNS1_3genE0ELNS1_11target_archE4294967295ELNS1_3gpuE0ELNS1_3repE0EEENS1_30default_config_static_selectorELNS0_4arch9wavefront6targetE0EEEvT1_
	.globl	_ZN7rocprim17ROCPRIM_400000_NS6detail17trampoline_kernelINS0_14default_configENS1_25partition_config_selectorILNS1_17partition_subalgoE6EtNS0_10empty_typeEbEEZZNS1_14partition_implILS5_6ELb0ES3_mN6thrust23THRUST_200600_302600_NS6detail15normal_iteratorINSA_10device_ptrItEEEEPS6_SG_NS0_5tupleIJSF_S6_EEENSH_IJSG_SG_EEES6_PlJ7is_evenItEEEE10hipError_tPvRmT3_T4_T5_T6_T7_T9_mT8_P12ihipStream_tbDpT10_ENKUlT_T0_E_clISt17integral_constantIbLb0EES15_IbLb1EEEEDaS11_S12_EUlS11_E_NS1_11comp_targetILNS1_3genE0ELNS1_11target_archE4294967295ELNS1_3gpuE0ELNS1_3repE0EEENS1_30default_config_static_selectorELNS0_4arch9wavefront6targetE0EEEvT1_
	.p2align	8
	.type	_ZN7rocprim17ROCPRIM_400000_NS6detail17trampoline_kernelINS0_14default_configENS1_25partition_config_selectorILNS1_17partition_subalgoE6EtNS0_10empty_typeEbEEZZNS1_14partition_implILS5_6ELb0ES3_mN6thrust23THRUST_200600_302600_NS6detail15normal_iteratorINSA_10device_ptrItEEEEPS6_SG_NS0_5tupleIJSF_S6_EEENSH_IJSG_SG_EEES6_PlJ7is_evenItEEEE10hipError_tPvRmT3_T4_T5_T6_T7_T9_mT8_P12ihipStream_tbDpT10_ENKUlT_T0_E_clISt17integral_constantIbLb0EES15_IbLb1EEEEDaS11_S12_EUlS11_E_NS1_11comp_targetILNS1_3genE0ELNS1_11target_archE4294967295ELNS1_3gpuE0ELNS1_3repE0EEENS1_30default_config_static_selectorELNS0_4arch9wavefront6targetE0EEEvT1_,@function
_ZN7rocprim17ROCPRIM_400000_NS6detail17trampoline_kernelINS0_14default_configENS1_25partition_config_selectorILNS1_17partition_subalgoE6EtNS0_10empty_typeEbEEZZNS1_14partition_implILS5_6ELb0ES3_mN6thrust23THRUST_200600_302600_NS6detail15normal_iteratorINSA_10device_ptrItEEEEPS6_SG_NS0_5tupleIJSF_S6_EEENSH_IJSG_SG_EEES6_PlJ7is_evenItEEEE10hipError_tPvRmT3_T4_T5_T6_T7_T9_mT8_P12ihipStream_tbDpT10_ENKUlT_T0_E_clISt17integral_constantIbLb0EES15_IbLb1EEEEDaS11_S12_EUlS11_E_NS1_11comp_targetILNS1_3genE0ELNS1_11target_archE4294967295ELNS1_3gpuE0ELNS1_3repE0EEENS1_30default_config_static_selectorELNS0_4arch9wavefront6targetE0EEEvT1_: ; @_ZN7rocprim17ROCPRIM_400000_NS6detail17trampoline_kernelINS0_14default_configENS1_25partition_config_selectorILNS1_17partition_subalgoE6EtNS0_10empty_typeEbEEZZNS1_14partition_implILS5_6ELb0ES3_mN6thrust23THRUST_200600_302600_NS6detail15normal_iteratorINSA_10device_ptrItEEEEPS6_SG_NS0_5tupleIJSF_S6_EEENSH_IJSG_SG_EEES6_PlJ7is_evenItEEEE10hipError_tPvRmT3_T4_T5_T6_T7_T9_mT8_P12ihipStream_tbDpT10_ENKUlT_T0_E_clISt17integral_constantIbLb0EES15_IbLb1EEEEDaS11_S12_EUlS11_E_NS1_11comp_targetILNS1_3genE0ELNS1_11target_archE4294967295ELNS1_3gpuE0ELNS1_3repE0EEENS1_30default_config_static_selectorELNS0_4arch9wavefront6targetE0EEEvT1_
; %bb.0:
	.section	.rodata,"a",@progbits
	.p2align	6, 0x0
	.amdhsa_kernel _ZN7rocprim17ROCPRIM_400000_NS6detail17trampoline_kernelINS0_14default_configENS1_25partition_config_selectorILNS1_17partition_subalgoE6EtNS0_10empty_typeEbEEZZNS1_14partition_implILS5_6ELb0ES3_mN6thrust23THRUST_200600_302600_NS6detail15normal_iteratorINSA_10device_ptrItEEEEPS6_SG_NS0_5tupleIJSF_S6_EEENSH_IJSG_SG_EEES6_PlJ7is_evenItEEEE10hipError_tPvRmT3_T4_T5_T6_T7_T9_mT8_P12ihipStream_tbDpT10_ENKUlT_T0_E_clISt17integral_constantIbLb0EES15_IbLb1EEEEDaS11_S12_EUlS11_E_NS1_11comp_targetILNS1_3genE0ELNS1_11target_archE4294967295ELNS1_3gpuE0ELNS1_3repE0EEENS1_30default_config_static_selectorELNS0_4arch9wavefront6targetE0EEEvT1_
		.amdhsa_group_segment_fixed_size 0
		.amdhsa_private_segment_fixed_size 0
		.amdhsa_kernarg_size 128
		.amdhsa_user_sgpr_count 15
		.amdhsa_user_sgpr_dispatch_ptr 0
		.amdhsa_user_sgpr_queue_ptr 0
		.amdhsa_user_sgpr_kernarg_segment_ptr 1
		.amdhsa_user_sgpr_dispatch_id 0
		.amdhsa_user_sgpr_private_segment_size 0
		.amdhsa_wavefront_size32 1
		.amdhsa_uses_dynamic_stack 0
		.amdhsa_enable_private_segment 0
		.amdhsa_system_sgpr_workgroup_id_x 1
		.amdhsa_system_sgpr_workgroup_id_y 0
		.amdhsa_system_sgpr_workgroup_id_z 0
		.amdhsa_system_sgpr_workgroup_info 0
		.amdhsa_system_vgpr_workitem_id 0
		.amdhsa_next_free_vgpr 1
		.amdhsa_next_free_sgpr 1
		.amdhsa_reserve_vcc 0
		.amdhsa_float_round_mode_32 0
		.amdhsa_float_round_mode_16_64 0
		.amdhsa_float_denorm_mode_32 3
		.amdhsa_float_denorm_mode_16_64 3
		.amdhsa_dx10_clamp 1
		.amdhsa_ieee_mode 1
		.amdhsa_fp16_overflow 0
		.amdhsa_workgroup_processor_mode 1
		.amdhsa_memory_ordered 1
		.amdhsa_forward_progress 0
		.amdhsa_shared_vgpr_count 0
		.amdhsa_exception_fp_ieee_invalid_op 0
		.amdhsa_exception_fp_denorm_src 0
		.amdhsa_exception_fp_ieee_div_zero 0
		.amdhsa_exception_fp_ieee_overflow 0
		.amdhsa_exception_fp_ieee_underflow 0
		.amdhsa_exception_fp_ieee_inexact 0
		.amdhsa_exception_int_div_zero 0
	.end_amdhsa_kernel
	.section	.text._ZN7rocprim17ROCPRIM_400000_NS6detail17trampoline_kernelINS0_14default_configENS1_25partition_config_selectorILNS1_17partition_subalgoE6EtNS0_10empty_typeEbEEZZNS1_14partition_implILS5_6ELb0ES3_mN6thrust23THRUST_200600_302600_NS6detail15normal_iteratorINSA_10device_ptrItEEEEPS6_SG_NS0_5tupleIJSF_S6_EEENSH_IJSG_SG_EEES6_PlJ7is_evenItEEEE10hipError_tPvRmT3_T4_T5_T6_T7_T9_mT8_P12ihipStream_tbDpT10_ENKUlT_T0_E_clISt17integral_constantIbLb0EES15_IbLb1EEEEDaS11_S12_EUlS11_E_NS1_11comp_targetILNS1_3genE0ELNS1_11target_archE4294967295ELNS1_3gpuE0ELNS1_3repE0EEENS1_30default_config_static_selectorELNS0_4arch9wavefront6targetE0EEEvT1_,"axG",@progbits,_ZN7rocprim17ROCPRIM_400000_NS6detail17trampoline_kernelINS0_14default_configENS1_25partition_config_selectorILNS1_17partition_subalgoE6EtNS0_10empty_typeEbEEZZNS1_14partition_implILS5_6ELb0ES3_mN6thrust23THRUST_200600_302600_NS6detail15normal_iteratorINSA_10device_ptrItEEEEPS6_SG_NS0_5tupleIJSF_S6_EEENSH_IJSG_SG_EEES6_PlJ7is_evenItEEEE10hipError_tPvRmT3_T4_T5_T6_T7_T9_mT8_P12ihipStream_tbDpT10_ENKUlT_T0_E_clISt17integral_constantIbLb0EES15_IbLb1EEEEDaS11_S12_EUlS11_E_NS1_11comp_targetILNS1_3genE0ELNS1_11target_archE4294967295ELNS1_3gpuE0ELNS1_3repE0EEENS1_30default_config_static_selectorELNS0_4arch9wavefront6targetE0EEEvT1_,comdat
.Lfunc_end352:
	.size	_ZN7rocprim17ROCPRIM_400000_NS6detail17trampoline_kernelINS0_14default_configENS1_25partition_config_selectorILNS1_17partition_subalgoE6EtNS0_10empty_typeEbEEZZNS1_14partition_implILS5_6ELb0ES3_mN6thrust23THRUST_200600_302600_NS6detail15normal_iteratorINSA_10device_ptrItEEEEPS6_SG_NS0_5tupleIJSF_S6_EEENSH_IJSG_SG_EEES6_PlJ7is_evenItEEEE10hipError_tPvRmT3_T4_T5_T6_T7_T9_mT8_P12ihipStream_tbDpT10_ENKUlT_T0_E_clISt17integral_constantIbLb0EES15_IbLb1EEEEDaS11_S12_EUlS11_E_NS1_11comp_targetILNS1_3genE0ELNS1_11target_archE4294967295ELNS1_3gpuE0ELNS1_3repE0EEENS1_30default_config_static_selectorELNS0_4arch9wavefront6targetE0EEEvT1_, .Lfunc_end352-_ZN7rocprim17ROCPRIM_400000_NS6detail17trampoline_kernelINS0_14default_configENS1_25partition_config_selectorILNS1_17partition_subalgoE6EtNS0_10empty_typeEbEEZZNS1_14partition_implILS5_6ELb0ES3_mN6thrust23THRUST_200600_302600_NS6detail15normal_iteratorINSA_10device_ptrItEEEEPS6_SG_NS0_5tupleIJSF_S6_EEENSH_IJSG_SG_EEES6_PlJ7is_evenItEEEE10hipError_tPvRmT3_T4_T5_T6_T7_T9_mT8_P12ihipStream_tbDpT10_ENKUlT_T0_E_clISt17integral_constantIbLb0EES15_IbLb1EEEEDaS11_S12_EUlS11_E_NS1_11comp_targetILNS1_3genE0ELNS1_11target_archE4294967295ELNS1_3gpuE0ELNS1_3repE0EEENS1_30default_config_static_selectorELNS0_4arch9wavefront6targetE0EEEvT1_
                                        ; -- End function
	.section	.AMDGPU.csdata,"",@progbits
; Kernel info:
; codeLenInByte = 0
; NumSgprs: 0
; NumVgprs: 0
; ScratchSize: 0
; MemoryBound: 0
; FloatMode: 240
; IeeeMode: 1
; LDSByteSize: 0 bytes/workgroup (compile time only)
; SGPRBlocks: 0
; VGPRBlocks: 0
; NumSGPRsForWavesPerEU: 1
; NumVGPRsForWavesPerEU: 1
; Occupancy: 16
; WaveLimiterHint : 0
; COMPUTE_PGM_RSRC2:SCRATCH_EN: 0
; COMPUTE_PGM_RSRC2:USER_SGPR: 15
; COMPUTE_PGM_RSRC2:TRAP_HANDLER: 0
; COMPUTE_PGM_RSRC2:TGID_X_EN: 1
; COMPUTE_PGM_RSRC2:TGID_Y_EN: 0
; COMPUTE_PGM_RSRC2:TGID_Z_EN: 0
; COMPUTE_PGM_RSRC2:TIDIG_COMP_CNT: 0
	.section	.text._ZN7rocprim17ROCPRIM_400000_NS6detail17trampoline_kernelINS0_14default_configENS1_25partition_config_selectorILNS1_17partition_subalgoE6EtNS0_10empty_typeEbEEZZNS1_14partition_implILS5_6ELb0ES3_mN6thrust23THRUST_200600_302600_NS6detail15normal_iteratorINSA_10device_ptrItEEEEPS6_SG_NS0_5tupleIJSF_S6_EEENSH_IJSG_SG_EEES6_PlJ7is_evenItEEEE10hipError_tPvRmT3_T4_T5_T6_T7_T9_mT8_P12ihipStream_tbDpT10_ENKUlT_T0_E_clISt17integral_constantIbLb0EES15_IbLb1EEEEDaS11_S12_EUlS11_E_NS1_11comp_targetILNS1_3genE5ELNS1_11target_archE942ELNS1_3gpuE9ELNS1_3repE0EEENS1_30default_config_static_selectorELNS0_4arch9wavefront6targetE0EEEvT1_,"axG",@progbits,_ZN7rocprim17ROCPRIM_400000_NS6detail17trampoline_kernelINS0_14default_configENS1_25partition_config_selectorILNS1_17partition_subalgoE6EtNS0_10empty_typeEbEEZZNS1_14partition_implILS5_6ELb0ES3_mN6thrust23THRUST_200600_302600_NS6detail15normal_iteratorINSA_10device_ptrItEEEEPS6_SG_NS0_5tupleIJSF_S6_EEENSH_IJSG_SG_EEES6_PlJ7is_evenItEEEE10hipError_tPvRmT3_T4_T5_T6_T7_T9_mT8_P12ihipStream_tbDpT10_ENKUlT_T0_E_clISt17integral_constantIbLb0EES15_IbLb1EEEEDaS11_S12_EUlS11_E_NS1_11comp_targetILNS1_3genE5ELNS1_11target_archE942ELNS1_3gpuE9ELNS1_3repE0EEENS1_30default_config_static_selectorELNS0_4arch9wavefront6targetE0EEEvT1_,comdat
	.protected	_ZN7rocprim17ROCPRIM_400000_NS6detail17trampoline_kernelINS0_14default_configENS1_25partition_config_selectorILNS1_17partition_subalgoE6EtNS0_10empty_typeEbEEZZNS1_14partition_implILS5_6ELb0ES3_mN6thrust23THRUST_200600_302600_NS6detail15normal_iteratorINSA_10device_ptrItEEEEPS6_SG_NS0_5tupleIJSF_S6_EEENSH_IJSG_SG_EEES6_PlJ7is_evenItEEEE10hipError_tPvRmT3_T4_T5_T6_T7_T9_mT8_P12ihipStream_tbDpT10_ENKUlT_T0_E_clISt17integral_constantIbLb0EES15_IbLb1EEEEDaS11_S12_EUlS11_E_NS1_11comp_targetILNS1_3genE5ELNS1_11target_archE942ELNS1_3gpuE9ELNS1_3repE0EEENS1_30default_config_static_selectorELNS0_4arch9wavefront6targetE0EEEvT1_ ; -- Begin function _ZN7rocprim17ROCPRIM_400000_NS6detail17trampoline_kernelINS0_14default_configENS1_25partition_config_selectorILNS1_17partition_subalgoE6EtNS0_10empty_typeEbEEZZNS1_14partition_implILS5_6ELb0ES3_mN6thrust23THRUST_200600_302600_NS6detail15normal_iteratorINSA_10device_ptrItEEEEPS6_SG_NS0_5tupleIJSF_S6_EEENSH_IJSG_SG_EEES6_PlJ7is_evenItEEEE10hipError_tPvRmT3_T4_T5_T6_T7_T9_mT8_P12ihipStream_tbDpT10_ENKUlT_T0_E_clISt17integral_constantIbLb0EES15_IbLb1EEEEDaS11_S12_EUlS11_E_NS1_11comp_targetILNS1_3genE5ELNS1_11target_archE942ELNS1_3gpuE9ELNS1_3repE0EEENS1_30default_config_static_selectorELNS0_4arch9wavefront6targetE0EEEvT1_
	.globl	_ZN7rocprim17ROCPRIM_400000_NS6detail17trampoline_kernelINS0_14default_configENS1_25partition_config_selectorILNS1_17partition_subalgoE6EtNS0_10empty_typeEbEEZZNS1_14partition_implILS5_6ELb0ES3_mN6thrust23THRUST_200600_302600_NS6detail15normal_iteratorINSA_10device_ptrItEEEEPS6_SG_NS0_5tupleIJSF_S6_EEENSH_IJSG_SG_EEES6_PlJ7is_evenItEEEE10hipError_tPvRmT3_T4_T5_T6_T7_T9_mT8_P12ihipStream_tbDpT10_ENKUlT_T0_E_clISt17integral_constantIbLb0EES15_IbLb1EEEEDaS11_S12_EUlS11_E_NS1_11comp_targetILNS1_3genE5ELNS1_11target_archE942ELNS1_3gpuE9ELNS1_3repE0EEENS1_30default_config_static_selectorELNS0_4arch9wavefront6targetE0EEEvT1_
	.p2align	8
	.type	_ZN7rocprim17ROCPRIM_400000_NS6detail17trampoline_kernelINS0_14default_configENS1_25partition_config_selectorILNS1_17partition_subalgoE6EtNS0_10empty_typeEbEEZZNS1_14partition_implILS5_6ELb0ES3_mN6thrust23THRUST_200600_302600_NS6detail15normal_iteratorINSA_10device_ptrItEEEEPS6_SG_NS0_5tupleIJSF_S6_EEENSH_IJSG_SG_EEES6_PlJ7is_evenItEEEE10hipError_tPvRmT3_T4_T5_T6_T7_T9_mT8_P12ihipStream_tbDpT10_ENKUlT_T0_E_clISt17integral_constantIbLb0EES15_IbLb1EEEEDaS11_S12_EUlS11_E_NS1_11comp_targetILNS1_3genE5ELNS1_11target_archE942ELNS1_3gpuE9ELNS1_3repE0EEENS1_30default_config_static_selectorELNS0_4arch9wavefront6targetE0EEEvT1_,@function
_ZN7rocprim17ROCPRIM_400000_NS6detail17trampoline_kernelINS0_14default_configENS1_25partition_config_selectorILNS1_17partition_subalgoE6EtNS0_10empty_typeEbEEZZNS1_14partition_implILS5_6ELb0ES3_mN6thrust23THRUST_200600_302600_NS6detail15normal_iteratorINSA_10device_ptrItEEEEPS6_SG_NS0_5tupleIJSF_S6_EEENSH_IJSG_SG_EEES6_PlJ7is_evenItEEEE10hipError_tPvRmT3_T4_T5_T6_T7_T9_mT8_P12ihipStream_tbDpT10_ENKUlT_T0_E_clISt17integral_constantIbLb0EES15_IbLb1EEEEDaS11_S12_EUlS11_E_NS1_11comp_targetILNS1_3genE5ELNS1_11target_archE942ELNS1_3gpuE9ELNS1_3repE0EEENS1_30default_config_static_selectorELNS0_4arch9wavefront6targetE0EEEvT1_: ; @_ZN7rocprim17ROCPRIM_400000_NS6detail17trampoline_kernelINS0_14default_configENS1_25partition_config_selectorILNS1_17partition_subalgoE6EtNS0_10empty_typeEbEEZZNS1_14partition_implILS5_6ELb0ES3_mN6thrust23THRUST_200600_302600_NS6detail15normal_iteratorINSA_10device_ptrItEEEEPS6_SG_NS0_5tupleIJSF_S6_EEENSH_IJSG_SG_EEES6_PlJ7is_evenItEEEE10hipError_tPvRmT3_T4_T5_T6_T7_T9_mT8_P12ihipStream_tbDpT10_ENKUlT_T0_E_clISt17integral_constantIbLb0EES15_IbLb1EEEEDaS11_S12_EUlS11_E_NS1_11comp_targetILNS1_3genE5ELNS1_11target_archE942ELNS1_3gpuE9ELNS1_3repE0EEENS1_30default_config_static_selectorELNS0_4arch9wavefront6targetE0EEEvT1_
; %bb.0:
	.section	.rodata,"a",@progbits
	.p2align	6, 0x0
	.amdhsa_kernel _ZN7rocprim17ROCPRIM_400000_NS6detail17trampoline_kernelINS0_14default_configENS1_25partition_config_selectorILNS1_17partition_subalgoE6EtNS0_10empty_typeEbEEZZNS1_14partition_implILS5_6ELb0ES3_mN6thrust23THRUST_200600_302600_NS6detail15normal_iteratorINSA_10device_ptrItEEEEPS6_SG_NS0_5tupleIJSF_S6_EEENSH_IJSG_SG_EEES6_PlJ7is_evenItEEEE10hipError_tPvRmT3_T4_T5_T6_T7_T9_mT8_P12ihipStream_tbDpT10_ENKUlT_T0_E_clISt17integral_constantIbLb0EES15_IbLb1EEEEDaS11_S12_EUlS11_E_NS1_11comp_targetILNS1_3genE5ELNS1_11target_archE942ELNS1_3gpuE9ELNS1_3repE0EEENS1_30default_config_static_selectorELNS0_4arch9wavefront6targetE0EEEvT1_
		.amdhsa_group_segment_fixed_size 0
		.amdhsa_private_segment_fixed_size 0
		.amdhsa_kernarg_size 128
		.amdhsa_user_sgpr_count 15
		.amdhsa_user_sgpr_dispatch_ptr 0
		.amdhsa_user_sgpr_queue_ptr 0
		.amdhsa_user_sgpr_kernarg_segment_ptr 1
		.amdhsa_user_sgpr_dispatch_id 0
		.amdhsa_user_sgpr_private_segment_size 0
		.amdhsa_wavefront_size32 1
		.amdhsa_uses_dynamic_stack 0
		.amdhsa_enable_private_segment 0
		.amdhsa_system_sgpr_workgroup_id_x 1
		.amdhsa_system_sgpr_workgroup_id_y 0
		.amdhsa_system_sgpr_workgroup_id_z 0
		.amdhsa_system_sgpr_workgroup_info 0
		.amdhsa_system_vgpr_workitem_id 0
		.amdhsa_next_free_vgpr 1
		.amdhsa_next_free_sgpr 1
		.amdhsa_reserve_vcc 0
		.amdhsa_float_round_mode_32 0
		.amdhsa_float_round_mode_16_64 0
		.amdhsa_float_denorm_mode_32 3
		.amdhsa_float_denorm_mode_16_64 3
		.amdhsa_dx10_clamp 1
		.amdhsa_ieee_mode 1
		.amdhsa_fp16_overflow 0
		.amdhsa_workgroup_processor_mode 1
		.amdhsa_memory_ordered 1
		.amdhsa_forward_progress 0
		.amdhsa_shared_vgpr_count 0
		.amdhsa_exception_fp_ieee_invalid_op 0
		.amdhsa_exception_fp_denorm_src 0
		.amdhsa_exception_fp_ieee_div_zero 0
		.amdhsa_exception_fp_ieee_overflow 0
		.amdhsa_exception_fp_ieee_underflow 0
		.amdhsa_exception_fp_ieee_inexact 0
		.amdhsa_exception_int_div_zero 0
	.end_amdhsa_kernel
	.section	.text._ZN7rocprim17ROCPRIM_400000_NS6detail17trampoline_kernelINS0_14default_configENS1_25partition_config_selectorILNS1_17partition_subalgoE6EtNS0_10empty_typeEbEEZZNS1_14partition_implILS5_6ELb0ES3_mN6thrust23THRUST_200600_302600_NS6detail15normal_iteratorINSA_10device_ptrItEEEEPS6_SG_NS0_5tupleIJSF_S6_EEENSH_IJSG_SG_EEES6_PlJ7is_evenItEEEE10hipError_tPvRmT3_T4_T5_T6_T7_T9_mT8_P12ihipStream_tbDpT10_ENKUlT_T0_E_clISt17integral_constantIbLb0EES15_IbLb1EEEEDaS11_S12_EUlS11_E_NS1_11comp_targetILNS1_3genE5ELNS1_11target_archE942ELNS1_3gpuE9ELNS1_3repE0EEENS1_30default_config_static_selectorELNS0_4arch9wavefront6targetE0EEEvT1_,"axG",@progbits,_ZN7rocprim17ROCPRIM_400000_NS6detail17trampoline_kernelINS0_14default_configENS1_25partition_config_selectorILNS1_17partition_subalgoE6EtNS0_10empty_typeEbEEZZNS1_14partition_implILS5_6ELb0ES3_mN6thrust23THRUST_200600_302600_NS6detail15normal_iteratorINSA_10device_ptrItEEEEPS6_SG_NS0_5tupleIJSF_S6_EEENSH_IJSG_SG_EEES6_PlJ7is_evenItEEEE10hipError_tPvRmT3_T4_T5_T6_T7_T9_mT8_P12ihipStream_tbDpT10_ENKUlT_T0_E_clISt17integral_constantIbLb0EES15_IbLb1EEEEDaS11_S12_EUlS11_E_NS1_11comp_targetILNS1_3genE5ELNS1_11target_archE942ELNS1_3gpuE9ELNS1_3repE0EEENS1_30default_config_static_selectorELNS0_4arch9wavefront6targetE0EEEvT1_,comdat
.Lfunc_end353:
	.size	_ZN7rocprim17ROCPRIM_400000_NS6detail17trampoline_kernelINS0_14default_configENS1_25partition_config_selectorILNS1_17partition_subalgoE6EtNS0_10empty_typeEbEEZZNS1_14partition_implILS5_6ELb0ES3_mN6thrust23THRUST_200600_302600_NS6detail15normal_iteratorINSA_10device_ptrItEEEEPS6_SG_NS0_5tupleIJSF_S6_EEENSH_IJSG_SG_EEES6_PlJ7is_evenItEEEE10hipError_tPvRmT3_T4_T5_T6_T7_T9_mT8_P12ihipStream_tbDpT10_ENKUlT_T0_E_clISt17integral_constantIbLb0EES15_IbLb1EEEEDaS11_S12_EUlS11_E_NS1_11comp_targetILNS1_3genE5ELNS1_11target_archE942ELNS1_3gpuE9ELNS1_3repE0EEENS1_30default_config_static_selectorELNS0_4arch9wavefront6targetE0EEEvT1_, .Lfunc_end353-_ZN7rocprim17ROCPRIM_400000_NS6detail17trampoline_kernelINS0_14default_configENS1_25partition_config_selectorILNS1_17partition_subalgoE6EtNS0_10empty_typeEbEEZZNS1_14partition_implILS5_6ELb0ES3_mN6thrust23THRUST_200600_302600_NS6detail15normal_iteratorINSA_10device_ptrItEEEEPS6_SG_NS0_5tupleIJSF_S6_EEENSH_IJSG_SG_EEES6_PlJ7is_evenItEEEE10hipError_tPvRmT3_T4_T5_T6_T7_T9_mT8_P12ihipStream_tbDpT10_ENKUlT_T0_E_clISt17integral_constantIbLb0EES15_IbLb1EEEEDaS11_S12_EUlS11_E_NS1_11comp_targetILNS1_3genE5ELNS1_11target_archE942ELNS1_3gpuE9ELNS1_3repE0EEENS1_30default_config_static_selectorELNS0_4arch9wavefront6targetE0EEEvT1_
                                        ; -- End function
	.section	.AMDGPU.csdata,"",@progbits
; Kernel info:
; codeLenInByte = 0
; NumSgprs: 0
; NumVgprs: 0
; ScratchSize: 0
; MemoryBound: 0
; FloatMode: 240
; IeeeMode: 1
; LDSByteSize: 0 bytes/workgroup (compile time only)
; SGPRBlocks: 0
; VGPRBlocks: 0
; NumSGPRsForWavesPerEU: 1
; NumVGPRsForWavesPerEU: 1
; Occupancy: 16
; WaveLimiterHint : 0
; COMPUTE_PGM_RSRC2:SCRATCH_EN: 0
; COMPUTE_PGM_RSRC2:USER_SGPR: 15
; COMPUTE_PGM_RSRC2:TRAP_HANDLER: 0
; COMPUTE_PGM_RSRC2:TGID_X_EN: 1
; COMPUTE_PGM_RSRC2:TGID_Y_EN: 0
; COMPUTE_PGM_RSRC2:TGID_Z_EN: 0
; COMPUTE_PGM_RSRC2:TIDIG_COMP_CNT: 0
	.section	.text._ZN7rocprim17ROCPRIM_400000_NS6detail17trampoline_kernelINS0_14default_configENS1_25partition_config_selectorILNS1_17partition_subalgoE6EtNS0_10empty_typeEbEEZZNS1_14partition_implILS5_6ELb0ES3_mN6thrust23THRUST_200600_302600_NS6detail15normal_iteratorINSA_10device_ptrItEEEEPS6_SG_NS0_5tupleIJSF_S6_EEENSH_IJSG_SG_EEES6_PlJ7is_evenItEEEE10hipError_tPvRmT3_T4_T5_T6_T7_T9_mT8_P12ihipStream_tbDpT10_ENKUlT_T0_E_clISt17integral_constantIbLb0EES15_IbLb1EEEEDaS11_S12_EUlS11_E_NS1_11comp_targetILNS1_3genE4ELNS1_11target_archE910ELNS1_3gpuE8ELNS1_3repE0EEENS1_30default_config_static_selectorELNS0_4arch9wavefront6targetE0EEEvT1_,"axG",@progbits,_ZN7rocprim17ROCPRIM_400000_NS6detail17trampoline_kernelINS0_14default_configENS1_25partition_config_selectorILNS1_17partition_subalgoE6EtNS0_10empty_typeEbEEZZNS1_14partition_implILS5_6ELb0ES3_mN6thrust23THRUST_200600_302600_NS6detail15normal_iteratorINSA_10device_ptrItEEEEPS6_SG_NS0_5tupleIJSF_S6_EEENSH_IJSG_SG_EEES6_PlJ7is_evenItEEEE10hipError_tPvRmT3_T4_T5_T6_T7_T9_mT8_P12ihipStream_tbDpT10_ENKUlT_T0_E_clISt17integral_constantIbLb0EES15_IbLb1EEEEDaS11_S12_EUlS11_E_NS1_11comp_targetILNS1_3genE4ELNS1_11target_archE910ELNS1_3gpuE8ELNS1_3repE0EEENS1_30default_config_static_selectorELNS0_4arch9wavefront6targetE0EEEvT1_,comdat
	.protected	_ZN7rocprim17ROCPRIM_400000_NS6detail17trampoline_kernelINS0_14default_configENS1_25partition_config_selectorILNS1_17partition_subalgoE6EtNS0_10empty_typeEbEEZZNS1_14partition_implILS5_6ELb0ES3_mN6thrust23THRUST_200600_302600_NS6detail15normal_iteratorINSA_10device_ptrItEEEEPS6_SG_NS0_5tupleIJSF_S6_EEENSH_IJSG_SG_EEES6_PlJ7is_evenItEEEE10hipError_tPvRmT3_T4_T5_T6_T7_T9_mT8_P12ihipStream_tbDpT10_ENKUlT_T0_E_clISt17integral_constantIbLb0EES15_IbLb1EEEEDaS11_S12_EUlS11_E_NS1_11comp_targetILNS1_3genE4ELNS1_11target_archE910ELNS1_3gpuE8ELNS1_3repE0EEENS1_30default_config_static_selectorELNS0_4arch9wavefront6targetE0EEEvT1_ ; -- Begin function _ZN7rocprim17ROCPRIM_400000_NS6detail17trampoline_kernelINS0_14default_configENS1_25partition_config_selectorILNS1_17partition_subalgoE6EtNS0_10empty_typeEbEEZZNS1_14partition_implILS5_6ELb0ES3_mN6thrust23THRUST_200600_302600_NS6detail15normal_iteratorINSA_10device_ptrItEEEEPS6_SG_NS0_5tupleIJSF_S6_EEENSH_IJSG_SG_EEES6_PlJ7is_evenItEEEE10hipError_tPvRmT3_T4_T5_T6_T7_T9_mT8_P12ihipStream_tbDpT10_ENKUlT_T0_E_clISt17integral_constantIbLb0EES15_IbLb1EEEEDaS11_S12_EUlS11_E_NS1_11comp_targetILNS1_3genE4ELNS1_11target_archE910ELNS1_3gpuE8ELNS1_3repE0EEENS1_30default_config_static_selectorELNS0_4arch9wavefront6targetE0EEEvT1_
	.globl	_ZN7rocprim17ROCPRIM_400000_NS6detail17trampoline_kernelINS0_14default_configENS1_25partition_config_selectorILNS1_17partition_subalgoE6EtNS0_10empty_typeEbEEZZNS1_14partition_implILS5_6ELb0ES3_mN6thrust23THRUST_200600_302600_NS6detail15normal_iteratorINSA_10device_ptrItEEEEPS6_SG_NS0_5tupleIJSF_S6_EEENSH_IJSG_SG_EEES6_PlJ7is_evenItEEEE10hipError_tPvRmT3_T4_T5_T6_T7_T9_mT8_P12ihipStream_tbDpT10_ENKUlT_T0_E_clISt17integral_constantIbLb0EES15_IbLb1EEEEDaS11_S12_EUlS11_E_NS1_11comp_targetILNS1_3genE4ELNS1_11target_archE910ELNS1_3gpuE8ELNS1_3repE0EEENS1_30default_config_static_selectorELNS0_4arch9wavefront6targetE0EEEvT1_
	.p2align	8
	.type	_ZN7rocprim17ROCPRIM_400000_NS6detail17trampoline_kernelINS0_14default_configENS1_25partition_config_selectorILNS1_17partition_subalgoE6EtNS0_10empty_typeEbEEZZNS1_14partition_implILS5_6ELb0ES3_mN6thrust23THRUST_200600_302600_NS6detail15normal_iteratorINSA_10device_ptrItEEEEPS6_SG_NS0_5tupleIJSF_S6_EEENSH_IJSG_SG_EEES6_PlJ7is_evenItEEEE10hipError_tPvRmT3_T4_T5_T6_T7_T9_mT8_P12ihipStream_tbDpT10_ENKUlT_T0_E_clISt17integral_constantIbLb0EES15_IbLb1EEEEDaS11_S12_EUlS11_E_NS1_11comp_targetILNS1_3genE4ELNS1_11target_archE910ELNS1_3gpuE8ELNS1_3repE0EEENS1_30default_config_static_selectorELNS0_4arch9wavefront6targetE0EEEvT1_,@function
_ZN7rocprim17ROCPRIM_400000_NS6detail17trampoline_kernelINS0_14default_configENS1_25partition_config_selectorILNS1_17partition_subalgoE6EtNS0_10empty_typeEbEEZZNS1_14partition_implILS5_6ELb0ES3_mN6thrust23THRUST_200600_302600_NS6detail15normal_iteratorINSA_10device_ptrItEEEEPS6_SG_NS0_5tupleIJSF_S6_EEENSH_IJSG_SG_EEES6_PlJ7is_evenItEEEE10hipError_tPvRmT3_T4_T5_T6_T7_T9_mT8_P12ihipStream_tbDpT10_ENKUlT_T0_E_clISt17integral_constantIbLb0EES15_IbLb1EEEEDaS11_S12_EUlS11_E_NS1_11comp_targetILNS1_3genE4ELNS1_11target_archE910ELNS1_3gpuE8ELNS1_3repE0EEENS1_30default_config_static_selectorELNS0_4arch9wavefront6targetE0EEEvT1_: ; @_ZN7rocprim17ROCPRIM_400000_NS6detail17trampoline_kernelINS0_14default_configENS1_25partition_config_selectorILNS1_17partition_subalgoE6EtNS0_10empty_typeEbEEZZNS1_14partition_implILS5_6ELb0ES3_mN6thrust23THRUST_200600_302600_NS6detail15normal_iteratorINSA_10device_ptrItEEEEPS6_SG_NS0_5tupleIJSF_S6_EEENSH_IJSG_SG_EEES6_PlJ7is_evenItEEEE10hipError_tPvRmT3_T4_T5_T6_T7_T9_mT8_P12ihipStream_tbDpT10_ENKUlT_T0_E_clISt17integral_constantIbLb0EES15_IbLb1EEEEDaS11_S12_EUlS11_E_NS1_11comp_targetILNS1_3genE4ELNS1_11target_archE910ELNS1_3gpuE8ELNS1_3repE0EEENS1_30default_config_static_selectorELNS0_4arch9wavefront6targetE0EEEvT1_
; %bb.0:
	.section	.rodata,"a",@progbits
	.p2align	6, 0x0
	.amdhsa_kernel _ZN7rocprim17ROCPRIM_400000_NS6detail17trampoline_kernelINS0_14default_configENS1_25partition_config_selectorILNS1_17partition_subalgoE6EtNS0_10empty_typeEbEEZZNS1_14partition_implILS5_6ELb0ES3_mN6thrust23THRUST_200600_302600_NS6detail15normal_iteratorINSA_10device_ptrItEEEEPS6_SG_NS0_5tupleIJSF_S6_EEENSH_IJSG_SG_EEES6_PlJ7is_evenItEEEE10hipError_tPvRmT3_T4_T5_T6_T7_T9_mT8_P12ihipStream_tbDpT10_ENKUlT_T0_E_clISt17integral_constantIbLb0EES15_IbLb1EEEEDaS11_S12_EUlS11_E_NS1_11comp_targetILNS1_3genE4ELNS1_11target_archE910ELNS1_3gpuE8ELNS1_3repE0EEENS1_30default_config_static_selectorELNS0_4arch9wavefront6targetE0EEEvT1_
		.amdhsa_group_segment_fixed_size 0
		.amdhsa_private_segment_fixed_size 0
		.amdhsa_kernarg_size 128
		.amdhsa_user_sgpr_count 15
		.amdhsa_user_sgpr_dispatch_ptr 0
		.amdhsa_user_sgpr_queue_ptr 0
		.amdhsa_user_sgpr_kernarg_segment_ptr 1
		.amdhsa_user_sgpr_dispatch_id 0
		.amdhsa_user_sgpr_private_segment_size 0
		.amdhsa_wavefront_size32 1
		.amdhsa_uses_dynamic_stack 0
		.amdhsa_enable_private_segment 0
		.amdhsa_system_sgpr_workgroup_id_x 1
		.amdhsa_system_sgpr_workgroup_id_y 0
		.amdhsa_system_sgpr_workgroup_id_z 0
		.amdhsa_system_sgpr_workgroup_info 0
		.amdhsa_system_vgpr_workitem_id 0
		.amdhsa_next_free_vgpr 1
		.amdhsa_next_free_sgpr 1
		.amdhsa_reserve_vcc 0
		.amdhsa_float_round_mode_32 0
		.amdhsa_float_round_mode_16_64 0
		.amdhsa_float_denorm_mode_32 3
		.amdhsa_float_denorm_mode_16_64 3
		.amdhsa_dx10_clamp 1
		.amdhsa_ieee_mode 1
		.amdhsa_fp16_overflow 0
		.amdhsa_workgroup_processor_mode 1
		.amdhsa_memory_ordered 1
		.amdhsa_forward_progress 0
		.amdhsa_shared_vgpr_count 0
		.amdhsa_exception_fp_ieee_invalid_op 0
		.amdhsa_exception_fp_denorm_src 0
		.amdhsa_exception_fp_ieee_div_zero 0
		.amdhsa_exception_fp_ieee_overflow 0
		.amdhsa_exception_fp_ieee_underflow 0
		.amdhsa_exception_fp_ieee_inexact 0
		.amdhsa_exception_int_div_zero 0
	.end_amdhsa_kernel
	.section	.text._ZN7rocprim17ROCPRIM_400000_NS6detail17trampoline_kernelINS0_14default_configENS1_25partition_config_selectorILNS1_17partition_subalgoE6EtNS0_10empty_typeEbEEZZNS1_14partition_implILS5_6ELb0ES3_mN6thrust23THRUST_200600_302600_NS6detail15normal_iteratorINSA_10device_ptrItEEEEPS6_SG_NS0_5tupleIJSF_S6_EEENSH_IJSG_SG_EEES6_PlJ7is_evenItEEEE10hipError_tPvRmT3_T4_T5_T6_T7_T9_mT8_P12ihipStream_tbDpT10_ENKUlT_T0_E_clISt17integral_constantIbLb0EES15_IbLb1EEEEDaS11_S12_EUlS11_E_NS1_11comp_targetILNS1_3genE4ELNS1_11target_archE910ELNS1_3gpuE8ELNS1_3repE0EEENS1_30default_config_static_selectorELNS0_4arch9wavefront6targetE0EEEvT1_,"axG",@progbits,_ZN7rocprim17ROCPRIM_400000_NS6detail17trampoline_kernelINS0_14default_configENS1_25partition_config_selectorILNS1_17partition_subalgoE6EtNS0_10empty_typeEbEEZZNS1_14partition_implILS5_6ELb0ES3_mN6thrust23THRUST_200600_302600_NS6detail15normal_iteratorINSA_10device_ptrItEEEEPS6_SG_NS0_5tupleIJSF_S6_EEENSH_IJSG_SG_EEES6_PlJ7is_evenItEEEE10hipError_tPvRmT3_T4_T5_T6_T7_T9_mT8_P12ihipStream_tbDpT10_ENKUlT_T0_E_clISt17integral_constantIbLb0EES15_IbLb1EEEEDaS11_S12_EUlS11_E_NS1_11comp_targetILNS1_3genE4ELNS1_11target_archE910ELNS1_3gpuE8ELNS1_3repE0EEENS1_30default_config_static_selectorELNS0_4arch9wavefront6targetE0EEEvT1_,comdat
.Lfunc_end354:
	.size	_ZN7rocprim17ROCPRIM_400000_NS6detail17trampoline_kernelINS0_14default_configENS1_25partition_config_selectorILNS1_17partition_subalgoE6EtNS0_10empty_typeEbEEZZNS1_14partition_implILS5_6ELb0ES3_mN6thrust23THRUST_200600_302600_NS6detail15normal_iteratorINSA_10device_ptrItEEEEPS6_SG_NS0_5tupleIJSF_S6_EEENSH_IJSG_SG_EEES6_PlJ7is_evenItEEEE10hipError_tPvRmT3_T4_T5_T6_T7_T9_mT8_P12ihipStream_tbDpT10_ENKUlT_T0_E_clISt17integral_constantIbLb0EES15_IbLb1EEEEDaS11_S12_EUlS11_E_NS1_11comp_targetILNS1_3genE4ELNS1_11target_archE910ELNS1_3gpuE8ELNS1_3repE0EEENS1_30default_config_static_selectorELNS0_4arch9wavefront6targetE0EEEvT1_, .Lfunc_end354-_ZN7rocprim17ROCPRIM_400000_NS6detail17trampoline_kernelINS0_14default_configENS1_25partition_config_selectorILNS1_17partition_subalgoE6EtNS0_10empty_typeEbEEZZNS1_14partition_implILS5_6ELb0ES3_mN6thrust23THRUST_200600_302600_NS6detail15normal_iteratorINSA_10device_ptrItEEEEPS6_SG_NS0_5tupleIJSF_S6_EEENSH_IJSG_SG_EEES6_PlJ7is_evenItEEEE10hipError_tPvRmT3_T4_T5_T6_T7_T9_mT8_P12ihipStream_tbDpT10_ENKUlT_T0_E_clISt17integral_constantIbLb0EES15_IbLb1EEEEDaS11_S12_EUlS11_E_NS1_11comp_targetILNS1_3genE4ELNS1_11target_archE910ELNS1_3gpuE8ELNS1_3repE0EEENS1_30default_config_static_selectorELNS0_4arch9wavefront6targetE0EEEvT1_
                                        ; -- End function
	.section	.AMDGPU.csdata,"",@progbits
; Kernel info:
; codeLenInByte = 0
; NumSgprs: 0
; NumVgprs: 0
; ScratchSize: 0
; MemoryBound: 0
; FloatMode: 240
; IeeeMode: 1
; LDSByteSize: 0 bytes/workgroup (compile time only)
; SGPRBlocks: 0
; VGPRBlocks: 0
; NumSGPRsForWavesPerEU: 1
; NumVGPRsForWavesPerEU: 1
; Occupancy: 16
; WaveLimiterHint : 0
; COMPUTE_PGM_RSRC2:SCRATCH_EN: 0
; COMPUTE_PGM_RSRC2:USER_SGPR: 15
; COMPUTE_PGM_RSRC2:TRAP_HANDLER: 0
; COMPUTE_PGM_RSRC2:TGID_X_EN: 1
; COMPUTE_PGM_RSRC2:TGID_Y_EN: 0
; COMPUTE_PGM_RSRC2:TGID_Z_EN: 0
; COMPUTE_PGM_RSRC2:TIDIG_COMP_CNT: 0
	.section	.text._ZN7rocprim17ROCPRIM_400000_NS6detail17trampoline_kernelINS0_14default_configENS1_25partition_config_selectorILNS1_17partition_subalgoE6EtNS0_10empty_typeEbEEZZNS1_14partition_implILS5_6ELb0ES3_mN6thrust23THRUST_200600_302600_NS6detail15normal_iteratorINSA_10device_ptrItEEEEPS6_SG_NS0_5tupleIJSF_S6_EEENSH_IJSG_SG_EEES6_PlJ7is_evenItEEEE10hipError_tPvRmT3_T4_T5_T6_T7_T9_mT8_P12ihipStream_tbDpT10_ENKUlT_T0_E_clISt17integral_constantIbLb0EES15_IbLb1EEEEDaS11_S12_EUlS11_E_NS1_11comp_targetILNS1_3genE3ELNS1_11target_archE908ELNS1_3gpuE7ELNS1_3repE0EEENS1_30default_config_static_selectorELNS0_4arch9wavefront6targetE0EEEvT1_,"axG",@progbits,_ZN7rocprim17ROCPRIM_400000_NS6detail17trampoline_kernelINS0_14default_configENS1_25partition_config_selectorILNS1_17partition_subalgoE6EtNS0_10empty_typeEbEEZZNS1_14partition_implILS5_6ELb0ES3_mN6thrust23THRUST_200600_302600_NS6detail15normal_iteratorINSA_10device_ptrItEEEEPS6_SG_NS0_5tupleIJSF_S6_EEENSH_IJSG_SG_EEES6_PlJ7is_evenItEEEE10hipError_tPvRmT3_T4_T5_T6_T7_T9_mT8_P12ihipStream_tbDpT10_ENKUlT_T0_E_clISt17integral_constantIbLb0EES15_IbLb1EEEEDaS11_S12_EUlS11_E_NS1_11comp_targetILNS1_3genE3ELNS1_11target_archE908ELNS1_3gpuE7ELNS1_3repE0EEENS1_30default_config_static_selectorELNS0_4arch9wavefront6targetE0EEEvT1_,comdat
	.protected	_ZN7rocprim17ROCPRIM_400000_NS6detail17trampoline_kernelINS0_14default_configENS1_25partition_config_selectorILNS1_17partition_subalgoE6EtNS0_10empty_typeEbEEZZNS1_14partition_implILS5_6ELb0ES3_mN6thrust23THRUST_200600_302600_NS6detail15normal_iteratorINSA_10device_ptrItEEEEPS6_SG_NS0_5tupleIJSF_S6_EEENSH_IJSG_SG_EEES6_PlJ7is_evenItEEEE10hipError_tPvRmT3_T4_T5_T6_T7_T9_mT8_P12ihipStream_tbDpT10_ENKUlT_T0_E_clISt17integral_constantIbLb0EES15_IbLb1EEEEDaS11_S12_EUlS11_E_NS1_11comp_targetILNS1_3genE3ELNS1_11target_archE908ELNS1_3gpuE7ELNS1_3repE0EEENS1_30default_config_static_selectorELNS0_4arch9wavefront6targetE0EEEvT1_ ; -- Begin function _ZN7rocprim17ROCPRIM_400000_NS6detail17trampoline_kernelINS0_14default_configENS1_25partition_config_selectorILNS1_17partition_subalgoE6EtNS0_10empty_typeEbEEZZNS1_14partition_implILS5_6ELb0ES3_mN6thrust23THRUST_200600_302600_NS6detail15normal_iteratorINSA_10device_ptrItEEEEPS6_SG_NS0_5tupleIJSF_S6_EEENSH_IJSG_SG_EEES6_PlJ7is_evenItEEEE10hipError_tPvRmT3_T4_T5_T6_T7_T9_mT8_P12ihipStream_tbDpT10_ENKUlT_T0_E_clISt17integral_constantIbLb0EES15_IbLb1EEEEDaS11_S12_EUlS11_E_NS1_11comp_targetILNS1_3genE3ELNS1_11target_archE908ELNS1_3gpuE7ELNS1_3repE0EEENS1_30default_config_static_selectorELNS0_4arch9wavefront6targetE0EEEvT1_
	.globl	_ZN7rocprim17ROCPRIM_400000_NS6detail17trampoline_kernelINS0_14default_configENS1_25partition_config_selectorILNS1_17partition_subalgoE6EtNS0_10empty_typeEbEEZZNS1_14partition_implILS5_6ELb0ES3_mN6thrust23THRUST_200600_302600_NS6detail15normal_iteratorINSA_10device_ptrItEEEEPS6_SG_NS0_5tupleIJSF_S6_EEENSH_IJSG_SG_EEES6_PlJ7is_evenItEEEE10hipError_tPvRmT3_T4_T5_T6_T7_T9_mT8_P12ihipStream_tbDpT10_ENKUlT_T0_E_clISt17integral_constantIbLb0EES15_IbLb1EEEEDaS11_S12_EUlS11_E_NS1_11comp_targetILNS1_3genE3ELNS1_11target_archE908ELNS1_3gpuE7ELNS1_3repE0EEENS1_30default_config_static_selectorELNS0_4arch9wavefront6targetE0EEEvT1_
	.p2align	8
	.type	_ZN7rocprim17ROCPRIM_400000_NS6detail17trampoline_kernelINS0_14default_configENS1_25partition_config_selectorILNS1_17partition_subalgoE6EtNS0_10empty_typeEbEEZZNS1_14partition_implILS5_6ELb0ES3_mN6thrust23THRUST_200600_302600_NS6detail15normal_iteratorINSA_10device_ptrItEEEEPS6_SG_NS0_5tupleIJSF_S6_EEENSH_IJSG_SG_EEES6_PlJ7is_evenItEEEE10hipError_tPvRmT3_T4_T5_T6_T7_T9_mT8_P12ihipStream_tbDpT10_ENKUlT_T0_E_clISt17integral_constantIbLb0EES15_IbLb1EEEEDaS11_S12_EUlS11_E_NS1_11comp_targetILNS1_3genE3ELNS1_11target_archE908ELNS1_3gpuE7ELNS1_3repE0EEENS1_30default_config_static_selectorELNS0_4arch9wavefront6targetE0EEEvT1_,@function
_ZN7rocprim17ROCPRIM_400000_NS6detail17trampoline_kernelINS0_14default_configENS1_25partition_config_selectorILNS1_17partition_subalgoE6EtNS0_10empty_typeEbEEZZNS1_14partition_implILS5_6ELb0ES3_mN6thrust23THRUST_200600_302600_NS6detail15normal_iteratorINSA_10device_ptrItEEEEPS6_SG_NS0_5tupleIJSF_S6_EEENSH_IJSG_SG_EEES6_PlJ7is_evenItEEEE10hipError_tPvRmT3_T4_T5_T6_T7_T9_mT8_P12ihipStream_tbDpT10_ENKUlT_T0_E_clISt17integral_constantIbLb0EES15_IbLb1EEEEDaS11_S12_EUlS11_E_NS1_11comp_targetILNS1_3genE3ELNS1_11target_archE908ELNS1_3gpuE7ELNS1_3repE0EEENS1_30default_config_static_selectorELNS0_4arch9wavefront6targetE0EEEvT1_: ; @_ZN7rocprim17ROCPRIM_400000_NS6detail17trampoline_kernelINS0_14default_configENS1_25partition_config_selectorILNS1_17partition_subalgoE6EtNS0_10empty_typeEbEEZZNS1_14partition_implILS5_6ELb0ES3_mN6thrust23THRUST_200600_302600_NS6detail15normal_iteratorINSA_10device_ptrItEEEEPS6_SG_NS0_5tupleIJSF_S6_EEENSH_IJSG_SG_EEES6_PlJ7is_evenItEEEE10hipError_tPvRmT3_T4_T5_T6_T7_T9_mT8_P12ihipStream_tbDpT10_ENKUlT_T0_E_clISt17integral_constantIbLb0EES15_IbLb1EEEEDaS11_S12_EUlS11_E_NS1_11comp_targetILNS1_3genE3ELNS1_11target_archE908ELNS1_3gpuE7ELNS1_3repE0EEENS1_30default_config_static_selectorELNS0_4arch9wavefront6targetE0EEEvT1_
; %bb.0:
	.section	.rodata,"a",@progbits
	.p2align	6, 0x0
	.amdhsa_kernel _ZN7rocprim17ROCPRIM_400000_NS6detail17trampoline_kernelINS0_14default_configENS1_25partition_config_selectorILNS1_17partition_subalgoE6EtNS0_10empty_typeEbEEZZNS1_14partition_implILS5_6ELb0ES3_mN6thrust23THRUST_200600_302600_NS6detail15normal_iteratorINSA_10device_ptrItEEEEPS6_SG_NS0_5tupleIJSF_S6_EEENSH_IJSG_SG_EEES6_PlJ7is_evenItEEEE10hipError_tPvRmT3_T4_T5_T6_T7_T9_mT8_P12ihipStream_tbDpT10_ENKUlT_T0_E_clISt17integral_constantIbLb0EES15_IbLb1EEEEDaS11_S12_EUlS11_E_NS1_11comp_targetILNS1_3genE3ELNS1_11target_archE908ELNS1_3gpuE7ELNS1_3repE0EEENS1_30default_config_static_selectorELNS0_4arch9wavefront6targetE0EEEvT1_
		.amdhsa_group_segment_fixed_size 0
		.amdhsa_private_segment_fixed_size 0
		.amdhsa_kernarg_size 128
		.amdhsa_user_sgpr_count 15
		.amdhsa_user_sgpr_dispatch_ptr 0
		.amdhsa_user_sgpr_queue_ptr 0
		.amdhsa_user_sgpr_kernarg_segment_ptr 1
		.amdhsa_user_sgpr_dispatch_id 0
		.amdhsa_user_sgpr_private_segment_size 0
		.amdhsa_wavefront_size32 1
		.amdhsa_uses_dynamic_stack 0
		.amdhsa_enable_private_segment 0
		.amdhsa_system_sgpr_workgroup_id_x 1
		.amdhsa_system_sgpr_workgroup_id_y 0
		.amdhsa_system_sgpr_workgroup_id_z 0
		.amdhsa_system_sgpr_workgroup_info 0
		.amdhsa_system_vgpr_workitem_id 0
		.amdhsa_next_free_vgpr 1
		.amdhsa_next_free_sgpr 1
		.amdhsa_reserve_vcc 0
		.amdhsa_float_round_mode_32 0
		.amdhsa_float_round_mode_16_64 0
		.amdhsa_float_denorm_mode_32 3
		.amdhsa_float_denorm_mode_16_64 3
		.amdhsa_dx10_clamp 1
		.amdhsa_ieee_mode 1
		.amdhsa_fp16_overflow 0
		.amdhsa_workgroup_processor_mode 1
		.amdhsa_memory_ordered 1
		.amdhsa_forward_progress 0
		.amdhsa_shared_vgpr_count 0
		.amdhsa_exception_fp_ieee_invalid_op 0
		.amdhsa_exception_fp_denorm_src 0
		.amdhsa_exception_fp_ieee_div_zero 0
		.amdhsa_exception_fp_ieee_overflow 0
		.amdhsa_exception_fp_ieee_underflow 0
		.amdhsa_exception_fp_ieee_inexact 0
		.amdhsa_exception_int_div_zero 0
	.end_amdhsa_kernel
	.section	.text._ZN7rocprim17ROCPRIM_400000_NS6detail17trampoline_kernelINS0_14default_configENS1_25partition_config_selectorILNS1_17partition_subalgoE6EtNS0_10empty_typeEbEEZZNS1_14partition_implILS5_6ELb0ES3_mN6thrust23THRUST_200600_302600_NS6detail15normal_iteratorINSA_10device_ptrItEEEEPS6_SG_NS0_5tupleIJSF_S6_EEENSH_IJSG_SG_EEES6_PlJ7is_evenItEEEE10hipError_tPvRmT3_T4_T5_T6_T7_T9_mT8_P12ihipStream_tbDpT10_ENKUlT_T0_E_clISt17integral_constantIbLb0EES15_IbLb1EEEEDaS11_S12_EUlS11_E_NS1_11comp_targetILNS1_3genE3ELNS1_11target_archE908ELNS1_3gpuE7ELNS1_3repE0EEENS1_30default_config_static_selectorELNS0_4arch9wavefront6targetE0EEEvT1_,"axG",@progbits,_ZN7rocprim17ROCPRIM_400000_NS6detail17trampoline_kernelINS0_14default_configENS1_25partition_config_selectorILNS1_17partition_subalgoE6EtNS0_10empty_typeEbEEZZNS1_14partition_implILS5_6ELb0ES3_mN6thrust23THRUST_200600_302600_NS6detail15normal_iteratorINSA_10device_ptrItEEEEPS6_SG_NS0_5tupleIJSF_S6_EEENSH_IJSG_SG_EEES6_PlJ7is_evenItEEEE10hipError_tPvRmT3_T4_T5_T6_T7_T9_mT8_P12ihipStream_tbDpT10_ENKUlT_T0_E_clISt17integral_constantIbLb0EES15_IbLb1EEEEDaS11_S12_EUlS11_E_NS1_11comp_targetILNS1_3genE3ELNS1_11target_archE908ELNS1_3gpuE7ELNS1_3repE0EEENS1_30default_config_static_selectorELNS0_4arch9wavefront6targetE0EEEvT1_,comdat
.Lfunc_end355:
	.size	_ZN7rocprim17ROCPRIM_400000_NS6detail17trampoline_kernelINS0_14default_configENS1_25partition_config_selectorILNS1_17partition_subalgoE6EtNS0_10empty_typeEbEEZZNS1_14partition_implILS5_6ELb0ES3_mN6thrust23THRUST_200600_302600_NS6detail15normal_iteratorINSA_10device_ptrItEEEEPS6_SG_NS0_5tupleIJSF_S6_EEENSH_IJSG_SG_EEES6_PlJ7is_evenItEEEE10hipError_tPvRmT3_T4_T5_T6_T7_T9_mT8_P12ihipStream_tbDpT10_ENKUlT_T0_E_clISt17integral_constantIbLb0EES15_IbLb1EEEEDaS11_S12_EUlS11_E_NS1_11comp_targetILNS1_3genE3ELNS1_11target_archE908ELNS1_3gpuE7ELNS1_3repE0EEENS1_30default_config_static_selectorELNS0_4arch9wavefront6targetE0EEEvT1_, .Lfunc_end355-_ZN7rocprim17ROCPRIM_400000_NS6detail17trampoline_kernelINS0_14default_configENS1_25partition_config_selectorILNS1_17partition_subalgoE6EtNS0_10empty_typeEbEEZZNS1_14partition_implILS5_6ELb0ES3_mN6thrust23THRUST_200600_302600_NS6detail15normal_iteratorINSA_10device_ptrItEEEEPS6_SG_NS0_5tupleIJSF_S6_EEENSH_IJSG_SG_EEES6_PlJ7is_evenItEEEE10hipError_tPvRmT3_T4_T5_T6_T7_T9_mT8_P12ihipStream_tbDpT10_ENKUlT_T0_E_clISt17integral_constantIbLb0EES15_IbLb1EEEEDaS11_S12_EUlS11_E_NS1_11comp_targetILNS1_3genE3ELNS1_11target_archE908ELNS1_3gpuE7ELNS1_3repE0EEENS1_30default_config_static_selectorELNS0_4arch9wavefront6targetE0EEEvT1_
                                        ; -- End function
	.section	.AMDGPU.csdata,"",@progbits
; Kernel info:
; codeLenInByte = 0
; NumSgprs: 0
; NumVgprs: 0
; ScratchSize: 0
; MemoryBound: 0
; FloatMode: 240
; IeeeMode: 1
; LDSByteSize: 0 bytes/workgroup (compile time only)
; SGPRBlocks: 0
; VGPRBlocks: 0
; NumSGPRsForWavesPerEU: 1
; NumVGPRsForWavesPerEU: 1
; Occupancy: 16
; WaveLimiterHint : 0
; COMPUTE_PGM_RSRC2:SCRATCH_EN: 0
; COMPUTE_PGM_RSRC2:USER_SGPR: 15
; COMPUTE_PGM_RSRC2:TRAP_HANDLER: 0
; COMPUTE_PGM_RSRC2:TGID_X_EN: 1
; COMPUTE_PGM_RSRC2:TGID_Y_EN: 0
; COMPUTE_PGM_RSRC2:TGID_Z_EN: 0
; COMPUTE_PGM_RSRC2:TIDIG_COMP_CNT: 0
	.section	.text._ZN7rocprim17ROCPRIM_400000_NS6detail17trampoline_kernelINS0_14default_configENS1_25partition_config_selectorILNS1_17partition_subalgoE6EtNS0_10empty_typeEbEEZZNS1_14partition_implILS5_6ELb0ES3_mN6thrust23THRUST_200600_302600_NS6detail15normal_iteratorINSA_10device_ptrItEEEEPS6_SG_NS0_5tupleIJSF_S6_EEENSH_IJSG_SG_EEES6_PlJ7is_evenItEEEE10hipError_tPvRmT3_T4_T5_T6_T7_T9_mT8_P12ihipStream_tbDpT10_ENKUlT_T0_E_clISt17integral_constantIbLb0EES15_IbLb1EEEEDaS11_S12_EUlS11_E_NS1_11comp_targetILNS1_3genE2ELNS1_11target_archE906ELNS1_3gpuE6ELNS1_3repE0EEENS1_30default_config_static_selectorELNS0_4arch9wavefront6targetE0EEEvT1_,"axG",@progbits,_ZN7rocprim17ROCPRIM_400000_NS6detail17trampoline_kernelINS0_14default_configENS1_25partition_config_selectorILNS1_17partition_subalgoE6EtNS0_10empty_typeEbEEZZNS1_14partition_implILS5_6ELb0ES3_mN6thrust23THRUST_200600_302600_NS6detail15normal_iteratorINSA_10device_ptrItEEEEPS6_SG_NS0_5tupleIJSF_S6_EEENSH_IJSG_SG_EEES6_PlJ7is_evenItEEEE10hipError_tPvRmT3_T4_T5_T6_T7_T9_mT8_P12ihipStream_tbDpT10_ENKUlT_T0_E_clISt17integral_constantIbLb0EES15_IbLb1EEEEDaS11_S12_EUlS11_E_NS1_11comp_targetILNS1_3genE2ELNS1_11target_archE906ELNS1_3gpuE6ELNS1_3repE0EEENS1_30default_config_static_selectorELNS0_4arch9wavefront6targetE0EEEvT1_,comdat
	.protected	_ZN7rocprim17ROCPRIM_400000_NS6detail17trampoline_kernelINS0_14default_configENS1_25partition_config_selectorILNS1_17partition_subalgoE6EtNS0_10empty_typeEbEEZZNS1_14partition_implILS5_6ELb0ES3_mN6thrust23THRUST_200600_302600_NS6detail15normal_iteratorINSA_10device_ptrItEEEEPS6_SG_NS0_5tupleIJSF_S6_EEENSH_IJSG_SG_EEES6_PlJ7is_evenItEEEE10hipError_tPvRmT3_T4_T5_T6_T7_T9_mT8_P12ihipStream_tbDpT10_ENKUlT_T0_E_clISt17integral_constantIbLb0EES15_IbLb1EEEEDaS11_S12_EUlS11_E_NS1_11comp_targetILNS1_3genE2ELNS1_11target_archE906ELNS1_3gpuE6ELNS1_3repE0EEENS1_30default_config_static_selectorELNS0_4arch9wavefront6targetE0EEEvT1_ ; -- Begin function _ZN7rocprim17ROCPRIM_400000_NS6detail17trampoline_kernelINS0_14default_configENS1_25partition_config_selectorILNS1_17partition_subalgoE6EtNS0_10empty_typeEbEEZZNS1_14partition_implILS5_6ELb0ES3_mN6thrust23THRUST_200600_302600_NS6detail15normal_iteratorINSA_10device_ptrItEEEEPS6_SG_NS0_5tupleIJSF_S6_EEENSH_IJSG_SG_EEES6_PlJ7is_evenItEEEE10hipError_tPvRmT3_T4_T5_T6_T7_T9_mT8_P12ihipStream_tbDpT10_ENKUlT_T0_E_clISt17integral_constantIbLb0EES15_IbLb1EEEEDaS11_S12_EUlS11_E_NS1_11comp_targetILNS1_3genE2ELNS1_11target_archE906ELNS1_3gpuE6ELNS1_3repE0EEENS1_30default_config_static_selectorELNS0_4arch9wavefront6targetE0EEEvT1_
	.globl	_ZN7rocprim17ROCPRIM_400000_NS6detail17trampoline_kernelINS0_14default_configENS1_25partition_config_selectorILNS1_17partition_subalgoE6EtNS0_10empty_typeEbEEZZNS1_14partition_implILS5_6ELb0ES3_mN6thrust23THRUST_200600_302600_NS6detail15normal_iteratorINSA_10device_ptrItEEEEPS6_SG_NS0_5tupleIJSF_S6_EEENSH_IJSG_SG_EEES6_PlJ7is_evenItEEEE10hipError_tPvRmT3_T4_T5_T6_T7_T9_mT8_P12ihipStream_tbDpT10_ENKUlT_T0_E_clISt17integral_constantIbLb0EES15_IbLb1EEEEDaS11_S12_EUlS11_E_NS1_11comp_targetILNS1_3genE2ELNS1_11target_archE906ELNS1_3gpuE6ELNS1_3repE0EEENS1_30default_config_static_selectorELNS0_4arch9wavefront6targetE0EEEvT1_
	.p2align	8
	.type	_ZN7rocprim17ROCPRIM_400000_NS6detail17trampoline_kernelINS0_14default_configENS1_25partition_config_selectorILNS1_17partition_subalgoE6EtNS0_10empty_typeEbEEZZNS1_14partition_implILS5_6ELb0ES3_mN6thrust23THRUST_200600_302600_NS6detail15normal_iteratorINSA_10device_ptrItEEEEPS6_SG_NS0_5tupleIJSF_S6_EEENSH_IJSG_SG_EEES6_PlJ7is_evenItEEEE10hipError_tPvRmT3_T4_T5_T6_T7_T9_mT8_P12ihipStream_tbDpT10_ENKUlT_T0_E_clISt17integral_constantIbLb0EES15_IbLb1EEEEDaS11_S12_EUlS11_E_NS1_11comp_targetILNS1_3genE2ELNS1_11target_archE906ELNS1_3gpuE6ELNS1_3repE0EEENS1_30default_config_static_selectorELNS0_4arch9wavefront6targetE0EEEvT1_,@function
_ZN7rocprim17ROCPRIM_400000_NS6detail17trampoline_kernelINS0_14default_configENS1_25partition_config_selectorILNS1_17partition_subalgoE6EtNS0_10empty_typeEbEEZZNS1_14partition_implILS5_6ELb0ES3_mN6thrust23THRUST_200600_302600_NS6detail15normal_iteratorINSA_10device_ptrItEEEEPS6_SG_NS0_5tupleIJSF_S6_EEENSH_IJSG_SG_EEES6_PlJ7is_evenItEEEE10hipError_tPvRmT3_T4_T5_T6_T7_T9_mT8_P12ihipStream_tbDpT10_ENKUlT_T0_E_clISt17integral_constantIbLb0EES15_IbLb1EEEEDaS11_S12_EUlS11_E_NS1_11comp_targetILNS1_3genE2ELNS1_11target_archE906ELNS1_3gpuE6ELNS1_3repE0EEENS1_30default_config_static_selectorELNS0_4arch9wavefront6targetE0EEEvT1_: ; @_ZN7rocprim17ROCPRIM_400000_NS6detail17trampoline_kernelINS0_14default_configENS1_25partition_config_selectorILNS1_17partition_subalgoE6EtNS0_10empty_typeEbEEZZNS1_14partition_implILS5_6ELb0ES3_mN6thrust23THRUST_200600_302600_NS6detail15normal_iteratorINSA_10device_ptrItEEEEPS6_SG_NS0_5tupleIJSF_S6_EEENSH_IJSG_SG_EEES6_PlJ7is_evenItEEEE10hipError_tPvRmT3_T4_T5_T6_T7_T9_mT8_P12ihipStream_tbDpT10_ENKUlT_T0_E_clISt17integral_constantIbLb0EES15_IbLb1EEEEDaS11_S12_EUlS11_E_NS1_11comp_targetILNS1_3genE2ELNS1_11target_archE906ELNS1_3gpuE6ELNS1_3repE0EEENS1_30default_config_static_selectorELNS0_4arch9wavefront6targetE0EEEvT1_
; %bb.0:
	.section	.rodata,"a",@progbits
	.p2align	6, 0x0
	.amdhsa_kernel _ZN7rocprim17ROCPRIM_400000_NS6detail17trampoline_kernelINS0_14default_configENS1_25partition_config_selectorILNS1_17partition_subalgoE6EtNS0_10empty_typeEbEEZZNS1_14partition_implILS5_6ELb0ES3_mN6thrust23THRUST_200600_302600_NS6detail15normal_iteratorINSA_10device_ptrItEEEEPS6_SG_NS0_5tupleIJSF_S6_EEENSH_IJSG_SG_EEES6_PlJ7is_evenItEEEE10hipError_tPvRmT3_T4_T5_T6_T7_T9_mT8_P12ihipStream_tbDpT10_ENKUlT_T0_E_clISt17integral_constantIbLb0EES15_IbLb1EEEEDaS11_S12_EUlS11_E_NS1_11comp_targetILNS1_3genE2ELNS1_11target_archE906ELNS1_3gpuE6ELNS1_3repE0EEENS1_30default_config_static_selectorELNS0_4arch9wavefront6targetE0EEEvT1_
		.amdhsa_group_segment_fixed_size 0
		.amdhsa_private_segment_fixed_size 0
		.amdhsa_kernarg_size 128
		.amdhsa_user_sgpr_count 15
		.amdhsa_user_sgpr_dispatch_ptr 0
		.amdhsa_user_sgpr_queue_ptr 0
		.amdhsa_user_sgpr_kernarg_segment_ptr 1
		.amdhsa_user_sgpr_dispatch_id 0
		.amdhsa_user_sgpr_private_segment_size 0
		.amdhsa_wavefront_size32 1
		.amdhsa_uses_dynamic_stack 0
		.amdhsa_enable_private_segment 0
		.amdhsa_system_sgpr_workgroup_id_x 1
		.amdhsa_system_sgpr_workgroup_id_y 0
		.amdhsa_system_sgpr_workgroup_id_z 0
		.amdhsa_system_sgpr_workgroup_info 0
		.amdhsa_system_vgpr_workitem_id 0
		.amdhsa_next_free_vgpr 1
		.amdhsa_next_free_sgpr 1
		.amdhsa_reserve_vcc 0
		.amdhsa_float_round_mode_32 0
		.amdhsa_float_round_mode_16_64 0
		.amdhsa_float_denorm_mode_32 3
		.amdhsa_float_denorm_mode_16_64 3
		.amdhsa_dx10_clamp 1
		.amdhsa_ieee_mode 1
		.amdhsa_fp16_overflow 0
		.amdhsa_workgroup_processor_mode 1
		.amdhsa_memory_ordered 1
		.amdhsa_forward_progress 0
		.amdhsa_shared_vgpr_count 0
		.amdhsa_exception_fp_ieee_invalid_op 0
		.amdhsa_exception_fp_denorm_src 0
		.amdhsa_exception_fp_ieee_div_zero 0
		.amdhsa_exception_fp_ieee_overflow 0
		.amdhsa_exception_fp_ieee_underflow 0
		.amdhsa_exception_fp_ieee_inexact 0
		.amdhsa_exception_int_div_zero 0
	.end_amdhsa_kernel
	.section	.text._ZN7rocprim17ROCPRIM_400000_NS6detail17trampoline_kernelINS0_14default_configENS1_25partition_config_selectorILNS1_17partition_subalgoE6EtNS0_10empty_typeEbEEZZNS1_14partition_implILS5_6ELb0ES3_mN6thrust23THRUST_200600_302600_NS6detail15normal_iteratorINSA_10device_ptrItEEEEPS6_SG_NS0_5tupleIJSF_S6_EEENSH_IJSG_SG_EEES6_PlJ7is_evenItEEEE10hipError_tPvRmT3_T4_T5_T6_T7_T9_mT8_P12ihipStream_tbDpT10_ENKUlT_T0_E_clISt17integral_constantIbLb0EES15_IbLb1EEEEDaS11_S12_EUlS11_E_NS1_11comp_targetILNS1_3genE2ELNS1_11target_archE906ELNS1_3gpuE6ELNS1_3repE0EEENS1_30default_config_static_selectorELNS0_4arch9wavefront6targetE0EEEvT1_,"axG",@progbits,_ZN7rocprim17ROCPRIM_400000_NS6detail17trampoline_kernelINS0_14default_configENS1_25partition_config_selectorILNS1_17partition_subalgoE6EtNS0_10empty_typeEbEEZZNS1_14partition_implILS5_6ELb0ES3_mN6thrust23THRUST_200600_302600_NS6detail15normal_iteratorINSA_10device_ptrItEEEEPS6_SG_NS0_5tupleIJSF_S6_EEENSH_IJSG_SG_EEES6_PlJ7is_evenItEEEE10hipError_tPvRmT3_T4_T5_T6_T7_T9_mT8_P12ihipStream_tbDpT10_ENKUlT_T0_E_clISt17integral_constantIbLb0EES15_IbLb1EEEEDaS11_S12_EUlS11_E_NS1_11comp_targetILNS1_3genE2ELNS1_11target_archE906ELNS1_3gpuE6ELNS1_3repE0EEENS1_30default_config_static_selectorELNS0_4arch9wavefront6targetE0EEEvT1_,comdat
.Lfunc_end356:
	.size	_ZN7rocprim17ROCPRIM_400000_NS6detail17trampoline_kernelINS0_14default_configENS1_25partition_config_selectorILNS1_17partition_subalgoE6EtNS0_10empty_typeEbEEZZNS1_14partition_implILS5_6ELb0ES3_mN6thrust23THRUST_200600_302600_NS6detail15normal_iteratorINSA_10device_ptrItEEEEPS6_SG_NS0_5tupleIJSF_S6_EEENSH_IJSG_SG_EEES6_PlJ7is_evenItEEEE10hipError_tPvRmT3_T4_T5_T6_T7_T9_mT8_P12ihipStream_tbDpT10_ENKUlT_T0_E_clISt17integral_constantIbLb0EES15_IbLb1EEEEDaS11_S12_EUlS11_E_NS1_11comp_targetILNS1_3genE2ELNS1_11target_archE906ELNS1_3gpuE6ELNS1_3repE0EEENS1_30default_config_static_selectorELNS0_4arch9wavefront6targetE0EEEvT1_, .Lfunc_end356-_ZN7rocprim17ROCPRIM_400000_NS6detail17trampoline_kernelINS0_14default_configENS1_25partition_config_selectorILNS1_17partition_subalgoE6EtNS0_10empty_typeEbEEZZNS1_14partition_implILS5_6ELb0ES3_mN6thrust23THRUST_200600_302600_NS6detail15normal_iteratorINSA_10device_ptrItEEEEPS6_SG_NS0_5tupleIJSF_S6_EEENSH_IJSG_SG_EEES6_PlJ7is_evenItEEEE10hipError_tPvRmT3_T4_T5_T6_T7_T9_mT8_P12ihipStream_tbDpT10_ENKUlT_T0_E_clISt17integral_constantIbLb0EES15_IbLb1EEEEDaS11_S12_EUlS11_E_NS1_11comp_targetILNS1_3genE2ELNS1_11target_archE906ELNS1_3gpuE6ELNS1_3repE0EEENS1_30default_config_static_selectorELNS0_4arch9wavefront6targetE0EEEvT1_
                                        ; -- End function
	.section	.AMDGPU.csdata,"",@progbits
; Kernel info:
; codeLenInByte = 0
; NumSgprs: 0
; NumVgprs: 0
; ScratchSize: 0
; MemoryBound: 0
; FloatMode: 240
; IeeeMode: 1
; LDSByteSize: 0 bytes/workgroup (compile time only)
; SGPRBlocks: 0
; VGPRBlocks: 0
; NumSGPRsForWavesPerEU: 1
; NumVGPRsForWavesPerEU: 1
; Occupancy: 16
; WaveLimiterHint : 0
; COMPUTE_PGM_RSRC2:SCRATCH_EN: 0
; COMPUTE_PGM_RSRC2:USER_SGPR: 15
; COMPUTE_PGM_RSRC2:TRAP_HANDLER: 0
; COMPUTE_PGM_RSRC2:TGID_X_EN: 1
; COMPUTE_PGM_RSRC2:TGID_Y_EN: 0
; COMPUTE_PGM_RSRC2:TGID_Z_EN: 0
; COMPUTE_PGM_RSRC2:TIDIG_COMP_CNT: 0
	.section	.text._ZN7rocprim17ROCPRIM_400000_NS6detail17trampoline_kernelINS0_14default_configENS1_25partition_config_selectorILNS1_17partition_subalgoE6EtNS0_10empty_typeEbEEZZNS1_14partition_implILS5_6ELb0ES3_mN6thrust23THRUST_200600_302600_NS6detail15normal_iteratorINSA_10device_ptrItEEEEPS6_SG_NS0_5tupleIJSF_S6_EEENSH_IJSG_SG_EEES6_PlJ7is_evenItEEEE10hipError_tPvRmT3_T4_T5_T6_T7_T9_mT8_P12ihipStream_tbDpT10_ENKUlT_T0_E_clISt17integral_constantIbLb0EES15_IbLb1EEEEDaS11_S12_EUlS11_E_NS1_11comp_targetILNS1_3genE10ELNS1_11target_archE1200ELNS1_3gpuE4ELNS1_3repE0EEENS1_30default_config_static_selectorELNS0_4arch9wavefront6targetE0EEEvT1_,"axG",@progbits,_ZN7rocprim17ROCPRIM_400000_NS6detail17trampoline_kernelINS0_14default_configENS1_25partition_config_selectorILNS1_17partition_subalgoE6EtNS0_10empty_typeEbEEZZNS1_14partition_implILS5_6ELb0ES3_mN6thrust23THRUST_200600_302600_NS6detail15normal_iteratorINSA_10device_ptrItEEEEPS6_SG_NS0_5tupleIJSF_S6_EEENSH_IJSG_SG_EEES6_PlJ7is_evenItEEEE10hipError_tPvRmT3_T4_T5_T6_T7_T9_mT8_P12ihipStream_tbDpT10_ENKUlT_T0_E_clISt17integral_constantIbLb0EES15_IbLb1EEEEDaS11_S12_EUlS11_E_NS1_11comp_targetILNS1_3genE10ELNS1_11target_archE1200ELNS1_3gpuE4ELNS1_3repE0EEENS1_30default_config_static_selectorELNS0_4arch9wavefront6targetE0EEEvT1_,comdat
	.protected	_ZN7rocprim17ROCPRIM_400000_NS6detail17trampoline_kernelINS0_14default_configENS1_25partition_config_selectorILNS1_17partition_subalgoE6EtNS0_10empty_typeEbEEZZNS1_14partition_implILS5_6ELb0ES3_mN6thrust23THRUST_200600_302600_NS6detail15normal_iteratorINSA_10device_ptrItEEEEPS6_SG_NS0_5tupleIJSF_S6_EEENSH_IJSG_SG_EEES6_PlJ7is_evenItEEEE10hipError_tPvRmT3_T4_T5_T6_T7_T9_mT8_P12ihipStream_tbDpT10_ENKUlT_T0_E_clISt17integral_constantIbLb0EES15_IbLb1EEEEDaS11_S12_EUlS11_E_NS1_11comp_targetILNS1_3genE10ELNS1_11target_archE1200ELNS1_3gpuE4ELNS1_3repE0EEENS1_30default_config_static_selectorELNS0_4arch9wavefront6targetE0EEEvT1_ ; -- Begin function _ZN7rocprim17ROCPRIM_400000_NS6detail17trampoline_kernelINS0_14default_configENS1_25partition_config_selectorILNS1_17partition_subalgoE6EtNS0_10empty_typeEbEEZZNS1_14partition_implILS5_6ELb0ES3_mN6thrust23THRUST_200600_302600_NS6detail15normal_iteratorINSA_10device_ptrItEEEEPS6_SG_NS0_5tupleIJSF_S6_EEENSH_IJSG_SG_EEES6_PlJ7is_evenItEEEE10hipError_tPvRmT3_T4_T5_T6_T7_T9_mT8_P12ihipStream_tbDpT10_ENKUlT_T0_E_clISt17integral_constantIbLb0EES15_IbLb1EEEEDaS11_S12_EUlS11_E_NS1_11comp_targetILNS1_3genE10ELNS1_11target_archE1200ELNS1_3gpuE4ELNS1_3repE0EEENS1_30default_config_static_selectorELNS0_4arch9wavefront6targetE0EEEvT1_
	.globl	_ZN7rocprim17ROCPRIM_400000_NS6detail17trampoline_kernelINS0_14default_configENS1_25partition_config_selectorILNS1_17partition_subalgoE6EtNS0_10empty_typeEbEEZZNS1_14partition_implILS5_6ELb0ES3_mN6thrust23THRUST_200600_302600_NS6detail15normal_iteratorINSA_10device_ptrItEEEEPS6_SG_NS0_5tupleIJSF_S6_EEENSH_IJSG_SG_EEES6_PlJ7is_evenItEEEE10hipError_tPvRmT3_T4_T5_T6_T7_T9_mT8_P12ihipStream_tbDpT10_ENKUlT_T0_E_clISt17integral_constantIbLb0EES15_IbLb1EEEEDaS11_S12_EUlS11_E_NS1_11comp_targetILNS1_3genE10ELNS1_11target_archE1200ELNS1_3gpuE4ELNS1_3repE0EEENS1_30default_config_static_selectorELNS0_4arch9wavefront6targetE0EEEvT1_
	.p2align	8
	.type	_ZN7rocprim17ROCPRIM_400000_NS6detail17trampoline_kernelINS0_14default_configENS1_25partition_config_selectorILNS1_17partition_subalgoE6EtNS0_10empty_typeEbEEZZNS1_14partition_implILS5_6ELb0ES3_mN6thrust23THRUST_200600_302600_NS6detail15normal_iteratorINSA_10device_ptrItEEEEPS6_SG_NS0_5tupleIJSF_S6_EEENSH_IJSG_SG_EEES6_PlJ7is_evenItEEEE10hipError_tPvRmT3_T4_T5_T6_T7_T9_mT8_P12ihipStream_tbDpT10_ENKUlT_T0_E_clISt17integral_constantIbLb0EES15_IbLb1EEEEDaS11_S12_EUlS11_E_NS1_11comp_targetILNS1_3genE10ELNS1_11target_archE1200ELNS1_3gpuE4ELNS1_3repE0EEENS1_30default_config_static_selectorELNS0_4arch9wavefront6targetE0EEEvT1_,@function
_ZN7rocprim17ROCPRIM_400000_NS6detail17trampoline_kernelINS0_14default_configENS1_25partition_config_selectorILNS1_17partition_subalgoE6EtNS0_10empty_typeEbEEZZNS1_14partition_implILS5_6ELb0ES3_mN6thrust23THRUST_200600_302600_NS6detail15normal_iteratorINSA_10device_ptrItEEEEPS6_SG_NS0_5tupleIJSF_S6_EEENSH_IJSG_SG_EEES6_PlJ7is_evenItEEEE10hipError_tPvRmT3_T4_T5_T6_T7_T9_mT8_P12ihipStream_tbDpT10_ENKUlT_T0_E_clISt17integral_constantIbLb0EES15_IbLb1EEEEDaS11_S12_EUlS11_E_NS1_11comp_targetILNS1_3genE10ELNS1_11target_archE1200ELNS1_3gpuE4ELNS1_3repE0EEENS1_30default_config_static_selectorELNS0_4arch9wavefront6targetE0EEEvT1_: ; @_ZN7rocprim17ROCPRIM_400000_NS6detail17trampoline_kernelINS0_14default_configENS1_25partition_config_selectorILNS1_17partition_subalgoE6EtNS0_10empty_typeEbEEZZNS1_14partition_implILS5_6ELb0ES3_mN6thrust23THRUST_200600_302600_NS6detail15normal_iteratorINSA_10device_ptrItEEEEPS6_SG_NS0_5tupleIJSF_S6_EEENSH_IJSG_SG_EEES6_PlJ7is_evenItEEEE10hipError_tPvRmT3_T4_T5_T6_T7_T9_mT8_P12ihipStream_tbDpT10_ENKUlT_T0_E_clISt17integral_constantIbLb0EES15_IbLb1EEEEDaS11_S12_EUlS11_E_NS1_11comp_targetILNS1_3genE10ELNS1_11target_archE1200ELNS1_3gpuE4ELNS1_3repE0EEENS1_30default_config_static_selectorELNS0_4arch9wavefront6targetE0EEEvT1_
; %bb.0:
	.section	.rodata,"a",@progbits
	.p2align	6, 0x0
	.amdhsa_kernel _ZN7rocprim17ROCPRIM_400000_NS6detail17trampoline_kernelINS0_14default_configENS1_25partition_config_selectorILNS1_17partition_subalgoE6EtNS0_10empty_typeEbEEZZNS1_14partition_implILS5_6ELb0ES3_mN6thrust23THRUST_200600_302600_NS6detail15normal_iteratorINSA_10device_ptrItEEEEPS6_SG_NS0_5tupleIJSF_S6_EEENSH_IJSG_SG_EEES6_PlJ7is_evenItEEEE10hipError_tPvRmT3_T4_T5_T6_T7_T9_mT8_P12ihipStream_tbDpT10_ENKUlT_T0_E_clISt17integral_constantIbLb0EES15_IbLb1EEEEDaS11_S12_EUlS11_E_NS1_11comp_targetILNS1_3genE10ELNS1_11target_archE1200ELNS1_3gpuE4ELNS1_3repE0EEENS1_30default_config_static_selectorELNS0_4arch9wavefront6targetE0EEEvT1_
		.amdhsa_group_segment_fixed_size 0
		.amdhsa_private_segment_fixed_size 0
		.amdhsa_kernarg_size 128
		.amdhsa_user_sgpr_count 15
		.amdhsa_user_sgpr_dispatch_ptr 0
		.amdhsa_user_sgpr_queue_ptr 0
		.amdhsa_user_sgpr_kernarg_segment_ptr 1
		.amdhsa_user_sgpr_dispatch_id 0
		.amdhsa_user_sgpr_private_segment_size 0
		.amdhsa_wavefront_size32 1
		.amdhsa_uses_dynamic_stack 0
		.amdhsa_enable_private_segment 0
		.amdhsa_system_sgpr_workgroup_id_x 1
		.amdhsa_system_sgpr_workgroup_id_y 0
		.amdhsa_system_sgpr_workgroup_id_z 0
		.amdhsa_system_sgpr_workgroup_info 0
		.amdhsa_system_vgpr_workitem_id 0
		.amdhsa_next_free_vgpr 1
		.amdhsa_next_free_sgpr 1
		.amdhsa_reserve_vcc 0
		.amdhsa_float_round_mode_32 0
		.amdhsa_float_round_mode_16_64 0
		.amdhsa_float_denorm_mode_32 3
		.amdhsa_float_denorm_mode_16_64 3
		.amdhsa_dx10_clamp 1
		.amdhsa_ieee_mode 1
		.amdhsa_fp16_overflow 0
		.amdhsa_workgroup_processor_mode 1
		.amdhsa_memory_ordered 1
		.amdhsa_forward_progress 0
		.amdhsa_shared_vgpr_count 0
		.amdhsa_exception_fp_ieee_invalid_op 0
		.amdhsa_exception_fp_denorm_src 0
		.amdhsa_exception_fp_ieee_div_zero 0
		.amdhsa_exception_fp_ieee_overflow 0
		.amdhsa_exception_fp_ieee_underflow 0
		.amdhsa_exception_fp_ieee_inexact 0
		.amdhsa_exception_int_div_zero 0
	.end_amdhsa_kernel
	.section	.text._ZN7rocprim17ROCPRIM_400000_NS6detail17trampoline_kernelINS0_14default_configENS1_25partition_config_selectorILNS1_17partition_subalgoE6EtNS0_10empty_typeEbEEZZNS1_14partition_implILS5_6ELb0ES3_mN6thrust23THRUST_200600_302600_NS6detail15normal_iteratorINSA_10device_ptrItEEEEPS6_SG_NS0_5tupleIJSF_S6_EEENSH_IJSG_SG_EEES6_PlJ7is_evenItEEEE10hipError_tPvRmT3_T4_T5_T6_T7_T9_mT8_P12ihipStream_tbDpT10_ENKUlT_T0_E_clISt17integral_constantIbLb0EES15_IbLb1EEEEDaS11_S12_EUlS11_E_NS1_11comp_targetILNS1_3genE10ELNS1_11target_archE1200ELNS1_3gpuE4ELNS1_3repE0EEENS1_30default_config_static_selectorELNS0_4arch9wavefront6targetE0EEEvT1_,"axG",@progbits,_ZN7rocprim17ROCPRIM_400000_NS6detail17trampoline_kernelINS0_14default_configENS1_25partition_config_selectorILNS1_17partition_subalgoE6EtNS0_10empty_typeEbEEZZNS1_14partition_implILS5_6ELb0ES3_mN6thrust23THRUST_200600_302600_NS6detail15normal_iteratorINSA_10device_ptrItEEEEPS6_SG_NS0_5tupleIJSF_S6_EEENSH_IJSG_SG_EEES6_PlJ7is_evenItEEEE10hipError_tPvRmT3_T4_T5_T6_T7_T9_mT8_P12ihipStream_tbDpT10_ENKUlT_T0_E_clISt17integral_constantIbLb0EES15_IbLb1EEEEDaS11_S12_EUlS11_E_NS1_11comp_targetILNS1_3genE10ELNS1_11target_archE1200ELNS1_3gpuE4ELNS1_3repE0EEENS1_30default_config_static_selectorELNS0_4arch9wavefront6targetE0EEEvT1_,comdat
.Lfunc_end357:
	.size	_ZN7rocprim17ROCPRIM_400000_NS6detail17trampoline_kernelINS0_14default_configENS1_25partition_config_selectorILNS1_17partition_subalgoE6EtNS0_10empty_typeEbEEZZNS1_14partition_implILS5_6ELb0ES3_mN6thrust23THRUST_200600_302600_NS6detail15normal_iteratorINSA_10device_ptrItEEEEPS6_SG_NS0_5tupleIJSF_S6_EEENSH_IJSG_SG_EEES6_PlJ7is_evenItEEEE10hipError_tPvRmT3_T4_T5_T6_T7_T9_mT8_P12ihipStream_tbDpT10_ENKUlT_T0_E_clISt17integral_constantIbLb0EES15_IbLb1EEEEDaS11_S12_EUlS11_E_NS1_11comp_targetILNS1_3genE10ELNS1_11target_archE1200ELNS1_3gpuE4ELNS1_3repE0EEENS1_30default_config_static_selectorELNS0_4arch9wavefront6targetE0EEEvT1_, .Lfunc_end357-_ZN7rocprim17ROCPRIM_400000_NS6detail17trampoline_kernelINS0_14default_configENS1_25partition_config_selectorILNS1_17partition_subalgoE6EtNS0_10empty_typeEbEEZZNS1_14partition_implILS5_6ELb0ES3_mN6thrust23THRUST_200600_302600_NS6detail15normal_iteratorINSA_10device_ptrItEEEEPS6_SG_NS0_5tupleIJSF_S6_EEENSH_IJSG_SG_EEES6_PlJ7is_evenItEEEE10hipError_tPvRmT3_T4_T5_T6_T7_T9_mT8_P12ihipStream_tbDpT10_ENKUlT_T0_E_clISt17integral_constantIbLb0EES15_IbLb1EEEEDaS11_S12_EUlS11_E_NS1_11comp_targetILNS1_3genE10ELNS1_11target_archE1200ELNS1_3gpuE4ELNS1_3repE0EEENS1_30default_config_static_selectorELNS0_4arch9wavefront6targetE0EEEvT1_
                                        ; -- End function
	.section	.AMDGPU.csdata,"",@progbits
; Kernel info:
; codeLenInByte = 0
; NumSgprs: 0
; NumVgprs: 0
; ScratchSize: 0
; MemoryBound: 0
; FloatMode: 240
; IeeeMode: 1
; LDSByteSize: 0 bytes/workgroup (compile time only)
; SGPRBlocks: 0
; VGPRBlocks: 0
; NumSGPRsForWavesPerEU: 1
; NumVGPRsForWavesPerEU: 1
; Occupancy: 15
; WaveLimiterHint : 0
; COMPUTE_PGM_RSRC2:SCRATCH_EN: 0
; COMPUTE_PGM_RSRC2:USER_SGPR: 15
; COMPUTE_PGM_RSRC2:TRAP_HANDLER: 0
; COMPUTE_PGM_RSRC2:TGID_X_EN: 1
; COMPUTE_PGM_RSRC2:TGID_Y_EN: 0
; COMPUTE_PGM_RSRC2:TGID_Z_EN: 0
; COMPUTE_PGM_RSRC2:TIDIG_COMP_CNT: 0
	.section	.text._ZN7rocprim17ROCPRIM_400000_NS6detail17trampoline_kernelINS0_14default_configENS1_25partition_config_selectorILNS1_17partition_subalgoE6EtNS0_10empty_typeEbEEZZNS1_14partition_implILS5_6ELb0ES3_mN6thrust23THRUST_200600_302600_NS6detail15normal_iteratorINSA_10device_ptrItEEEEPS6_SG_NS0_5tupleIJSF_S6_EEENSH_IJSG_SG_EEES6_PlJ7is_evenItEEEE10hipError_tPvRmT3_T4_T5_T6_T7_T9_mT8_P12ihipStream_tbDpT10_ENKUlT_T0_E_clISt17integral_constantIbLb0EES15_IbLb1EEEEDaS11_S12_EUlS11_E_NS1_11comp_targetILNS1_3genE9ELNS1_11target_archE1100ELNS1_3gpuE3ELNS1_3repE0EEENS1_30default_config_static_selectorELNS0_4arch9wavefront6targetE0EEEvT1_,"axG",@progbits,_ZN7rocprim17ROCPRIM_400000_NS6detail17trampoline_kernelINS0_14default_configENS1_25partition_config_selectorILNS1_17partition_subalgoE6EtNS0_10empty_typeEbEEZZNS1_14partition_implILS5_6ELb0ES3_mN6thrust23THRUST_200600_302600_NS6detail15normal_iteratorINSA_10device_ptrItEEEEPS6_SG_NS0_5tupleIJSF_S6_EEENSH_IJSG_SG_EEES6_PlJ7is_evenItEEEE10hipError_tPvRmT3_T4_T5_T6_T7_T9_mT8_P12ihipStream_tbDpT10_ENKUlT_T0_E_clISt17integral_constantIbLb0EES15_IbLb1EEEEDaS11_S12_EUlS11_E_NS1_11comp_targetILNS1_3genE9ELNS1_11target_archE1100ELNS1_3gpuE3ELNS1_3repE0EEENS1_30default_config_static_selectorELNS0_4arch9wavefront6targetE0EEEvT1_,comdat
	.protected	_ZN7rocprim17ROCPRIM_400000_NS6detail17trampoline_kernelINS0_14default_configENS1_25partition_config_selectorILNS1_17partition_subalgoE6EtNS0_10empty_typeEbEEZZNS1_14partition_implILS5_6ELb0ES3_mN6thrust23THRUST_200600_302600_NS6detail15normal_iteratorINSA_10device_ptrItEEEEPS6_SG_NS0_5tupleIJSF_S6_EEENSH_IJSG_SG_EEES6_PlJ7is_evenItEEEE10hipError_tPvRmT3_T4_T5_T6_T7_T9_mT8_P12ihipStream_tbDpT10_ENKUlT_T0_E_clISt17integral_constantIbLb0EES15_IbLb1EEEEDaS11_S12_EUlS11_E_NS1_11comp_targetILNS1_3genE9ELNS1_11target_archE1100ELNS1_3gpuE3ELNS1_3repE0EEENS1_30default_config_static_selectorELNS0_4arch9wavefront6targetE0EEEvT1_ ; -- Begin function _ZN7rocprim17ROCPRIM_400000_NS6detail17trampoline_kernelINS0_14default_configENS1_25partition_config_selectorILNS1_17partition_subalgoE6EtNS0_10empty_typeEbEEZZNS1_14partition_implILS5_6ELb0ES3_mN6thrust23THRUST_200600_302600_NS6detail15normal_iteratorINSA_10device_ptrItEEEEPS6_SG_NS0_5tupleIJSF_S6_EEENSH_IJSG_SG_EEES6_PlJ7is_evenItEEEE10hipError_tPvRmT3_T4_T5_T6_T7_T9_mT8_P12ihipStream_tbDpT10_ENKUlT_T0_E_clISt17integral_constantIbLb0EES15_IbLb1EEEEDaS11_S12_EUlS11_E_NS1_11comp_targetILNS1_3genE9ELNS1_11target_archE1100ELNS1_3gpuE3ELNS1_3repE0EEENS1_30default_config_static_selectorELNS0_4arch9wavefront6targetE0EEEvT1_
	.globl	_ZN7rocprim17ROCPRIM_400000_NS6detail17trampoline_kernelINS0_14default_configENS1_25partition_config_selectorILNS1_17partition_subalgoE6EtNS0_10empty_typeEbEEZZNS1_14partition_implILS5_6ELb0ES3_mN6thrust23THRUST_200600_302600_NS6detail15normal_iteratorINSA_10device_ptrItEEEEPS6_SG_NS0_5tupleIJSF_S6_EEENSH_IJSG_SG_EEES6_PlJ7is_evenItEEEE10hipError_tPvRmT3_T4_T5_T6_T7_T9_mT8_P12ihipStream_tbDpT10_ENKUlT_T0_E_clISt17integral_constantIbLb0EES15_IbLb1EEEEDaS11_S12_EUlS11_E_NS1_11comp_targetILNS1_3genE9ELNS1_11target_archE1100ELNS1_3gpuE3ELNS1_3repE0EEENS1_30default_config_static_selectorELNS0_4arch9wavefront6targetE0EEEvT1_
	.p2align	8
	.type	_ZN7rocprim17ROCPRIM_400000_NS6detail17trampoline_kernelINS0_14default_configENS1_25partition_config_selectorILNS1_17partition_subalgoE6EtNS0_10empty_typeEbEEZZNS1_14partition_implILS5_6ELb0ES3_mN6thrust23THRUST_200600_302600_NS6detail15normal_iteratorINSA_10device_ptrItEEEEPS6_SG_NS0_5tupleIJSF_S6_EEENSH_IJSG_SG_EEES6_PlJ7is_evenItEEEE10hipError_tPvRmT3_T4_T5_T6_T7_T9_mT8_P12ihipStream_tbDpT10_ENKUlT_T0_E_clISt17integral_constantIbLb0EES15_IbLb1EEEEDaS11_S12_EUlS11_E_NS1_11comp_targetILNS1_3genE9ELNS1_11target_archE1100ELNS1_3gpuE3ELNS1_3repE0EEENS1_30default_config_static_selectorELNS0_4arch9wavefront6targetE0EEEvT1_,@function
_ZN7rocprim17ROCPRIM_400000_NS6detail17trampoline_kernelINS0_14default_configENS1_25partition_config_selectorILNS1_17partition_subalgoE6EtNS0_10empty_typeEbEEZZNS1_14partition_implILS5_6ELb0ES3_mN6thrust23THRUST_200600_302600_NS6detail15normal_iteratorINSA_10device_ptrItEEEEPS6_SG_NS0_5tupleIJSF_S6_EEENSH_IJSG_SG_EEES6_PlJ7is_evenItEEEE10hipError_tPvRmT3_T4_T5_T6_T7_T9_mT8_P12ihipStream_tbDpT10_ENKUlT_T0_E_clISt17integral_constantIbLb0EES15_IbLb1EEEEDaS11_S12_EUlS11_E_NS1_11comp_targetILNS1_3genE9ELNS1_11target_archE1100ELNS1_3gpuE3ELNS1_3repE0EEENS1_30default_config_static_selectorELNS0_4arch9wavefront6targetE0EEEvT1_: ; @_ZN7rocprim17ROCPRIM_400000_NS6detail17trampoline_kernelINS0_14default_configENS1_25partition_config_selectorILNS1_17partition_subalgoE6EtNS0_10empty_typeEbEEZZNS1_14partition_implILS5_6ELb0ES3_mN6thrust23THRUST_200600_302600_NS6detail15normal_iteratorINSA_10device_ptrItEEEEPS6_SG_NS0_5tupleIJSF_S6_EEENSH_IJSG_SG_EEES6_PlJ7is_evenItEEEE10hipError_tPvRmT3_T4_T5_T6_T7_T9_mT8_P12ihipStream_tbDpT10_ENKUlT_T0_E_clISt17integral_constantIbLb0EES15_IbLb1EEEEDaS11_S12_EUlS11_E_NS1_11comp_targetILNS1_3genE9ELNS1_11target_archE1100ELNS1_3gpuE3ELNS1_3repE0EEENS1_30default_config_static_selectorELNS0_4arch9wavefront6targetE0EEEvT1_
; %bb.0:
	s_clause 0x3
	s_load_b64 s[12:13], s[0:1], 0x28
	s_load_b128 s[8:11], s[0:1], 0x40
	s_load_b64 s[16:17], s[0:1], 0x50
	s_load_b64 s[14:15], s[0:1], 0x60
	v_cmp_eq_u32_e64 s2, 0, v0
	s_delay_alu instid0(VALU_DEP_1)
	s_and_saveexec_b32 s3, s2
	s_cbranch_execz .LBB358_4
; %bb.1:
	s_mov_b32 s5, exec_lo
	s_mov_b32 s4, exec_lo
	v_mbcnt_lo_u32_b32 v1, s5, 0
                                        ; implicit-def: $vgpr2
	s_delay_alu instid0(VALU_DEP_1)
	v_cmpx_eq_u32_e32 0, v1
	s_cbranch_execz .LBB358_3
; %bb.2:
	s_load_b64 s[6:7], s[0:1], 0x70
	s_bcnt1_i32_b32 s5, s5
	s_delay_alu instid0(SALU_CYCLE_1)
	v_dual_mov_b32 v2, 0 :: v_dual_mov_b32 v3, s5
	s_waitcnt lgkmcnt(0)
	global_atomic_add_u32 v2, v2, v3, s[6:7] glc
.LBB358_3:
	s_or_b32 exec_lo, exec_lo, s4
	s_waitcnt vmcnt(0)
	v_readfirstlane_b32 s4, v2
	s_delay_alu instid0(VALU_DEP_1)
	v_dual_mov_b32 v2, 0 :: v_dual_add_nc_u32 v1, s4, v1
	ds_store_b32 v2, v1
.LBB358_4:
	s_or_b32 exec_lo, exec_lo, s3
	v_mov_b32_e32 v2, 0
	s_clause 0x1
	s_load_b128 s[4:7], s[0:1], 0x8
	s_load_b32 s0, s[0:1], 0x68
	s_waitcnt lgkmcnt(0)
	s_barrier
	buffer_gl0_inv
	ds_load_b32 v1, v2
	s_waitcnt lgkmcnt(0)
	s_barrier
	buffer_gl0_inv
	global_load_b64 v[12:13], v2, s[10:11]
	s_lshl_b64 s[10:11], s[6:7], 1
	s_mul_i32 s3, s0, 0xf00
	s_add_u32 s1, s4, s10
	s_addc_u32 s10, s5, s11
	s_add_i32 s5, s3, s6
	v_readfirstlane_b32 s4, v1
	v_mul_lo_u32 v1, 0xf00, v1
	s_add_i32 s11, s0, -1
	s_sub_i32 s0, s16, s5
	s_add_u32 s6, s6, s3
	s_addc_u32 s7, s7, 0
	s_cmp_eq_u32 s4, s11
	v_cmp_ge_u64_e64 s3, s[6:7], s[16:17]
	s_cselect_b32 s5, -1, 0
	v_lshlrev_b64 v[2:3], 1, v[1:2]
	v_lshlrev_b32_e32 v1, 1, v0
	s_delay_alu instid0(VALU_DEP_3) | instskip(NEXT) | instid1(VALU_DEP_2)
	s_and_b32 s3, s3, s5
	v_add_co_u32 v2, vcc_lo, s1, v2
	s_delay_alu instid0(VALU_DEP_3)
	v_add_co_ci_u32_e32 v3, vcc_lo, s10, v3, vcc_lo
	s_xor_b32 s3, s3, -1
	s_mov_b32 s1, -1
	s_and_b32 vcc_lo, exec_lo, s3
	s_cbranch_vccz .LBB358_6
; %bb.5:
	v_add_co_u32 v4, vcc_lo, v2, v1
	v_add_co_ci_u32_e32 v5, vcc_lo, 0, v3, vcc_lo
	s_mov_b32 s1, 0
	s_delay_alu instid0(VALU_DEP_2)
	v_add_co_u32 v6, vcc_lo, 0x1000, v4
	s_clause 0x7
	flat_load_u16 v8, v[4:5]
	flat_load_u16 v9, v[4:5] offset:256
	flat_load_u16 v10, v[4:5] offset:512
	;; [unrolled: 1-line block ×7, first 2 shown]
	v_add_co_ci_u32_e32 v7, vcc_lo, 0, v5, vcc_lo
	s_clause 0x15
	flat_load_u16 v18, v[4:5] offset:2048
	flat_load_u16 v19, v[4:5] offset:2304
	flat_load_u16 v20, v[4:5] offset:2560
	flat_load_u16 v21, v[4:5] offset:2816
	flat_load_u16 v22, v[4:5] offset:3072
	flat_load_u16 v23, v[4:5] offset:3328
	flat_load_u16 v24, v[4:5] offset:3584
	flat_load_u16 v4, v[4:5] offset:3840
	flat_load_u16 v5, v[6:7]
	flat_load_u16 v25, v[6:7] offset:256
	flat_load_u16 v26, v[6:7] offset:512
	;; [unrolled: 1-line block ×13, first 2 shown]
	s_waitcnt vmcnt(29) lgkmcnt(29)
	ds_store_b16 v1, v8
	s_waitcnt vmcnt(28) lgkmcnt(29)
	ds_store_b16 v1, v9 offset:256
	s_waitcnt vmcnt(27) lgkmcnt(29)
	ds_store_b16 v1, v10 offset:512
	;; [unrolled: 2-line block ×29, first 2 shown]
	s_waitcnt lgkmcnt(0)
	s_barrier
.LBB358_6:
	s_and_not1_b32 vcc_lo, exec_lo, s1
	s_addk_i32 s0, 0xf00
	s_cbranch_vccnz .LBB358_68
; %bb.7:
	s_mov_b32 s1, exec_lo
                                        ; implicit-def: $vgpr4
	v_cmpx_gt_u32_e64 s0, v0
	s_cbranch_execz .LBB358_9
; %bb.8:
	v_add_co_u32 v4, vcc_lo, v2, v1
	v_add_co_ci_u32_e32 v5, vcc_lo, 0, v3, vcc_lo
	flat_load_u16 v4, v[4:5]
.LBB358_9:
	s_or_b32 exec_lo, exec_lo, s1
	v_or_b32_e32 v5, 0x80, v0
	s_delay_alu instid0(VALU_DEP_1)
	v_cmp_gt_u32_e32 vcc_lo, s0, v5
                                        ; implicit-def: $vgpr5
	s_and_saveexec_b32 s1, vcc_lo
	s_cbranch_execz .LBB358_11
; %bb.10:
	v_add_co_u32 v5, vcc_lo, v2, v1
	v_add_co_ci_u32_e32 v6, vcc_lo, 0, v3, vcc_lo
	flat_load_u16 v5, v[5:6] offset:256
.LBB358_11:
	s_or_b32 exec_lo, exec_lo, s1
	v_or_b32_e32 v6, 0x100, v0
	s_delay_alu instid0(VALU_DEP_1)
	v_cmp_gt_u32_e32 vcc_lo, s0, v6
                                        ; implicit-def: $vgpr6
	s_and_saveexec_b32 s1, vcc_lo
	s_cbranch_execz .LBB358_13
; %bb.12:
	v_add_co_u32 v6, vcc_lo, v2, v1
	v_add_co_ci_u32_e32 v7, vcc_lo, 0, v3, vcc_lo
	flat_load_u16 v6, v[6:7] offset:512
.LBB358_13:
	s_or_b32 exec_lo, exec_lo, s1
	v_or_b32_e32 v7, 0x180, v0
	s_delay_alu instid0(VALU_DEP_1)
	v_cmp_gt_u32_e32 vcc_lo, s0, v7
                                        ; implicit-def: $vgpr7
	s_and_saveexec_b32 s1, vcc_lo
	s_cbranch_execz .LBB358_15
; %bb.14:
	v_add_co_u32 v7, vcc_lo, v2, v1
	v_add_co_ci_u32_e32 v8, vcc_lo, 0, v3, vcc_lo
	flat_load_u16 v7, v[7:8] offset:768
.LBB358_15:
	s_or_b32 exec_lo, exec_lo, s1
	v_or_b32_e32 v8, 0x200, v0
	s_delay_alu instid0(VALU_DEP_1)
	v_cmp_gt_u32_e32 vcc_lo, s0, v8
                                        ; implicit-def: $vgpr8
	s_and_saveexec_b32 s1, vcc_lo
	s_cbranch_execz .LBB358_17
; %bb.16:
	v_add_co_u32 v8, vcc_lo, v2, v1
	v_add_co_ci_u32_e32 v9, vcc_lo, 0, v3, vcc_lo
	flat_load_u16 v8, v[8:9] offset:1024
.LBB358_17:
	s_or_b32 exec_lo, exec_lo, s1
	v_or_b32_e32 v9, 0x280, v0
	s_delay_alu instid0(VALU_DEP_1)
	v_cmp_gt_u32_e32 vcc_lo, s0, v9
                                        ; implicit-def: $vgpr9
	s_and_saveexec_b32 s1, vcc_lo
	s_cbranch_execz .LBB358_19
; %bb.18:
	v_add_co_u32 v9, vcc_lo, v2, v1
	v_add_co_ci_u32_e32 v10, vcc_lo, 0, v3, vcc_lo
	flat_load_u16 v9, v[9:10] offset:1280
.LBB358_19:
	s_or_b32 exec_lo, exec_lo, s1
	v_or_b32_e32 v10, 0x300, v0
	s_delay_alu instid0(VALU_DEP_1)
	v_cmp_gt_u32_e32 vcc_lo, s0, v10
                                        ; implicit-def: $vgpr10
	s_and_saveexec_b32 s1, vcc_lo
	s_cbranch_execz .LBB358_21
; %bb.20:
	v_add_co_u32 v10, vcc_lo, v2, v1
	v_add_co_ci_u32_e32 v11, vcc_lo, 0, v3, vcc_lo
	flat_load_u16 v10, v[10:11] offset:1536
.LBB358_21:
	s_or_b32 exec_lo, exec_lo, s1
	v_or_b32_e32 v11, 0x380, v0
	s_delay_alu instid0(VALU_DEP_1)
	v_cmp_gt_u32_e32 vcc_lo, s0, v11
                                        ; implicit-def: $vgpr11
	s_and_saveexec_b32 s1, vcc_lo
	s_cbranch_execz .LBB358_23
; %bb.22:
	v_add_co_u32 v14, vcc_lo, v2, v1
	v_add_co_ci_u32_e32 v15, vcc_lo, 0, v3, vcc_lo
	flat_load_u16 v11, v[14:15] offset:1792
.LBB358_23:
	s_or_b32 exec_lo, exec_lo, s1
	v_or_b32_e32 v14, 0x400, v0
	s_delay_alu instid0(VALU_DEP_1)
	v_cmp_gt_u32_e32 vcc_lo, s0, v14
                                        ; implicit-def: $vgpr14
	s_and_saveexec_b32 s1, vcc_lo
	s_cbranch_execz .LBB358_25
; %bb.24:
	v_add_co_u32 v14, vcc_lo, v2, v1
	v_add_co_ci_u32_e32 v15, vcc_lo, 0, v3, vcc_lo
	flat_load_u16 v14, v[14:15] offset:2048
.LBB358_25:
	s_or_b32 exec_lo, exec_lo, s1
	v_or_b32_e32 v15, 0x480, v0
	s_delay_alu instid0(VALU_DEP_1)
	v_cmp_gt_u32_e32 vcc_lo, s0, v15
                                        ; implicit-def: $vgpr15
	s_and_saveexec_b32 s1, vcc_lo
	s_cbranch_execz .LBB358_27
; %bb.26:
	v_add_co_u32 v15, vcc_lo, v2, v1
	v_add_co_ci_u32_e32 v16, vcc_lo, 0, v3, vcc_lo
	flat_load_u16 v15, v[15:16] offset:2304
.LBB358_27:
	s_or_b32 exec_lo, exec_lo, s1
	v_or_b32_e32 v16, 0x500, v0
	s_delay_alu instid0(VALU_DEP_1)
	v_cmp_gt_u32_e32 vcc_lo, s0, v16
                                        ; implicit-def: $vgpr16
	s_and_saveexec_b32 s1, vcc_lo
	s_cbranch_execz .LBB358_29
; %bb.28:
	v_add_co_u32 v16, vcc_lo, v2, v1
	v_add_co_ci_u32_e32 v17, vcc_lo, 0, v3, vcc_lo
	flat_load_u16 v16, v[16:17] offset:2560
.LBB358_29:
	s_or_b32 exec_lo, exec_lo, s1
	v_or_b32_e32 v17, 0x580, v0
	s_delay_alu instid0(VALU_DEP_1)
	v_cmp_gt_u32_e32 vcc_lo, s0, v17
                                        ; implicit-def: $vgpr17
	s_and_saveexec_b32 s1, vcc_lo
	s_cbranch_execz .LBB358_31
; %bb.30:
	v_add_co_u32 v17, vcc_lo, v2, v1
	v_add_co_ci_u32_e32 v18, vcc_lo, 0, v3, vcc_lo
	flat_load_u16 v17, v[17:18] offset:2816
.LBB358_31:
	s_or_b32 exec_lo, exec_lo, s1
	v_or_b32_e32 v18, 0x600, v0
	s_delay_alu instid0(VALU_DEP_1)
	v_cmp_gt_u32_e32 vcc_lo, s0, v18
                                        ; implicit-def: $vgpr18
	s_and_saveexec_b32 s1, vcc_lo
	s_cbranch_execz .LBB358_33
; %bb.32:
	v_add_co_u32 v18, vcc_lo, v2, v1
	v_add_co_ci_u32_e32 v19, vcc_lo, 0, v3, vcc_lo
	flat_load_u16 v18, v[18:19] offset:3072
.LBB358_33:
	s_or_b32 exec_lo, exec_lo, s1
	v_or_b32_e32 v19, 0x680, v0
	s_delay_alu instid0(VALU_DEP_1)
	v_cmp_gt_u32_e32 vcc_lo, s0, v19
                                        ; implicit-def: $vgpr19
	s_and_saveexec_b32 s1, vcc_lo
	s_cbranch_execz .LBB358_35
; %bb.34:
	v_add_co_u32 v19, vcc_lo, v2, v1
	v_add_co_ci_u32_e32 v20, vcc_lo, 0, v3, vcc_lo
	flat_load_u16 v19, v[19:20] offset:3328
.LBB358_35:
	s_or_b32 exec_lo, exec_lo, s1
	v_or_b32_e32 v20, 0x700, v0
	s_delay_alu instid0(VALU_DEP_1)
	v_cmp_gt_u32_e32 vcc_lo, s0, v20
                                        ; implicit-def: $vgpr20
	s_and_saveexec_b32 s1, vcc_lo
	s_cbranch_execz .LBB358_37
; %bb.36:
	v_add_co_u32 v20, vcc_lo, v2, v1
	v_add_co_ci_u32_e32 v21, vcc_lo, 0, v3, vcc_lo
	flat_load_u16 v20, v[20:21] offset:3584
.LBB358_37:
	s_or_b32 exec_lo, exec_lo, s1
	v_or_b32_e32 v21, 0x780, v0
	s_delay_alu instid0(VALU_DEP_1)
	v_cmp_gt_u32_e32 vcc_lo, s0, v21
                                        ; implicit-def: $vgpr21
	s_and_saveexec_b32 s1, vcc_lo
	s_cbranch_execz .LBB358_39
; %bb.38:
	v_add_co_u32 v21, vcc_lo, v2, v1
	v_add_co_ci_u32_e32 v22, vcc_lo, 0, v3, vcc_lo
	flat_load_u16 v21, v[21:22] offset:3840
.LBB358_39:
	s_or_b32 exec_lo, exec_lo, s1
	v_or_b32_e32 v23, 0x800, v0
	s_mov_b32 s1, exec_lo
                                        ; implicit-def: $vgpr22
	s_delay_alu instid0(VALU_DEP_1)
	v_cmpx_gt_u32_e64 s0, v23
	s_cbranch_execz .LBB358_41
; %bb.40:
	v_lshlrev_b32_e32 v22, 1, v23
	s_delay_alu instid0(VALU_DEP_1)
	v_add_co_u32 v22, vcc_lo, v2, v22
	v_add_co_ci_u32_e32 v23, vcc_lo, 0, v3, vcc_lo
	flat_load_u16 v22, v[22:23]
.LBB358_41:
	s_or_b32 exec_lo, exec_lo, s1
	v_or_b32_e32 v24, 0x880, v0
	s_mov_b32 s1, exec_lo
                                        ; implicit-def: $vgpr23
	s_delay_alu instid0(VALU_DEP_1)
	v_cmpx_gt_u32_e64 s0, v24
	s_cbranch_execz .LBB358_43
; %bb.42:
	v_lshlrev_b32_e32 v23, 1, v24
	s_delay_alu instid0(VALU_DEP_1)
	v_add_co_u32 v23, vcc_lo, v2, v23
	v_add_co_ci_u32_e32 v24, vcc_lo, 0, v3, vcc_lo
	flat_load_u16 v23, v[23:24]
.LBB358_43:
	s_or_b32 exec_lo, exec_lo, s1
	v_or_b32_e32 v25, 0x900, v0
	s_mov_b32 s1, exec_lo
                                        ; implicit-def: $vgpr24
	s_delay_alu instid0(VALU_DEP_1)
	v_cmpx_gt_u32_e64 s0, v25
	s_cbranch_execz .LBB358_45
; %bb.44:
	v_lshlrev_b32_e32 v24, 1, v25
	s_delay_alu instid0(VALU_DEP_1)
	v_add_co_u32 v24, vcc_lo, v2, v24
	v_add_co_ci_u32_e32 v25, vcc_lo, 0, v3, vcc_lo
	flat_load_u16 v24, v[24:25]
.LBB358_45:
	s_or_b32 exec_lo, exec_lo, s1
	v_or_b32_e32 v26, 0x980, v0
	s_mov_b32 s1, exec_lo
                                        ; implicit-def: $vgpr25
	s_delay_alu instid0(VALU_DEP_1)
	v_cmpx_gt_u32_e64 s0, v26
	s_cbranch_execz .LBB358_47
; %bb.46:
	v_lshlrev_b32_e32 v25, 1, v26
	s_delay_alu instid0(VALU_DEP_1)
	v_add_co_u32 v25, vcc_lo, v2, v25
	v_add_co_ci_u32_e32 v26, vcc_lo, 0, v3, vcc_lo
	flat_load_u16 v25, v[25:26]
.LBB358_47:
	s_or_b32 exec_lo, exec_lo, s1
	v_or_b32_e32 v27, 0xa00, v0
	s_mov_b32 s1, exec_lo
                                        ; implicit-def: $vgpr26
	s_delay_alu instid0(VALU_DEP_1)
	v_cmpx_gt_u32_e64 s0, v27
	s_cbranch_execz .LBB358_49
; %bb.48:
	v_lshlrev_b32_e32 v26, 1, v27
	s_delay_alu instid0(VALU_DEP_1)
	v_add_co_u32 v26, vcc_lo, v2, v26
	v_add_co_ci_u32_e32 v27, vcc_lo, 0, v3, vcc_lo
	flat_load_u16 v26, v[26:27]
.LBB358_49:
	s_or_b32 exec_lo, exec_lo, s1
	v_or_b32_e32 v28, 0xa80, v0
	s_mov_b32 s1, exec_lo
                                        ; implicit-def: $vgpr27
	s_delay_alu instid0(VALU_DEP_1)
	v_cmpx_gt_u32_e64 s0, v28
	s_cbranch_execz .LBB358_51
; %bb.50:
	v_lshlrev_b32_e32 v27, 1, v28
	s_delay_alu instid0(VALU_DEP_1)
	v_add_co_u32 v27, vcc_lo, v2, v27
	v_add_co_ci_u32_e32 v28, vcc_lo, 0, v3, vcc_lo
	flat_load_u16 v27, v[27:28]
.LBB358_51:
	s_or_b32 exec_lo, exec_lo, s1
	v_or_b32_e32 v29, 0xb00, v0
	s_mov_b32 s1, exec_lo
                                        ; implicit-def: $vgpr28
	s_delay_alu instid0(VALU_DEP_1)
	v_cmpx_gt_u32_e64 s0, v29
	s_cbranch_execz .LBB358_53
; %bb.52:
	v_lshlrev_b32_e32 v28, 1, v29
	s_delay_alu instid0(VALU_DEP_1)
	v_add_co_u32 v28, vcc_lo, v2, v28
	v_add_co_ci_u32_e32 v29, vcc_lo, 0, v3, vcc_lo
	flat_load_u16 v28, v[28:29]
.LBB358_53:
	s_or_b32 exec_lo, exec_lo, s1
	v_or_b32_e32 v30, 0xb80, v0
	s_mov_b32 s1, exec_lo
                                        ; implicit-def: $vgpr29
	s_delay_alu instid0(VALU_DEP_1)
	v_cmpx_gt_u32_e64 s0, v30
	s_cbranch_execz .LBB358_55
; %bb.54:
	v_lshlrev_b32_e32 v29, 1, v30
	s_delay_alu instid0(VALU_DEP_1)
	v_add_co_u32 v29, vcc_lo, v2, v29
	v_add_co_ci_u32_e32 v30, vcc_lo, 0, v3, vcc_lo
	flat_load_u16 v29, v[29:30]
.LBB358_55:
	s_or_b32 exec_lo, exec_lo, s1
	v_or_b32_e32 v31, 0xc00, v0
	s_mov_b32 s1, exec_lo
                                        ; implicit-def: $vgpr30
	s_delay_alu instid0(VALU_DEP_1)
	v_cmpx_gt_u32_e64 s0, v31
	s_cbranch_execz .LBB358_57
; %bb.56:
	v_lshlrev_b32_e32 v30, 1, v31
	s_delay_alu instid0(VALU_DEP_1)
	v_add_co_u32 v30, vcc_lo, v2, v30
	v_add_co_ci_u32_e32 v31, vcc_lo, 0, v3, vcc_lo
	flat_load_u16 v30, v[30:31]
.LBB358_57:
	s_or_b32 exec_lo, exec_lo, s1
	v_or_b32_e32 v32, 0xc80, v0
	s_mov_b32 s1, exec_lo
                                        ; implicit-def: $vgpr31
	s_delay_alu instid0(VALU_DEP_1)
	v_cmpx_gt_u32_e64 s0, v32
	s_cbranch_execz .LBB358_59
; %bb.58:
	v_lshlrev_b32_e32 v31, 1, v32
	s_delay_alu instid0(VALU_DEP_1)
	v_add_co_u32 v31, vcc_lo, v2, v31
	v_add_co_ci_u32_e32 v32, vcc_lo, 0, v3, vcc_lo
	flat_load_u16 v31, v[31:32]
.LBB358_59:
	s_or_b32 exec_lo, exec_lo, s1
	v_or_b32_e32 v33, 0xd00, v0
	s_mov_b32 s1, exec_lo
                                        ; implicit-def: $vgpr32
	s_delay_alu instid0(VALU_DEP_1)
	v_cmpx_gt_u32_e64 s0, v33
	s_cbranch_execz .LBB358_61
; %bb.60:
	v_lshlrev_b32_e32 v32, 1, v33
	s_delay_alu instid0(VALU_DEP_1)
	v_add_co_u32 v32, vcc_lo, v2, v32
	v_add_co_ci_u32_e32 v33, vcc_lo, 0, v3, vcc_lo
	flat_load_u16 v32, v[32:33]
.LBB358_61:
	s_or_b32 exec_lo, exec_lo, s1
	v_or_b32_e32 v34, 0xd80, v0
	s_mov_b32 s1, exec_lo
                                        ; implicit-def: $vgpr33
	s_delay_alu instid0(VALU_DEP_1)
	v_cmpx_gt_u32_e64 s0, v34
	s_cbranch_execz .LBB358_63
; %bb.62:
	v_lshlrev_b32_e32 v33, 1, v34
	s_delay_alu instid0(VALU_DEP_1)
	v_add_co_u32 v33, vcc_lo, v2, v33
	v_add_co_ci_u32_e32 v34, vcc_lo, 0, v3, vcc_lo
	flat_load_u16 v33, v[33:34]
.LBB358_63:
	s_or_b32 exec_lo, exec_lo, s1
	v_or_b32_e32 v35, 0xe00, v0
	s_mov_b32 s1, exec_lo
                                        ; implicit-def: $vgpr34
	s_delay_alu instid0(VALU_DEP_1)
	v_cmpx_gt_u32_e64 s0, v35
	s_cbranch_execz .LBB358_65
; %bb.64:
	v_lshlrev_b32_e32 v34, 1, v35
	s_delay_alu instid0(VALU_DEP_1)
	v_add_co_u32 v34, vcc_lo, v2, v34
	v_add_co_ci_u32_e32 v35, vcc_lo, 0, v3, vcc_lo
	flat_load_u16 v34, v[34:35]
.LBB358_65:
	s_or_b32 exec_lo, exec_lo, s1
	v_or_b32_e32 v36, 0xe80, v0
	s_mov_b32 s1, exec_lo
                                        ; implicit-def: $vgpr35
	s_delay_alu instid0(VALU_DEP_1)
	v_cmpx_gt_u32_e64 s0, v36
	s_cbranch_execz .LBB358_67
; %bb.66:
	v_lshlrev_b32_e32 v35, 1, v36
	s_delay_alu instid0(VALU_DEP_1)
	v_add_co_u32 v2, vcc_lo, v2, v35
	v_add_co_ci_u32_e32 v3, vcc_lo, 0, v3, vcc_lo
	flat_load_u16 v35, v[2:3]
.LBB358_67:
	s_or_b32 exec_lo, exec_lo, s1
	s_waitcnt vmcnt(0) lgkmcnt(0)
	ds_store_b16 v1, v4
	ds_store_b16 v1, v5 offset:256
	ds_store_b16 v1, v6 offset:512
	;; [unrolled: 1-line block ×29, first 2 shown]
	s_waitcnt lgkmcnt(0)
	s_barrier
.LBB358_68:
	v_mul_u32_u24_e32 v33, 30, v0
	s_waitcnt vmcnt(0)
	buffer_gl0_inv
	s_and_not1_b32 vcc_lo, exec_lo, s3
	v_lshlrev_b32_e32 v1, 1, v33
	ds_load_b32 v11, v1 offset:56
	ds_load_2addr_b32 v[9:10], v1 offset0:12 offset1:13
	ds_load_2addr_b32 v[14:15], v1 offset0:10 offset1:11
	ds_load_2addr_b32 v[24:25], v1 offset1:1
	ds_load_2addr_b32 v[22:23], v1 offset0:2 offset1:3
	ds_load_2addr_b32 v[20:21], v1 offset0:4 offset1:5
	;; [unrolled: 1-line block ×4, first 2 shown]
	s_waitcnt lgkmcnt(0)
	s_barrier
	buffer_gl0_inv
	v_lshrrev_b32_e32 v86, 16, v11
	v_lshrrev_b32_e32 v88, 16, v9
	;; [unrolled: 1-line block ×15, first 2 shown]
	v_xor_b32_e32 v44, -1, v24
	v_xor_b32_e32 v45, -1, v25
	;; [unrolled: 1-line block ×30, first 2 shown]
	s_cbranch_vccnz .LBB358_70
; %bb.69:
	v_and_b32_e32 v130, 1, v44
	v_and_b32_e32 v129, 1, v48
	;; [unrolled: 1-line block ×30, first 2 shown]
	s_cbranch_execz .LBB358_71
	s_branch .LBB358_72
.LBB358_70:
                                        ; implicit-def: $vgpr130
                                        ; implicit-def: $vgpr129
                                        ; implicit-def: $vgpr128
                                        ; implicit-def: $vgpr127
                                        ; implicit-def: $vgpr125
                                        ; implicit-def: $vgpr126
                                        ; implicit-def: $vgpr124
                                        ; implicit-def: $vgpr123
                                        ; implicit-def: $vgpr122
                                        ; implicit-def: $vgpr120
                                        ; implicit-def: $vgpr121
                                        ; implicit-def: $vgpr119
                                        ; implicit-def: $vgpr118
                                        ; implicit-def: $vgpr117
                                        ; implicit-def: $vgpr115
                                        ; implicit-def: $vgpr116
                                        ; implicit-def: $vgpr114
                                        ; implicit-def: $vgpr112
                                        ; implicit-def: $vgpr111
                                        ; implicit-def: $vgpr108
                                        ; implicit-def: $vgpr110
                                        ; implicit-def: $vgpr107
                                        ; implicit-def: $vgpr106
                                        ; implicit-def: $vgpr104
                                        ; implicit-def: $vgpr102
                                        ; implicit-def: $vgpr103
                                        ; implicit-def: $vgpr101
                                        ; implicit-def: $vgpr99
                                        ; implicit-def: $vgpr98
                                        ; implicit-def: $vgpr96
.LBB358_71:
	v_or_b32_e32 v58, 1, v33
	v_cmp_gt_u32_e32 vcc_lo, s0, v33
	v_add_nc_u32_e32 v49, 29, v33
	v_add_nc_u32_e32 v50, 28, v33
	;; [unrolled: 1-line block ×28, first 2 shown]
	v_cndmask_b32_e64 v33, 0, 1, vcc_lo
	v_cmp_gt_u32_e32 vcc_lo, s0, v58
	s_delay_alu instid0(VALU_DEP_2) | instskip(SKIP_2) | instid1(VALU_DEP_2)
	v_and_b32_e32 v130, v33, v44
	v_cndmask_b32_e64 v58, 0, 1, vcc_lo
	v_cmp_gt_u32_e32 vcc_lo, s0, v59
	v_and_b32_e32 v129, v58, v48
	v_cndmask_b32_e64 v59, 0, 1, vcc_lo
	v_cmp_gt_u32_e32 vcc_lo, s0, v60
	s_delay_alu instid0(VALU_DEP_2) | instskip(SKIP_2) | instid1(VALU_DEP_2)
	v_and_b32_e32 v128, v59, v45
	v_cndmask_b32_e64 v60, 0, 1, vcc_lo
	v_cmp_gt_u32_e32 vcc_lo, s0, v61
	v_and_b32_e32 v127, v60, v47
	;; [unrolled: 7-line block ×14, first 2 shown]
	v_cndmask_b32_e64 v26, 0, 1, vcc_lo
	v_cmp_gt_u32_e32 vcc_lo, s0, v49
	s_delay_alu instid0(VALU_DEP_2) | instskip(SKIP_1) | instid1(VALU_DEP_1)
	v_and_b32_e32 v98, v26, v4
	v_cndmask_b32_e64 v27, 0, 1, vcc_lo
	v_and_b32_e32 v96, v27, v5
.LBB358_72:
	s_delay_alu instid0(VALU_DEP_2) | instskip(NEXT) | instid1(VALU_DEP_2)
	v_and_b32_e32 v84, 0xff, v98
	v_dual_mov_b32 v2, 0 :: v_dual_and_b32 v1, 0xff, v96
	v_and_b32_e32 v85, 0xff, v99
	v_and_b32_e32 v131, 0xff, v101
	;; [unrolled: 1-line block ×3, first 2 shown]
	s_delay_alu instid0(VALU_DEP_4) | instskip(NEXT) | instid1(VALU_DEP_1)
	v_add_co_u32 v1, s0, v84, v1
	v_add_co_ci_u32_e64 v3, null, 0, 0, s0
	v_and_b32_e32 v133, 0xff, v102
	s_delay_alu instid0(VALU_DEP_3) | instskip(NEXT) | instid1(VALU_DEP_3)
	v_add_co_u32 v1, vcc_lo, v1, v85
	v_add_co_ci_u32_e32 v3, vcc_lo, 0, v3, vcc_lo
	v_and_b32_e32 v34, 0xff, v104
	s_delay_alu instid0(VALU_DEP_3) | instskip(NEXT) | instid1(VALU_DEP_3)
	v_add_co_u32 v1, vcc_lo, v1, v131
	v_add_co_ci_u32_e32 v3, vcc_lo, 0, v3, vcc_lo
	;; [unrolled: 4-line block ×24, first 2 shown]
	v_mbcnt_lo_u32_b32 v58, -1, 0
	s_delay_alu instid0(VALU_DEP_3) | instskip(NEXT) | instid1(VALU_DEP_3)
	v_add_co_u32 v1, vcc_lo, v1, v55
	v_add_co_ci_u32_e32 v3, vcc_lo, 0, v3, vcc_lo
	v_and_b32_e32 v46, 0xff, v130
	s_delay_alu instid0(VALU_DEP_3) | instskip(NEXT) | instid1(VALU_DEP_3)
	v_add_co_u32 v1, vcc_lo, v1, v56
	v_add_co_ci_u32_e32 v3, vcc_lo, 0, v3, vcc_lo
	v_and_b32_e32 v59, 15, v58
	s_delay_alu instid0(VALU_DEP_3) | instskip(NEXT) | instid1(VALU_DEP_3)
	v_add_co_u32 v1, vcc_lo, v1, v57
	v_add_co_ci_u32_e32 v3, vcc_lo, 0, v3, vcc_lo
	s_delay_alu instid0(VALU_DEP_3) | instskip(NEXT) | instid1(VALU_DEP_3)
	v_cmp_ne_u32_e64 s0, 0, v59
	v_add_co_u32 v26, vcc_lo, v1, v46
	s_delay_alu instid0(VALU_DEP_3)
	v_add_co_ci_u32_e32 v27, vcc_lo, 0, v3, vcc_lo
	s_cmp_lg_u32 s4, 0
	s_mov_b32 s1, -1
	s_cbranch_scc0 .LBB358_132
; %bb.73:
	v_mov_b32_e32 v3, v26
	v_mov_b32_dpp v1, v26 row_shr:1 row_mask:0xf bank_mask:0xf
	v_mov_b32_dpp v6, v2 row_shr:1 row_mask:0xf bank_mask:0xf
	v_dual_mov_b32 v5, v26 :: v_dual_mov_b32 v4, v27
	s_and_saveexec_b32 s1, s0
; %bb.74:
	s_delay_alu instid0(VALU_DEP_3) | instskip(SKIP_1) | instid1(VALU_DEP_2)
	v_add_co_u32 v5, vcc_lo, v26, v1
	v_add_co_ci_u32_e32 v2, vcc_lo, 0, v27, vcc_lo
	v_add_co_u32 v1, vcc_lo, 0, v5
	s_delay_alu instid0(VALU_DEP_2) | instskip(NEXT) | instid1(VALU_DEP_1)
	v_add_co_ci_u32_e32 v2, vcc_lo, v6, v2, vcc_lo
	v_dual_mov_b32 v4, v2 :: v_dual_mov_b32 v3, v1
; %bb.75:
	s_or_b32 exec_lo, exec_lo, s1
	v_mov_b32_dpp v1, v5 row_shr:2 row_mask:0xf bank_mask:0xf
	v_mov_b32_dpp v6, v2 row_shr:2 row_mask:0xf bank_mask:0xf
	s_mov_b32 s1, exec_lo
	v_cmpx_lt_u32_e32 1, v59
; %bb.76:
	s_delay_alu instid0(VALU_DEP_3) | instskip(SKIP_1) | instid1(VALU_DEP_2)
	v_add_co_u32 v5, vcc_lo, v3, v1
	v_add_co_ci_u32_e32 v2, vcc_lo, 0, v4, vcc_lo
	v_add_co_u32 v1, vcc_lo, 0, v5
	s_delay_alu instid0(VALU_DEP_2) | instskip(NEXT) | instid1(VALU_DEP_1)
	v_add_co_ci_u32_e32 v2, vcc_lo, v6, v2, vcc_lo
	v_dual_mov_b32 v4, v2 :: v_dual_mov_b32 v3, v1
; %bb.77:
	s_or_b32 exec_lo, exec_lo, s1
	v_mov_b32_dpp v1, v5 row_shr:4 row_mask:0xf bank_mask:0xf
	v_mov_b32_dpp v6, v2 row_shr:4 row_mask:0xf bank_mask:0xf
	s_mov_b32 s1, exec_lo
	v_cmpx_lt_u32_e32 3, v59
	;; [unrolled: 14-line block ×3, first 2 shown]
; %bb.80:
	s_delay_alu instid0(VALU_DEP_3) | instskip(SKIP_1) | instid1(VALU_DEP_2)
	v_add_co_u32 v5, vcc_lo, v3, v6
	v_add_co_ci_u32_e32 v2, vcc_lo, 0, v4, vcc_lo
	v_add_co_u32 v3, vcc_lo, 0, v5
	s_delay_alu instid0(VALU_DEP_2) | instskip(NEXT) | instid1(VALU_DEP_1)
	v_add_co_ci_u32_e32 v4, vcc_lo, v1, v2, vcc_lo
	v_mov_b32_e32 v2, v4
; %bb.81:
	s_or_b32 exec_lo, exec_lo, s1
	ds_swizzle_b32 v1, v5 offset:swizzle(BROADCAST,32,15)
	ds_swizzle_b32 v6, v2 offset:swizzle(BROADCAST,32,15)
	v_and_b32_e32 v7, 16, v58
	s_mov_b32 s1, exec_lo
	s_delay_alu instid0(VALU_DEP_1)
	v_cmpx_ne_u32_e32 0, v7
	s_cbranch_execz .LBB358_83
; %bb.82:
	s_waitcnt lgkmcnt(1)
	v_add_co_u32 v5, vcc_lo, v3, v1
	v_add_co_ci_u32_e32 v2, vcc_lo, 0, v4, vcc_lo
	s_delay_alu instid0(VALU_DEP_2) | instskip(SKIP_1) | instid1(VALU_DEP_2)
	v_add_co_u32 v1, vcc_lo, 0, v5
	s_waitcnt lgkmcnt(0)
	v_add_co_ci_u32_e32 v2, vcc_lo, v6, v2, vcc_lo
	s_delay_alu instid0(VALU_DEP_1)
	v_dual_mov_b32 v4, v2 :: v_dual_mov_b32 v3, v1
.LBB358_83:
	s_or_b32 exec_lo, exec_lo, s1
	s_waitcnt lgkmcnt(0)
	v_or_b32_e32 v6, 31, v0
	v_lshrrev_b32_e32 v1, 5, v0
	s_mov_b32 s1, exec_lo
	s_delay_alu instid0(VALU_DEP_2)
	v_cmpx_eq_u32_e64 v6, v0
	s_cbranch_execz .LBB358_85
; %bb.84:
	s_delay_alu instid0(VALU_DEP_2)
	v_lshlrev_b32_e32 v6, 3, v1
	ds_store_b64 v6, v[3:4]
.LBB358_85:
	s_or_b32 exec_lo, exec_lo, s1
	s_delay_alu instid0(SALU_CYCLE_1)
	s_mov_b32 s1, exec_lo
	s_waitcnt lgkmcnt(0)
	s_barrier
	buffer_gl0_inv
	v_cmpx_gt_u32_e32 4, v0
	s_cbranch_execz .LBB358_91
; %bb.86:
	v_lshlrev_b32_e32 v6, 3, v0
	s_mov_b32 s6, exec_lo
	ds_load_b64 v[3:4], v6
	s_waitcnt lgkmcnt(0)
	v_dual_mov_b32 v8, v3 :: v_dual_and_b32 v7, 3, v58
	v_mov_b32_dpp v29, v3 row_shr:1 row_mask:0xf bank_mask:0xf
	v_mov_b32_dpp v28, v4 row_shr:1 row_mask:0xf bank_mask:0xf
	s_delay_alu instid0(VALU_DEP_3)
	v_cmpx_ne_u32_e32 0, v7
; %bb.87:
	s_delay_alu instid0(VALU_DEP_3) | instskip(SKIP_1) | instid1(VALU_DEP_2)
	v_add_co_u32 v8, vcc_lo, v3, v29
	v_add_co_ci_u32_e32 v4, vcc_lo, 0, v4, vcc_lo
	v_add_co_u32 v3, vcc_lo, 0, v8
	s_delay_alu instid0(VALU_DEP_2)
	v_add_co_ci_u32_e32 v4, vcc_lo, v28, v4, vcc_lo
; %bb.88:
	s_or_b32 exec_lo, exec_lo, s6
	v_mov_b32_dpp v28, v8 row_shr:2 row_mask:0xf bank_mask:0xf
	s_delay_alu instid0(VALU_DEP_2)
	v_mov_b32_dpp v8, v4 row_shr:2 row_mask:0xf bank_mask:0xf
	s_mov_b32 s6, exec_lo
	v_cmpx_lt_u32_e32 1, v7
; %bb.89:
	s_delay_alu instid0(VALU_DEP_3) | instskip(SKIP_1) | instid1(VALU_DEP_2)
	v_add_co_u32 v3, vcc_lo, v3, v28
	v_add_co_ci_u32_e32 v4, vcc_lo, 0, v4, vcc_lo
	v_add_co_u32 v3, vcc_lo, v3, 0
	s_delay_alu instid0(VALU_DEP_2)
	v_add_co_ci_u32_e32 v4, vcc_lo, v4, v8, vcc_lo
; %bb.90:
	s_or_b32 exec_lo, exec_lo, s6
	ds_store_b64 v6, v[3:4]
.LBB358_91:
	s_or_b32 exec_lo, exec_lo, s1
	v_cmp_gt_u32_e32 vcc_lo, 32, v0
	s_mov_b32 s6, exec_lo
	s_waitcnt lgkmcnt(0)
	s_barrier
	buffer_gl0_inv
                                        ; implicit-def: $vgpr28_vgpr29
	v_cmpx_lt_u32_e32 31, v0
	s_cbranch_execz .LBB358_93
; %bb.92:
	v_lshl_add_u32 v1, v1, 3, -8
	ds_load_b64 v[28:29], v1
	s_waitcnt lgkmcnt(0)
	v_add_co_u32 v5, s1, v5, v28
	s_delay_alu instid0(VALU_DEP_1)
	v_add_co_ci_u32_e64 v2, s1, v2, v29, s1
.LBB358_93:
	s_or_b32 exec_lo, exec_lo, s6
	v_add_nc_u32_e32 v1, -1, v58
	s_delay_alu instid0(VALU_DEP_1) | instskip(NEXT) | instid1(VALU_DEP_1)
	v_cmp_gt_i32_e64 s1, 0, v1
	v_cndmask_b32_e64 v1, v1, v58, s1
	v_cmp_eq_u32_e64 s1, 0, v58
	s_delay_alu instid0(VALU_DEP_2)
	v_lshlrev_b32_e32 v1, 2, v1
	ds_bpermute_b32 v60, v1, v5
	ds_bpermute_b32 v61, v1, v2
	s_and_saveexec_b32 s6, vcc_lo
	s_cbranch_execz .LBB358_131
; %bb.94:
	v_mov_b32_e32 v4, 0
	ds_load_b64 v[1:2], v4 offset:24
	s_and_saveexec_b32 s7, s1
	s_cbranch_execz .LBB358_96
; %bb.95:
	s_add_i32 s10, s4, 32
	s_mov_b32 s11, 0
	s_delay_alu instid0(SALU_CYCLE_1) | instskip(NEXT) | instid1(SALU_CYCLE_1)
	s_lshl_b64 s[10:11], s[10:11], 4
	s_add_u32 s10, s14, s10
	s_addc_u32 s11, s15, s11
	v_mov_b32_e32 v5, s10
	v_dual_mov_b32 v3, 1 :: v_dual_mov_b32 v6, s11
	s_waitcnt lgkmcnt(0)
	;;#ASMSTART
	global_store_dwordx4 v[5:6], v[1:4] off	
s_waitcnt vmcnt(0)
	;;#ASMEND
.LBB358_96:
	s_or_b32 exec_lo, exec_lo, s7
	v_xad_u32 v30, v58, -1, s4
	s_mov_b32 s10, 0
	s_mov_b32 s7, exec_lo
	s_delay_alu instid0(VALU_DEP_1) | instskip(NEXT) | instid1(VALU_DEP_1)
	v_add_nc_u32_e32 v3, 32, v30
	v_lshlrev_b64 v[3:4], 4, v[3:4]
	s_delay_alu instid0(VALU_DEP_1) | instskip(NEXT) | instid1(VALU_DEP_2)
	v_add_co_u32 v3, vcc_lo, s14, v3
	v_add_co_ci_u32_e32 v4, vcc_lo, s15, v4, vcc_lo
	;;#ASMSTART
	global_load_dwordx4 v[5:8], v[3:4] off glc	
s_waitcnt vmcnt(0)
	;;#ASMEND
	v_and_b32_e32 v8, 0xff, v6
	v_and_b32_e32 v31, 0xff00, v6
	v_or3_b32 v5, v5, 0, 0
	v_and_b32_e32 v32, 0xff000000, v6
	v_and_b32_e32 v6, 0xff0000, v6
	s_delay_alu instid0(VALU_DEP_4) | instskip(SKIP_2) | instid1(VALU_DEP_3)
	v_or3_b32 v8, 0, v8, v31
	v_and_b32_e32 v31, 0xff, v7
	v_or3_b32 v5, v5, 0, 0
	v_or3_b32 v6, v8, v6, v32
	s_delay_alu instid0(VALU_DEP_3)
	v_cmpx_eq_u16_e32 0, v31
	s_cbranch_execz .LBB358_99
.LBB358_97:                             ; =>This Inner Loop Header: Depth=1
	;;#ASMSTART
	global_load_dwordx4 v[5:8], v[3:4] off glc	
s_waitcnt vmcnt(0)
	;;#ASMEND
	v_and_b32_e32 v8, 0xff, v7
	s_delay_alu instid0(VALU_DEP_1) | instskip(SKIP_1) | instid1(SALU_CYCLE_1)
	v_cmp_ne_u16_e32 vcc_lo, 0, v8
	s_or_b32 s10, vcc_lo, s10
	s_and_not1_b32 exec_lo, exec_lo, s10
	s_cbranch_execnz .LBB358_97
; %bb.98:
	s_or_b32 exec_lo, exec_lo, s10
.LBB358_99:
	s_delay_alu instid0(SALU_CYCLE_1)
	s_or_b32 exec_lo, exec_lo, s7
	v_cmp_ne_u32_e32 vcc_lo, 31, v58
	v_and_b32_e32 v4, 0xff, v7
	v_lshlrev_b32_e64 v63, v58, -1
	s_mov_b32 s7, exec_lo
	v_add_co_ci_u32_e32 v3, vcc_lo, 0, v58, vcc_lo
	s_delay_alu instid0(VALU_DEP_3) | instskip(SKIP_1) | instid1(VALU_DEP_3)
	v_cmp_eq_u16_e32 vcc_lo, 2, v4
	v_mov_b32_e32 v4, v5
	v_lshlrev_b32_e32 v62, 2, v3
	v_and_or_b32 v3, vcc_lo, v63, 0x80000000
	ds_bpermute_b32 v31, v62, v5
	ds_bpermute_b32 v8, v62, v6
	v_ctz_i32_b32_e32 v3, v3
	s_delay_alu instid0(VALU_DEP_1)
	v_cmpx_lt_u32_e64 v58, v3
	s_cbranch_execz .LBB358_101
; %bb.100:
	s_waitcnt lgkmcnt(1)
	v_add_co_u32 v4, vcc_lo, v5, v31
	v_add_co_ci_u32_e32 v6, vcc_lo, 0, v6, vcc_lo
	s_delay_alu instid0(VALU_DEP_2) | instskip(SKIP_1) | instid1(VALU_DEP_2)
	v_add_co_u32 v5, vcc_lo, 0, v4
	s_waitcnt lgkmcnt(0)
	v_add_co_ci_u32_e32 v6, vcc_lo, v8, v6, vcc_lo
.LBB358_101:
	s_or_b32 exec_lo, exec_lo, s7
	v_cmp_gt_u32_e32 vcc_lo, 30, v58
	v_add_nc_u32_e32 v65, 2, v58
	s_mov_b32 s7, exec_lo
	s_waitcnt lgkmcnt(0)
	v_cndmask_b32_e64 v8, 0, 1, vcc_lo
	s_delay_alu instid0(VALU_DEP_1) | instskip(NEXT) | instid1(VALU_DEP_1)
	v_lshlrev_b32_e32 v8, 1, v8
	v_add_lshl_u32 v64, v8, v58, 2
	ds_bpermute_b32 v31, v64, v4
	ds_bpermute_b32 v8, v64, v6
	v_cmpx_le_u32_e64 v65, v3
	s_cbranch_execz .LBB358_103
; %bb.102:
	s_waitcnt lgkmcnt(1)
	v_add_co_u32 v4, vcc_lo, v5, v31
	v_add_co_ci_u32_e32 v6, vcc_lo, 0, v6, vcc_lo
	s_delay_alu instid0(VALU_DEP_2) | instskip(SKIP_1) | instid1(VALU_DEP_2)
	v_add_co_u32 v5, vcc_lo, 0, v4
	s_waitcnt lgkmcnt(0)
	v_add_co_ci_u32_e32 v6, vcc_lo, v8, v6, vcc_lo
.LBB358_103:
	s_or_b32 exec_lo, exec_lo, s7
	v_cmp_gt_u32_e32 vcc_lo, 28, v58
	v_add_nc_u32_e32 v67, 4, v58
	s_mov_b32 s7, exec_lo
	s_waitcnt lgkmcnt(0)
	v_cndmask_b32_e64 v8, 0, 1, vcc_lo
	s_delay_alu instid0(VALU_DEP_1) | instskip(NEXT) | instid1(VALU_DEP_1)
	v_lshlrev_b32_e32 v8, 2, v8
	v_add_lshl_u32 v66, v8, v58, 2
	ds_bpermute_b32 v31, v66, v4
	ds_bpermute_b32 v8, v66, v6
	v_cmpx_le_u32_e64 v67, v3
	;; [unrolled: 22-line block ×4, first 2 shown]
	s_cbranch_execz .LBB358_109
; %bb.108:
	s_waitcnt lgkmcnt(1)
	v_add_co_u32 v3, vcc_lo, v5, v8
	v_add_co_ci_u32_e32 v6, vcc_lo, 0, v6, vcc_lo
	s_delay_alu instid0(VALU_DEP_2) | instskip(SKIP_1) | instid1(VALU_DEP_2)
	v_add_co_u32 v5, vcc_lo, v3, 0
	s_waitcnt lgkmcnt(0)
	v_add_co_ci_u32_e32 v6, vcc_lo, v6, v4, vcc_lo
.LBB358_109:
	s_or_b32 exec_lo, exec_lo, s7
	v_mov_b32_e32 v31, 0
	s_branch .LBB358_111
.LBB358_110:                            ;   in Loop: Header=BB358_111 Depth=1
	s_or_b32 exec_lo, exec_lo, s7
	v_add_co_u32 v5, vcc_lo, v5, v3
	v_subrev_nc_u32_e32 v30, 32, v30
	v_add_co_ci_u32_e32 v6, vcc_lo, v6, v4, vcc_lo
.LBB358_111:                            ; =>This Loop Header: Depth=1
                                        ;     Child Loop BB358_114 Depth 2
	v_and_b32_e32 v3, 0xff, v7
	s_delay_alu instid0(VALU_DEP_1) | instskip(SKIP_2) | instid1(VALU_DEP_1)
	v_cmp_ne_u16_e32 vcc_lo, 2, v3
	v_cndmask_b32_e64 v3, 0, 1, vcc_lo
	;;#ASMSTART
	;;#ASMEND
	v_cmp_ne_u32_e32 vcc_lo, 0, v3
	s_waitcnt lgkmcnt(0)
	v_dual_mov_b32 v3, v5 :: v_dual_mov_b32 v4, v6
	s_cmp_lg_u32 vcc_lo, exec_lo
	s_cbranch_scc1 .LBB358_126
; %bb.112:                              ;   in Loop: Header=BB358_111 Depth=1
	v_lshlrev_b64 v[5:6], 4, v[30:31]
	s_mov_b32 s7, exec_lo
	s_delay_alu instid0(VALU_DEP_1) | instskip(NEXT) | instid1(VALU_DEP_2)
	v_add_co_u32 v32, vcc_lo, s14, v5
	v_add_co_ci_u32_e32 v33, vcc_lo, s15, v6, vcc_lo
	;;#ASMSTART
	global_load_dwordx4 v[5:8], v[32:33] off glc	
s_waitcnt vmcnt(0)
	;;#ASMEND
	v_and_b32_e32 v8, 0xff, v6
	v_and_b32_e32 v72, 0xff00, v6
	v_or3_b32 v5, v5, 0, 0
	v_and_b32_e32 v73, 0xff000000, v6
	v_and_b32_e32 v6, 0xff0000, v6
	s_delay_alu instid0(VALU_DEP_4) | instskip(SKIP_2) | instid1(VALU_DEP_3)
	v_or3_b32 v8, 0, v8, v72
	v_and_b32_e32 v72, 0xff, v7
	v_or3_b32 v5, v5, 0, 0
	v_or3_b32 v6, v8, v6, v73
	s_delay_alu instid0(VALU_DEP_3)
	v_cmpx_eq_u16_e32 0, v72
	s_cbranch_execz .LBB358_116
; %bb.113:                              ;   in Loop: Header=BB358_111 Depth=1
	s_mov_b32 s10, 0
.LBB358_114:                            ;   Parent Loop BB358_111 Depth=1
                                        ; =>  This Inner Loop Header: Depth=2
	;;#ASMSTART
	global_load_dwordx4 v[5:8], v[32:33] off glc	
s_waitcnt vmcnt(0)
	;;#ASMEND
	v_and_b32_e32 v8, 0xff, v7
	s_delay_alu instid0(VALU_DEP_1) | instskip(SKIP_1) | instid1(SALU_CYCLE_1)
	v_cmp_ne_u16_e32 vcc_lo, 0, v8
	s_or_b32 s10, vcc_lo, s10
	s_and_not1_b32 exec_lo, exec_lo, s10
	s_cbranch_execnz .LBB358_114
; %bb.115:                              ;   in Loop: Header=BB358_111 Depth=1
	s_or_b32 exec_lo, exec_lo, s10
.LBB358_116:                            ;   in Loop: Header=BB358_111 Depth=1
	s_delay_alu instid0(SALU_CYCLE_1)
	s_or_b32 exec_lo, exec_lo, s7
	v_and_b32_e32 v8, 0xff, v7
	ds_bpermute_b32 v72, v62, v5
	ds_bpermute_b32 v33, v62, v6
	v_mov_b32_e32 v32, v5
	s_mov_b32 s7, exec_lo
	v_cmp_eq_u16_e32 vcc_lo, 2, v8
	v_and_or_b32 v8, vcc_lo, v63, 0x80000000
	s_delay_alu instid0(VALU_DEP_1) | instskip(NEXT) | instid1(VALU_DEP_1)
	v_ctz_i32_b32_e32 v8, v8
	v_cmpx_lt_u32_e64 v58, v8
	s_cbranch_execz .LBB358_118
; %bb.117:                              ;   in Loop: Header=BB358_111 Depth=1
	s_waitcnt lgkmcnt(1)
	v_add_co_u32 v32, vcc_lo, v5, v72
	v_add_co_ci_u32_e32 v6, vcc_lo, 0, v6, vcc_lo
	s_delay_alu instid0(VALU_DEP_2) | instskip(SKIP_1) | instid1(VALU_DEP_2)
	v_add_co_u32 v5, vcc_lo, 0, v32
	s_waitcnt lgkmcnt(0)
	v_add_co_ci_u32_e32 v6, vcc_lo, v33, v6, vcc_lo
.LBB358_118:                            ;   in Loop: Header=BB358_111 Depth=1
	s_or_b32 exec_lo, exec_lo, s7
	s_waitcnt lgkmcnt(1)
	ds_bpermute_b32 v72, v64, v32
	s_waitcnt lgkmcnt(1)
	ds_bpermute_b32 v33, v64, v6
	s_mov_b32 s7, exec_lo
	v_cmpx_le_u32_e64 v65, v8
	s_cbranch_execz .LBB358_120
; %bb.119:                              ;   in Loop: Header=BB358_111 Depth=1
	s_waitcnt lgkmcnt(1)
	v_add_co_u32 v32, vcc_lo, v5, v72
	v_add_co_ci_u32_e32 v6, vcc_lo, 0, v6, vcc_lo
	s_delay_alu instid0(VALU_DEP_2) | instskip(SKIP_1) | instid1(VALU_DEP_2)
	v_add_co_u32 v5, vcc_lo, 0, v32
	s_waitcnt lgkmcnt(0)
	v_add_co_ci_u32_e32 v6, vcc_lo, v33, v6, vcc_lo
.LBB358_120:                            ;   in Loop: Header=BB358_111 Depth=1
	s_or_b32 exec_lo, exec_lo, s7
	s_waitcnt lgkmcnt(1)
	ds_bpermute_b32 v72, v66, v32
	s_waitcnt lgkmcnt(1)
	ds_bpermute_b32 v33, v66, v6
	s_mov_b32 s7, exec_lo
	v_cmpx_le_u32_e64 v67, v8
	;; [unrolled: 17-line block ×3, first 2 shown]
	s_cbranch_execz .LBB358_124
; %bb.123:                              ;   in Loop: Header=BB358_111 Depth=1
	s_waitcnt lgkmcnt(1)
	v_add_co_u32 v32, vcc_lo, v5, v72
	v_add_co_ci_u32_e32 v6, vcc_lo, 0, v6, vcc_lo
	s_delay_alu instid0(VALU_DEP_2) | instskip(SKIP_1) | instid1(VALU_DEP_2)
	v_add_co_u32 v5, vcc_lo, 0, v32
	s_waitcnt lgkmcnt(0)
	v_add_co_ci_u32_e32 v6, vcc_lo, v33, v6, vcc_lo
.LBB358_124:                            ;   in Loop: Header=BB358_111 Depth=1
	s_or_b32 exec_lo, exec_lo, s7
	s_waitcnt lgkmcnt(0)
	ds_bpermute_b32 v33, v70, v32
	ds_bpermute_b32 v32, v70, v6
	s_mov_b32 s7, exec_lo
	v_cmpx_le_u32_e64 v71, v8
	s_cbranch_execz .LBB358_110
; %bb.125:                              ;   in Loop: Header=BB358_111 Depth=1
	s_waitcnt lgkmcnt(1)
	v_add_co_u32 v5, vcc_lo, v5, v33
	v_add_co_ci_u32_e32 v6, vcc_lo, 0, v6, vcc_lo
	s_delay_alu instid0(VALU_DEP_2) | instskip(SKIP_1) | instid1(VALU_DEP_2)
	v_add_co_u32 v5, vcc_lo, v5, 0
	s_waitcnt lgkmcnt(0)
	v_add_co_ci_u32_e32 v6, vcc_lo, v6, v32, vcc_lo
	s_branch .LBB358_110
.LBB358_126:                            ;   in Loop: Header=BB358_111 Depth=1
                                        ; implicit-def: $vgpr5_vgpr6
	s_cbranch_execz .LBB358_111
; %bb.127:
	s_and_saveexec_b32 s7, s1
	s_cbranch_execz .LBB358_129
; %bb.128:
	s_add_i32 s10, s4, 32
	s_mov_b32 s11, 0
	v_add_co_u32 v5, vcc_lo, v3, v1
	s_lshl_b64 s[10:11], s[10:11], 4
	v_dual_mov_b32 v7, 2 :: v_dual_mov_b32 v8, 0
	s_add_u32 s10, s14, s10
	s_addc_u32 s11, s15, s11
	v_add_co_ci_u32_e32 v6, vcc_lo, v4, v2, vcc_lo
	v_dual_mov_b32 v31, s11 :: v_dual_mov_b32 v30, s10
	;;#ASMSTART
	global_store_dwordx4 v[30:31], v[5:8] off	
s_waitcnt vmcnt(0)
	;;#ASMEND
	ds_store_b128 v8, v[1:4] offset:7680
.LBB358_129:
	s_or_b32 exec_lo, exec_lo, s7
	s_delay_alu instid0(SALU_CYCLE_1)
	s_and_b32 exec_lo, exec_lo, s2
	s_cbranch_execz .LBB358_131
; %bb.130:
	v_mov_b32_e32 v1, 0
	ds_store_b64 v1, v[3:4] offset:24
.LBB358_131:
	s_or_b32 exec_lo, exec_lo, s6
	v_mov_b32_e32 v3, 0
	s_waitcnt lgkmcnt(0)
	s_barrier
	buffer_gl0_inv
	v_cndmask_b32_e64 v8, v61, v29, s1
	ds_load_b64 v[1:2], v3 offset:24
	s_waitcnt lgkmcnt(0)
	s_barrier
	buffer_gl0_inv
	ds_load_b128 v[4:7], v3 offset:7680
	v_cndmask_b32_e64 v3, v60, v28, s1
	v_cndmask_b32_e64 v8, v8, 0, s2
	s_delay_alu instid0(VALU_DEP_2) | instskip(NEXT) | instid1(VALU_DEP_1)
	v_cndmask_b32_e64 v3, v3, 0, s2
	v_add_co_u32 v74, vcc_lo, v1, v3
	s_delay_alu instid0(VALU_DEP_3)
	v_add_co_ci_u32_e32 v75, vcc_lo, v2, v8, vcc_lo
	s_branch .LBB358_156
.LBB358_132:
                                        ; implicit-def: $vgpr6_vgpr7
                                        ; implicit-def: $vgpr74_vgpr75
	s_and_b32 vcc_lo, exec_lo, s1
	s_cbranch_vccz .LBB358_156
; %bb.133:
	v_dual_mov_b32 v2, 0 :: v_dual_mov_b32 v3, v26
	s_waitcnt lgkmcnt(0)
	v_mov_b32_dpp v4, v26 row_shr:1 row_mask:0xf bank_mask:0xf
	s_delay_alu instid0(VALU_DEP_2)
	v_mov_b32_dpp v1, v2 row_shr:1 row_mask:0xf bank_mask:0xf
	s_and_saveexec_b32 s1, s0
; %bb.134:
	s_delay_alu instid0(VALU_DEP_2) | instskip(SKIP_1) | instid1(VALU_DEP_2)
	v_add_co_u32 v3, vcc_lo, v26, v4
	v_add_co_ci_u32_e32 v2, vcc_lo, 0, v27, vcc_lo
	v_add_co_u32 v26, vcc_lo, 0, v3
	s_delay_alu instid0(VALU_DEP_2) | instskip(NEXT) | instid1(VALU_DEP_1)
	v_add_co_ci_u32_e32 v27, vcc_lo, v1, v2, vcc_lo
	v_mov_b32_e32 v2, v27
; %bb.135:
	s_or_b32 exec_lo, exec_lo, s1
	v_mov_b32_dpp v1, v3 row_shr:2 row_mask:0xf bank_mask:0xf
	s_delay_alu instid0(VALU_DEP_2)
	v_mov_b32_dpp v4, v2 row_shr:2 row_mask:0xf bank_mask:0xf
	s_mov_b32 s0, exec_lo
	v_cmpx_lt_u32_e32 1, v59
; %bb.136:
	s_delay_alu instid0(VALU_DEP_3) | instskip(SKIP_1) | instid1(VALU_DEP_2)
	v_add_co_u32 v3, vcc_lo, v26, v1
	v_add_co_ci_u32_e32 v2, vcc_lo, 0, v27, vcc_lo
	v_add_co_u32 v1, vcc_lo, 0, v3
	s_delay_alu instid0(VALU_DEP_2) | instskip(NEXT) | instid1(VALU_DEP_1)
	v_add_co_ci_u32_e32 v2, vcc_lo, v4, v2, vcc_lo
	v_dual_mov_b32 v27, v2 :: v_dual_mov_b32 v26, v1
; %bb.137:
	s_or_b32 exec_lo, exec_lo, s0
	v_mov_b32_dpp v1, v3 row_shr:4 row_mask:0xf bank_mask:0xf
	v_mov_b32_dpp v4, v2 row_shr:4 row_mask:0xf bank_mask:0xf
	s_mov_b32 s0, exec_lo
	v_cmpx_lt_u32_e32 3, v59
; %bb.138:
	s_delay_alu instid0(VALU_DEP_3) | instskip(SKIP_1) | instid1(VALU_DEP_2)
	v_add_co_u32 v3, vcc_lo, v26, v1
	v_add_co_ci_u32_e32 v2, vcc_lo, 0, v27, vcc_lo
	v_add_co_u32 v1, vcc_lo, 0, v3
	s_delay_alu instid0(VALU_DEP_2) | instskip(NEXT) | instid1(VALU_DEP_1)
	v_add_co_ci_u32_e32 v2, vcc_lo, v4, v2, vcc_lo
	v_dual_mov_b32 v27, v2 :: v_dual_mov_b32 v26, v1
; %bb.139:
	s_or_b32 exec_lo, exec_lo, s0
	v_mov_b32_dpp v4, v3 row_shr:8 row_mask:0xf bank_mask:0xf
	v_mov_b32_dpp v1, v2 row_shr:8 row_mask:0xf bank_mask:0xf
	s_mov_b32 s0, exec_lo
	v_cmpx_lt_u32_e32 7, v59
; %bb.140:
	s_delay_alu instid0(VALU_DEP_3) | instskip(SKIP_1) | instid1(VALU_DEP_2)
	v_add_co_u32 v3, vcc_lo, v26, v4
	v_add_co_ci_u32_e32 v2, vcc_lo, 0, v27, vcc_lo
	v_add_co_u32 v26, vcc_lo, 0, v3
	s_delay_alu instid0(VALU_DEP_2) | instskip(NEXT) | instid1(VALU_DEP_1)
	v_add_co_ci_u32_e32 v27, vcc_lo, v1, v2, vcc_lo
	v_mov_b32_e32 v2, v27
; %bb.141:
	s_or_b32 exec_lo, exec_lo, s0
	ds_swizzle_b32 v3, v3 offset:swizzle(BROADCAST,32,15)
	ds_swizzle_b32 v1, v2 offset:swizzle(BROADCAST,32,15)
	v_and_b32_e32 v2, 16, v58
	s_mov_b32 s0, exec_lo
	s_delay_alu instid0(VALU_DEP_1)
	v_cmpx_ne_u32_e32 0, v2
	s_cbranch_execz .LBB358_143
; %bb.142:
	s_waitcnt lgkmcnt(1)
	v_add_co_u32 v2, vcc_lo, v26, v3
	v_add_co_ci_u32_e32 v3, vcc_lo, 0, v27, vcc_lo
	s_delay_alu instid0(VALU_DEP_2) | instskip(SKIP_1) | instid1(VALU_DEP_2)
	v_add_co_u32 v26, vcc_lo, v2, 0
	s_waitcnt lgkmcnt(0)
	v_add_co_ci_u32_e32 v27, vcc_lo, v3, v1, vcc_lo
.LBB358_143:
	s_or_b32 exec_lo, exec_lo, s0
	s_waitcnt lgkmcnt(0)
	v_or_b32_e32 v1, 31, v0
	v_lshrrev_b32_e32 v3, 5, v0
	s_mov_b32 s0, exec_lo
	s_delay_alu instid0(VALU_DEP_2)
	v_cmpx_eq_u32_e64 v1, v0
	s_cbranch_execz .LBB358_145
; %bb.144:
	s_delay_alu instid0(VALU_DEP_2)
	v_lshlrev_b32_e32 v1, 3, v3
	ds_store_b64 v1, v[26:27]
.LBB358_145:
	s_or_b32 exec_lo, exec_lo, s0
	s_delay_alu instid0(SALU_CYCLE_1)
	s_mov_b32 s0, exec_lo
	s_waitcnt lgkmcnt(0)
	s_barrier
	buffer_gl0_inv
	v_cmpx_gt_u32_e32 4, v0
	s_cbranch_execz .LBB358_151
; %bb.146:
	v_lshlrev_b32_e32 v4, 3, v0
	s_mov_b32 s1, exec_lo
	ds_load_b64 v[1:2], v4
	s_waitcnt lgkmcnt(0)
	v_dual_mov_b32 v6, v1 :: v_dual_and_b32 v5, 3, v58
	v_mov_b32_dpp v8, v1 row_shr:1 row_mask:0xf bank_mask:0xf
	v_mov_b32_dpp v7, v2 row_shr:1 row_mask:0xf bank_mask:0xf
	s_delay_alu instid0(VALU_DEP_3)
	v_cmpx_ne_u32_e32 0, v5
; %bb.147:
	s_delay_alu instid0(VALU_DEP_3) | instskip(SKIP_1) | instid1(VALU_DEP_2)
	v_add_co_u32 v6, vcc_lo, v1, v8
	v_add_co_ci_u32_e32 v2, vcc_lo, 0, v2, vcc_lo
	v_add_co_u32 v1, vcc_lo, 0, v6
	s_delay_alu instid0(VALU_DEP_2)
	v_add_co_ci_u32_e32 v2, vcc_lo, v7, v2, vcc_lo
; %bb.148:
	s_or_b32 exec_lo, exec_lo, s1
	v_mov_b32_dpp v7, v6 row_shr:2 row_mask:0xf bank_mask:0xf
	s_delay_alu instid0(VALU_DEP_2)
	v_mov_b32_dpp v6, v2 row_shr:2 row_mask:0xf bank_mask:0xf
	s_mov_b32 s1, exec_lo
	v_cmpx_lt_u32_e32 1, v5
; %bb.149:
	s_delay_alu instid0(VALU_DEP_3) | instskip(SKIP_1) | instid1(VALU_DEP_2)
	v_add_co_u32 v1, vcc_lo, v1, v7
	v_add_co_ci_u32_e32 v2, vcc_lo, 0, v2, vcc_lo
	v_add_co_u32 v1, vcc_lo, v1, 0
	s_delay_alu instid0(VALU_DEP_2)
	v_add_co_ci_u32_e32 v2, vcc_lo, v2, v6, vcc_lo
; %bb.150:
	s_or_b32 exec_lo, exec_lo, s1
	ds_store_b64 v4, v[1:2]
.LBB358_151:
	s_or_b32 exec_lo, exec_lo, s0
	v_mov_b32_e32 v1, 0
	v_mov_b32_e32 v2, 0
	s_mov_b32 s0, exec_lo
	s_waitcnt lgkmcnt(0)
	s_barrier
	buffer_gl0_inv
	v_cmpx_lt_u32_e32 31, v0
	s_cbranch_execz .LBB358_153
; %bb.152:
	v_lshl_add_u32 v1, v3, 3, -8
	ds_load_b64 v[1:2], v1
.LBB358_153:
	s_or_b32 exec_lo, exec_lo, s0
	v_add_nc_u32_e32 v3, -1, v58
	v_mov_b32_e32 v7, 0
	s_delay_alu instid0(VALU_DEP_2) | instskip(SKIP_1) | instid1(VALU_DEP_1)
	v_cmp_gt_i32_e32 vcc_lo, 0, v3
	v_cndmask_b32_e32 v3, v3, v58, vcc_lo
	v_lshlrev_b32_e32 v4, 2, v3
	s_waitcnt lgkmcnt(0)
	v_add_co_u32 v3, vcc_lo, v1, v26
	v_add_co_ci_u32_e32 v5, vcc_lo, v2, v27, vcc_lo
	ds_bpermute_b32 v3, v4, v3
	ds_bpermute_b32 v8, v4, v5
	ds_load_b64 v[4:5], v7 offset:24
	s_and_saveexec_b32 s0, s2
	s_cbranch_execz .LBB358_155
; %bb.154:
	s_add_u32 s6, s14, 0x200
	s_addc_u32 s7, s15, 0
	s_delay_alu instid0(SALU_CYCLE_1)
	v_dual_mov_b32 v6, 2 :: v_dual_mov_b32 v27, s7
	v_mov_b32_e32 v26, s6
	s_waitcnt lgkmcnt(0)
	;;#ASMSTART
	global_store_dwordx4 v[26:27], v[4:7] off	
s_waitcnt vmcnt(0)
	;;#ASMEND
.LBB358_155:
	s_or_b32 exec_lo, exec_lo, s0
	v_cmp_eq_u32_e32 vcc_lo, 0, v58
	v_mov_b32_e32 v6, 0
	v_mov_b32_e32 v7, 0
	s_waitcnt lgkmcnt(0)
	s_barrier
	v_dual_cndmask_b32 v1, v3, v1 :: v_dual_cndmask_b32 v2, v8, v2
	buffer_gl0_inv
	v_cndmask_b32_e64 v74, v1, 0, s2
	v_cndmask_b32_e64 v75, v2, 0, s2
.LBB358_156:
	s_delay_alu instid0(VALU_DEP_2) | instskip(NEXT) | instid1(VALU_DEP_2)
	v_add_co_u32 v82, vcc_lo, v74, v46
	v_add_co_ci_u32_e32 v83, vcc_lo, 0, v75, vcc_lo
	s_delay_alu instid0(VALU_DEP_2) | instskip(NEXT) | instid1(VALU_DEP_2)
	v_add_co_u32 v80, vcc_lo, v82, v57
	v_add_co_ci_u32_e32 v81, vcc_lo, 0, v83, vcc_lo
	;; [unrolled: 3-line block ×27, first 2 shown]
	s_waitcnt lgkmcnt(0)
	v_cmp_gt_u64_e32 vcc_lo, 0x81, v[4:5]
	s_delay_alu instid0(VALU_DEP_3) | instskip(NEXT) | instid1(VALU_DEP_1)
	v_add_co_u32 v28, s0, v26, v85
	v_add_co_ci_u32_e64 v29, s0, 0, v27, s0
	s_delay_alu instid0(VALU_DEP_2) | instskip(NEXT) | instid1(VALU_DEP_1)
	v_add_co_u32 v1, s0, v28, v84
	v_add_co_ci_u32_e64 v2, s0, 0, v29, s0
	s_mov_b32 s0, -1
	s_cbranch_vccnz .LBB358_160
; %bb.157:
	s_and_b32 vcc_lo, exec_lo, s0
	s_cbranch_vccnz .LBB358_251
.LBB358_158:
	s_and_b32 s0, s2, s5
	s_delay_alu instid0(SALU_CYCLE_1)
	s_and_saveexec_b32 s1, s0
	s_cbranch_execnz .LBB358_322
.LBB358_159:
	s_nop 0
	s_sendmsg sendmsg(MSG_DEALLOC_VGPRS)
	s_endpgm
.LBB358_160:
	v_add_co_u32 v84, vcc_lo, v6, v4
	v_add_co_ci_u32_e32 v85, vcc_lo, v7, v5, vcc_lo
	v_lshlrev_b64 v[131:132], 1, v[12:13]
	s_delay_alu instid0(VALU_DEP_2) | instskip(NEXT) | instid1(VALU_DEP_2)
	v_cmp_lt_u64_e32 vcc_lo, v[74:75], v[84:85]
	v_add_co_u32 v3, s0, s12, v131
	s_delay_alu instid0(VALU_DEP_1) | instskip(SKIP_1) | instid1(SALU_CYCLE_1)
	v_add_co_ci_u32_e64 v8, s0, s13, v132, s0
	s_or_b32 s1, s3, vcc_lo
	s_and_saveexec_b32 s0, s1
	s_cbranch_execz .LBB358_163
; %bb.161:
	v_and_b32_e32 v131, 1, v130
	s_delay_alu instid0(VALU_DEP_1)
	v_cmp_eq_u32_e32 vcc_lo, 1, v131
	s_and_b32 exec_lo, exec_lo, vcc_lo
	s_cbranch_execz .LBB358_163
; %bb.162:
	v_lshlrev_b64 v[131:132], 1, v[74:75]
	s_delay_alu instid0(VALU_DEP_1) | instskip(NEXT) | instid1(VALU_DEP_2)
	v_add_co_u32 v131, vcc_lo, v3, v131
	v_add_co_ci_u32_e32 v132, vcc_lo, v8, v132, vcc_lo
	global_store_b16 v[131:132], v24, off
.LBB358_163:
	s_or_b32 exec_lo, exec_lo, s0
	v_cmp_lt_u64_e32 vcc_lo, v[82:83], v[84:85]
	s_or_b32 s1, s3, vcc_lo
	s_delay_alu instid0(SALU_CYCLE_1)
	s_and_saveexec_b32 s0, s1
	s_cbranch_execz .LBB358_166
; %bb.164:
	v_and_b32_e32 v75, 1, v129
	s_delay_alu instid0(VALU_DEP_1)
	v_cmp_eq_u32_e32 vcc_lo, 1, v75
	s_and_b32 exec_lo, exec_lo, vcc_lo
	s_cbranch_execz .LBB358_166
; %bb.165:
	v_lshlrev_b64 v[131:132], 1, v[82:83]
	s_delay_alu instid0(VALU_DEP_1) | instskip(NEXT) | instid1(VALU_DEP_2)
	v_add_co_u32 v131, vcc_lo, v3, v131
	v_add_co_ci_u32_e32 v132, vcc_lo, v8, v132, vcc_lo
	global_store_b16 v[131:132], v113, off
.LBB358_166:
	s_or_b32 exec_lo, exec_lo, s0
	v_cmp_lt_u64_e32 vcc_lo, v[80:81], v[84:85]
	s_or_b32 s1, s3, vcc_lo
	s_delay_alu instid0(SALU_CYCLE_1)
	;; [unrolled: 19-line block ×29, first 2 shown]
	s_and_saveexec_b32 s0, s1
	s_cbranch_execz .LBB358_250
; %bb.248:
	v_and_b32_e32 v27, 1, v96
	s_delay_alu instid0(VALU_DEP_1)
	v_cmp_eq_u32_e32 vcc_lo, 1, v27
	s_and_b32 exec_lo, exec_lo, vcc_lo
	s_cbranch_execz .LBB358_250
; %bb.249:
	v_lshlrev_b64 v[83:84], 1, v[1:2]
	s_delay_alu instid0(VALU_DEP_1) | instskip(NEXT) | instid1(VALU_DEP_2)
	v_add_co_u32 v2, vcc_lo, v3, v83
	v_add_co_ci_u32_e32 v3, vcc_lo, v8, v84, vcc_lo
	global_store_b16 v[2:3], v86, off
.LBB358_250:
	s_or_b32 exec_lo, exec_lo, s0
	s_branch .LBB358_158
.LBB358_251:
	v_and_b32_e32 v2, 1, v130
	s_mov_b32 s0, exec_lo
	s_delay_alu instid0(VALU_DEP_1)
	v_cmpx_eq_u32_e32 1, v2
	s_cbranch_execz .LBB358_253
; %bb.252:
	v_sub_nc_u32_e32 v2, v74, v6
	s_delay_alu instid0(VALU_DEP_1)
	v_lshlrev_b32_e32 v2, 1, v2
	ds_store_b16 v2, v24
.LBB358_253:
	s_or_b32 exec_lo, exec_lo, s0
	v_and_b32_e32 v2, 1, v129
	s_mov_b32 s0, exec_lo
	s_delay_alu instid0(VALU_DEP_1)
	v_cmpx_eq_u32_e32 1, v2
	s_cbranch_execz .LBB358_255
; %bb.254:
	v_sub_nc_u32_e32 v2, v82, v6
	s_delay_alu instid0(VALU_DEP_1)
	v_lshlrev_b32_e32 v2, 1, v2
	ds_store_b16 v2, v113
.LBB358_255:
	s_or_b32 exec_lo, exec_lo, s0
	;; [unrolled: 12-line block ×30, first 2 shown]
	v_mov_b32_e32 v1, 0
	s_mov_b32 s10, exec_lo
	s_waitcnt lgkmcnt(0)
	s_waitcnt_vscnt null, 0x0
	s_barrier
	buffer_gl0_inv
	v_cmpx_gt_u64_e64 v[4:5], v[0:1]
	s_cbranch_execz .LBB358_321
; %bb.312:
	v_not_b32_e32 v2, v0
	v_not_b32_e32 v3, 0
	s_mov_b32 s11, exec_lo
	s_delay_alu instid0(VALU_DEP_2) | instskip(NEXT) | instid1(VALU_DEP_2)
	v_add_co_u32 v8, vcc_lo, v4, v2
	v_add_co_ci_u32_e32 v9, vcc_lo, v5, v3, vcc_lo
	v_dual_mov_b32 v3, v1 :: v_dual_mov_b32 v2, v0
	s_delay_alu instid0(VALU_DEP_2)
	v_cmp_gt_u64_e32 vcc_lo, 0x1a80, v[8:9]
	v_cmpx_lt_u64_e32 0x1a7f, v[8:9]
	s_cbranch_execz .LBB358_318
; %bb.313:
	v_alignbit_b32 v2, v9, v8, 7
	v_not_b32_e32 v3, v0
	v_xor_b32_e32 v10, 0xffffff7f, v0
	s_movk_i32 s7, 0x7f
	s_mov_b32 s6, -1
	v_lshlrev_b32_e32 v11, 7, v2
	v_cmp_lt_u64_e64 s0, s[6:7], v[8:9]
	v_cmp_lt_u32_e64 s1, 0x1ffffff, v2
	s_delay_alu instid0(VALU_DEP_3) | instskip(SKIP_2) | instid1(VALU_DEP_4)
	v_cmp_gt_u32_e64 s3, v11, v3
	v_dual_mov_b32 v3, v1 :: v_dual_mov_b32 v2, v0
	v_cmp_lt_u32_e64 s4, v10, v11
	s_or_b32 s0, s1, s0
	s_delay_alu instid0(VALU_DEP_3) | instskip(NEXT) | instid1(VALU_DEP_1)
	s_or_b32 s1, s3, s1
	s_or_b32 s0, s0, s4
	s_delay_alu instid0(SALU_CYCLE_1) | instskip(NEXT) | instid1(SALU_CYCLE_1)
	s_or_b32 s0, s1, s0
	s_xor_b32 s0, s0, -1
	s_delay_alu instid0(SALU_CYCLE_1)
	s_and_saveexec_b32 s3, s0
	s_cbranch_execz .LBB358_317
; %bb.314:
	v_lshrrev_b64 v[2:3], 7, v[8:9]
	v_lshlrev_b64 v[8:9], 1, v[6:7]
	s_mov_b32 s4, 0
	s_delay_alu instid0(VALU_DEP_2) | instskip(NEXT) | instid1(VALU_DEP_1)
	v_add_co_u32 v14, s0, v2, 1
	v_add_co_ci_u32_e64 v15, s0, 0, v3, s0
	v_lshlrev_b64 v[2:3], 1, v[12:13]
	s_delay_alu instid0(VALU_DEP_2) | instskip(NEXT) | instid1(VALU_DEP_2)
	v_dual_mov_b32 v17, v15 :: v_dual_and_b32 v16, -2, v14
	v_add_co_u32 v2, s0, v8, v2
	s_delay_alu instid0(VALU_DEP_1) | instskip(SKIP_1) | instid1(VALU_DEP_3)
	v_add_co_ci_u32_e64 v3, s0, v9, v3, s0
	v_lshlrev_b32_e32 v8, 1, v0
	v_add_co_u32 v9, s0, s12, v2
	s_delay_alu instid0(VALU_DEP_1) | instskip(SKIP_1) | instid1(VALU_DEP_3)
	v_add_co_ci_u32_e64 v3, s0, s13, v3, s0
	v_or_b32_e32 v2, 0x80, v0
	v_add_co_u32 v8, s0, v9, v8
	s_delay_alu instid0(VALU_DEP_1) | instskip(SKIP_1) | instid1(VALU_DEP_3)
	v_add_co_ci_u32_e64 v9, s0, 0, v3, s0
	v_mov_b32_e32 v3, v1
	v_add_co_u32 v18, s0, 0x100, v8
	s_delay_alu instid0(VALU_DEP_1) | instskip(NEXT) | instid1(VALU_DEP_3)
	v_add_co_ci_u32_e64 v19, s0, 0, v9, s0
	v_dual_mov_b32 v11, v3 :: v_dual_mov_b32 v10, v2
	v_dual_mov_b32 v21, v17 :: v_dual_mov_b32 v20, v16
	;; [unrolled: 1-line block ×3, first 2 shown]
	s_set_inst_prefetch_distance 0x1
	.p2align	6
.LBB358_315:                            ; =>This Inner Loop Header: Depth=1
	s_delay_alu instid0(VALU_DEP_1) | instskip(SKIP_2) | instid1(VALU_DEP_1)
	v_lshlrev_b32_e32 v1, 1, v8
	v_lshlrev_b32_e32 v2, 1, v10
	v_add_co_u32 v10, s0, 0x100, v10
	v_add_co_ci_u32_e64 v11, s0, 0, v11, s0
	ds_load_u16 v1, v1
	ds_load_u16 v2, v2
	v_add_co_u32 v20, s0, v20, -2
	s_delay_alu instid0(VALU_DEP_1) | instskip(SKIP_1) | instid1(VALU_DEP_1)
	v_add_co_ci_u32_e64 v21, s0, -1, v21, s0
	v_add_co_u32 v8, s0, 0x100, v8
	v_add_co_ci_u32_e64 v9, s0, 0, v9, s0
	s_delay_alu instid0(VALU_DEP_3)
	v_cmp_eq_u64_e64 s0, 0, v[20:21]
	s_waitcnt lgkmcnt(1)
	global_store_b16 v[18:19], v1, off offset:-256
	s_waitcnt lgkmcnt(0)
	global_store_b16 v[18:19], v2, off
	v_add_co_u32 v18, s1, 0x200, v18
	s_delay_alu instid0(VALU_DEP_1) | instskip(SKIP_1) | instid1(SALU_CYCLE_1)
	v_add_co_ci_u32_e64 v19, s1, 0, v19, s1
	s_or_b32 s4, s0, s4
	s_and_not1_b32 exec_lo, exec_lo, s4
	s_cbranch_execnz .LBB358_315
; %bb.316:
	s_set_inst_prefetch_distance 0x2
	s_or_b32 exec_lo, exec_lo, s4
	v_lshlrev_b64 v[1:2], 7, v[16:17]
	v_cmp_ne_u64_e64 s0, v[14:15], v[16:17]
	s_delay_alu instid0(VALU_DEP_2) | instskip(NEXT) | instid1(VALU_DEP_3)
	v_or_b32_e32 v3, 0, v2
	v_or_b32_e32 v2, v1, v0
	v_lshl_or_b32 v0, v16, 7, v0
	s_delay_alu instid0(VALU_DEP_4)
	s_or_not1_b32 s6, s0, exec_lo
.LBB358_317:
	s_or_b32 exec_lo, exec_lo, s3
	s_delay_alu instid0(SALU_CYCLE_1) | instskip(SKIP_1) | instid1(SALU_CYCLE_1)
	s_and_not1_b32 s0, vcc_lo, exec_lo
	s_and_b32 s1, s6, exec_lo
	s_or_b32 vcc_lo, s0, s1
.LBB358_318:
	s_or_b32 exec_lo, exec_lo, s11
	s_delay_alu instid0(SALU_CYCLE_1)
	s_and_b32 exec_lo, exec_lo, vcc_lo
	s_cbranch_execz .LBB358_321
; %bb.319:
	v_lshlrev_b64 v[8:9], 1, v[6:7]
	v_lshlrev_b64 v[10:11], 1, v[12:13]
	v_add_nc_u32_e32 v0, 0x80, v0
	s_mov_b32 s1, 0
	s_delay_alu instid0(VALU_DEP_3) | instskip(NEXT) | instid1(VALU_DEP_4)
	v_add_co_u32 v1, vcc_lo, s12, v8
	v_add_co_ci_u32_e32 v9, vcc_lo, s13, v9, vcc_lo
	s_delay_alu instid0(VALU_DEP_2) | instskip(SKIP_1) | instid1(VALU_DEP_3)
	v_add_co_u32 v8, vcc_lo, v1, v10
	v_mov_b32_e32 v1, 0
	v_add_co_ci_u32_e32 v9, vcc_lo, v9, v11, vcc_lo
	.p2align	6
.LBB358_320:                            ; =>This Inner Loop Header: Depth=1
	v_lshlrev_b32_e32 v10, 1, v2
	s_delay_alu instid0(VALU_DEP_3)
	v_cmp_le_u64_e32 vcc_lo, v[4:5], v[0:1]
	ds_load_u16 v14, v10
	v_lshlrev_b64 v[10:11], 1, v[2:3]
	v_dual_mov_b32 v3, v1 :: v_dual_mov_b32 v2, v0
	v_add_nc_u32_e32 v0, 0x80, v0
	s_or_b32 s1, vcc_lo, s1
	s_delay_alu instid0(VALU_DEP_3) | instskip(NEXT) | instid1(VALU_DEP_1)
	v_add_co_u32 v10, s0, v8, v10
	v_add_co_ci_u32_e64 v11, s0, v9, v11, s0
	s_waitcnt lgkmcnt(0)
	global_store_b16 v[10:11], v14, off
	s_and_not1_b32 exec_lo, exec_lo, s1
	s_cbranch_execnz .LBB358_320
.LBB358_321:
	s_or_b32 exec_lo, exec_lo, s10
	s_and_b32 s0, s2, s5
	s_delay_alu instid0(SALU_CYCLE_1)
	s_and_saveexec_b32 s1, s0
	s_cbranch_execz .LBB358_159
.LBB358_322:
	v_add_co_u32 v0, vcc_lo, v6, v4
	v_add_co_ci_u32_e32 v1, vcc_lo, v7, v5, vcc_lo
	v_mov_b32_e32 v2, 0
	s_delay_alu instid0(VALU_DEP_3) | instskip(NEXT) | instid1(VALU_DEP_3)
	v_add_co_u32 v0, vcc_lo, v0, v12
	v_add_co_ci_u32_e32 v1, vcc_lo, v1, v13, vcc_lo
	global_store_b64 v2, v[0:1], s[8:9]
	s_nop 0
	s_sendmsg sendmsg(MSG_DEALLOC_VGPRS)
	s_endpgm
	.section	.rodata,"a",@progbits
	.p2align	6, 0x0
	.amdhsa_kernel _ZN7rocprim17ROCPRIM_400000_NS6detail17trampoline_kernelINS0_14default_configENS1_25partition_config_selectorILNS1_17partition_subalgoE6EtNS0_10empty_typeEbEEZZNS1_14partition_implILS5_6ELb0ES3_mN6thrust23THRUST_200600_302600_NS6detail15normal_iteratorINSA_10device_ptrItEEEEPS6_SG_NS0_5tupleIJSF_S6_EEENSH_IJSG_SG_EEES6_PlJ7is_evenItEEEE10hipError_tPvRmT3_T4_T5_T6_T7_T9_mT8_P12ihipStream_tbDpT10_ENKUlT_T0_E_clISt17integral_constantIbLb0EES15_IbLb1EEEEDaS11_S12_EUlS11_E_NS1_11comp_targetILNS1_3genE9ELNS1_11target_archE1100ELNS1_3gpuE3ELNS1_3repE0EEENS1_30default_config_static_selectorELNS0_4arch9wavefront6targetE0EEEvT1_
		.amdhsa_group_segment_fixed_size 7696
		.amdhsa_private_segment_fixed_size 0
		.amdhsa_kernarg_size 128
		.amdhsa_user_sgpr_count 15
		.amdhsa_user_sgpr_dispatch_ptr 0
		.amdhsa_user_sgpr_queue_ptr 0
		.amdhsa_user_sgpr_kernarg_segment_ptr 1
		.amdhsa_user_sgpr_dispatch_id 0
		.amdhsa_user_sgpr_private_segment_size 0
		.amdhsa_wavefront_size32 1
		.amdhsa_uses_dynamic_stack 0
		.amdhsa_enable_private_segment 0
		.amdhsa_system_sgpr_workgroup_id_x 1
		.amdhsa_system_sgpr_workgroup_id_y 0
		.amdhsa_system_sgpr_workgroup_id_z 0
		.amdhsa_system_sgpr_workgroup_info 0
		.amdhsa_system_vgpr_workitem_id 0
		.amdhsa_next_free_vgpr 134
		.amdhsa_next_free_sgpr 18
		.amdhsa_reserve_vcc 1
		.amdhsa_float_round_mode_32 0
		.amdhsa_float_round_mode_16_64 0
		.amdhsa_float_denorm_mode_32 3
		.amdhsa_float_denorm_mode_16_64 3
		.amdhsa_dx10_clamp 1
		.amdhsa_ieee_mode 1
		.amdhsa_fp16_overflow 0
		.amdhsa_workgroup_processor_mode 1
		.amdhsa_memory_ordered 1
		.amdhsa_forward_progress 0
		.amdhsa_shared_vgpr_count 0
		.amdhsa_exception_fp_ieee_invalid_op 0
		.amdhsa_exception_fp_denorm_src 0
		.amdhsa_exception_fp_ieee_div_zero 0
		.amdhsa_exception_fp_ieee_overflow 0
		.amdhsa_exception_fp_ieee_underflow 0
		.amdhsa_exception_fp_ieee_inexact 0
		.amdhsa_exception_int_div_zero 0
	.end_amdhsa_kernel
	.section	.text._ZN7rocprim17ROCPRIM_400000_NS6detail17trampoline_kernelINS0_14default_configENS1_25partition_config_selectorILNS1_17partition_subalgoE6EtNS0_10empty_typeEbEEZZNS1_14partition_implILS5_6ELb0ES3_mN6thrust23THRUST_200600_302600_NS6detail15normal_iteratorINSA_10device_ptrItEEEEPS6_SG_NS0_5tupleIJSF_S6_EEENSH_IJSG_SG_EEES6_PlJ7is_evenItEEEE10hipError_tPvRmT3_T4_T5_T6_T7_T9_mT8_P12ihipStream_tbDpT10_ENKUlT_T0_E_clISt17integral_constantIbLb0EES15_IbLb1EEEEDaS11_S12_EUlS11_E_NS1_11comp_targetILNS1_3genE9ELNS1_11target_archE1100ELNS1_3gpuE3ELNS1_3repE0EEENS1_30default_config_static_selectorELNS0_4arch9wavefront6targetE0EEEvT1_,"axG",@progbits,_ZN7rocprim17ROCPRIM_400000_NS6detail17trampoline_kernelINS0_14default_configENS1_25partition_config_selectorILNS1_17partition_subalgoE6EtNS0_10empty_typeEbEEZZNS1_14partition_implILS5_6ELb0ES3_mN6thrust23THRUST_200600_302600_NS6detail15normal_iteratorINSA_10device_ptrItEEEEPS6_SG_NS0_5tupleIJSF_S6_EEENSH_IJSG_SG_EEES6_PlJ7is_evenItEEEE10hipError_tPvRmT3_T4_T5_T6_T7_T9_mT8_P12ihipStream_tbDpT10_ENKUlT_T0_E_clISt17integral_constantIbLb0EES15_IbLb1EEEEDaS11_S12_EUlS11_E_NS1_11comp_targetILNS1_3genE9ELNS1_11target_archE1100ELNS1_3gpuE3ELNS1_3repE0EEENS1_30default_config_static_selectorELNS0_4arch9wavefront6targetE0EEEvT1_,comdat
.Lfunc_end358:
	.size	_ZN7rocprim17ROCPRIM_400000_NS6detail17trampoline_kernelINS0_14default_configENS1_25partition_config_selectorILNS1_17partition_subalgoE6EtNS0_10empty_typeEbEEZZNS1_14partition_implILS5_6ELb0ES3_mN6thrust23THRUST_200600_302600_NS6detail15normal_iteratorINSA_10device_ptrItEEEEPS6_SG_NS0_5tupleIJSF_S6_EEENSH_IJSG_SG_EEES6_PlJ7is_evenItEEEE10hipError_tPvRmT3_T4_T5_T6_T7_T9_mT8_P12ihipStream_tbDpT10_ENKUlT_T0_E_clISt17integral_constantIbLb0EES15_IbLb1EEEEDaS11_S12_EUlS11_E_NS1_11comp_targetILNS1_3genE9ELNS1_11target_archE1100ELNS1_3gpuE3ELNS1_3repE0EEENS1_30default_config_static_selectorELNS0_4arch9wavefront6targetE0EEEvT1_, .Lfunc_end358-_ZN7rocprim17ROCPRIM_400000_NS6detail17trampoline_kernelINS0_14default_configENS1_25partition_config_selectorILNS1_17partition_subalgoE6EtNS0_10empty_typeEbEEZZNS1_14partition_implILS5_6ELb0ES3_mN6thrust23THRUST_200600_302600_NS6detail15normal_iteratorINSA_10device_ptrItEEEEPS6_SG_NS0_5tupleIJSF_S6_EEENSH_IJSG_SG_EEES6_PlJ7is_evenItEEEE10hipError_tPvRmT3_T4_T5_T6_T7_T9_mT8_P12ihipStream_tbDpT10_ENKUlT_T0_E_clISt17integral_constantIbLb0EES15_IbLb1EEEEDaS11_S12_EUlS11_E_NS1_11comp_targetILNS1_3genE9ELNS1_11target_archE1100ELNS1_3gpuE3ELNS1_3repE0EEENS1_30default_config_static_selectorELNS0_4arch9wavefront6targetE0EEEvT1_
                                        ; -- End function
	.section	.AMDGPU.csdata,"",@progbits
; Kernel info:
; codeLenInByte = 13276
; NumSgprs: 20
; NumVgprs: 134
; ScratchSize: 0
; MemoryBound: 0
; FloatMode: 240
; IeeeMode: 1
; LDSByteSize: 7696 bytes/workgroup (compile time only)
; SGPRBlocks: 2
; VGPRBlocks: 16
; NumSGPRsForWavesPerEU: 20
; NumVGPRsForWavesPerEU: 134
; Occupancy: 10
; WaveLimiterHint : 1
; COMPUTE_PGM_RSRC2:SCRATCH_EN: 0
; COMPUTE_PGM_RSRC2:USER_SGPR: 15
; COMPUTE_PGM_RSRC2:TRAP_HANDLER: 0
; COMPUTE_PGM_RSRC2:TGID_X_EN: 1
; COMPUTE_PGM_RSRC2:TGID_Y_EN: 0
; COMPUTE_PGM_RSRC2:TGID_Z_EN: 0
; COMPUTE_PGM_RSRC2:TIDIG_COMP_CNT: 0
	.section	.text._ZN7rocprim17ROCPRIM_400000_NS6detail17trampoline_kernelINS0_14default_configENS1_25partition_config_selectorILNS1_17partition_subalgoE6EtNS0_10empty_typeEbEEZZNS1_14partition_implILS5_6ELb0ES3_mN6thrust23THRUST_200600_302600_NS6detail15normal_iteratorINSA_10device_ptrItEEEEPS6_SG_NS0_5tupleIJSF_S6_EEENSH_IJSG_SG_EEES6_PlJ7is_evenItEEEE10hipError_tPvRmT3_T4_T5_T6_T7_T9_mT8_P12ihipStream_tbDpT10_ENKUlT_T0_E_clISt17integral_constantIbLb0EES15_IbLb1EEEEDaS11_S12_EUlS11_E_NS1_11comp_targetILNS1_3genE8ELNS1_11target_archE1030ELNS1_3gpuE2ELNS1_3repE0EEENS1_30default_config_static_selectorELNS0_4arch9wavefront6targetE0EEEvT1_,"axG",@progbits,_ZN7rocprim17ROCPRIM_400000_NS6detail17trampoline_kernelINS0_14default_configENS1_25partition_config_selectorILNS1_17partition_subalgoE6EtNS0_10empty_typeEbEEZZNS1_14partition_implILS5_6ELb0ES3_mN6thrust23THRUST_200600_302600_NS6detail15normal_iteratorINSA_10device_ptrItEEEEPS6_SG_NS0_5tupleIJSF_S6_EEENSH_IJSG_SG_EEES6_PlJ7is_evenItEEEE10hipError_tPvRmT3_T4_T5_T6_T7_T9_mT8_P12ihipStream_tbDpT10_ENKUlT_T0_E_clISt17integral_constantIbLb0EES15_IbLb1EEEEDaS11_S12_EUlS11_E_NS1_11comp_targetILNS1_3genE8ELNS1_11target_archE1030ELNS1_3gpuE2ELNS1_3repE0EEENS1_30default_config_static_selectorELNS0_4arch9wavefront6targetE0EEEvT1_,comdat
	.protected	_ZN7rocprim17ROCPRIM_400000_NS6detail17trampoline_kernelINS0_14default_configENS1_25partition_config_selectorILNS1_17partition_subalgoE6EtNS0_10empty_typeEbEEZZNS1_14partition_implILS5_6ELb0ES3_mN6thrust23THRUST_200600_302600_NS6detail15normal_iteratorINSA_10device_ptrItEEEEPS6_SG_NS0_5tupleIJSF_S6_EEENSH_IJSG_SG_EEES6_PlJ7is_evenItEEEE10hipError_tPvRmT3_T4_T5_T6_T7_T9_mT8_P12ihipStream_tbDpT10_ENKUlT_T0_E_clISt17integral_constantIbLb0EES15_IbLb1EEEEDaS11_S12_EUlS11_E_NS1_11comp_targetILNS1_3genE8ELNS1_11target_archE1030ELNS1_3gpuE2ELNS1_3repE0EEENS1_30default_config_static_selectorELNS0_4arch9wavefront6targetE0EEEvT1_ ; -- Begin function _ZN7rocprim17ROCPRIM_400000_NS6detail17trampoline_kernelINS0_14default_configENS1_25partition_config_selectorILNS1_17partition_subalgoE6EtNS0_10empty_typeEbEEZZNS1_14partition_implILS5_6ELb0ES3_mN6thrust23THRUST_200600_302600_NS6detail15normal_iteratorINSA_10device_ptrItEEEEPS6_SG_NS0_5tupleIJSF_S6_EEENSH_IJSG_SG_EEES6_PlJ7is_evenItEEEE10hipError_tPvRmT3_T4_T5_T6_T7_T9_mT8_P12ihipStream_tbDpT10_ENKUlT_T0_E_clISt17integral_constantIbLb0EES15_IbLb1EEEEDaS11_S12_EUlS11_E_NS1_11comp_targetILNS1_3genE8ELNS1_11target_archE1030ELNS1_3gpuE2ELNS1_3repE0EEENS1_30default_config_static_selectorELNS0_4arch9wavefront6targetE0EEEvT1_
	.globl	_ZN7rocprim17ROCPRIM_400000_NS6detail17trampoline_kernelINS0_14default_configENS1_25partition_config_selectorILNS1_17partition_subalgoE6EtNS0_10empty_typeEbEEZZNS1_14partition_implILS5_6ELb0ES3_mN6thrust23THRUST_200600_302600_NS6detail15normal_iteratorINSA_10device_ptrItEEEEPS6_SG_NS0_5tupleIJSF_S6_EEENSH_IJSG_SG_EEES6_PlJ7is_evenItEEEE10hipError_tPvRmT3_T4_T5_T6_T7_T9_mT8_P12ihipStream_tbDpT10_ENKUlT_T0_E_clISt17integral_constantIbLb0EES15_IbLb1EEEEDaS11_S12_EUlS11_E_NS1_11comp_targetILNS1_3genE8ELNS1_11target_archE1030ELNS1_3gpuE2ELNS1_3repE0EEENS1_30default_config_static_selectorELNS0_4arch9wavefront6targetE0EEEvT1_
	.p2align	8
	.type	_ZN7rocprim17ROCPRIM_400000_NS6detail17trampoline_kernelINS0_14default_configENS1_25partition_config_selectorILNS1_17partition_subalgoE6EtNS0_10empty_typeEbEEZZNS1_14partition_implILS5_6ELb0ES3_mN6thrust23THRUST_200600_302600_NS6detail15normal_iteratorINSA_10device_ptrItEEEEPS6_SG_NS0_5tupleIJSF_S6_EEENSH_IJSG_SG_EEES6_PlJ7is_evenItEEEE10hipError_tPvRmT3_T4_T5_T6_T7_T9_mT8_P12ihipStream_tbDpT10_ENKUlT_T0_E_clISt17integral_constantIbLb0EES15_IbLb1EEEEDaS11_S12_EUlS11_E_NS1_11comp_targetILNS1_3genE8ELNS1_11target_archE1030ELNS1_3gpuE2ELNS1_3repE0EEENS1_30default_config_static_selectorELNS0_4arch9wavefront6targetE0EEEvT1_,@function
_ZN7rocprim17ROCPRIM_400000_NS6detail17trampoline_kernelINS0_14default_configENS1_25partition_config_selectorILNS1_17partition_subalgoE6EtNS0_10empty_typeEbEEZZNS1_14partition_implILS5_6ELb0ES3_mN6thrust23THRUST_200600_302600_NS6detail15normal_iteratorINSA_10device_ptrItEEEEPS6_SG_NS0_5tupleIJSF_S6_EEENSH_IJSG_SG_EEES6_PlJ7is_evenItEEEE10hipError_tPvRmT3_T4_T5_T6_T7_T9_mT8_P12ihipStream_tbDpT10_ENKUlT_T0_E_clISt17integral_constantIbLb0EES15_IbLb1EEEEDaS11_S12_EUlS11_E_NS1_11comp_targetILNS1_3genE8ELNS1_11target_archE1030ELNS1_3gpuE2ELNS1_3repE0EEENS1_30default_config_static_selectorELNS0_4arch9wavefront6targetE0EEEvT1_: ; @_ZN7rocprim17ROCPRIM_400000_NS6detail17trampoline_kernelINS0_14default_configENS1_25partition_config_selectorILNS1_17partition_subalgoE6EtNS0_10empty_typeEbEEZZNS1_14partition_implILS5_6ELb0ES3_mN6thrust23THRUST_200600_302600_NS6detail15normal_iteratorINSA_10device_ptrItEEEEPS6_SG_NS0_5tupleIJSF_S6_EEENSH_IJSG_SG_EEES6_PlJ7is_evenItEEEE10hipError_tPvRmT3_T4_T5_T6_T7_T9_mT8_P12ihipStream_tbDpT10_ENKUlT_T0_E_clISt17integral_constantIbLb0EES15_IbLb1EEEEDaS11_S12_EUlS11_E_NS1_11comp_targetILNS1_3genE8ELNS1_11target_archE1030ELNS1_3gpuE2ELNS1_3repE0EEENS1_30default_config_static_selectorELNS0_4arch9wavefront6targetE0EEEvT1_
; %bb.0:
	.section	.rodata,"a",@progbits
	.p2align	6, 0x0
	.amdhsa_kernel _ZN7rocprim17ROCPRIM_400000_NS6detail17trampoline_kernelINS0_14default_configENS1_25partition_config_selectorILNS1_17partition_subalgoE6EtNS0_10empty_typeEbEEZZNS1_14partition_implILS5_6ELb0ES3_mN6thrust23THRUST_200600_302600_NS6detail15normal_iteratorINSA_10device_ptrItEEEEPS6_SG_NS0_5tupleIJSF_S6_EEENSH_IJSG_SG_EEES6_PlJ7is_evenItEEEE10hipError_tPvRmT3_T4_T5_T6_T7_T9_mT8_P12ihipStream_tbDpT10_ENKUlT_T0_E_clISt17integral_constantIbLb0EES15_IbLb1EEEEDaS11_S12_EUlS11_E_NS1_11comp_targetILNS1_3genE8ELNS1_11target_archE1030ELNS1_3gpuE2ELNS1_3repE0EEENS1_30default_config_static_selectorELNS0_4arch9wavefront6targetE0EEEvT1_
		.amdhsa_group_segment_fixed_size 0
		.amdhsa_private_segment_fixed_size 0
		.amdhsa_kernarg_size 128
		.amdhsa_user_sgpr_count 15
		.amdhsa_user_sgpr_dispatch_ptr 0
		.amdhsa_user_sgpr_queue_ptr 0
		.amdhsa_user_sgpr_kernarg_segment_ptr 1
		.amdhsa_user_sgpr_dispatch_id 0
		.amdhsa_user_sgpr_private_segment_size 0
		.amdhsa_wavefront_size32 1
		.amdhsa_uses_dynamic_stack 0
		.amdhsa_enable_private_segment 0
		.amdhsa_system_sgpr_workgroup_id_x 1
		.amdhsa_system_sgpr_workgroup_id_y 0
		.amdhsa_system_sgpr_workgroup_id_z 0
		.amdhsa_system_sgpr_workgroup_info 0
		.amdhsa_system_vgpr_workitem_id 0
		.amdhsa_next_free_vgpr 1
		.amdhsa_next_free_sgpr 1
		.amdhsa_reserve_vcc 0
		.amdhsa_float_round_mode_32 0
		.amdhsa_float_round_mode_16_64 0
		.amdhsa_float_denorm_mode_32 3
		.amdhsa_float_denorm_mode_16_64 3
		.amdhsa_dx10_clamp 1
		.amdhsa_ieee_mode 1
		.amdhsa_fp16_overflow 0
		.amdhsa_workgroup_processor_mode 1
		.amdhsa_memory_ordered 1
		.amdhsa_forward_progress 0
		.amdhsa_shared_vgpr_count 0
		.amdhsa_exception_fp_ieee_invalid_op 0
		.amdhsa_exception_fp_denorm_src 0
		.amdhsa_exception_fp_ieee_div_zero 0
		.amdhsa_exception_fp_ieee_overflow 0
		.amdhsa_exception_fp_ieee_underflow 0
		.amdhsa_exception_fp_ieee_inexact 0
		.amdhsa_exception_int_div_zero 0
	.end_amdhsa_kernel
	.section	.text._ZN7rocprim17ROCPRIM_400000_NS6detail17trampoline_kernelINS0_14default_configENS1_25partition_config_selectorILNS1_17partition_subalgoE6EtNS0_10empty_typeEbEEZZNS1_14partition_implILS5_6ELb0ES3_mN6thrust23THRUST_200600_302600_NS6detail15normal_iteratorINSA_10device_ptrItEEEEPS6_SG_NS0_5tupleIJSF_S6_EEENSH_IJSG_SG_EEES6_PlJ7is_evenItEEEE10hipError_tPvRmT3_T4_T5_T6_T7_T9_mT8_P12ihipStream_tbDpT10_ENKUlT_T0_E_clISt17integral_constantIbLb0EES15_IbLb1EEEEDaS11_S12_EUlS11_E_NS1_11comp_targetILNS1_3genE8ELNS1_11target_archE1030ELNS1_3gpuE2ELNS1_3repE0EEENS1_30default_config_static_selectorELNS0_4arch9wavefront6targetE0EEEvT1_,"axG",@progbits,_ZN7rocprim17ROCPRIM_400000_NS6detail17trampoline_kernelINS0_14default_configENS1_25partition_config_selectorILNS1_17partition_subalgoE6EtNS0_10empty_typeEbEEZZNS1_14partition_implILS5_6ELb0ES3_mN6thrust23THRUST_200600_302600_NS6detail15normal_iteratorINSA_10device_ptrItEEEEPS6_SG_NS0_5tupleIJSF_S6_EEENSH_IJSG_SG_EEES6_PlJ7is_evenItEEEE10hipError_tPvRmT3_T4_T5_T6_T7_T9_mT8_P12ihipStream_tbDpT10_ENKUlT_T0_E_clISt17integral_constantIbLb0EES15_IbLb1EEEEDaS11_S12_EUlS11_E_NS1_11comp_targetILNS1_3genE8ELNS1_11target_archE1030ELNS1_3gpuE2ELNS1_3repE0EEENS1_30default_config_static_selectorELNS0_4arch9wavefront6targetE0EEEvT1_,comdat
.Lfunc_end359:
	.size	_ZN7rocprim17ROCPRIM_400000_NS6detail17trampoline_kernelINS0_14default_configENS1_25partition_config_selectorILNS1_17partition_subalgoE6EtNS0_10empty_typeEbEEZZNS1_14partition_implILS5_6ELb0ES3_mN6thrust23THRUST_200600_302600_NS6detail15normal_iteratorINSA_10device_ptrItEEEEPS6_SG_NS0_5tupleIJSF_S6_EEENSH_IJSG_SG_EEES6_PlJ7is_evenItEEEE10hipError_tPvRmT3_T4_T5_T6_T7_T9_mT8_P12ihipStream_tbDpT10_ENKUlT_T0_E_clISt17integral_constantIbLb0EES15_IbLb1EEEEDaS11_S12_EUlS11_E_NS1_11comp_targetILNS1_3genE8ELNS1_11target_archE1030ELNS1_3gpuE2ELNS1_3repE0EEENS1_30default_config_static_selectorELNS0_4arch9wavefront6targetE0EEEvT1_, .Lfunc_end359-_ZN7rocprim17ROCPRIM_400000_NS6detail17trampoline_kernelINS0_14default_configENS1_25partition_config_selectorILNS1_17partition_subalgoE6EtNS0_10empty_typeEbEEZZNS1_14partition_implILS5_6ELb0ES3_mN6thrust23THRUST_200600_302600_NS6detail15normal_iteratorINSA_10device_ptrItEEEEPS6_SG_NS0_5tupleIJSF_S6_EEENSH_IJSG_SG_EEES6_PlJ7is_evenItEEEE10hipError_tPvRmT3_T4_T5_T6_T7_T9_mT8_P12ihipStream_tbDpT10_ENKUlT_T0_E_clISt17integral_constantIbLb0EES15_IbLb1EEEEDaS11_S12_EUlS11_E_NS1_11comp_targetILNS1_3genE8ELNS1_11target_archE1030ELNS1_3gpuE2ELNS1_3repE0EEENS1_30default_config_static_selectorELNS0_4arch9wavefront6targetE0EEEvT1_
                                        ; -- End function
	.section	.AMDGPU.csdata,"",@progbits
; Kernel info:
; codeLenInByte = 0
; NumSgprs: 0
; NumVgprs: 0
; ScratchSize: 0
; MemoryBound: 0
; FloatMode: 240
; IeeeMode: 1
; LDSByteSize: 0 bytes/workgroup (compile time only)
; SGPRBlocks: 0
; VGPRBlocks: 0
; NumSGPRsForWavesPerEU: 1
; NumVGPRsForWavesPerEU: 1
; Occupancy: 16
; WaveLimiterHint : 0
; COMPUTE_PGM_RSRC2:SCRATCH_EN: 0
; COMPUTE_PGM_RSRC2:USER_SGPR: 15
; COMPUTE_PGM_RSRC2:TRAP_HANDLER: 0
; COMPUTE_PGM_RSRC2:TGID_X_EN: 1
; COMPUTE_PGM_RSRC2:TGID_Y_EN: 0
; COMPUTE_PGM_RSRC2:TGID_Z_EN: 0
; COMPUTE_PGM_RSRC2:TIDIG_COMP_CNT: 0
	.section	.text._ZN7rocprim17ROCPRIM_400000_NS6detail17trampoline_kernelINS0_14default_configENS1_25partition_config_selectorILNS1_17partition_subalgoE6ExNS0_10empty_typeEbEEZZNS1_14partition_implILS5_6ELb0ES3_mN6thrust23THRUST_200600_302600_NS6detail15normal_iteratorINSA_10device_ptrIxEEEEPS6_SG_NS0_5tupleIJSF_S6_EEENSH_IJSG_SG_EEES6_PlJ7is_evenIxEEEE10hipError_tPvRmT3_T4_T5_T6_T7_T9_mT8_P12ihipStream_tbDpT10_ENKUlT_T0_E_clISt17integral_constantIbLb0EES16_EEDaS11_S12_EUlS11_E_NS1_11comp_targetILNS1_3genE0ELNS1_11target_archE4294967295ELNS1_3gpuE0ELNS1_3repE0EEENS1_30default_config_static_selectorELNS0_4arch9wavefront6targetE0EEEvT1_,"axG",@progbits,_ZN7rocprim17ROCPRIM_400000_NS6detail17trampoline_kernelINS0_14default_configENS1_25partition_config_selectorILNS1_17partition_subalgoE6ExNS0_10empty_typeEbEEZZNS1_14partition_implILS5_6ELb0ES3_mN6thrust23THRUST_200600_302600_NS6detail15normal_iteratorINSA_10device_ptrIxEEEEPS6_SG_NS0_5tupleIJSF_S6_EEENSH_IJSG_SG_EEES6_PlJ7is_evenIxEEEE10hipError_tPvRmT3_T4_T5_T6_T7_T9_mT8_P12ihipStream_tbDpT10_ENKUlT_T0_E_clISt17integral_constantIbLb0EES16_EEDaS11_S12_EUlS11_E_NS1_11comp_targetILNS1_3genE0ELNS1_11target_archE4294967295ELNS1_3gpuE0ELNS1_3repE0EEENS1_30default_config_static_selectorELNS0_4arch9wavefront6targetE0EEEvT1_,comdat
	.protected	_ZN7rocprim17ROCPRIM_400000_NS6detail17trampoline_kernelINS0_14default_configENS1_25partition_config_selectorILNS1_17partition_subalgoE6ExNS0_10empty_typeEbEEZZNS1_14partition_implILS5_6ELb0ES3_mN6thrust23THRUST_200600_302600_NS6detail15normal_iteratorINSA_10device_ptrIxEEEEPS6_SG_NS0_5tupleIJSF_S6_EEENSH_IJSG_SG_EEES6_PlJ7is_evenIxEEEE10hipError_tPvRmT3_T4_T5_T6_T7_T9_mT8_P12ihipStream_tbDpT10_ENKUlT_T0_E_clISt17integral_constantIbLb0EES16_EEDaS11_S12_EUlS11_E_NS1_11comp_targetILNS1_3genE0ELNS1_11target_archE4294967295ELNS1_3gpuE0ELNS1_3repE0EEENS1_30default_config_static_selectorELNS0_4arch9wavefront6targetE0EEEvT1_ ; -- Begin function _ZN7rocprim17ROCPRIM_400000_NS6detail17trampoline_kernelINS0_14default_configENS1_25partition_config_selectorILNS1_17partition_subalgoE6ExNS0_10empty_typeEbEEZZNS1_14partition_implILS5_6ELb0ES3_mN6thrust23THRUST_200600_302600_NS6detail15normal_iteratorINSA_10device_ptrIxEEEEPS6_SG_NS0_5tupleIJSF_S6_EEENSH_IJSG_SG_EEES6_PlJ7is_evenIxEEEE10hipError_tPvRmT3_T4_T5_T6_T7_T9_mT8_P12ihipStream_tbDpT10_ENKUlT_T0_E_clISt17integral_constantIbLb0EES16_EEDaS11_S12_EUlS11_E_NS1_11comp_targetILNS1_3genE0ELNS1_11target_archE4294967295ELNS1_3gpuE0ELNS1_3repE0EEENS1_30default_config_static_selectorELNS0_4arch9wavefront6targetE0EEEvT1_
	.globl	_ZN7rocprim17ROCPRIM_400000_NS6detail17trampoline_kernelINS0_14default_configENS1_25partition_config_selectorILNS1_17partition_subalgoE6ExNS0_10empty_typeEbEEZZNS1_14partition_implILS5_6ELb0ES3_mN6thrust23THRUST_200600_302600_NS6detail15normal_iteratorINSA_10device_ptrIxEEEEPS6_SG_NS0_5tupleIJSF_S6_EEENSH_IJSG_SG_EEES6_PlJ7is_evenIxEEEE10hipError_tPvRmT3_T4_T5_T6_T7_T9_mT8_P12ihipStream_tbDpT10_ENKUlT_T0_E_clISt17integral_constantIbLb0EES16_EEDaS11_S12_EUlS11_E_NS1_11comp_targetILNS1_3genE0ELNS1_11target_archE4294967295ELNS1_3gpuE0ELNS1_3repE0EEENS1_30default_config_static_selectorELNS0_4arch9wavefront6targetE0EEEvT1_
	.p2align	8
	.type	_ZN7rocprim17ROCPRIM_400000_NS6detail17trampoline_kernelINS0_14default_configENS1_25partition_config_selectorILNS1_17partition_subalgoE6ExNS0_10empty_typeEbEEZZNS1_14partition_implILS5_6ELb0ES3_mN6thrust23THRUST_200600_302600_NS6detail15normal_iteratorINSA_10device_ptrIxEEEEPS6_SG_NS0_5tupleIJSF_S6_EEENSH_IJSG_SG_EEES6_PlJ7is_evenIxEEEE10hipError_tPvRmT3_T4_T5_T6_T7_T9_mT8_P12ihipStream_tbDpT10_ENKUlT_T0_E_clISt17integral_constantIbLb0EES16_EEDaS11_S12_EUlS11_E_NS1_11comp_targetILNS1_3genE0ELNS1_11target_archE4294967295ELNS1_3gpuE0ELNS1_3repE0EEENS1_30default_config_static_selectorELNS0_4arch9wavefront6targetE0EEEvT1_,@function
_ZN7rocprim17ROCPRIM_400000_NS6detail17trampoline_kernelINS0_14default_configENS1_25partition_config_selectorILNS1_17partition_subalgoE6ExNS0_10empty_typeEbEEZZNS1_14partition_implILS5_6ELb0ES3_mN6thrust23THRUST_200600_302600_NS6detail15normal_iteratorINSA_10device_ptrIxEEEEPS6_SG_NS0_5tupleIJSF_S6_EEENSH_IJSG_SG_EEES6_PlJ7is_evenIxEEEE10hipError_tPvRmT3_T4_T5_T6_T7_T9_mT8_P12ihipStream_tbDpT10_ENKUlT_T0_E_clISt17integral_constantIbLb0EES16_EEDaS11_S12_EUlS11_E_NS1_11comp_targetILNS1_3genE0ELNS1_11target_archE4294967295ELNS1_3gpuE0ELNS1_3repE0EEENS1_30default_config_static_selectorELNS0_4arch9wavefront6targetE0EEEvT1_: ; @_ZN7rocprim17ROCPRIM_400000_NS6detail17trampoline_kernelINS0_14default_configENS1_25partition_config_selectorILNS1_17partition_subalgoE6ExNS0_10empty_typeEbEEZZNS1_14partition_implILS5_6ELb0ES3_mN6thrust23THRUST_200600_302600_NS6detail15normal_iteratorINSA_10device_ptrIxEEEEPS6_SG_NS0_5tupleIJSF_S6_EEENSH_IJSG_SG_EEES6_PlJ7is_evenIxEEEE10hipError_tPvRmT3_T4_T5_T6_T7_T9_mT8_P12ihipStream_tbDpT10_ENKUlT_T0_E_clISt17integral_constantIbLb0EES16_EEDaS11_S12_EUlS11_E_NS1_11comp_targetILNS1_3genE0ELNS1_11target_archE4294967295ELNS1_3gpuE0ELNS1_3repE0EEENS1_30default_config_static_selectorELNS0_4arch9wavefront6targetE0EEEvT1_
; %bb.0:
	.section	.rodata,"a",@progbits
	.p2align	6, 0x0
	.amdhsa_kernel _ZN7rocprim17ROCPRIM_400000_NS6detail17trampoline_kernelINS0_14default_configENS1_25partition_config_selectorILNS1_17partition_subalgoE6ExNS0_10empty_typeEbEEZZNS1_14partition_implILS5_6ELb0ES3_mN6thrust23THRUST_200600_302600_NS6detail15normal_iteratorINSA_10device_ptrIxEEEEPS6_SG_NS0_5tupleIJSF_S6_EEENSH_IJSG_SG_EEES6_PlJ7is_evenIxEEEE10hipError_tPvRmT3_T4_T5_T6_T7_T9_mT8_P12ihipStream_tbDpT10_ENKUlT_T0_E_clISt17integral_constantIbLb0EES16_EEDaS11_S12_EUlS11_E_NS1_11comp_targetILNS1_3genE0ELNS1_11target_archE4294967295ELNS1_3gpuE0ELNS1_3repE0EEENS1_30default_config_static_selectorELNS0_4arch9wavefront6targetE0EEEvT1_
		.amdhsa_group_segment_fixed_size 0
		.amdhsa_private_segment_fixed_size 0
		.amdhsa_kernarg_size 112
		.amdhsa_user_sgpr_count 15
		.amdhsa_user_sgpr_dispatch_ptr 0
		.amdhsa_user_sgpr_queue_ptr 0
		.amdhsa_user_sgpr_kernarg_segment_ptr 1
		.amdhsa_user_sgpr_dispatch_id 0
		.amdhsa_user_sgpr_private_segment_size 0
		.amdhsa_wavefront_size32 1
		.amdhsa_uses_dynamic_stack 0
		.amdhsa_enable_private_segment 0
		.amdhsa_system_sgpr_workgroup_id_x 1
		.amdhsa_system_sgpr_workgroup_id_y 0
		.amdhsa_system_sgpr_workgroup_id_z 0
		.amdhsa_system_sgpr_workgroup_info 0
		.amdhsa_system_vgpr_workitem_id 0
		.amdhsa_next_free_vgpr 1
		.amdhsa_next_free_sgpr 1
		.amdhsa_reserve_vcc 0
		.amdhsa_float_round_mode_32 0
		.amdhsa_float_round_mode_16_64 0
		.amdhsa_float_denorm_mode_32 3
		.amdhsa_float_denorm_mode_16_64 3
		.amdhsa_dx10_clamp 1
		.amdhsa_ieee_mode 1
		.amdhsa_fp16_overflow 0
		.amdhsa_workgroup_processor_mode 1
		.amdhsa_memory_ordered 1
		.amdhsa_forward_progress 0
		.amdhsa_shared_vgpr_count 0
		.amdhsa_exception_fp_ieee_invalid_op 0
		.amdhsa_exception_fp_denorm_src 0
		.amdhsa_exception_fp_ieee_div_zero 0
		.amdhsa_exception_fp_ieee_overflow 0
		.amdhsa_exception_fp_ieee_underflow 0
		.amdhsa_exception_fp_ieee_inexact 0
		.amdhsa_exception_int_div_zero 0
	.end_amdhsa_kernel
	.section	.text._ZN7rocprim17ROCPRIM_400000_NS6detail17trampoline_kernelINS0_14default_configENS1_25partition_config_selectorILNS1_17partition_subalgoE6ExNS0_10empty_typeEbEEZZNS1_14partition_implILS5_6ELb0ES3_mN6thrust23THRUST_200600_302600_NS6detail15normal_iteratorINSA_10device_ptrIxEEEEPS6_SG_NS0_5tupleIJSF_S6_EEENSH_IJSG_SG_EEES6_PlJ7is_evenIxEEEE10hipError_tPvRmT3_T4_T5_T6_T7_T9_mT8_P12ihipStream_tbDpT10_ENKUlT_T0_E_clISt17integral_constantIbLb0EES16_EEDaS11_S12_EUlS11_E_NS1_11comp_targetILNS1_3genE0ELNS1_11target_archE4294967295ELNS1_3gpuE0ELNS1_3repE0EEENS1_30default_config_static_selectorELNS0_4arch9wavefront6targetE0EEEvT1_,"axG",@progbits,_ZN7rocprim17ROCPRIM_400000_NS6detail17trampoline_kernelINS0_14default_configENS1_25partition_config_selectorILNS1_17partition_subalgoE6ExNS0_10empty_typeEbEEZZNS1_14partition_implILS5_6ELb0ES3_mN6thrust23THRUST_200600_302600_NS6detail15normal_iteratorINSA_10device_ptrIxEEEEPS6_SG_NS0_5tupleIJSF_S6_EEENSH_IJSG_SG_EEES6_PlJ7is_evenIxEEEE10hipError_tPvRmT3_T4_T5_T6_T7_T9_mT8_P12ihipStream_tbDpT10_ENKUlT_T0_E_clISt17integral_constantIbLb0EES16_EEDaS11_S12_EUlS11_E_NS1_11comp_targetILNS1_3genE0ELNS1_11target_archE4294967295ELNS1_3gpuE0ELNS1_3repE0EEENS1_30default_config_static_selectorELNS0_4arch9wavefront6targetE0EEEvT1_,comdat
.Lfunc_end360:
	.size	_ZN7rocprim17ROCPRIM_400000_NS6detail17trampoline_kernelINS0_14default_configENS1_25partition_config_selectorILNS1_17partition_subalgoE6ExNS0_10empty_typeEbEEZZNS1_14partition_implILS5_6ELb0ES3_mN6thrust23THRUST_200600_302600_NS6detail15normal_iteratorINSA_10device_ptrIxEEEEPS6_SG_NS0_5tupleIJSF_S6_EEENSH_IJSG_SG_EEES6_PlJ7is_evenIxEEEE10hipError_tPvRmT3_T4_T5_T6_T7_T9_mT8_P12ihipStream_tbDpT10_ENKUlT_T0_E_clISt17integral_constantIbLb0EES16_EEDaS11_S12_EUlS11_E_NS1_11comp_targetILNS1_3genE0ELNS1_11target_archE4294967295ELNS1_3gpuE0ELNS1_3repE0EEENS1_30default_config_static_selectorELNS0_4arch9wavefront6targetE0EEEvT1_, .Lfunc_end360-_ZN7rocprim17ROCPRIM_400000_NS6detail17trampoline_kernelINS0_14default_configENS1_25partition_config_selectorILNS1_17partition_subalgoE6ExNS0_10empty_typeEbEEZZNS1_14partition_implILS5_6ELb0ES3_mN6thrust23THRUST_200600_302600_NS6detail15normal_iteratorINSA_10device_ptrIxEEEEPS6_SG_NS0_5tupleIJSF_S6_EEENSH_IJSG_SG_EEES6_PlJ7is_evenIxEEEE10hipError_tPvRmT3_T4_T5_T6_T7_T9_mT8_P12ihipStream_tbDpT10_ENKUlT_T0_E_clISt17integral_constantIbLb0EES16_EEDaS11_S12_EUlS11_E_NS1_11comp_targetILNS1_3genE0ELNS1_11target_archE4294967295ELNS1_3gpuE0ELNS1_3repE0EEENS1_30default_config_static_selectorELNS0_4arch9wavefront6targetE0EEEvT1_
                                        ; -- End function
	.section	.AMDGPU.csdata,"",@progbits
; Kernel info:
; codeLenInByte = 0
; NumSgprs: 0
; NumVgprs: 0
; ScratchSize: 0
; MemoryBound: 0
; FloatMode: 240
; IeeeMode: 1
; LDSByteSize: 0 bytes/workgroup (compile time only)
; SGPRBlocks: 0
; VGPRBlocks: 0
; NumSGPRsForWavesPerEU: 1
; NumVGPRsForWavesPerEU: 1
; Occupancy: 16
; WaveLimiterHint : 0
; COMPUTE_PGM_RSRC2:SCRATCH_EN: 0
; COMPUTE_PGM_RSRC2:USER_SGPR: 15
; COMPUTE_PGM_RSRC2:TRAP_HANDLER: 0
; COMPUTE_PGM_RSRC2:TGID_X_EN: 1
; COMPUTE_PGM_RSRC2:TGID_Y_EN: 0
; COMPUTE_PGM_RSRC2:TGID_Z_EN: 0
; COMPUTE_PGM_RSRC2:TIDIG_COMP_CNT: 0
	.section	.text._ZN7rocprim17ROCPRIM_400000_NS6detail17trampoline_kernelINS0_14default_configENS1_25partition_config_selectorILNS1_17partition_subalgoE6ExNS0_10empty_typeEbEEZZNS1_14partition_implILS5_6ELb0ES3_mN6thrust23THRUST_200600_302600_NS6detail15normal_iteratorINSA_10device_ptrIxEEEEPS6_SG_NS0_5tupleIJSF_S6_EEENSH_IJSG_SG_EEES6_PlJ7is_evenIxEEEE10hipError_tPvRmT3_T4_T5_T6_T7_T9_mT8_P12ihipStream_tbDpT10_ENKUlT_T0_E_clISt17integral_constantIbLb0EES16_EEDaS11_S12_EUlS11_E_NS1_11comp_targetILNS1_3genE5ELNS1_11target_archE942ELNS1_3gpuE9ELNS1_3repE0EEENS1_30default_config_static_selectorELNS0_4arch9wavefront6targetE0EEEvT1_,"axG",@progbits,_ZN7rocprim17ROCPRIM_400000_NS6detail17trampoline_kernelINS0_14default_configENS1_25partition_config_selectorILNS1_17partition_subalgoE6ExNS0_10empty_typeEbEEZZNS1_14partition_implILS5_6ELb0ES3_mN6thrust23THRUST_200600_302600_NS6detail15normal_iteratorINSA_10device_ptrIxEEEEPS6_SG_NS0_5tupleIJSF_S6_EEENSH_IJSG_SG_EEES6_PlJ7is_evenIxEEEE10hipError_tPvRmT3_T4_T5_T6_T7_T9_mT8_P12ihipStream_tbDpT10_ENKUlT_T0_E_clISt17integral_constantIbLb0EES16_EEDaS11_S12_EUlS11_E_NS1_11comp_targetILNS1_3genE5ELNS1_11target_archE942ELNS1_3gpuE9ELNS1_3repE0EEENS1_30default_config_static_selectorELNS0_4arch9wavefront6targetE0EEEvT1_,comdat
	.protected	_ZN7rocprim17ROCPRIM_400000_NS6detail17trampoline_kernelINS0_14default_configENS1_25partition_config_selectorILNS1_17partition_subalgoE6ExNS0_10empty_typeEbEEZZNS1_14partition_implILS5_6ELb0ES3_mN6thrust23THRUST_200600_302600_NS6detail15normal_iteratorINSA_10device_ptrIxEEEEPS6_SG_NS0_5tupleIJSF_S6_EEENSH_IJSG_SG_EEES6_PlJ7is_evenIxEEEE10hipError_tPvRmT3_T4_T5_T6_T7_T9_mT8_P12ihipStream_tbDpT10_ENKUlT_T0_E_clISt17integral_constantIbLb0EES16_EEDaS11_S12_EUlS11_E_NS1_11comp_targetILNS1_3genE5ELNS1_11target_archE942ELNS1_3gpuE9ELNS1_3repE0EEENS1_30default_config_static_selectorELNS0_4arch9wavefront6targetE0EEEvT1_ ; -- Begin function _ZN7rocprim17ROCPRIM_400000_NS6detail17trampoline_kernelINS0_14default_configENS1_25partition_config_selectorILNS1_17partition_subalgoE6ExNS0_10empty_typeEbEEZZNS1_14partition_implILS5_6ELb0ES3_mN6thrust23THRUST_200600_302600_NS6detail15normal_iteratorINSA_10device_ptrIxEEEEPS6_SG_NS0_5tupleIJSF_S6_EEENSH_IJSG_SG_EEES6_PlJ7is_evenIxEEEE10hipError_tPvRmT3_T4_T5_T6_T7_T9_mT8_P12ihipStream_tbDpT10_ENKUlT_T0_E_clISt17integral_constantIbLb0EES16_EEDaS11_S12_EUlS11_E_NS1_11comp_targetILNS1_3genE5ELNS1_11target_archE942ELNS1_3gpuE9ELNS1_3repE0EEENS1_30default_config_static_selectorELNS0_4arch9wavefront6targetE0EEEvT1_
	.globl	_ZN7rocprim17ROCPRIM_400000_NS6detail17trampoline_kernelINS0_14default_configENS1_25partition_config_selectorILNS1_17partition_subalgoE6ExNS0_10empty_typeEbEEZZNS1_14partition_implILS5_6ELb0ES3_mN6thrust23THRUST_200600_302600_NS6detail15normal_iteratorINSA_10device_ptrIxEEEEPS6_SG_NS0_5tupleIJSF_S6_EEENSH_IJSG_SG_EEES6_PlJ7is_evenIxEEEE10hipError_tPvRmT3_T4_T5_T6_T7_T9_mT8_P12ihipStream_tbDpT10_ENKUlT_T0_E_clISt17integral_constantIbLb0EES16_EEDaS11_S12_EUlS11_E_NS1_11comp_targetILNS1_3genE5ELNS1_11target_archE942ELNS1_3gpuE9ELNS1_3repE0EEENS1_30default_config_static_selectorELNS0_4arch9wavefront6targetE0EEEvT1_
	.p2align	8
	.type	_ZN7rocprim17ROCPRIM_400000_NS6detail17trampoline_kernelINS0_14default_configENS1_25partition_config_selectorILNS1_17partition_subalgoE6ExNS0_10empty_typeEbEEZZNS1_14partition_implILS5_6ELb0ES3_mN6thrust23THRUST_200600_302600_NS6detail15normal_iteratorINSA_10device_ptrIxEEEEPS6_SG_NS0_5tupleIJSF_S6_EEENSH_IJSG_SG_EEES6_PlJ7is_evenIxEEEE10hipError_tPvRmT3_T4_T5_T6_T7_T9_mT8_P12ihipStream_tbDpT10_ENKUlT_T0_E_clISt17integral_constantIbLb0EES16_EEDaS11_S12_EUlS11_E_NS1_11comp_targetILNS1_3genE5ELNS1_11target_archE942ELNS1_3gpuE9ELNS1_3repE0EEENS1_30default_config_static_selectorELNS0_4arch9wavefront6targetE0EEEvT1_,@function
_ZN7rocprim17ROCPRIM_400000_NS6detail17trampoline_kernelINS0_14default_configENS1_25partition_config_selectorILNS1_17partition_subalgoE6ExNS0_10empty_typeEbEEZZNS1_14partition_implILS5_6ELb0ES3_mN6thrust23THRUST_200600_302600_NS6detail15normal_iteratorINSA_10device_ptrIxEEEEPS6_SG_NS0_5tupleIJSF_S6_EEENSH_IJSG_SG_EEES6_PlJ7is_evenIxEEEE10hipError_tPvRmT3_T4_T5_T6_T7_T9_mT8_P12ihipStream_tbDpT10_ENKUlT_T0_E_clISt17integral_constantIbLb0EES16_EEDaS11_S12_EUlS11_E_NS1_11comp_targetILNS1_3genE5ELNS1_11target_archE942ELNS1_3gpuE9ELNS1_3repE0EEENS1_30default_config_static_selectorELNS0_4arch9wavefront6targetE0EEEvT1_: ; @_ZN7rocprim17ROCPRIM_400000_NS6detail17trampoline_kernelINS0_14default_configENS1_25partition_config_selectorILNS1_17partition_subalgoE6ExNS0_10empty_typeEbEEZZNS1_14partition_implILS5_6ELb0ES3_mN6thrust23THRUST_200600_302600_NS6detail15normal_iteratorINSA_10device_ptrIxEEEEPS6_SG_NS0_5tupleIJSF_S6_EEENSH_IJSG_SG_EEES6_PlJ7is_evenIxEEEE10hipError_tPvRmT3_T4_T5_T6_T7_T9_mT8_P12ihipStream_tbDpT10_ENKUlT_T0_E_clISt17integral_constantIbLb0EES16_EEDaS11_S12_EUlS11_E_NS1_11comp_targetILNS1_3genE5ELNS1_11target_archE942ELNS1_3gpuE9ELNS1_3repE0EEENS1_30default_config_static_selectorELNS0_4arch9wavefront6targetE0EEEvT1_
; %bb.0:
	.section	.rodata,"a",@progbits
	.p2align	6, 0x0
	.amdhsa_kernel _ZN7rocprim17ROCPRIM_400000_NS6detail17trampoline_kernelINS0_14default_configENS1_25partition_config_selectorILNS1_17partition_subalgoE6ExNS0_10empty_typeEbEEZZNS1_14partition_implILS5_6ELb0ES3_mN6thrust23THRUST_200600_302600_NS6detail15normal_iteratorINSA_10device_ptrIxEEEEPS6_SG_NS0_5tupleIJSF_S6_EEENSH_IJSG_SG_EEES6_PlJ7is_evenIxEEEE10hipError_tPvRmT3_T4_T5_T6_T7_T9_mT8_P12ihipStream_tbDpT10_ENKUlT_T0_E_clISt17integral_constantIbLb0EES16_EEDaS11_S12_EUlS11_E_NS1_11comp_targetILNS1_3genE5ELNS1_11target_archE942ELNS1_3gpuE9ELNS1_3repE0EEENS1_30default_config_static_selectorELNS0_4arch9wavefront6targetE0EEEvT1_
		.amdhsa_group_segment_fixed_size 0
		.amdhsa_private_segment_fixed_size 0
		.amdhsa_kernarg_size 112
		.amdhsa_user_sgpr_count 15
		.amdhsa_user_sgpr_dispatch_ptr 0
		.amdhsa_user_sgpr_queue_ptr 0
		.amdhsa_user_sgpr_kernarg_segment_ptr 1
		.amdhsa_user_sgpr_dispatch_id 0
		.amdhsa_user_sgpr_private_segment_size 0
		.amdhsa_wavefront_size32 1
		.amdhsa_uses_dynamic_stack 0
		.amdhsa_enable_private_segment 0
		.amdhsa_system_sgpr_workgroup_id_x 1
		.amdhsa_system_sgpr_workgroup_id_y 0
		.amdhsa_system_sgpr_workgroup_id_z 0
		.amdhsa_system_sgpr_workgroup_info 0
		.amdhsa_system_vgpr_workitem_id 0
		.amdhsa_next_free_vgpr 1
		.amdhsa_next_free_sgpr 1
		.amdhsa_reserve_vcc 0
		.amdhsa_float_round_mode_32 0
		.amdhsa_float_round_mode_16_64 0
		.amdhsa_float_denorm_mode_32 3
		.amdhsa_float_denorm_mode_16_64 3
		.amdhsa_dx10_clamp 1
		.amdhsa_ieee_mode 1
		.amdhsa_fp16_overflow 0
		.amdhsa_workgroup_processor_mode 1
		.amdhsa_memory_ordered 1
		.amdhsa_forward_progress 0
		.amdhsa_shared_vgpr_count 0
		.amdhsa_exception_fp_ieee_invalid_op 0
		.amdhsa_exception_fp_denorm_src 0
		.amdhsa_exception_fp_ieee_div_zero 0
		.amdhsa_exception_fp_ieee_overflow 0
		.amdhsa_exception_fp_ieee_underflow 0
		.amdhsa_exception_fp_ieee_inexact 0
		.amdhsa_exception_int_div_zero 0
	.end_amdhsa_kernel
	.section	.text._ZN7rocprim17ROCPRIM_400000_NS6detail17trampoline_kernelINS0_14default_configENS1_25partition_config_selectorILNS1_17partition_subalgoE6ExNS0_10empty_typeEbEEZZNS1_14partition_implILS5_6ELb0ES3_mN6thrust23THRUST_200600_302600_NS6detail15normal_iteratorINSA_10device_ptrIxEEEEPS6_SG_NS0_5tupleIJSF_S6_EEENSH_IJSG_SG_EEES6_PlJ7is_evenIxEEEE10hipError_tPvRmT3_T4_T5_T6_T7_T9_mT8_P12ihipStream_tbDpT10_ENKUlT_T0_E_clISt17integral_constantIbLb0EES16_EEDaS11_S12_EUlS11_E_NS1_11comp_targetILNS1_3genE5ELNS1_11target_archE942ELNS1_3gpuE9ELNS1_3repE0EEENS1_30default_config_static_selectorELNS0_4arch9wavefront6targetE0EEEvT1_,"axG",@progbits,_ZN7rocprim17ROCPRIM_400000_NS6detail17trampoline_kernelINS0_14default_configENS1_25partition_config_selectorILNS1_17partition_subalgoE6ExNS0_10empty_typeEbEEZZNS1_14partition_implILS5_6ELb0ES3_mN6thrust23THRUST_200600_302600_NS6detail15normal_iteratorINSA_10device_ptrIxEEEEPS6_SG_NS0_5tupleIJSF_S6_EEENSH_IJSG_SG_EEES6_PlJ7is_evenIxEEEE10hipError_tPvRmT3_T4_T5_T6_T7_T9_mT8_P12ihipStream_tbDpT10_ENKUlT_T0_E_clISt17integral_constantIbLb0EES16_EEDaS11_S12_EUlS11_E_NS1_11comp_targetILNS1_3genE5ELNS1_11target_archE942ELNS1_3gpuE9ELNS1_3repE0EEENS1_30default_config_static_selectorELNS0_4arch9wavefront6targetE0EEEvT1_,comdat
.Lfunc_end361:
	.size	_ZN7rocprim17ROCPRIM_400000_NS6detail17trampoline_kernelINS0_14default_configENS1_25partition_config_selectorILNS1_17partition_subalgoE6ExNS0_10empty_typeEbEEZZNS1_14partition_implILS5_6ELb0ES3_mN6thrust23THRUST_200600_302600_NS6detail15normal_iteratorINSA_10device_ptrIxEEEEPS6_SG_NS0_5tupleIJSF_S6_EEENSH_IJSG_SG_EEES6_PlJ7is_evenIxEEEE10hipError_tPvRmT3_T4_T5_T6_T7_T9_mT8_P12ihipStream_tbDpT10_ENKUlT_T0_E_clISt17integral_constantIbLb0EES16_EEDaS11_S12_EUlS11_E_NS1_11comp_targetILNS1_3genE5ELNS1_11target_archE942ELNS1_3gpuE9ELNS1_3repE0EEENS1_30default_config_static_selectorELNS0_4arch9wavefront6targetE0EEEvT1_, .Lfunc_end361-_ZN7rocprim17ROCPRIM_400000_NS6detail17trampoline_kernelINS0_14default_configENS1_25partition_config_selectorILNS1_17partition_subalgoE6ExNS0_10empty_typeEbEEZZNS1_14partition_implILS5_6ELb0ES3_mN6thrust23THRUST_200600_302600_NS6detail15normal_iteratorINSA_10device_ptrIxEEEEPS6_SG_NS0_5tupleIJSF_S6_EEENSH_IJSG_SG_EEES6_PlJ7is_evenIxEEEE10hipError_tPvRmT3_T4_T5_T6_T7_T9_mT8_P12ihipStream_tbDpT10_ENKUlT_T0_E_clISt17integral_constantIbLb0EES16_EEDaS11_S12_EUlS11_E_NS1_11comp_targetILNS1_3genE5ELNS1_11target_archE942ELNS1_3gpuE9ELNS1_3repE0EEENS1_30default_config_static_selectorELNS0_4arch9wavefront6targetE0EEEvT1_
                                        ; -- End function
	.section	.AMDGPU.csdata,"",@progbits
; Kernel info:
; codeLenInByte = 0
; NumSgprs: 0
; NumVgprs: 0
; ScratchSize: 0
; MemoryBound: 0
; FloatMode: 240
; IeeeMode: 1
; LDSByteSize: 0 bytes/workgroup (compile time only)
; SGPRBlocks: 0
; VGPRBlocks: 0
; NumSGPRsForWavesPerEU: 1
; NumVGPRsForWavesPerEU: 1
; Occupancy: 16
; WaveLimiterHint : 0
; COMPUTE_PGM_RSRC2:SCRATCH_EN: 0
; COMPUTE_PGM_RSRC2:USER_SGPR: 15
; COMPUTE_PGM_RSRC2:TRAP_HANDLER: 0
; COMPUTE_PGM_RSRC2:TGID_X_EN: 1
; COMPUTE_PGM_RSRC2:TGID_Y_EN: 0
; COMPUTE_PGM_RSRC2:TGID_Z_EN: 0
; COMPUTE_PGM_RSRC2:TIDIG_COMP_CNT: 0
	.section	.text._ZN7rocprim17ROCPRIM_400000_NS6detail17trampoline_kernelINS0_14default_configENS1_25partition_config_selectorILNS1_17partition_subalgoE6ExNS0_10empty_typeEbEEZZNS1_14partition_implILS5_6ELb0ES3_mN6thrust23THRUST_200600_302600_NS6detail15normal_iteratorINSA_10device_ptrIxEEEEPS6_SG_NS0_5tupleIJSF_S6_EEENSH_IJSG_SG_EEES6_PlJ7is_evenIxEEEE10hipError_tPvRmT3_T4_T5_T6_T7_T9_mT8_P12ihipStream_tbDpT10_ENKUlT_T0_E_clISt17integral_constantIbLb0EES16_EEDaS11_S12_EUlS11_E_NS1_11comp_targetILNS1_3genE4ELNS1_11target_archE910ELNS1_3gpuE8ELNS1_3repE0EEENS1_30default_config_static_selectorELNS0_4arch9wavefront6targetE0EEEvT1_,"axG",@progbits,_ZN7rocprim17ROCPRIM_400000_NS6detail17trampoline_kernelINS0_14default_configENS1_25partition_config_selectorILNS1_17partition_subalgoE6ExNS0_10empty_typeEbEEZZNS1_14partition_implILS5_6ELb0ES3_mN6thrust23THRUST_200600_302600_NS6detail15normal_iteratorINSA_10device_ptrIxEEEEPS6_SG_NS0_5tupleIJSF_S6_EEENSH_IJSG_SG_EEES6_PlJ7is_evenIxEEEE10hipError_tPvRmT3_T4_T5_T6_T7_T9_mT8_P12ihipStream_tbDpT10_ENKUlT_T0_E_clISt17integral_constantIbLb0EES16_EEDaS11_S12_EUlS11_E_NS1_11comp_targetILNS1_3genE4ELNS1_11target_archE910ELNS1_3gpuE8ELNS1_3repE0EEENS1_30default_config_static_selectorELNS0_4arch9wavefront6targetE0EEEvT1_,comdat
	.protected	_ZN7rocprim17ROCPRIM_400000_NS6detail17trampoline_kernelINS0_14default_configENS1_25partition_config_selectorILNS1_17partition_subalgoE6ExNS0_10empty_typeEbEEZZNS1_14partition_implILS5_6ELb0ES3_mN6thrust23THRUST_200600_302600_NS6detail15normal_iteratorINSA_10device_ptrIxEEEEPS6_SG_NS0_5tupleIJSF_S6_EEENSH_IJSG_SG_EEES6_PlJ7is_evenIxEEEE10hipError_tPvRmT3_T4_T5_T6_T7_T9_mT8_P12ihipStream_tbDpT10_ENKUlT_T0_E_clISt17integral_constantIbLb0EES16_EEDaS11_S12_EUlS11_E_NS1_11comp_targetILNS1_3genE4ELNS1_11target_archE910ELNS1_3gpuE8ELNS1_3repE0EEENS1_30default_config_static_selectorELNS0_4arch9wavefront6targetE0EEEvT1_ ; -- Begin function _ZN7rocprim17ROCPRIM_400000_NS6detail17trampoline_kernelINS0_14default_configENS1_25partition_config_selectorILNS1_17partition_subalgoE6ExNS0_10empty_typeEbEEZZNS1_14partition_implILS5_6ELb0ES3_mN6thrust23THRUST_200600_302600_NS6detail15normal_iteratorINSA_10device_ptrIxEEEEPS6_SG_NS0_5tupleIJSF_S6_EEENSH_IJSG_SG_EEES6_PlJ7is_evenIxEEEE10hipError_tPvRmT3_T4_T5_T6_T7_T9_mT8_P12ihipStream_tbDpT10_ENKUlT_T0_E_clISt17integral_constantIbLb0EES16_EEDaS11_S12_EUlS11_E_NS1_11comp_targetILNS1_3genE4ELNS1_11target_archE910ELNS1_3gpuE8ELNS1_3repE0EEENS1_30default_config_static_selectorELNS0_4arch9wavefront6targetE0EEEvT1_
	.globl	_ZN7rocprim17ROCPRIM_400000_NS6detail17trampoline_kernelINS0_14default_configENS1_25partition_config_selectorILNS1_17partition_subalgoE6ExNS0_10empty_typeEbEEZZNS1_14partition_implILS5_6ELb0ES3_mN6thrust23THRUST_200600_302600_NS6detail15normal_iteratorINSA_10device_ptrIxEEEEPS6_SG_NS0_5tupleIJSF_S6_EEENSH_IJSG_SG_EEES6_PlJ7is_evenIxEEEE10hipError_tPvRmT3_T4_T5_T6_T7_T9_mT8_P12ihipStream_tbDpT10_ENKUlT_T0_E_clISt17integral_constantIbLb0EES16_EEDaS11_S12_EUlS11_E_NS1_11comp_targetILNS1_3genE4ELNS1_11target_archE910ELNS1_3gpuE8ELNS1_3repE0EEENS1_30default_config_static_selectorELNS0_4arch9wavefront6targetE0EEEvT1_
	.p2align	8
	.type	_ZN7rocprim17ROCPRIM_400000_NS6detail17trampoline_kernelINS0_14default_configENS1_25partition_config_selectorILNS1_17partition_subalgoE6ExNS0_10empty_typeEbEEZZNS1_14partition_implILS5_6ELb0ES3_mN6thrust23THRUST_200600_302600_NS6detail15normal_iteratorINSA_10device_ptrIxEEEEPS6_SG_NS0_5tupleIJSF_S6_EEENSH_IJSG_SG_EEES6_PlJ7is_evenIxEEEE10hipError_tPvRmT3_T4_T5_T6_T7_T9_mT8_P12ihipStream_tbDpT10_ENKUlT_T0_E_clISt17integral_constantIbLb0EES16_EEDaS11_S12_EUlS11_E_NS1_11comp_targetILNS1_3genE4ELNS1_11target_archE910ELNS1_3gpuE8ELNS1_3repE0EEENS1_30default_config_static_selectorELNS0_4arch9wavefront6targetE0EEEvT1_,@function
_ZN7rocprim17ROCPRIM_400000_NS6detail17trampoline_kernelINS0_14default_configENS1_25partition_config_selectorILNS1_17partition_subalgoE6ExNS0_10empty_typeEbEEZZNS1_14partition_implILS5_6ELb0ES3_mN6thrust23THRUST_200600_302600_NS6detail15normal_iteratorINSA_10device_ptrIxEEEEPS6_SG_NS0_5tupleIJSF_S6_EEENSH_IJSG_SG_EEES6_PlJ7is_evenIxEEEE10hipError_tPvRmT3_T4_T5_T6_T7_T9_mT8_P12ihipStream_tbDpT10_ENKUlT_T0_E_clISt17integral_constantIbLb0EES16_EEDaS11_S12_EUlS11_E_NS1_11comp_targetILNS1_3genE4ELNS1_11target_archE910ELNS1_3gpuE8ELNS1_3repE0EEENS1_30default_config_static_selectorELNS0_4arch9wavefront6targetE0EEEvT1_: ; @_ZN7rocprim17ROCPRIM_400000_NS6detail17trampoline_kernelINS0_14default_configENS1_25partition_config_selectorILNS1_17partition_subalgoE6ExNS0_10empty_typeEbEEZZNS1_14partition_implILS5_6ELb0ES3_mN6thrust23THRUST_200600_302600_NS6detail15normal_iteratorINSA_10device_ptrIxEEEEPS6_SG_NS0_5tupleIJSF_S6_EEENSH_IJSG_SG_EEES6_PlJ7is_evenIxEEEE10hipError_tPvRmT3_T4_T5_T6_T7_T9_mT8_P12ihipStream_tbDpT10_ENKUlT_T0_E_clISt17integral_constantIbLb0EES16_EEDaS11_S12_EUlS11_E_NS1_11comp_targetILNS1_3genE4ELNS1_11target_archE910ELNS1_3gpuE8ELNS1_3repE0EEENS1_30default_config_static_selectorELNS0_4arch9wavefront6targetE0EEEvT1_
; %bb.0:
	.section	.rodata,"a",@progbits
	.p2align	6, 0x0
	.amdhsa_kernel _ZN7rocprim17ROCPRIM_400000_NS6detail17trampoline_kernelINS0_14default_configENS1_25partition_config_selectorILNS1_17partition_subalgoE6ExNS0_10empty_typeEbEEZZNS1_14partition_implILS5_6ELb0ES3_mN6thrust23THRUST_200600_302600_NS6detail15normal_iteratorINSA_10device_ptrIxEEEEPS6_SG_NS0_5tupleIJSF_S6_EEENSH_IJSG_SG_EEES6_PlJ7is_evenIxEEEE10hipError_tPvRmT3_T4_T5_T6_T7_T9_mT8_P12ihipStream_tbDpT10_ENKUlT_T0_E_clISt17integral_constantIbLb0EES16_EEDaS11_S12_EUlS11_E_NS1_11comp_targetILNS1_3genE4ELNS1_11target_archE910ELNS1_3gpuE8ELNS1_3repE0EEENS1_30default_config_static_selectorELNS0_4arch9wavefront6targetE0EEEvT1_
		.amdhsa_group_segment_fixed_size 0
		.amdhsa_private_segment_fixed_size 0
		.amdhsa_kernarg_size 112
		.amdhsa_user_sgpr_count 15
		.amdhsa_user_sgpr_dispatch_ptr 0
		.amdhsa_user_sgpr_queue_ptr 0
		.amdhsa_user_sgpr_kernarg_segment_ptr 1
		.amdhsa_user_sgpr_dispatch_id 0
		.amdhsa_user_sgpr_private_segment_size 0
		.amdhsa_wavefront_size32 1
		.amdhsa_uses_dynamic_stack 0
		.amdhsa_enable_private_segment 0
		.amdhsa_system_sgpr_workgroup_id_x 1
		.amdhsa_system_sgpr_workgroup_id_y 0
		.amdhsa_system_sgpr_workgroup_id_z 0
		.amdhsa_system_sgpr_workgroup_info 0
		.amdhsa_system_vgpr_workitem_id 0
		.amdhsa_next_free_vgpr 1
		.amdhsa_next_free_sgpr 1
		.amdhsa_reserve_vcc 0
		.amdhsa_float_round_mode_32 0
		.amdhsa_float_round_mode_16_64 0
		.amdhsa_float_denorm_mode_32 3
		.amdhsa_float_denorm_mode_16_64 3
		.amdhsa_dx10_clamp 1
		.amdhsa_ieee_mode 1
		.amdhsa_fp16_overflow 0
		.amdhsa_workgroup_processor_mode 1
		.amdhsa_memory_ordered 1
		.amdhsa_forward_progress 0
		.amdhsa_shared_vgpr_count 0
		.amdhsa_exception_fp_ieee_invalid_op 0
		.amdhsa_exception_fp_denorm_src 0
		.amdhsa_exception_fp_ieee_div_zero 0
		.amdhsa_exception_fp_ieee_overflow 0
		.amdhsa_exception_fp_ieee_underflow 0
		.amdhsa_exception_fp_ieee_inexact 0
		.amdhsa_exception_int_div_zero 0
	.end_amdhsa_kernel
	.section	.text._ZN7rocprim17ROCPRIM_400000_NS6detail17trampoline_kernelINS0_14default_configENS1_25partition_config_selectorILNS1_17partition_subalgoE6ExNS0_10empty_typeEbEEZZNS1_14partition_implILS5_6ELb0ES3_mN6thrust23THRUST_200600_302600_NS6detail15normal_iteratorINSA_10device_ptrIxEEEEPS6_SG_NS0_5tupleIJSF_S6_EEENSH_IJSG_SG_EEES6_PlJ7is_evenIxEEEE10hipError_tPvRmT3_T4_T5_T6_T7_T9_mT8_P12ihipStream_tbDpT10_ENKUlT_T0_E_clISt17integral_constantIbLb0EES16_EEDaS11_S12_EUlS11_E_NS1_11comp_targetILNS1_3genE4ELNS1_11target_archE910ELNS1_3gpuE8ELNS1_3repE0EEENS1_30default_config_static_selectorELNS0_4arch9wavefront6targetE0EEEvT1_,"axG",@progbits,_ZN7rocprim17ROCPRIM_400000_NS6detail17trampoline_kernelINS0_14default_configENS1_25partition_config_selectorILNS1_17partition_subalgoE6ExNS0_10empty_typeEbEEZZNS1_14partition_implILS5_6ELb0ES3_mN6thrust23THRUST_200600_302600_NS6detail15normal_iteratorINSA_10device_ptrIxEEEEPS6_SG_NS0_5tupleIJSF_S6_EEENSH_IJSG_SG_EEES6_PlJ7is_evenIxEEEE10hipError_tPvRmT3_T4_T5_T6_T7_T9_mT8_P12ihipStream_tbDpT10_ENKUlT_T0_E_clISt17integral_constantIbLb0EES16_EEDaS11_S12_EUlS11_E_NS1_11comp_targetILNS1_3genE4ELNS1_11target_archE910ELNS1_3gpuE8ELNS1_3repE0EEENS1_30default_config_static_selectorELNS0_4arch9wavefront6targetE0EEEvT1_,comdat
.Lfunc_end362:
	.size	_ZN7rocprim17ROCPRIM_400000_NS6detail17trampoline_kernelINS0_14default_configENS1_25partition_config_selectorILNS1_17partition_subalgoE6ExNS0_10empty_typeEbEEZZNS1_14partition_implILS5_6ELb0ES3_mN6thrust23THRUST_200600_302600_NS6detail15normal_iteratorINSA_10device_ptrIxEEEEPS6_SG_NS0_5tupleIJSF_S6_EEENSH_IJSG_SG_EEES6_PlJ7is_evenIxEEEE10hipError_tPvRmT3_T4_T5_T6_T7_T9_mT8_P12ihipStream_tbDpT10_ENKUlT_T0_E_clISt17integral_constantIbLb0EES16_EEDaS11_S12_EUlS11_E_NS1_11comp_targetILNS1_3genE4ELNS1_11target_archE910ELNS1_3gpuE8ELNS1_3repE0EEENS1_30default_config_static_selectorELNS0_4arch9wavefront6targetE0EEEvT1_, .Lfunc_end362-_ZN7rocprim17ROCPRIM_400000_NS6detail17trampoline_kernelINS0_14default_configENS1_25partition_config_selectorILNS1_17partition_subalgoE6ExNS0_10empty_typeEbEEZZNS1_14partition_implILS5_6ELb0ES3_mN6thrust23THRUST_200600_302600_NS6detail15normal_iteratorINSA_10device_ptrIxEEEEPS6_SG_NS0_5tupleIJSF_S6_EEENSH_IJSG_SG_EEES6_PlJ7is_evenIxEEEE10hipError_tPvRmT3_T4_T5_T6_T7_T9_mT8_P12ihipStream_tbDpT10_ENKUlT_T0_E_clISt17integral_constantIbLb0EES16_EEDaS11_S12_EUlS11_E_NS1_11comp_targetILNS1_3genE4ELNS1_11target_archE910ELNS1_3gpuE8ELNS1_3repE0EEENS1_30default_config_static_selectorELNS0_4arch9wavefront6targetE0EEEvT1_
                                        ; -- End function
	.section	.AMDGPU.csdata,"",@progbits
; Kernel info:
; codeLenInByte = 0
; NumSgprs: 0
; NumVgprs: 0
; ScratchSize: 0
; MemoryBound: 0
; FloatMode: 240
; IeeeMode: 1
; LDSByteSize: 0 bytes/workgroup (compile time only)
; SGPRBlocks: 0
; VGPRBlocks: 0
; NumSGPRsForWavesPerEU: 1
; NumVGPRsForWavesPerEU: 1
; Occupancy: 16
; WaveLimiterHint : 0
; COMPUTE_PGM_RSRC2:SCRATCH_EN: 0
; COMPUTE_PGM_RSRC2:USER_SGPR: 15
; COMPUTE_PGM_RSRC2:TRAP_HANDLER: 0
; COMPUTE_PGM_RSRC2:TGID_X_EN: 1
; COMPUTE_PGM_RSRC2:TGID_Y_EN: 0
; COMPUTE_PGM_RSRC2:TGID_Z_EN: 0
; COMPUTE_PGM_RSRC2:TIDIG_COMP_CNT: 0
	.section	.text._ZN7rocprim17ROCPRIM_400000_NS6detail17trampoline_kernelINS0_14default_configENS1_25partition_config_selectorILNS1_17partition_subalgoE6ExNS0_10empty_typeEbEEZZNS1_14partition_implILS5_6ELb0ES3_mN6thrust23THRUST_200600_302600_NS6detail15normal_iteratorINSA_10device_ptrIxEEEEPS6_SG_NS0_5tupleIJSF_S6_EEENSH_IJSG_SG_EEES6_PlJ7is_evenIxEEEE10hipError_tPvRmT3_T4_T5_T6_T7_T9_mT8_P12ihipStream_tbDpT10_ENKUlT_T0_E_clISt17integral_constantIbLb0EES16_EEDaS11_S12_EUlS11_E_NS1_11comp_targetILNS1_3genE3ELNS1_11target_archE908ELNS1_3gpuE7ELNS1_3repE0EEENS1_30default_config_static_selectorELNS0_4arch9wavefront6targetE0EEEvT1_,"axG",@progbits,_ZN7rocprim17ROCPRIM_400000_NS6detail17trampoline_kernelINS0_14default_configENS1_25partition_config_selectorILNS1_17partition_subalgoE6ExNS0_10empty_typeEbEEZZNS1_14partition_implILS5_6ELb0ES3_mN6thrust23THRUST_200600_302600_NS6detail15normal_iteratorINSA_10device_ptrIxEEEEPS6_SG_NS0_5tupleIJSF_S6_EEENSH_IJSG_SG_EEES6_PlJ7is_evenIxEEEE10hipError_tPvRmT3_T4_T5_T6_T7_T9_mT8_P12ihipStream_tbDpT10_ENKUlT_T0_E_clISt17integral_constantIbLb0EES16_EEDaS11_S12_EUlS11_E_NS1_11comp_targetILNS1_3genE3ELNS1_11target_archE908ELNS1_3gpuE7ELNS1_3repE0EEENS1_30default_config_static_selectorELNS0_4arch9wavefront6targetE0EEEvT1_,comdat
	.protected	_ZN7rocprim17ROCPRIM_400000_NS6detail17trampoline_kernelINS0_14default_configENS1_25partition_config_selectorILNS1_17partition_subalgoE6ExNS0_10empty_typeEbEEZZNS1_14partition_implILS5_6ELb0ES3_mN6thrust23THRUST_200600_302600_NS6detail15normal_iteratorINSA_10device_ptrIxEEEEPS6_SG_NS0_5tupleIJSF_S6_EEENSH_IJSG_SG_EEES6_PlJ7is_evenIxEEEE10hipError_tPvRmT3_T4_T5_T6_T7_T9_mT8_P12ihipStream_tbDpT10_ENKUlT_T0_E_clISt17integral_constantIbLb0EES16_EEDaS11_S12_EUlS11_E_NS1_11comp_targetILNS1_3genE3ELNS1_11target_archE908ELNS1_3gpuE7ELNS1_3repE0EEENS1_30default_config_static_selectorELNS0_4arch9wavefront6targetE0EEEvT1_ ; -- Begin function _ZN7rocprim17ROCPRIM_400000_NS6detail17trampoline_kernelINS0_14default_configENS1_25partition_config_selectorILNS1_17partition_subalgoE6ExNS0_10empty_typeEbEEZZNS1_14partition_implILS5_6ELb0ES3_mN6thrust23THRUST_200600_302600_NS6detail15normal_iteratorINSA_10device_ptrIxEEEEPS6_SG_NS0_5tupleIJSF_S6_EEENSH_IJSG_SG_EEES6_PlJ7is_evenIxEEEE10hipError_tPvRmT3_T4_T5_T6_T7_T9_mT8_P12ihipStream_tbDpT10_ENKUlT_T0_E_clISt17integral_constantIbLb0EES16_EEDaS11_S12_EUlS11_E_NS1_11comp_targetILNS1_3genE3ELNS1_11target_archE908ELNS1_3gpuE7ELNS1_3repE0EEENS1_30default_config_static_selectorELNS0_4arch9wavefront6targetE0EEEvT1_
	.globl	_ZN7rocprim17ROCPRIM_400000_NS6detail17trampoline_kernelINS0_14default_configENS1_25partition_config_selectorILNS1_17partition_subalgoE6ExNS0_10empty_typeEbEEZZNS1_14partition_implILS5_6ELb0ES3_mN6thrust23THRUST_200600_302600_NS6detail15normal_iteratorINSA_10device_ptrIxEEEEPS6_SG_NS0_5tupleIJSF_S6_EEENSH_IJSG_SG_EEES6_PlJ7is_evenIxEEEE10hipError_tPvRmT3_T4_T5_T6_T7_T9_mT8_P12ihipStream_tbDpT10_ENKUlT_T0_E_clISt17integral_constantIbLb0EES16_EEDaS11_S12_EUlS11_E_NS1_11comp_targetILNS1_3genE3ELNS1_11target_archE908ELNS1_3gpuE7ELNS1_3repE0EEENS1_30default_config_static_selectorELNS0_4arch9wavefront6targetE0EEEvT1_
	.p2align	8
	.type	_ZN7rocprim17ROCPRIM_400000_NS6detail17trampoline_kernelINS0_14default_configENS1_25partition_config_selectorILNS1_17partition_subalgoE6ExNS0_10empty_typeEbEEZZNS1_14partition_implILS5_6ELb0ES3_mN6thrust23THRUST_200600_302600_NS6detail15normal_iteratorINSA_10device_ptrIxEEEEPS6_SG_NS0_5tupleIJSF_S6_EEENSH_IJSG_SG_EEES6_PlJ7is_evenIxEEEE10hipError_tPvRmT3_T4_T5_T6_T7_T9_mT8_P12ihipStream_tbDpT10_ENKUlT_T0_E_clISt17integral_constantIbLb0EES16_EEDaS11_S12_EUlS11_E_NS1_11comp_targetILNS1_3genE3ELNS1_11target_archE908ELNS1_3gpuE7ELNS1_3repE0EEENS1_30default_config_static_selectorELNS0_4arch9wavefront6targetE0EEEvT1_,@function
_ZN7rocprim17ROCPRIM_400000_NS6detail17trampoline_kernelINS0_14default_configENS1_25partition_config_selectorILNS1_17partition_subalgoE6ExNS0_10empty_typeEbEEZZNS1_14partition_implILS5_6ELb0ES3_mN6thrust23THRUST_200600_302600_NS6detail15normal_iteratorINSA_10device_ptrIxEEEEPS6_SG_NS0_5tupleIJSF_S6_EEENSH_IJSG_SG_EEES6_PlJ7is_evenIxEEEE10hipError_tPvRmT3_T4_T5_T6_T7_T9_mT8_P12ihipStream_tbDpT10_ENKUlT_T0_E_clISt17integral_constantIbLb0EES16_EEDaS11_S12_EUlS11_E_NS1_11comp_targetILNS1_3genE3ELNS1_11target_archE908ELNS1_3gpuE7ELNS1_3repE0EEENS1_30default_config_static_selectorELNS0_4arch9wavefront6targetE0EEEvT1_: ; @_ZN7rocprim17ROCPRIM_400000_NS6detail17trampoline_kernelINS0_14default_configENS1_25partition_config_selectorILNS1_17partition_subalgoE6ExNS0_10empty_typeEbEEZZNS1_14partition_implILS5_6ELb0ES3_mN6thrust23THRUST_200600_302600_NS6detail15normal_iteratorINSA_10device_ptrIxEEEEPS6_SG_NS0_5tupleIJSF_S6_EEENSH_IJSG_SG_EEES6_PlJ7is_evenIxEEEE10hipError_tPvRmT3_T4_T5_T6_T7_T9_mT8_P12ihipStream_tbDpT10_ENKUlT_T0_E_clISt17integral_constantIbLb0EES16_EEDaS11_S12_EUlS11_E_NS1_11comp_targetILNS1_3genE3ELNS1_11target_archE908ELNS1_3gpuE7ELNS1_3repE0EEENS1_30default_config_static_selectorELNS0_4arch9wavefront6targetE0EEEvT1_
; %bb.0:
	.section	.rodata,"a",@progbits
	.p2align	6, 0x0
	.amdhsa_kernel _ZN7rocprim17ROCPRIM_400000_NS6detail17trampoline_kernelINS0_14default_configENS1_25partition_config_selectorILNS1_17partition_subalgoE6ExNS0_10empty_typeEbEEZZNS1_14partition_implILS5_6ELb0ES3_mN6thrust23THRUST_200600_302600_NS6detail15normal_iteratorINSA_10device_ptrIxEEEEPS6_SG_NS0_5tupleIJSF_S6_EEENSH_IJSG_SG_EEES6_PlJ7is_evenIxEEEE10hipError_tPvRmT3_T4_T5_T6_T7_T9_mT8_P12ihipStream_tbDpT10_ENKUlT_T0_E_clISt17integral_constantIbLb0EES16_EEDaS11_S12_EUlS11_E_NS1_11comp_targetILNS1_3genE3ELNS1_11target_archE908ELNS1_3gpuE7ELNS1_3repE0EEENS1_30default_config_static_selectorELNS0_4arch9wavefront6targetE0EEEvT1_
		.amdhsa_group_segment_fixed_size 0
		.amdhsa_private_segment_fixed_size 0
		.amdhsa_kernarg_size 112
		.amdhsa_user_sgpr_count 15
		.amdhsa_user_sgpr_dispatch_ptr 0
		.amdhsa_user_sgpr_queue_ptr 0
		.amdhsa_user_sgpr_kernarg_segment_ptr 1
		.amdhsa_user_sgpr_dispatch_id 0
		.amdhsa_user_sgpr_private_segment_size 0
		.amdhsa_wavefront_size32 1
		.amdhsa_uses_dynamic_stack 0
		.amdhsa_enable_private_segment 0
		.amdhsa_system_sgpr_workgroup_id_x 1
		.amdhsa_system_sgpr_workgroup_id_y 0
		.amdhsa_system_sgpr_workgroup_id_z 0
		.amdhsa_system_sgpr_workgroup_info 0
		.amdhsa_system_vgpr_workitem_id 0
		.amdhsa_next_free_vgpr 1
		.amdhsa_next_free_sgpr 1
		.amdhsa_reserve_vcc 0
		.amdhsa_float_round_mode_32 0
		.amdhsa_float_round_mode_16_64 0
		.amdhsa_float_denorm_mode_32 3
		.amdhsa_float_denorm_mode_16_64 3
		.amdhsa_dx10_clamp 1
		.amdhsa_ieee_mode 1
		.amdhsa_fp16_overflow 0
		.amdhsa_workgroup_processor_mode 1
		.amdhsa_memory_ordered 1
		.amdhsa_forward_progress 0
		.amdhsa_shared_vgpr_count 0
		.amdhsa_exception_fp_ieee_invalid_op 0
		.amdhsa_exception_fp_denorm_src 0
		.amdhsa_exception_fp_ieee_div_zero 0
		.amdhsa_exception_fp_ieee_overflow 0
		.amdhsa_exception_fp_ieee_underflow 0
		.amdhsa_exception_fp_ieee_inexact 0
		.amdhsa_exception_int_div_zero 0
	.end_amdhsa_kernel
	.section	.text._ZN7rocprim17ROCPRIM_400000_NS6detail17trampoline_kernelINS0_14default_configENS1_25partition_config_selectorILNS1_17partition_subalgoE6ExNS0_10empty_typeEbEEZZNS1_14partition_implILS5_6ELb0ES3_mN6thrust23THRUST_200600_302600_NS6detail15normal_iteratorINSA_10device_ptrIxEEEEPS6_SG_NS0_5tupleIJSF_S6_EEENSH_IJSG_SG_EEES6_PlJ7is_evenIxEEEE10hipError_tPvRmT3_T4_T5_T6_T7_T9_mT8_P12ihipStream_tbDpT10_ENKUlT_T0_E_clISt17integral_constantIbLb0EES16_EEDaS11_S12_EUlS11_E_NS1_11comp_targetILNS1_3genE3ELNS1_11target_archE908ELNS1_3gpuE7ELNS1_3repE0EEENS1_30default_config_static_selectorELNS0_4arch9wavefront6targetE0EEEvT1_,"axG",@progbits,_ZN7rocprim17ROCPRIM_400000_NS6detail17trampoline_kernelINS0_14default_configENS1_25partition_config_selectorILNS1_17partition_subalgoE6ExNS0_10empty_typeEbEEZZNS1_14partition_implILS5_6ELb0ES3_mN6thrust23THRUST_200600_302600_NS6detail15normal_iteratorINSA_10device_ptrIxEEEEPS6_SG_NS0_5tupleIJSF_S6_EEENSH_IJSG_SG_EEES6_PlJ7is_evenIxEEEE10hipError_tPvRmT3_T4_T5_T6_T7_T9_mT8_P12ihipStream_tbDpT10_ENKUlT_T0_E_clISt17integral_constantIbLb0EES16_EEDaS11_S12_EUlS11_E_NS1_11comp_targetILNS1_3genE3ELNS1_11target_archE908ELNS1_3gpuE7ELNS1_3repE0EEENS1_30default_config_static_selectorELNS0_4arch9wavefront6targetE0EEEvT1_,comdat
.Lfunc_end363:
	.size	_ZN7rocprim17ROCPRIM_400000_NS6detail17trampoline_kernelINS0_14default_configENS1_25partition_config_selectorILNS1_17partition_subalgoE6ExNS0_10empty_typeEbEEZZNS1_14partition_implILS5_6ELb0ES3_mN6thrust23THRUST_200600_302600_NS6detail15normal_iteratorINSA_10device_ptrIxEEEEPS6_SG_NS0_5tupleIJSF_S6_EEENSH_IJSG_SG_EEES6_PlJ7is_evenIxEEEE10hipError_tPvRmT3_T4_T5_T6_T7_T9_mT8_P12ihipStream_tbDpT10_ENKUlT_T0_E_clISt17integral_constantIbLb0EES16_EEDaS11_S12_EUlS11_E_NS1_11comp_targetILNS1_3genE3ELNS1_11target_archE908ELNS1_3gpuE7ELNS1_3repE0EEENS1_30default_config_static_selectorELNS0_4arch9wavefront6targetE0EEEvT1_, .Lfunc_end363-_ZN7rocprim17ROCPRIM_400000_NS6detail17trampoline_kernelINS0_14default_configENS1_25partition_config_selectorILNS1_17partition_subalgoE6ExNS0_10empty_typeEbEEZZNS1_14partition_implILS5_6ELb0ES3_mN6thrust23THRUST_200600_302600_NS6detail15normal_iteratorINSA_10device_ptrIxEEEEPS6_SG_NS0_5tupleIJSF_S6_EEENSH_IJSG_SG_EEES6_PlJ7is_evenIxEEEE10hipError_tPvRmT3_T4_T5_T6_T7_T9_mT8_P12ihipStream_tbDpT10_ENKUlT_T0_E_clISt17integral_constantIbLb0EES16_EEDaS11_S12_EUlS11_E_NS1_11comp_targetILNS1_3genE3ELNS1_11target_archE908ELNS1_3gpuE7ELNS1_3repE0EEENS1_30default_config_static_selectorELNS0_4arch9wavefront6targetE0EEEvT1_
                                        ; -- End function
	.section	.AMDGPU.csdata,"",@progbits
; Kernel info:
; codeLenInByte = 0
; NumSgprs: 0
; NumVgprs: 0
; ScratchSize: 0
; MemoryBound: 0
; FloatMode: 240
; IeeeMode: 1
; LDSByteSize: 0 bytes/workgroup (compile time only)
; SGPRBlocks: 0
; VGPRBlocks: 0
; NumSGPRsForWavesPerEU: 1
; NumVGPRsForWavesPerEU: 1
; Occupancy: 16
; WaveLimiterHint : 0
; COMPUTE_PGM_RSRC2:SCRATCH_EN: 0
; COMPUTE_PGM_RSRC2:USER_SGPR: 15
; COMPUTE_PGM_RSRC2:TRAP_HANDLER: 0
; COMPUTE_PGM_RSRC2:TGID_X_EN: 1
; COMPUTE_PGM_RSRC2:TGID_Y_EN: 0
; COMPUTE_PGM_RSRC2:TGID_Z_EN: 0
; COMPUTE_PGM_RSRC2:TIDIG_COMP_CNT: 0
	.section	.text._ZN7rocprim17ROCPRIM_400000_NS6detail17trampoline_kernelINS0_14default_configENS1_25partition_config_selectorILNS1_17partition_subalgoE6ExNS0_10empty_typeEbEEZZNS1_14partition_implILS5_6ELb0ES3_mN6thrust23THRUST_200600_302600_NS6detail15normal_iteratorINSA_10device_ptrIxEEEEPS6_SG_NS0_5tupleIJSF_S6_EEENSH_IJSG_SG_EEES6_PlJ7is_evenIxEEEE10hipError_tPvRmT3_T4_T5_T6_T7_T9_mT8_P12ihipStream_tbDpT10_ENKUlT_T0_E_clISt17integral_constantIbLb0EES16_EEDaS11_S12_EUlS11_E_NS1_11comp_targetILNS1_3genE2ELNS1_11target_archE906ELNS1_3gpuE6ELNS1_3repE0EEENS1_30default_config_static_selectorELNS0_4arch9wavefront6targetE0EEEvT1_,"axG",@progbits,_ZN7rocprim17ROCPRIM_400000_NS6detail17trampoline_kernelINS0_14default_configENS1_25partition_config_selectorILNS1_17partition_subalgoE6ExNS0_10empty_typeEbEEZZNS1_14partition_implILS5_6ELb0ES3_mN6thrust23THRUST_200600_302600_NS6detail15normal_iteratorINSA_10device_ptrIxEEEEPS6_SG_NS0_5tupleIJSF_S6_EEENSH_IJSG_SG_EEES6_PlJ7is_evenIxEEEE10hipError_tPvRmT3_T4_T5_T6_T7_T9_mT8_P12ihipStream_tbDpT10_ENKUlT_T0_E_clISt17integral_constantIbLb0EES16_EEDaS11_S12_EUlS11_E_NS1_11comp_targetILNS1_3genE2ELNS1_11target_archE906ELNS1_3gpuE6ELNS1_3repE0EEENS1_30default_config_static_selectorELNS0_4arch9wavefront6targetE0EEEvT1_,comdat
	.protected	_ZN7rocprim17ROCPRIM_400000_NS6detail17trampoline_kernelINS0_14default_configENS1_25partition_config_selectorILNS1_17partition_subalgoE6ExNS0_10empty_typeEbEEZZNS1_14partition_implILS5_6ELb0ES3_mN6thrust23THRUST_200600_302600_NS6detail15normal_iteratorINSA_10device_ptrIxEEEEPS6_SG_NS0_5tupleIJSF_S6_EEENSH_IJSG_SG_EEES6_PlJ7is_evenIxEEEE10hipError_tPvRmT3_T4_T5_T6_T7_T9_mT8_P12ihipStream_tbDpT10_ENKUlT_T0_E_clISt17integral_constantIbLb0EES16_EEDaS11_S12_EUlS11_E_NS1_11comp_targetILNS1_3genE2ELNS1_11target_archE906ELNS1_3gpuE6ELNS1_3repE0EEENS1_30default_config_static_selectorELNS0_4arch9wavefront6targetE0EEEvT1_ ; -- Begin function _ZN7rocprim17ROCPRIM_400000_NS6detail17trampoline_kernelINS0_14default_configENS1_25partition_config_selectorILNS1_17partition_subalgoE6ExNS0_10empty_typeEbEEZZNS1_14partition_implILS5_6ELb0ES3_mN6thrust23THRUST_200600_302600_NS6detail15normal_iteratorINSA_10device_ptrIxEEEEPS6_SG_NS0_5tupleIJSF_S6_EEENSH_IJSG_SG_EEES6_PlJ7is_evenIxEEEE10hipError_tPvRmT3_T4_T5_T6_T7_T9_mT8_P12ihipStream_tbDpT10_ENKUlT_T0_E_clISt17integral_constantIbLb0EES16_EEDaS11_S12_EUlS11_E_NS1_11comp_targetILNS1_3genE2ELNS1_11target_archE906ELNS1_3gpuE6ELNS1_3repE0EEENS1_30default_config_static_selectorELNS0_4arch9wavefront6targetE0EEEvT1_
	.globl	_ZN7rocprim17ROCPRIM_400000_NS6detail17trampoline_kernelINS0_14default_configENS1_25partition_config_selectorILNS1_17partition_subalgoE6ExNS0_10empty_typeEbEEZZNS1_14partition_implILS5_6ELb0ES3_mN6thrust23THRUST_200600_302600_NS6detail15normal_iteratorINSA_10device_ptrIxEEEEPS6_SG_NS0_5tupleIJSF_S6_EEENSH_IJSG_SG_EEES6_PlJ7is_evenIxEEEE10hipError_tPvRmT3_T4_T5_T6_T7_T9_mT8_P12ihipStream_tbDpT10_ENKUlT_T0_E_clISt17integral_constantIbLb0EES16_EEDaS11_S12_EUlS11_E_NS1_11comp_targetILNS1_3genE2ELNS1_11target_archE906ELNS1_3gpuE6ELNS1_3repE0EEENS1_30default_config_static_selectorELNS0_4arch9wavefront6targetE0EEEvT1_
	.p2align	8
	.type	_ZN7rocprim17ROCPRIM_400000_NS6detail17trampoline_kernelINS0_14default_configENS1_25partition_config_selectorILNS1_17partition_subalgoE6ExNS0_10empty_typeEbEEZZNS1_14partition_implILS5_6ELb0ES3_mN6thrust23THRUST_200600_302600_NS6detail15normal_iteratorINSA_10device_ptrIxEEEEPS6_SG_NS0_5tupleIJSF_S6_EEENSH_IJSG_SG_EEES6_PlJ7is_evenIxEEEE10hipError_tPvRmT3_T4_T5_T6_T7_T9_mT8_P12ihipStream_tbDpT10_ENKUlT_T0_E_clISt17integral_constantIbLb0EES16_EEDaS11_S12_EUlS11_E_NS1_11comp_targetILNS1_3genE2ELNS1_11target_archE906ELNS1_3gpuE6ELNS1_3repE0EEENS1_30default_config_static_selectorELNS0_4arch9wavefront6targetE0EEEvT1_,@function
_ZN7rocprim17ROCPRIM_400000_NS6detail17trampoline_kernelINS0_14default_configENS1_25partition_config_selectorILNS1_17partition_subalgoE6ExNS0_10empty_typeEbEEZZNS1_14partition_implILS5_6ELb0ES3_mN6thrust23THRUST_200600_302600_NS6detail15normal_iteratorINSA_10device_ptrIxEEEEPS6_SG_NS0_5tupleIJSF_S6_EEENSH_IJSG_SG_EEES6_PlJ7is_evenIxEEEE10hipError_tPvRmT3_T4_T5_T6_T7_T9_mT8_P12ihipStream_tbDpT10_ENKUlT_T0_E_clISt17integral_constantIbLb0EES16_EEDaS11_S12_EUlS11_E_NS1_11comp_targetILNS1_3genE2ELNS1_11target_archE906ELNS1_3gpuE6ELNS1_3repE0EEENS1_30default_config_static_selectorELNS0_4arch9wavefront6targetE0EEEvT1_: ; @_ZN7rocprim17ROCPRIM_400000_NS6detail17trampoline_kernelINS0_14default_configENS1_25partition_config_selectorILNS1_17partition_subalgoE6ExNS0_10empty_typeEbEEZZNS1_14partition_implILS5_6ELb0ES3_mN6thrust23THRUST_200600_302600_NS6detail15normal_iteratorINSA_10device_ptrIxEEEEPS6_SG_NS0_5tupleIJSF_S6_EEENSH_IJSG_SG_EEES6_PlJ7is_evenIxEEEE10hipError_tPvRmT3_T4_T5_T6_T7_T9_mT8_P12ihipStream_tbDpT10_ENKUlT_T0_E_clISt17integral_constantIbLb0EES16_EEDaS11_S12_EUlS11_E_NS1_11comp_targetILNS1_3genE2ELNS1_11target_archE906ELNS1_3gpuE6ELNS1_3repE0EEENS1_30default_config_static_selectorELNS0_4arch9wavefront6targetE0EEEvT1_
; %bb.0:
	.section	.rodata,"a",@progbits
	.p2align	6, 0x0
	.amdhsa_kernel _ZN7rocprim17ROCPRIM_400000_NS6detail17trampoline_kernelINS0_14default_configENS1_25partition_config_selectorILNS1_17partition_subalgoE6ExNS0_10empty_typeEbEEZZNS1_14partition_implILS5_6ELb0ES3_mN6thrust23THRUST_200600_302600_NS6detail15normal_iteratorINSA_10device_ptrIxEEEEPS6_SG_NS0_5tupleIJSF_S6_EEENSH_IJSG_SG_EEES6_PlJ7is_evenIxEEEE10hipError_tPvRmT3_T4_T5_T6_T7_T9_mT8_P12ihipStream_tbDpT10_ENKUlT_T0_E_clISt17integral_constantIbLb0EES16_EEDaS11_S12_EUlS11_E_NS1_11comp_targetILNS1_3genE2ELNS1_11target_archE906ELNS1_3gpuE6ELNS1_3repE0EEENS1_30default_config_static_selectorELNS0_4arch9wavefront6targetE0EEEvT1_
		.amdhsa_group_segment_fixed_size 0
		.amdhsa_private_segment_fixed_size 0
		.amdhsa_kernarg_size 112
		.amdhsa_user_sgpr_count 15
		.amdhsa_user_sgpr_dispatch_ptr 0
		.amdhsa_user_sgpr_queue_ptr 0
		.amdhsa_user_sgpr_kernarg_segment_ptr 1
		.amdhsa_user_sgpr_dispatch_id 0
		.amdhsa_user_sgpr_private_segment_size 0
		.amdhsa_wavefront_size32 1
		.amdhsa_uses_dynamic_stack 0
		.amdhsa_enable_private_segment 0
		.amdhsa_system_sgpr_workgroup_id_x 1
		.amdhsa_system_sgpr_workgroup_id_y 0
		.amdhsa_system_sgpr_workgroup_id_z 0
		.amdhsa_system_sgpr_workgroup_info 0
		.amdhsa_system_vgpr_workitem_id 0
		.amdhsa_next_free_vgpr 1
		.amdhsa_next_free_sgpr 1
		.amdhsa_reserve_vcc 0
		.amdhsa_float_round_mode_32 0
		.amdhsa_float_round_mode_16_64 0
		.amdhsa_float_denorm_mode_32 3
		.amdhsa_float_denorm_mode_16_64 3
		.amdhsa_dx10_clamp 1
		.amdhsa_ieee_mode 1
		.amdhsa_fp16_overflow 0
		.amdhsa_workgroup_processor_mode 1
		.amdhsa_memory_ordered 1
		.amdhsa_forward_progress 0
		.amdhsa_shared_vgpr_count 0
		.amdhsa_exception_fp_ieee_invalid_op 0
		.amdhsa_exception_fp_denorm_src 0
		.amdhsa_exception_fp_ieee_div_zero 0
		.amdhsa_exception_fp_ieee_overflow 0
		.amdhsa_exception_fp_ieee_underflow 0
		.amdhsa_exception_fp_ieee_inexact 0
		.amdhsa_exception_int_div_zero 0
	.end_amdhsa_kernel
	.section	.text._ZN7rocprim17ROCPRIM_400000_NS6detail17trampoline_kernelINS0_14default_configENS1_25partition_config_selectorILNS1_17partition_subalgoE6ExNS0_10empty_typeEbEEZZNS1_14partition_implILS5_6ELb0ES3_mN6thrust23THRUST_200600_302600_NS6detail15normal_iteratorINSA_10device_ptrIxEEEEPS6_SG_NS0_5tupleIJSF_S6_EEENSH_IJSG_SG_EEES6_PlJ7is_evenIxEEEE10hipError_tPvRmT3_T4_T5_T6_T7_T9_mT8_P12ihipStream_tbDpT10_ENKUlT_T0_E_clISt17integral_constantIbLb0EES16_EEDaS11_S12_EUlS11_E_NS1_11comp_targetILNS1_3genE2ELNS1_11target_archE906ELNS1_3gpuE6ELNS1_3repE0EEENS1_30default_config_static_selectorELNS0_4arch9wavefront6targetE0EEEvT1_,"axG",@progbits,_ZN7rocprim17ROCPRIM_400000_NS6detail17trampoline_kernelINS0_14default_configENS1_25partition_config_selectorILNS1_17partition_subalgoE6ExNS0_10empty_typeEbEEZZNS1_14partition_implILS5_6ELb0ES3_mN6thrust23THRUST_200600_302600_NS6detail15normal_iteratorINSA_10device_ptrIxEEEEPS6_SG_NS0_5tupleIJSF_S6_EEENSH_IJSG_SG_EEES6_PlJ7is_evenIxEEEE10hipError_tPvRmT3_T4_T5_T6_T7_T9_mT8_P12ihipStream_tbDpT10_ENKUlT_T0_E_clISt17integral_constantIbLb0EES16_EEDaS11_S12_EUlS11_E_NS1_11comp_targetILNS1_3genE2ELNS1_11target_archE906ELNS1_3gpuE6ELNS1_3repE0EEENS1_30default_config_static_selectorELNS0_4arch9wavefront6targetE0EEEvT1_,comdat
.Lfunc_end364:
	.size	_ZN7rocprim17ROCPRIM_400000_NS6detail17trampoline_kernelINS0_14default_configENS1_25partition_config_selectorILNS1_17partition_subalgoE6ExNS0_10empty_typeEbEEZZNS1_14partition_implILS5_6ELb0ES3_mN6thrust23THRUST_200600_302600_NS6detail15normal_iteratorINSA_10device_ptrIxEEEEPS6_SG_NS0_5tupleIJSF_S6_EEENSH_IJSG_SG_EEES6_PlJ7is_evenIxEEEE10hipError_tPvRmT3_T4_T5_T6_T7_T9_mT8_P12ihipStream_tbDpT10_ENKUlT_T0_E_clISt17integral_constantIbLb0EES16_EEDaS11_S12_EUlS11_E_NS1_11comp_targetILNS1_3genE2ELNS1_11target_archE906ELNS1_3gpuE6ELNS1_3repE0EEENS1_30default_config_static_selectorELNS0_4arch9wavefront6targetE0EEEvT1_, .Lfunc_end364-_ZN7rocprim17ROCPRIM_400000_NS6detail17trampoline_kernelINS0_14default_configENS1_25partition_config_selectorILNS1_17partition_subalgoE6ExNS0_10empty_typeEbEEZZNS1_14partition_implILS5_6ELb0ES3_mN6thrust23THRUST_200600_302600_NS6detail15normal_iteratorINSA_10device_ptrIxEEEEPS6_SG_NS0_5tupleIJSF_S6_EEENSH_IJSG_SG_EEES6_PlJ7is_evenIxEEEE10hipError_tPvRmT3_T4_T5_T6_T7_T9_mT8_P12ihipStream_tbDpT10_ENKUlT_T0_E_clISt17integral_constantIbLb0EES16_EEDaS11_S12_EUlS11_E_NS1_11comp_targetILNS1_3genE2ELNS1_11target_archE906ELNS1_3gpuE6ELNS1_3repE0EEENS1_30default_config_static_selectorELNS0_4arch9wavefront6targetE0EEEvT1_
                                        ; -- End function
	.section	.AMDGPU.csdata,"",@progbits
; Kernel info:
; codeLenInByte = 0
; NumSgprs: 0
; NumVgprs: 0
; ScratchSize: 0
; MemoryBound: 0
; FloatMode: 240
; IeeeMode: 1
; LDSByteSize: 0 bytes/workgroup (compile time only)
; SGPRBlocks: 0
; VGPRBlocks: 0
; NumSGPRsForWavesPerEU: 1
; NumVGPRsForWavesPerEU: 1
; Occupancy: 16
; WaveLimiterHint : 0
; COMPUTE_PGM_RSRC2:SCRATCH_EN: 0
; COMPUTE_PGM_RSRC2:USER_SGPR: 15
; COMPUTE_PGM_RSRC2:TRAP_HANDLER: 0
; COMPUTE_PGM_RSRC2:TGID_X_EN: 1
; COMPUTE_PGM_RSRC2:TGID_Y_EN: 0
; COMPUTE_PGM_RSRC2:TGID_Z_EN: 0
; COMPUTE_PGM_RSRC2:TIDIG_COMP_CNT: 0
	.section	.text._ZN7rocprim17ROCPRIM_400000_NS6detail17trampoline_kernelINS0_14default_configENS1_25partition_config_selectorILNS1_17partition_subalgoE6ExNS0_10empty_typeEbEEZZNS1_14partition_implILS5_6ELb0ES3_mN6thrust23THRUST_200600_302600_NS6detail15normal_iteratorINSA_10device_ptrIxEEEEPS6_SG_NS0_5tupleIJSF_S6_EEENSH_IJSG_SG_EEES6_PlJ7is_evenIxEEEE10hipError_tPvRmT3_T4_T5_T6_T7_T9_mT8_P12ihipStream_tbDpT10_ENKUlT_T0_E_clISt17integral_constantIbLb0EES16_EEDaS11_S12_EUlS11_E_NS1_11comp_targetILNS1_3genE10ELNS1_11target_archE1200ELNS1_3gpuE4ELNS1_3repE0EEENS1_30default_config_static_selectorELNS0_4arch9wavefront6targetE0EEEvT1_,"axG",@progbits,_ZN7rocprim17ROCPRIM_400000_NS6detail17trampoline_kernelINS0_14default_configENS1_25partition_config_selectorILNS1_17partition_subalgoE6ExNS0_10empty_typeEbEEZZNS1_14partition_implILS5_6ELb0ES3_mN6thrust23THRUST_200600_302600_NS6detail15normal_iteratorINSA_10device_ptrIxEEEEPS6_SG_NS0_5tupleIJSF_S6_EEENSH_IJSG_SG_EEES6_PlJ7is_evenIxEEEE10hipError_tPvRmT3_T4_T5_T6_T7_T9_mT8_P12ihipStream_tbDpT10_ENKUlT_T0_E_clISt17integral_constantIbLb0EES16_EEDaS11_S12_EUlS11_E_NS1_11comp_targetILNS1_3genE10ELNS1_11target_archE1200ELNS1_3gpuE4ELNS1_3repE0EEENS1_30default_config_static_selectorELNS0_4arch9wavefront6targetE0EEEvT1_,comdat
	.protected	_ZN7rocprim17ROCPRIM_400000_NS6detail17trampoline_kernelINS0_14default_configENS1_25partition_config_selectorILNS1_17partition_subalgoE6ExNS0_10empty_typeEbEEZZNS1_14partition_implILS5_6ELb0ES3_mN6thrust23THRUST_200600_302600_NS6detail15normal_iteratorINSA_10device_ptrIxEEEEPS6_SG_NS0_5tupleIJSF_S6_EEENSH_IJSG_SG_EEES6_PlJ7is_evenIxEEEE10hipError_tPvRmT3_T4_T5_T6_T7_T9_mT8_P12ihipStream_tbDpT10_ENKUlT_T0_E_clISt17integral_constantIbLb0EES16_EEDaS11_S12_EUlS11_E_NS1_11comp_targetILNS1_3genE10ELNS1_11target_archE1200ELNS1_3gpuE4ELNS1_3repE0EEENS1_30default_config_static_selectorELNS0_4arch9wavefront6targetE0EEEvT1_ ; -- Begin function _ZN7rocprim17ROCPRIM_400000_NS6detail17trampoline_kernelINS0_14default_configENS1_25partition_config_selectorILNS1_17partition_subalgoE6ExNS0_10empty_typeEbEEZZNS1_14partition_implILS5_6ELb0ES3_mN6thrust23THRUST_200600_302600_NS6detail15normal_iteratorINSA_10device_ptrIxEEEEPS6_SG_NS0_5tupleIJSF_S6_EEENSH_IJSG_SG_EEES6_PlJ7is_evenIxEEEE10hipError_tPvRmT3_T4_T5_T6_T7_T9_mT8_P12ihipStream_tbDpT10_ENKUlT_T0_E_clISt17integral_constantIbLb0EES16_EEDaS11_S12_EUlS11_E_NS1_11comp_targetILNS1_3genE10ELNS1_11target_archE1200ELNS1_3gpuE4ELNS1_3repE0EEENS1_30default_config_static_selectorELNS0_4arch9wavefront6targetE0EEEvT1_
	.globl	_ZN7rocprim17ROCPRIM_400000_NS6detail17trampoline_kernelINS0_14default_configENS1_25partition_config_selectorILNS1_17partition_subalgoE6ExNS0_10empty_typeEbEEZZNS1_14partition_implILS5_6ELb0ES3_mN6thrust23THRUST_200600_302600_NS6detail15normal_iteratorINSA_10device_ptrIxEEEEPS6_SG_NS0_5tupleIJSF_S6_EEENSH_IJSG_SG_EEES6_PlJ7is_evenIxEEEE10hipError_tPvRmT3_T4_T5_T6_T7_T9_mT8_P12ihipStream_tbDpT10_ENKUlT_T0_E_clISt17integral_constantIbLb0EES16_EEDaS11_S12_EUlS11_E_NS1_11comp_targetILNS1_3genE10ELNS1_11target_archE1200ELNS1_3gpuE4ELNS1_3repE0EEENS1_30default_config_static_selectorELNS0_4arch9wavefront6targetE0EEEvT1_
	.p2align	8
	.type	_ZN7rocprim17ROCPRIM_400000_NS6detail17trampoline_kernelINS0_14default_configENS1_25partition_config_selectorILNS1_17partition_subalgoE6ExNS0_10empty_typeEbEEZZNS1_14partition_implILS5_6ELb0ES3_mN6thrust23THRUST_200600_302600_NS6detail15normal_iteratorINSA_10device_ptrIxEEEEPS6_SG_NS0_5tupleIJSF_S6_EEENSH_IJSG_SG_EEES6_PlJ7is_evenIxEEEE10hipError_tPvRmT3_T4_T5_T6_T7_T9_mT8_P12ihipStream_tbDpT10_ENKUlT_T0_E_clISt17integral_constantIbLb0EES16_EEDaS11_S12_EUlS11_E_NS1_11comp_targetILNS1_3genE10ELNS1_11target_archE1200ELNS1_3gpuE4ELNS1_3repE0EEENS1_30default_config_static_selectorELNS0_4arch9wavefront6targetE0EEEvT1_,@function
_ZN7rocprim17ROCPRIM_400000_NS6detail17trampoline_kernelINS0_14default_configENS1_25partition_config_selectorILNS1_17partition_subalgoE6ExNS0_10empty_typeEbEEZZNS1_14partition_implILS5_6ELb0ES3_mN6thrust23THRUST_200600_302600_NS6detail15normal_iteratorINSA_10device_ptrIxEEEEPS6_SG_NS0_5tupleIJSF_S6_EEENSH_IJSG_SG_EEES6_PlJ7is_evenIxEEEE10hipError_tPvRmT3_T4_T5_T6_T7_T9_mT8_P12ihipStream_tbDpT10_ENKUlT_T0_E_clISt17integral_constantIbLb0EES16_EEDaS11_S12_EUlS11_E_NS1_11comp_targetILNS1_3genE10ELNS1_11target_archE1200ELNS1_3gpuE4ELNS1_3repE0EEENS1_30default_config_static_selectorELNS0_4arch9wavefront6targetE0EEEvT1_: ; @_ZN7rocprim17ROCPRIM_400000_NS6detail17trampoline_kernelINS0_14default_configENS1_25partition_config_selectorILNS1_17partition_subalgoE6ExNS0_10empty_typeEbEEZZNS1_14partition_implILS5_6ELb0ES3_mN6thrust23THRUST_200600_302600_NS6detail15normal_iteratorINSA_10device_ptrIxEEEEPS6_SG_NS0_5tupleIJSF_S6_EEENSH_IJSG_SG_EEES6_PlJ7is_evenIxEEEE10hipError_tPvRmT3_T4_T5_T6_T7_T9_mT8_P12ihipStream_tbDpT10_ENKUlT_T0_E_clISt17integral_constantIbLb0EES16_EEDaS11_S12_EUlS11_E_NS1_11comp_targetILNS1_3genE10ELNS1_11target_archE1200ELNS1_3gpuE4ELNS1_3repE0EEENS1_30default_config_static_selectorELNS0_4arch9wavefront6targetE0EEEvT1_
; %bb.0:
	.section	.rodata,"a",@progbits
	.p2align	6, 0x0
	.amdhsa_kernel _ZN7rocprim17ROCPRIM_400000_NS6detail17trampoline_kernelINS0_14default_configENS1_25partition_config_selectorILNS1_17partition_subalgoE6ExNS0_10empty_typeEbEEZZNS1_14partition_implILS5_6ELb0ES3_mN6thrust23THRUST_200600_302600_NS6detail15normal_iteratorINSA_10device_ptrIxEEEEPS6_SG_NS0_5tupleIJSF_S6_EEENSH_IJSG_SG_EEES6_PlJ7is_evenIxEEEE10hipError_tPvRmT3_T4_T5_T6_T7_T9_mT8_P12ihipStream_tbDpT10_ENKUlT_T0_E_clISt17integral_constantIbLb0EES16_EEDaS11_S12_EUlS11_E_NS1_11comp_targetILNS1_3genE10ELNS1_11target_archE1200ELNS1_3gpuE4ELNS1_3repE0EEENS1_30default_config_static_selectorELNS0_4arch9wavefront6targetE0EEEvT1_
		.amdhsa_group_segment_fixed_size 0
		.amdhsa_private_segment_fixed_size 0
		.amdhsa_kernarg_size 112
		.amdhsa_user_sgpr_count 15
		.amdhsa_user_sgpr_dispatch_ptr 0
		.amdhsa_user_sgpr_queue_ptr 0
		.amdhsa_user_sgpr_kernarg_segment_ptr 1
		.amdhsa_user_sgpr_dispatch_id 0
		.amdhsa_user_sgpr_private_segment_size 0
		.amdhsa_wavefront_size32 1
		.amdhsa_uses_dynamic_stack 0
		.amdhsa_enable_private_segment 0
		.amdhsa_system_sgpr_workgroup_id_x 1
		.amdhsa_system_sgpr_workgroup_id_y 0
		.amdhsa_system_sgpr_workgroup_id_z 0
		.amdhsa_system_sgpr_workgroup_info 0
		.amdhsa_system_vgpr_workitem_id 0
		.amdhsa_next_free_vgpr 1
		.amdhsa_next_free_sgpr 1
		.amdhsa_reserve_vcc 0
		.amdhsa_float_round_mode_32 0
		.amdhsa_float_round_mode_16_64 0
		.amdhsa_float_denorm_mode_32 3
		.amdhsa_float_denorm_mode_16_64 3
		.amdhsa_dx10_clamp 1
		.amdhsa_ieee_mode 1
		.amdhsa_fp16_overflow 0
		.amdhsa_workgroup_processor_mode 1
		.amdhsa_memory_ordered 1
		.amdhsa_forward_progress 0
		.amdhsa_shared_vgpr_count 0
		.amdhsa_exception_fp_ieee_invalid_op 0
		.amdhsa_exception_fp_denorm_src 0
		.amdhsa_exception_fp_ieee_div_zero 0
		.amdhsa_exception_fp_ieee_overflow 0
		.amdhsa_exception_fp_ieee_underflow 0
		.amdhsa_exception_fp_ieee_inexact 0
		.amdhsa_exception_int_div_zero 0
	.end_amdhsa_kernel
	.section	.text._ZN7rocprim17ROCPRIM_400000_NS6detail17trampoline_kernelINS0_14default_configENS1_25partition_config_selectorILNS1_17partition_subalgoE6ExNS0_10empty_typeEbEEZZNS1_14partition_implILS5_6ELb0ES3_mN6thrust23THRUST_200600_302600_NS6detail15normal_iteratorINSA_10device_ptrIxEEEEPS6_SG_NS0_5tupleIJSF_S6_EEENSH_IJSG_SG_EEES6_PlJ7is_evenIxEEEE10hipError_tPvRmT3_T4_T5_T6_T7_T9_mT8_P12ihipStream_tbDpT10_ENKUlT_T0_E_clISt17integral_constantIbLb0EES16_EEDaS11_S12_EUlS11_E_NS1_11comp_targetILNS1_3genE10ELNS1_11target_archE1200ELNS1_3gpuE4ELNS1_3repE0EEENS1_30default_config_static_selectorELNS0_4arch9wavefront6targetE0EEEvT1_,"axG",@progbits,_ZN7rocprim17ROCPRIM_400000_NS6detail17trampoline_kernelINS0_14default_configENS1_25partition_config_selectorILNS1_17partition_subalgoE6ExNS0_10empty_typeEbEEZZNS1_14partition_implILS5_6ELb0ES3_mN6thrust23THRUST_200600_302600_NS6detail15normal_iteratorINSA_10device_ptrIxEEEEPS6_SG_NS0_5tupleIJSF_S6_EEENSH_IJSG_SG_EEES6_PlJ7is_evenIxEEEE10hipError_tPvRmT3_T4_T5_T6_T7_T9_mT8_P12ihipStream_tbDpT10_ENKUlT_T0_E_clISt17integral_constantIbLb0EES16_EEDaS11_S12_EUlS11_E_NS1_11comp_targetILNS1_3genE10ELNS1_11target_archE1200ELNS1_3gpuE4ELNS1_3repE0EEENS1_30default_config_static_selectorELNS0_4arch9wavefront6targetE0EEEvT1_,comdat
.Lfunc_end365:
	.size	_ZN7rocprim17ROCPRIM_400000_NS6detail17trampoline_kernelINS0_14default_configENS1_25partition_config_selectorILNS1_17partition_subalgoE6ExNS0_10empty_typeEbEEZZNS1_14partition_implILS5_6ELb0ES3_mN6thrust23THRUST_200600_302600_NS6detail15normal_iteratorINSA_10device_ptrIxEEEEPS6_SG_NS0_5tupleIJSF_S6_EEENSH_IJSG_SG_EEES6_PlJ7is_evenIxEEEE10hipError_tPvRmT3_T4_T5_T6_T7_T9_mT8_P12ihipStream_tbDpT10_ENKUlT_T0_E_clISt17integral_constantIbLb0EES16_EEDaS11_S12_EUlS11_E_NS1_11comp_targetILNS1_3genE10ELNS1_11target_archE1200ELNS1_3gpuE4ELNS1_3repE0EEENS1_30default_config_static_selectorELNS0_4arch9wavefront6targetE0EEEvT1_, .Lfunc_end365-_ZN7rocprim17ROCPRIM_400000_NS6detail17trampoline_kernelINS0_14default_configENS1_25partition_config_selectorILNS1_17partition_subalgoE6ExNS0_10empty_typeEbEEZZNS1_14partition_implILS5_6ELb0ES3_mN6thrust23THRUST_200600_302600_NS6detail15normal_iteratorINSA_10device_ptrIxEEEEPS6_SG_NS0_5tupleIJSF_S6_EEENSH_IJSG_SG_EEES6_PlJ7is_evenIxEEEE10hipError_tPvRmT3_T4_T5_T6_T7_T9_mT8_P12ihipStream_tbDpT10_ENKUlT_T0_E_clISt17integral_constantIbLb0EES16_EEDaS11_S12_EUlS11_E_NS1_11comp_targetILNS1_3genE10ELNS1_11target_archE1200ELNS1_3gpuE4ELNS1_3repE0EEENS1_30default_config_static_selectorELNS0_4arch9wavefront6targetE0EEEvT1_
                                        ; -- End function
	.section	.AMDGPU.csdata,"",@progbits
; Kernel info:
; codeLenInByte = 0
; NumSgprs: 0
; NumVgprs: 0
; ScratchSize: 0
; MemoryBound: 0
; FloatMode: 240
; IeeeMode: 1
; LDSByteSize: 0 bytes/workgroup (compile time only)
; SGPRBlocks: 0
; VGPRBlocks: 0
; NumSGPRsForWavesPerEU: 1
; NumVGPRsForWavesPerEU: 1
; Occupancy: 16
; WaveLimiterHint : 0
; COMPUTE_PGM_RSRC2:SCRATCH_EN: 0
; COMPUTE_PGM_RSRC2:USER_SGPR: 15
; COMPUTE_PGM_RSRC2:TRAP_HANDLER: 0
; COMPUTE_PGM_RSRC2:TGID_X_EN: 1
; COMPUTE_PGM_RSRC2:TGID_Y_EN: 0
; COMPUTE_PGM_RSRC2:TGID_Z_EN: 0
; COMPUTE_PGM_RSRC2:TIDIG_COMP_CNT: 0
	.section	.text._ZN7rocprim17ROCPRIM_400000_NS6detail17trampoline_kernelINS0_14default_configENS1_25partition_config_selectorILNS1_17partition_subalgoE6ExNS0_10empty_typeEbEEZZNS1_14partition_implILS5_6ELb0ES3_mN6thrust23THRUST_200600_302600_NS6detail15normal_iteratorINSA_10device_ptrIxEEEEPS6_SG_NS0_5tupleIJSF_S6_EEENSH_IJSG_SG_EEES6_PlJ7is_evenIxEEEE10hipError_tPvRmT3_T4_T5_T6_T7_T9_mT8_P12ihipStream_tbDpT10_ENKUlT_T0_E_clISt17integral_constantIbLb0EES16_EEDaS11_S12_EUlS11_E_NS1_11comp_targetILNS1_3genE9ELNS1_11target_archE1100ELNS1_3gpuE3ELNS1_3repE0EEENS1_30default_config_static_selectorELNS0_4arch9wavefront6targetE0EEEvT1_,"axG",@progbits,_ZN7rocprim17ROCPRIM_400000_NS6detail17trampoline_kernelINS0_14default_configENS1_25partition_config_selectorILNS1_17partition_subalgoE6ExNS0_10empty_typeEbEEZZNS1_14partition_implILS5_6ELb0ES3_mN6thrust23THRUST_200600_302600_NS6detail15normal_iteratorINSA_10device_ptrIxEEEEPS6_SG_NS0_5tupleIJSF_S6_EEENSH_IJSG_SG_EEES6_PlJ7is_evenIxEEEE10hipError_tPvRmT3_T4_T5_T6_T7_T9_mT8_P12ihipStream_tbDpT10_ENKUlT_T0_E_clISt17integral_constantIbLb0EES16_EEDaS11_S12_EUlS11_E_NS1_11comp_targetILNS1_3genE9ELNS1_11target_archE1100ELNS1_3gpuE3ELNS1_3repE0EEENS1_30default_config_static_selectorELNS0_4arch9wavefront6targetE0EEEvT1_,comdat
	.protected	_ZN7rocprim17ROCPRIM_400000_NS6detail17trampoline_kernelINS0_14default_configENS1_25partition_config_selectorILNS1_17partition_subalgoE6ExNS0_10empty_typeEbEEZZNS1_14partition_implILS5_6ELb0ES3_mN6thrust23THRUST_200600_302600_NS6detail15normal_iteratorINSA_10device_ptrIxEEEEPS6_SG_NS0_5tupleIJSF_S6_EEENSH_IJSG_SG_EEES6_PlJ7is_evenIxEEEE10hipError_tPvRmT3_T4_T5_T6_T7_T9_mT8_P12ihipStream_tbDpT10_ENKUlT_T0_E_clISt17integral_constantIbLb0EES16_EEDaS11_S12_EUlS11_E_NS1_11comp_targetILNS1_3genE9ELNS1_11target_archE1100ELNS1_3gpuE3ELNS1_3repE0EEENS1_30default_config_static_selectorELNS0_4arch9wavefront6targetE0EEEvT1_ ; -- Begin function _ZN7rocprim17ROCPRIM_400000_NS6detail17trampoline_kernelINS0_14default_configENS1_25partition_config_selectorILNS1_17partition_subalgoE6ExNS0_10empty_typeEbEEZZNS1_14partition_implILS5_6ELb0ES3_mN6thrust23THRUST_200600_302600_NS6detail15normal_iteratorINSA_10device_ptrIxEEEEPS6_SG_NS0_5tupleIJSF_S6_EEENSH_IJSG_SG_EEES6_PlJ7is_evenIxEEEE10hipError_tPvRmT3_T4_T5_T6_T7_T9_mT8_P12ihipStream_tbDpT10_ENKUlT_T0_E_clISt17integral_constantIbLb0EES16_EEDaS11_S12_EUlS11_E_NS1_11comp_targetILNS1_3genE9ELNS1_11target_archE1100ELNS1_3gpuE3ELNS1_3repE0EEENS1_30default_config_static_selectorELNS0_4arch9wavefront6targetE0EEEvT1_
	.globl	_ZN7rocprim17ROCPRIM_400000_NS6detail17trampoline_kernelINS0_14default_configENS1_25partition_config_selectorILNS1_17partition_subalgoE6ExNS0_10empty_typeEbEEZZNS1_14partition_implILS5_6ELb0ES3_mN6thrust23THRUST_200600_302600_NS6detail15normal_iteratorINSA_10device_ptrIxEEEEPS6_SG_NS0_5tupleIJSF_S6_EEENSH_IJSG_SG_EEES6_PlJ7is_evenIxEEEE10hipError_tPvRmT3_T4_T5_T6_T7_T9_mT8_P12ihipStream_tbDpT10_ENKUlT_T0_E_clISt17integral_constantIbLb0EES16_EEDaS11_S12_EUlS11_E_NS1_11comp_targetILNS1_3genE9ELNS1_11target_archE1100ELNS1_3gpuE3ELNS1_3repE0EEENS1_30default_config_static_selectorELNS0_4arch9wavefront6targetE0EEEvT1_
	.p2align	8
	.type	_ZN7rocprim17ROCPRIM_400000_NS6detail17trampoline_kernelINS0_14default_configENS1_25partition_config_selectorILNS1_17partition_subalgoE6ExNS0_10empty_typeEbEEZZNS1_14partition_implILS5_6ELb0ES3_mN6thrust23THRUST_200600_302600_NS6detail15normal_iteratorINSA_10device_ptrIxEEEEPS6_SG_NS0_5tupleIJSF_S6_EEENSH_IJSG_SG_EEES6_PlJ7is_evenIxEEEE10hipError_tPvRmT3_T4_T5_T6_T7_T9_mT8_P12ihipStream_tbDpT10_ENKUlT_T0_E_clISt17integral_constantIbLb0EES16_EEDaS11_S12_EUlS11_E_NS1_11comp_targetILNS1_3genE9ELNS1_11target_archE1100ELNS1_3gpuE3ELNS1_3repE0EEENS1_30default_config_static_selectorELNS0_4arch9wavefront6targetE0EEEvT1_,@function
_ZN7rocprim17ROCPRIM_400000_NS6detail17trampoline_kernelINS0_14default_configENS1_25partition_config_selectorILNS1_17partition_subalgoE6ExNS0_10empty_typeEbEEZZNS1_14partition_implILS5_6ELb0ES3_mN6thrust23THRUST_200600_302600_NS6detail15normal_iteratorINSA_10device_ptrIxEEEEPS6_SG_NS0_5tupleIJSF_S6_EEENSH_IJSG_SG_EEES6_PlJ7is_evenIxEEEE10hipError_tPvRmT3_T4_T5_T6_T7_T9_mT8_P12ihipStream_tbDpT10_ENKUlT_T0_E_clISt17integral_constantIbLb0EES16_EEDaS11_S12_EUlS11_E_NS1_11comp_targetILNS1_3genE9ELNS1_11target_archE1100ELNS1_3gpuE3ELNS1_3repE0EEENS1_30default_config_static_selectorELNS0_4arch9wavefront6targetE0EEEvT1_: ; @_ZN7rocprim17ROCPRIM_400000_NS6detail17trampoline_kernelINS0_14default_configENS1_25partition_config_selectorILNS1_17partition_subalgoE6ExNS0_10empty_typeEbEEZZNS1_14partition_implILS5_6ELb0ES3_mN6thrust23THRUST_200600_302600_NS6detail15normal_iteratorINSA_10device_ptrIxEEEEPS6_SG_NS0_5tupleIJSF_S6_EEENSH_IJSG_SG_EEES6_PlJ7is_evenIxEEEE10hipError_tPvRmT3_T4_T5_T6_T7_T9_mT8_P12ihipStream_tbDpT10_ENKUlT_T0_E_clISt17integral_constantIbLb0EES16_EEDaS11_S12_EUlS11_E_NS1_11comp_targetILNS1_3genE9ELNS1_11target_archE1100ELNS1_3gpuE3ELNS1_3repE0EEENS1_30default_config_static_selectorELNS0_4arch9wavefront6targetE0EEEvT1_
; %bb.0:
	s_clause 0x3
	s_load_b128 s[16:19], s[0:1], 0x8
	s_load_b128 s[8:11], s[0:1], 0x40
	s_load_b32 s12, s[0:1], 0x68
	s_load_b64 s[4:5], s[0:1], 0x50
	s_waitcnt lgkmcnt(0)
	s_lshl_b64 s[2:3], s[18:19], 3
	s_load_b64 s[6:7], s[10:11], 0x0
	s_mul_i32 s10, s12, 0x900
	s_add_u32 s14, s16, s2
	s_addc_u32 s16, s17, s3
	s_add_i32 s2, s10, s18
	s_add_i32 s12, s12, -1
	s_sub_i32 s2, s4, s2
	s_add_u32 s10, s18, s10
	s_addc_u32 s11, s19, 0
	s_cmp_eq_u32 s15, s12
	v_cmp_ge_u64_e64 s3, s[10:11], s[4:5]
	s_cselect_b32 s12, -1, 0
	s_mov_b32 s5, 0
	s_mul_i32 s4, s15, 0x900
	s_delay_alu instid0(SALU_CYCLE_1) | instskip(NEXT) | instid1(VALU_DEP_1)
	s_lshl_b64 s[4:5], s[4:5], 3
	s_and_b32 s3, s12, s3
	s_delay_alu instid0(SALU_CYCLE_1)
	s_xor_b32 s13, s3, -1
	s_add_u32 s3, s14, s4
	s_addc_u32 s4, s16, s5
	s_and_b32 vcc_lo, exec_lo, s13
	s_mov_b32 s5, -1
	s_cbranch_vccz .LBB366_2
; %bb.1:
	v_lshlrev_b32_e32 v13, 3, v0
	s_delay_alu instid0(VALU_DEP_1) | instskip(NEXT) | instid1(VALU_DEP_1)
	v_add_co_u32 v1, s5, s3, v13
	v_add_co_ci_u32_e64 v2, null, s4, 0, s5
	s_mov_b32 s5, 0
	s_delay_alu instid0(VALU_DEP_2) | instskip(NEXT) | instid1(VALU_DEP_2)
	v_add_co_u32 v3, vcc_lo, 0x1000, v1
	v_add_co_ci_u32_e32 v4, vcc_lo, 0, v2, vcc_lo
	v_add_co_u32 v5, vcc_lo, 0x2000, v1
	v_add_co_ci_u32_e32 v6, vcc_lo, 0, v2, vcc_lo
	;; [unrolled: 2-line block ×3, first 2 shown]
	s_clause 0x5
	flat_load_b64 v[9:10], v[1:2]
	flat_load_b64 v[1:2], v[1:2] offset:3072
	flat_load_b64 v[3:4], v[3:4] offset:2048
	;; [unrolled: 1-line block ×3, first 2 shown]
	flat_load_b64 v[11:12], v[7:8]
	flat_load_b64 v[7:8], v[7:8] offset:3072
	s_waitcnt vmcnt(4) lgkmcnt(0)
	ds_store_2addr_stride64_b64 v13, v[9:10], v[1:2] offset1:6
	s_waitcnt vmcnt(2)
	ds_store_2addr_stride64_b64 v13, v[3:4], v[5:6] offset0:12 offset1:18
	s_waitcnt vmcnt(0)
	ds_store_2addr_stride64_b64 v13, v[11:12], v[7:8] offset0:24 offset1:30
	s_waitcnt lgkmcnt(0)
	s_barrier
.LBB366_2:
	s_and_not1_b32 vcc_lo, exec_lo, s5
	s_addk_i32 s2, 0x900
	s_cbranch_vccnz .LBB366_16
; %bb.3:
	s_mov_b32 s5, exec_lo
                                        ; implicit-def: $vgpr1_vgpr2_vgpr3_vgpr4_vgpr5_vgpr6_vgpr7_vgpr8_vgpr9_vgpr10_vgpr11_vgpr12_vgpr13_vgpr14_vgpr15_vgpr16
	v_cmpx_gt_u32_e64 s2, v0
	s_cbranch_execz .LBB366_5
; %bb.4:
	v_lshlrev_b32_e32 v1, 3, v0
	s_delay_alu instid0(VALU_DEP_1) | instskip(NEXT) | instid1(VALU_DEP_1)
	v_add_co_u32 v1, s10, s3, v1
	v_add_co_ci_u32_e64 v2, null, s4, 0, s10
	flat_load_b64 v[1:2], v[1:2]
.LBB366_5:
	s_or_b32 exec_lo, exec_lo, s5
	v_add_nc_u32_e32 v13, 0x180, v0
	s_mov_b32 s5, exec_lo
	s_delay_alu instid0(VALU_DEP_1)
	v_cmpx_gt_u32_e64 s2, v13
	s_cbranch_execz .LBB366_7
; %bb.6:
	v_lshlrev_b32_e32 v3, 3, v0
	s_delay_alu instid0(VALU_DEP_1) | instskip(NEXT) | instid1(VALU_DEP_1)
	v_add_co_u32 v3, s10, s3, v3
	v_add_co_ci_u32_e64 v4, null, s4, 0, s10
	flat_load_b64 v[3:4], v[3:4] offset:3072
.LBB366_7:
	s_or_b32 exec_lo, exec_lo, s5
	v_add_nc_u32_e32 v13, 0x300, v0
	s_mov_b32 s5, exec_lo
	s_delay_alu instid0(VALU_DEP_1)
	v_cmpx_gt_u32_e64 s2, v13
	s_cbranch_execz .LBB366_9
; %bb.8:
	v_lshlrev_b32_e32 v5, 3, v13
	s_delay_alu instid0(VALU_DEP_1) | instskip(NEXT) | instid1(VALU_DEP_1)
	v_add_co_u32 v5, s10, s3, v5
	v_add_co_ci_u32_e64 v6, null, s4, 0, s10
	flat_load_b64 v[5:6], v[5:6]
.LBB366_9:
	s_or_b32 exec_lo, exec_lo, s5
	v_add_nc_u32_e32 v13, 0x480, v0
	s_mov_b32 s5, exec_lo
	s_delay_alu instid0(VALU_DEP_1)
	v_cmpx_gt_u32_e64 s2, v13
	s_cbranch_execz .LBB366_11
; %bb.10:
	v_lshlrev_b32_e32 v7, 3, v13
	s_delay_alu instid0(VALU_DEP_1) | instskip(NEXT) | instid1(VALU_DEP_1)
	v_add_co_u32 v7, s10, s3, v7
	v_add_co_ci_u32_e64 v8, null, s4, 0, s10
	flat_load_b64 v[7:8], v[7:8]
.LBB366_11:
	s_or_b32 exec_lo, exec_lo, s5
	v_or_b32_e32 v13, 0x600, v0
	s_mov_b32 s5, exec_lo
	s_delay_alu instid0(VALU_DEP_1)
	v_cmpx_gt_u32_e64 s2, v13
	s_cbranch_execz .LBB366_13
; %bb.12:
	v_lshlrev_b32_e32 v9, 3, v13
	s_delay_alu instid0(VALU_DEP_1) | instskip(NEXT) | instid1(VALU_DEP_1)
	v_add_co_u32 v9, s10, s3, v9
	v_add_co_ci_u32_e64 v10, null, s4, 0, s10
	flat_load_b64 v[9:10], v[9:10]
.LBB366_13:
	s_or_b32 exec_lo, exec_lo, s5
	v_add_nc_u32_e32 v13, 0x780, v0
	s_mov_b32 s5, exec_lo
	s_delay_alu instid0(VALU_DEP_1)
	v_cmpx_gt_u32_e64 s2, v13
	s_cbranch_execz .LBB366_15
; %bb.14:
	v_lshlrev_b32_e32 v11, 3, v13
	s_delay_alu instid0(VALU_DEP_1) | instskip(NEXT) | instid1(VALU_DEP_1)
	v_add_co_u32 v11, s3, s3, v11
	v_add_co_ci_u32_e64 v12, null, s4, 0, s3
	flat_load_b64 v[11:12], v[11:12]
.LBB366_15:
	s_or_b32 exec_lo, exec_lo, s5
	v_lshlrev_b32_e32 v13, 3, v0
	s_waitcnt vmcnt(0) lgkmcnt(0)
	ds_store_2addr_stride64_b64 v13, v[1:2], v[3:4] offset1:6
	ds_store_2addr_stride64_b64 v13, v[5:6], v[7:8] offset0:12 offset1:18
	ds_store_2addr_stride64_b64 v13, v[9:10], v[11:12] offset0:24 offset1:30
	s_waitcnt lgkmcnt(0)
	s_barrier
.LBB366_16:
	v_mul_u32_u24_e32 v13, 6, v0
	s_waitcnt lgkmcnt(0)
	buffer_gl0_inv
	s_and_not1_b32 vcc_lo, exec_lo, s13
	v_lshlrev_b32_e32 v35, 3, v13
	ds_load_b128 v[9:12], v35
	ds_load_b128 v[5:8], v35 offset:16
	ds_load_b128 v[1:4], v35 offset:32
	s_waitcnt lgkmcnt(0)
	s_barrier
	buffer_gl0_inv
	v_xor_b32_e32 v16, -1, v9
	v_xor_b32_e32 v18, -1, v11
	;; [unrolled: 1-line block ×6, first 2 shown]
	s_cbranch_vccnz .LBB366_18
; %bb.17:
	v_and_b32_e32 v20, 1, v18
	v_and_b32_e32 v21, 1, v19
	;; [unrolled: 1-line block ×5, first 2 shown]
	v_lshlrev_b16 v20, 8, v20
	v_lshlrev_b16 v21, 8, v21
	v_and_b32_e32 v31, 1, v15
	s_delay_alu instid0(VALU_DEP_3) | instskip(NEXT) | instid1(VALU_DEP_3)
	v_or_b32_e32 v20, v22, v20
	v_or_b32_e32 v21, v23, v21
	s_delay_alu instid0(VALU_DEP_2) | instskip(NEXT) | instid1(VALU_DEP_2)
	v_and_b32_e32 v20, 0xffff, v20
	v_lshlrev_b32_e32 v21, 16, v21
	s_delay_alu instid0(VALU_DEP_1)
	v_or_b32_e32 v34, v20, v21
	s_load_b64 s[10:11], s[0:1], 0x60
	s_cbranch_execz .LBB366_19
	s_branch .LBB366_20
.LBB366_18:
                                        ; implicit-def: $vgpr31
                                        ; implicit-def: $vgpr32
                                        ; implicit-def: $vgpr34
	s_load_b64 s[10:11], s[0:1], 0x60
.LBB366_19:
	v_or_b32_e32 v20, 1, v13
	v_add_nc_u32_e32 v21, 3, v13
	v_add_nc_u32_e32 v22, 2, v13
	s_delay_alu instid0(VALU_DEP_3) | instskip(SKIP_1) | instid1(VALU_DEP_4)
	v_cmp_gt_u32_e32 vcc_lo, s2, v20
	v_cndmask_b32_e64 v20, 0, 1, vcc_lo
	v_cmp_gt_u32_e32 vcc_lo, s2, v21
	s_delay_alu instid0(VALU_DEP_2)
	v_and_b32_e32 v18, v20, v18
	v_cndmask_b32_e64 v21, 0, 1, vcc_lo
	v_cmp_gt_u32_e32 vcc_lo, s2, v13
	v_add_nc_u32_e32 v20, 4, v13
	v_add_nc_u32_e32 v13, 5, v13
	v_lshlrev_b16 v18, 8, v18
	v_and_b32_e32 v19, v21, v19
	v_cndmask_b32_e64 v23, 0, 1, vcc_lo
	v_cmp_gt_u32_e32 vcc_lo, s2, v22
	s_delay_alu instid0(VALU_DEP_3) | instskip(NEXT) | instid1(VALU_DEP_3)
	v_lshlrev_b16 v19, 8, v19
	v_and_b32_e32 v16, v23, v16
	v_cndmask_b32_e64 v22, 0, 1, vcc_lo
	v_cmp_gt_u32_e32 vcc_lo, s2, v20
	s_delay_alu instid0(VALU_DEP_3) | instskip(NEXT) | instid1(VALU_DEP_3)
	v_or_b32_e32 v16, v16, v18
	v_and_b32_e32 v17, v22, v17
	v_cndmask_b32_e64 v18, 0, 1, vcc_lo
	v_cmp_gt_u32_e32 vcc_lo, s2, v13
	s_delay_alu instid0(VALU_DEP_4) | instskip(NEXT) | instid1(VALU_DEP_4)
	v_and_b32_e32 v16, 0xffff, v16
	v_or_b32_e32 v17, v17, v19
	s_delay_alu instid0(VALU_DEP_4) | instskip(SKIP_1) | instid1(VALU_DEP_3)
	v_and_b32_e32 v32, v18, v14
	v_cndmask_b32_e64 v13, 0, 1, vcc_lo
	v_lshlrev_b32_e32 v17, 16, v17
	s_delay_alu instid0(VALU_DEP_2) | instskip(NEXT) | instid1(VALU_DEP_2)
	v_and_b32_e32 v31, v13, v15
	v_or_b32_e32 v34, v16, v17
.LBB366_20:
	s_delay_alu instid0(VALU_DEP_1)
	v_dual_mov_b32 v14, 0 :: v_dual_and_b32 v39, 0xff, v34
	v_bfe_u32 v38, v34, 8, 8
	v_bfe_u32 v37, v34, 16, 8
	v_lshrrev_b32_e32 v33, 24, v34
	v_and_b32_e32 v36, 0xff, v32
	v_mbcnt_lo_u32_b32 v40, -1, 0
	v_add_co_u32 v13, s2, v38, v39
	s_delay_alu instid0(VALU_DEP_1) | instskip(SKIP_1) | instid1(VALU_DEP_3)
	v_add_co_ci_u32_e64 v15, null, 0, 0, s2
	v_and_b32_e32 v16, 0xff, v31
	v_add_co_u32 v13, vcc_lo, v13, v37
	s_delay_alu instid0(VALU_DEP_3) | instskip(SKIP_1) | instid1(VALU_DEP_3)
	v_add_co_ci_u32_e32 v15, vcc_lo, 0, v15, vcc_lo
	v_and_b32_e32 v41, 15, v40
	v_add_co_u32 v13, vcc_lo, v13, v33
	s_delay_alu instid0(VALU_DEP_3) | instskip(NEXT) | instid1(VALU_DEP_3)
	v_add_co_ci_u32_e32 v15, vcc_lo, 0, v15, vcc_lo
	v_cmp_ne_u32_e64 s2, 0, v41
	s_delay_alu instid0(VALU_DEP_3) | instskip(NEXT) | instid1(VALU_DEP_3)
	v_add_co_u32 v13, vcc_lo, v13, v36
	v_add_co_ci_u32_e32 v15, vcc_lo, 0, v15, vcc_lo
	s_cmp_lg_u32 s15, 0
	s_delay_alu instid0(VALU_DEP_2) | instskip(NEXT) | instid1(VALU_DEP_2)
	v_add_co_u32 v21, vcc_lo, v13, v16
	v_add_co_ci_u32_e32 v22, vcc_lo, 0, v15, vcc_lo
	s_mov_b32 s3, -1
	s_cbranch_scc0 .LBB366_84
; %bb.21:
	s_delay_alu instid0(VALU_DEP_2)
	v_mov_b32_e32 v15, v21
	v_mov_b32_dpp v13, v21 row_shr:1 row_mask:0xf bank_mask:0xf
	v_mov_b32_dpp v18, v14 row_shr:1 row_mask:0xf bank_mask:0xf
	v_dual_mov_b32 v17, v21 :: v_dual_mov_b32 v16, v22
	s_and_saveexec_b32 s3, s2
; %bb.22:
	s_delay_alu instid0(VALU_DEP_3) | instskip(SKIP_1) | instid1(VALU_DEP_2)
	v_add_co_u32 v17, vcc_lo, v21, v13
	v_add_co_ci_u32_e32 v14, vcc_lo, 0, v22, vcc_lo
	v_add_co_u32 v13, vcc_lo, 0, v17
	s_delay_alu instid0(VALU_DEP_2) | instskip(NEXT) | instid1(VALU_DEP_1)
	v_add_co_ci_u32_e32 v14, vcc_lo, v18, v14, vcc_lo
	v_dual_mov_b32 v16, v14 :: v_dual_mov_b32 v15, v13
; %bb.23:
	s_or_b32 exec_lo, exec_lo, s3
	v_mov_b32_dpp v13, v17 row_shr:2 row_mask:0xf bank_mask:0xf
	v_mov_b32_dpp v18, v14 row_shr:2 row_mask:0xf bank_mask:0xf
	v_cmp_lt_u32_e32 vcc_lo, 1, v41
	s_and_saveexec_b32 s4, vcc_lo
; %bb.24:
	s_delay_alu instid0(VALU_DEP_3) | instskip(NEXT) | instid1(VALU_DEP_1)
	v_add_co_u32 v17, s3, v15, v13
	v_add_co_ci_u32_e64 v14, s3, 0, v16, s3
	s_delay_alu instid0(VALU_DEP_2) | instskip(NEXT) | instid1(VALU_DEP_1)
	v_add_co_u32 v13, s3, 0, v17
	v_add_co_ci_u32_e64 v14, s3, v18, v14, s3
	s_delay_alu instid0(VALU_DEP_1)
	v_dual_mov_b32 v16, v14 :: v_dual_mov_b32 v15, v13
; %bb.25:
	s_or_b32 exec_lo, exec_lo, s4
	v_mov_b32_dpp v13, v17 row_shr:4 row_mask:0xf bank_mask:0xf
	v_mov_b32_dpp v18, v14 row_shr:4 row_mask:0xf bank_mask:0xf
	v_cmp_lt_u32_e64 s3, 3, v41
	s_delay_alu instid0(VALU_DEP_1)
	s_and_saveexec_b32 s5, s3
; %bb.26:
	s_delay_alu instid0(VALU_DEP_3) | instskip(NEXT) | instid1(VALU_DEP_1)
	v_add_co_u32 v17, s4, v15, v13
	v_add_co_ci_u32_e64 v14, s4, 0, v16, s4
	s_delay_alu instid0(VALU_DEP_2) | instskip(NEXT) | instid1(VALU_DEP_1)
	v_add_co_u32 v13, s4, 0, v17
	v_add_co_ci_u32_e64 v14, s4, v18, v14, s4
	s_delay_alu instid0(VALU_DEP_1)
	v_dual_mov_b32 v16, v14 :: v_dual_mov_b32 v15, v13
; %bb.27:
	s_or_b32 exec_lo, exec_lo, s5
	v_mov_b32_dpp v18, v17 row_shr:8 row_mask:0xf bank_mask:0xf
	v_mov_b32_dpp v13, v14 row_shr:8 row_mask:0xf bank_mask:0xf
	v_cmp_lt_u32_e64 s4, 7, v41
	s_delay_alu instid0(VALU_DEP_1)
	s_and_saveexec_b32 s14, s4
; %bb.28:
	s_delay_alu instid0(VALU_DEP_3) | instskip(NEXT) | instid1(VALU_DEP_1)
	v_add_co_u32 v17, s5, v15, v18
	v_add_co_ci_u32_e64 v14, s5, 0, v16, s5
	s_delay_alu instid0(VALU_DEP_2) | instskip(NEXT) | instid1(VALU_DEP_1)
	v_add_co_u32 v15, s5, 0, v17
	v_add_co_ci_u32_e64 v16, s5, v13, v14, s5
	s_delay_alu instid0(VALU_DEP_1)
	v_mov_b32_e32 v14, v16
; %bb.29:
	s_or_b32 exec_lo, exec_lo, s14
	ds_swizzle_b32 v13, v17 offset:swizzle(BROADCAST,32,15)
	ds_swizzle_b32 v18, v14 offset:swizzle(BROADCAST,32,15)
	v_and_b32_e32 v19, 16, v40
	s_mov_b32 s14, exec_lo
	s_delay_alu instid0(VALU_DEP_1)
	v_cmpx_ne_u32_e32 0, v19
	s_cbranch_execz .LBB366_31
; %bb.30:
	s_waitcnt lgkmcnt(0)
	v_add_co_u32 v17, s5, v15, v13
	s_delay_alu instid0(VALU_DEP_1) | instskip(NEXT) | instid1(VALU_DEP_2)
	v_add_co_ci_u32_e64 v14, s5, 0, v16, s5
	v_add_co_u32 v13, s5, 0, v17
	s_delay_alu instid0(VALU_DEP_1) | instskip(NEXT) | instid1(VALU_DEP_1)
	v_add_co_ci_u32_e64 v14, s5, v18, v14, s5
	v_dual_mov_b32 v16, v14 :: v_dual_mov_b32 v15, v13
.LBB366_31:
	s_or_b32 exec_lo, exec_lo, s14
	s_waitcnt lgkmcnt(0)
	v_and_b32_e32 v13, 0x1e0, v0
	s_mov_b32 s14, exec_lo
	s_delay_alu instid0(VALU_DEP_1) | instskip(NEXT) | instid1(VALU_DEP_1)
	v_min_u32_e32 v13, 0x160, v13
	v_or_b32_e32 v18, 31, v13
	v_lshrrev_b32_e32 v13, 5, v0
	s_delay_alu instid0(VALU_DEP_2)
	v_cmpx_eq_u32_e64 v18, v0
	s_cbranch_execz .LBB366_33
; %bb.32:
	s_delay_alu instid0(VALU_DEP_2)
	v_lshlrev_b32_e32 v18, 3, v13
	ds_store_b64 v18, v[15:16]
.LBB366_33:
	s_or_b32 exec_lo, exec_lo, s14
	s_delay_alu instid0(SALU_CYCLE_1)
	s_mov_b32 s14, exec_lo
	s_waitcnt lgkmcnt(0)
	s_barrier
	buffer_gl0_inv
	v_cmpx_gt_u32_e32 12, v0
	s_cbranch_execz .LBB366_43
; %bb.34:
	v_lshlrev_b32_e32 v18, 3, v0
	ds_load_b64 v[15:16], v18
	s_waitcnt lgkmcnt(0)
	v_mov_b32_e32 v19, v15
	v_mov_b32_dpp v23, v15 row_shr:1 row_mask:0xf bank_mask:0xf
	v_mov_b32_dpp v20, v16 row_shr:1 row_mask:0xf bank_mask:0xf
	s_and_saveexec_b32 s16, s2
; %bb.35:
	s_delay_alu instid0(VALU_DEP_2) | instskip(NEXT) | instid1(VALU_DEP_1)
	v_add_co_u32 v19, s5, v15, v23
	v_add_co_ci_u32_e64 v16, s5, 0, v16, s5
	s_delay_alu instid0(VALU_DEP_2) | instskip(NEXT) | instid1(VALU_DEP_1)
	v_add_co_u32 v15, s5, 0, v19
	v_add_co_ci_u32_e64 v16, s5, v20, v16, s5
; %bb.36:
	s_or_b32 exec_lo, exec_lo, s16
	v_mov_b32_dpp v23, v19 row_shr:2 row_mask:0xf bank_mask:0xf
	s_delay_alu instid0(VALU_DEP_2)
	v_mov_b32_dpp v20, v16 row_shr:2 row_mask:0xf bank_mask:0xf
	s_and_saveexec_b32 s5, vcc_lo
; %bb.37:
	s_delay_alu instid0(VALU_DEP_2) | instskip(SKIP_1) | instid1(VALU_DEP_2)
	v_add_co_u32 v19, vcc_lo, v15, v23
	v_add_co_ci_u32_e32 v16, vcc_lo, 0, v16, vcc_lo
	v_add_co_u32 v15, vcc_lo, 0, v19
	s_delay_alu instid0(VALU_DEP_2)
	v_add_co_ci_u32_e32 v16, vcc_lo, v20, v16, vcc_lo
; %bb.38:
	s_or_b32 exec_lo, exec_lo, s5
	v_mov_b32_dpp v23, v19 row_shr:4 row_mask:0xf bank_mask:0xf
	s_delay_alu instid0(VALU_DEP_2)
	v_mov_b32_dpp v20, v16 row_shr:4 row_mask:0xf bank_mask:0xf
	s_and_saveexec_b32 s5, s3
; %bb.39:
	s_delay_alu instid0(VALU_DEP_2) | instskip(SKIP_1) | instid1(VALU_DEP_2)
	v_add_co_u32 v19, vcc_lo, v15, v23
	v_add_co_ci_u32_e32 v16, vcc_lo, 0, v16, vcc_lo
	v_add_co_u32 v15, vcc_lo, 0, v19
	s_delay_alu instid0(VALU_DEP_2)
	v_add_co_ci_u32_e32 v16, vcc_lo, v20, v16, vcc_lo
; %bb.40:
	s_or_b32 exec_lo, exec_lo, s5
	v_mov_b32_dpp v20, v19 row_shr:8 row_mask:0xf bank_mask:0xf
	s_delay_alu instid0(VALU_DEP_2)
	v_mov_b32_dpp v19, v16 row_shr:8 row_mask:0xf bank_mask:0xf
	s_and_saveexec_b32 s3, s4
; %bb.41:
	s_delay_alu instid0(VALU_DEP_2) | instskip(SKIP_1) | instid1(VALU_DEP_2)
	v_add_co_u32 v15, vcc_lo, v15, v20
	v_add_co_ci_u32_e32 v16, vcc_lo, 0, v16, vcc_lo
	v_add_co_u32 v15, vcc_lo, v15, 0
	s_delay_alu instid0(VALU_DEP_2)
	v_add_co_ci_u32_e32 v16, vcc_lo, v16, v19, vcc_lo
; %bb.42:
	s_or_b32 exec_lo, exec_lo, s3
	ds_store_b64 v18, v[15:16]
.LBB366_43:
	s_or_b32 exec_lo, exec_lo, s14
	v_cmp_gt_u32_e32 vcc_lo, 32, v0
	s_mov_b32 s4, exec_lo
	s_waitcnt lgkmcnt(0)
	s_barrier
	buffer_gl0_inv
                                        ; implicit-def: $vgpr23_vgpr24
	v_cmpx_lt_u32_e32 31, v0
	s_cbranch_execz .LBB366_45
; %bb.44:
	v_lshl_add_u32 v13, v13, 3, -8
	ds_load_b64 v[23:24], v13
	s_waitcnt lgkmcnt(0)
	v_add_co_u32 v17, s3, v17, v23
	s_delay_alu instid0(VALU_DEP_1)
	v_add_co_ci_u32_e64 v14, s3, v14, v24, s3
.LBB366_45:
	s_or_b32 exec_lo, exec_lo, s4
	v_add_nc_u32_e32 v13, -1, v40
	s_delay_alu instid0(VALU_DEP_1) | instskip(NEXT) | instid1(VALU_DEP_1)
	v_cmp_gt_i32_e64 s3, 0, v13
	v_cndmask_b32_e64 v13, v13, v40, s3
	v_cmp_eq_u32_e64 s3, 0, v40
	s_delay_alu instid0(VALU_DEP_2)
	v_lshlrev_b32_e32 v13, 2, v13
	ds_bpermute_b32 v29, v13, v17
	ds_bpermute_b32 v30, v13, v14
	s_and_saveexec_b32 s4, vcc_lo
	s_cbranch_execz .LBB366_83
; %bb.46:
	v_mov_b32_e32 v16, 0
	ds_load_b64 v[13:14], v16 offset:88
	s_and_saveexec_b32 s5, s3
	s_cbranch_execz .LBB366_48
; %bb.47:
	s_add_i32 s16, s15, 32
	s_mov_b32 s17, 0
	s_delay_alu instid0(SALU_CYCLE_1) | instskip(NEXT) | instid1(SALU_CYCLE_1)
	s_lshl_b64 s[16:17], s[16:17], 4
	s_add_u32 s16, s10, s16
	s_addc_u32 s17, s11, s17
	s_delay_alu instid0(SALU_CYCLE_1)
	v_dual_mov_b32 v15, 1 :: v_dual_mov_b32 v18, s17
	v_mov_b32_e32 v17, s16
	s_waitcnt lgkmcnt(0)
	;;#ASMSTART
	global_store_dwordx4 v[17:18], v[13:16] off	
s_waitcnt vmcnt(0)
	;;#ASMEND
.LBB366_48:
	s_or_b32 exec_lo, exec_lo, s5
	v_xad_u32 v25, v40, -1, s15
	s_mov_b32 s14, 0
	s_mov_b32 s5, exec_lo
	s_delay_alu instid0(VALU_DEP_1) | instskip(NEXT) | instid1(VALU_DEP_1)
	v_add_nc_u32_e32 v15, 32, v25
	v_lshlrev_b64 v[15:16], 4, v[15:16]
	s_delay_alu instid0(VALU_DEP_1) | instskip(NEXT) | instid1(VALU_DEP_2)
	v_add_co_u32 v15, vcc_lo, s10, v15
	v_add_co_ci_u32_e32 v16, vcc_lo, s11, v16, vcc_lo
	;;#ASMSTART
	global_load_dwordx4 v[17:20], v[15:16] off glc	
s_waitcnt vmcnt(0)
	;;#ASMEND
	v_and_b32_e32 v20, 0xff, v18
	v_and_b32_e32 v26, 0xff00, v18
	v_or3_b32 v17, v17, 0, 0
	v_and_b32_e32 v27, 0xff000000, v18
	v_and_b32_e32 v18, 0xff0000, v18
	s_delay_alu instid0(VALU_DEP_4) | instskip(SKIP_2) | instid1(VALU_DEP_3)
	v_or3_b32 v20, 0, v20, v26
	v_and_b32_e32 v26, 0xff, v19
	v_or3_b32 v17, v17, 0, 0
	v_or3_b32 v18, v20, v18, v27
	s_delay_alu instid0(VALU_DEP_3)
	v_cmpx_eq_u16_e32 0, v26
	s_cbranch_execz .LBB366_51
.LBB366_49:                             ; =>This Inner Loop Header: Depth=1
	;;#ASMSTART
	global_load_dwordx4 v[17:20], v[15:16] off glc	
s_waitcnt vmcnt(0)
	;;#ASMEND
	v_and_b32_e32 v20, 0xff, v19
	s_delay_alu instid0(VALU_DEP_1) | instskip(SKIP_1) | instid1(SALU_CYCLE_1)
	v_cmp_ne_u16_e32 vcc_lo, 0, v20
	s_or_b32 s14, vcc_lo, s14
	s_and_not1_b32 exec_lo, exec_lo, s14
	s_cbranch_execnz .LBB366_49
; %bb.50:
	s_or_b32 exec_lo, exec_lo, s14
.LBB366_51:
	s_delay_alu instid0(SALU_CYCLE_1)
	s_or_b32 exec_lo, exec_lo, s5
	v_cmp_ne_u32_e32 vcc_lo, 31, v40
	v_and_b32_e32 v16, 0xff, v19
	v_lshlrev_b32_e64 v43, v40, -1
	s_mov_b32 s5, exec_lo
	v_add_co_ci_u32_e32 v15, vcc_lo, 0, v40, vcc_lo
	s_delay_alu instid0(VALU_DEP_3) | instskip(SKIP_1) | instid1(VALU_DEP_3)
	v_cmp_eq_u16_e32 vcc_lo, 2, v16
	v_mov_b32_e32 v16, v17
	v_lshlrev_b32_e32 v42, 2, v15
	v_and_or_b32 v15, vcc_lo, v43, 0x80000000
	ds_bpermute_b32 v26, v42, v17
	ds_bpermute_b32 v20, v42, v18
	v_ctz_i32_b32_e32 v15, v15
	s_delay_alu instid0(VALU_DEP_1)
	v_cmpx_lt_u32_e64 v40, v15
	s_cbranch_execz .LBB366_53
; %bb.52:
	s_waitcnt lgkmcnt(1)
	v_add_co_u32 v16, vcc_lo, v17, v26
	v_add_co_ci_u32_e32 v18, vcc_lo, 0, v18, vcc_lo
	s_delay_alu instid0(VALU_DEP_2) | instskip(SKIP_1) | instid1(VALU_DEP_2)
	v_add_co_u32 v17, vcc_lo, 0, v16
	s_waitcnt lgkmcnt(0)
	v_add_co_ci_u32_e32 v18, vcc_lo, v20, v18, vcc_lo
.LBB366_53:
	s_or_b32 exec_lo, exec_lo, s5
	v_cmp_gt_u32_e32 vcc_lo, 30, v40
	v_add_nc_u32_e32 v45, 2, v40
	s_mov_b32 s5, exec_lo
	s_waitcnt lgkmcnt(0)
	v_cndmask_b32_e64 v20, 0, 1, vcc_lo
	s_delay_alu instid0(VALU_DEP_1) | instskip(NEXT) | instid1(VALU_DEP_1)
	v_lshlrev_b32_e32 v20, 1, v20
	v_add_lshl_u32 v44, v20, v40, 2
	ds_bpermute_b32 v26, v44, v16
	ds_bpermute_b32 v20, v44, v18
	v_cmpx_le_u32_e64 v45, v15
	s_cbranch_execz .LBB366_55
; %bb.54:
	s_waitcnt lgkmcnt(1)
	v_add_co_u32 v16, vcc_lo, v17, v26
	v_add_co_ci_u32_e32 v18, vcc_lo, 0, v18, vcc_lo
	s_delay_alu instid0(VALU_DEP_2) | instskip(SKIP_1) | instid1(VALU_DEP_2)
	v_add_co_u32 v17, vcc_lo, 0, v16
	s_waitcnt lgkmcnt(0)
	v_add_co_ci_u32_e32 v18, vcc_lo, v20, v18, vcc_lo
.LBB366_55:
	s_or_b32 exec_lo, exec_lo, s5
	v_cmp_gt_u32_e32 vcc_lo, 28, v40
	v_add_nc_u32_e32 v47, 4, v40
	s_mov_b32 s5, exec_lo
	s_waitcnt lgkmcnt(0)
	v_cndmask_b32_e64 v20, 0, 1, vcc_lo
	s_delay_alu instid0(VALU_DEP_1) | instskip(NEXT) | instid1(VALU_DEP_1)
	v_lshlrev_b32_e32 v20, 2, v20
	v_add_lshl_u32 v46, v20, v40, 2
	ds_bpermute_b32 v26, v46, v16
	ds_bpermute_b32 v20, v46, v18
	v_cmpx_le_u32_e64 v47, v15
	;; [unrolled: 22-line block ×4, first 2 shown]
	s_cbranch_execz .LBB366_61
; %bb.60:
	s_waitcnt lgkmcnt(1)
	v_add_co_u32 v15, vcc_lo, v17, v20
	v_add_co_ci_u32_e32 v18, vcc_lo, 0, v18, vcc_lo
	s_delay_alu instid0(VALU_DEP_2) | instskip(SKIP_1) | instid1(VALU_DEP_2)
	v_add_co_u32 v17, vcc_lo, v15, 0
	s_waitcnt lgkmcnt(0)
	v_add_co_ci_u32_e32 v18, vcc_lo, v18, v16, vcc_lo
.LBB366_61:
	s_or_b32 exec_lo, exec_lo, s5
	v_mov_b32_e32 v26, 0
	s_branch .LBB366_63
.LBB366_62:                             ;   in Loop: Header=BB366_63 Depth=1
	s_or_b32 exec_lo, exec_lo, s5
	v_add_co_u32 v17, vcc_lo, v17, v15
	v_subrev_nc_u32_e32 v25, 32, v25
	v_add_co_ci_u32_e32 v18, vcc_lo, v18, v16, vcc_lo
.LBB366_63:                             ; =>This Loop Header: Depth=1
                                        ;     Child Loop BB366_66 Depth 2
	v_and_b32_e32 v15, 0xff, v19
	s_delay_alu instid0(VALU_DEP_1) | instskip(SKIP_2) | instid1(VALU_DEP_1)
	v_cmp_ne_u16_e32 vcc_lo, 2, v15
	v_cndmask_b32_e64 v15, 0, 1, vcc_lo
	;;#ASMSTART
	;;#ASMEND
	v_cmp_ne_u32_e32 vcc_lo, 0, v15
	s_waitcnt lgkmcnt(0)
	v_dual_mov_b32 v15, v17 :: v_dual_mov_b32 v16, v18
	s_cmp_lg_u32 vcc_lo, exec_lo
	s_cbranch_scc1 .LBB366_78
; %bb.64:                               ;   in Loop: Header=BB366_63 Depth=1
	v_lshlrev_b64 v[17:18], 4, v[25:26]
	s_mov_b32 s5, exec_lo
	s_delay_alu instid0(VALU_DEP_1) | instskip(NEXT) | instid1(VALU_DEP_2)
	v_add_co_u32 v27, vcc_lo, s10, v17
	v_add_co_ci_u32_e32 v28, vcc_lo, s11, v18, vcc_lo
	;;#ASMSTART
	global_load_dwordx4 v[17:20], v[27:28] off glc	
s_waitcnt vmcnt(0)
	;;#ASMEND
	v_and_b32_e32 v20, 0xff, v18
	v_and_b32_e32 v52, 0xff00, v18
	v_or3_b32 v17, v17, 0, 0
	v_and_b32_e32 v53, 0xff000000, v18
	v_and_b32_e32 v18, 0xff0000, v18
	s_delay_alu instid0(VALU_DEP_4) | instskip(SKIP_2) | instid1(VALU_DEP_3)
	v_or3_b32 v20, 0, v20, v52
	v_and_b32_e32 v52, 0xff, v19
	v_or3_b32 v17, v17, 0, 0
	v_or3_b32 v18, v20, v18, v53
	s_delay_alu instid0(VALU_DEP_3)
	v_cmpx_eq_u16_e32 0, v52
	s_cbranch_execz .LBB366_68
; %bb.65:                               ;   in Loop: Header=BB366_63 Depth=1
	s_mov_b32 s14, 0
.LBB366_66:                             ;   Parent Loop BB366_63 Depth=1
                                        ; =>  This Inner Loop Header: Depth=2
	;;#ASMSTART
	global_load_dwordx4 v[17:20], v[27:28] off glc	
s_waitcnt vmcnt(0)
	;;#ASMEND
	v_and_b32_e32 v20, 0xff, v19
	s_delay_alu instid0(VALU_DEP_1) | instskip(SKIP_1) | instid1(SALU_CYCLE_1)
	v_cmp_ne_u16_e32 vcc_lo, 0, v20
	s_or_b32 s14, vcc_lo, s14
	s_and_not1_b32 exec_lo, exec_lo, s14
	s_cbranch_execnz .LBB366_66
; %bb.67:                               ;   in Loop: Header=BB366_63 Depth=1
	s_or_b32 exec_lo, exec_lo, s14
.LBB366_68:                             ;   in Loop: Header=BB366_63 Depth=1
	s_delay_alu instid0(SALU_CYCLE_1)
	s_or_b32 exec_lo, exec_lo, s5
	v_dual_mov_b32 v27, v17 :: v_dual_and_b32 v20, 0xff, v19
	ds_bpermute_b32 v52, v42, v17
	ds_bpermute_b32 v28, v42, v18
	s_mov_b32 s5, exec_lo
	v_cmp_eq_u16_e32 vcc_lo, 2, v20
	v_and_or_b32 v20, vcc_lo, v43, 0x80000000
	s_delay_alu instid0(VALU_DEP_1) | instskip(NEXT) | instid1(VALU_DEP_1)
	v_ctz_i32_b32_e32 v20, v20
	v_cmpx_lt_u32_e64 v40, v20
	s_cbranch_execz .LBB366_70
; %bb.69:                               ;   in Loop: Header=BB366_63 Depth=1
	s_waitcnt lgkmcnt(1)
	v_add_co_u32 v27, vcc_lo, v17, v52
	v_add_co_ci_u32_e32 v18, vcc_lo, 0, v18, vcc_lo
	s_delay_alu instid0(VALU_DEP_2) | instskip(SKIP_1) | instid1(VALU_DEP_2)
	v_add_co_u32 v17, vcc_lo, 0, v27
	s_waitcnt lgkmcnt(0)
	v_add_co_ci_u32_e32 v18, vcc_lo, v28, v18, vcc_lo
.LBB366_70:                             ;   in Loop: Header=BB366_63 Depth=1
	s_or_b32 exec_lo, exec_lo, s5
	s_waitcnt lgkmcnt(1)
	ds_bpermute_b32 v52, v44, v27
	s_waitcnt lgkmcnt(1)
	ds_bpermute_b32 v28, v44, v18
	s_mov_b32 s5, exec_lo
	v_cmpx_le_u32_e64 v45, v20
	s_cbranch_execz .LBB366_72
; %bb.71:                               ;   in Loop: Header=BB366_63 Depth=1
	s_waitcnt lgkmcnt(1)
	v_add_co_u32 v27, vcc_lo, v17, v52
	v_add_co_ci_u32_e32 v18, vcc_lo, 0, v18, vcc_lo
	s_delay_alu instid0(VALU_DEP_2) | instskip(SKIP_1) | instid1(VALU_DEP_2)
	v_add_co_u32 v17, vcc_lo, 0, v27
	s_waitcnt lgkmcnt(0)
	v_add_co_ci_u32_e32 v18, vcc_lo, v28, v18, vcc_lo
.LBB366_72:                             ;   in Loop: Header=BB366_63 Depth=1
	s_or_b32 exec_lo, exec_lo, s5
	s_waitcnt lgkmcnt(1)
	ds_bpermute_b32 v52, v46, v27
	s_waitcnt lgkmcnt(1)
	ds_bpermute_b32 v28, v46, v18
	s_mov_b32 s5, exec_lo
	v_cmpx_le_u32_e64 v47, v20
	;; [unrolled: 17-line block ×3, first 2 shown]
	s_cbranch_execz .LBB366_76
; %bb.75:                               ;   in Loop: Header=BB366_63 Depth=1
	s_waitcnt lgkmcnt(1)
	v_add_co_u32 v27, vcc_lo, v17, v52
	v_add_co_ci_u32_e32 v18, vcc_lo, 0, v18, vcc_lo
	s_delay_alu instid0(VALU_DEP_2) | instskip(SKIP_1) | instid1(VALU_DEP_2)
	v_add_co_u32 v17, vcc_lo, 0, v27
	s_waitcnt lgkmcnt(0)
	v_add_co_ci_u32_e32 v18, vcc_lo, v28, v18, vcc_lo
.LBB366_76:                             ;   in Loop: Header=BB366_63 Depth=1
	s_or_b32 exec_lo, exec_lo, s5
	s_waitcnt lgkmcnt(0)
	ds_bpermute_b32 v28, v50, v27
	ds_bpermute_b32 v27, v50, v18
	s_mov_b32 s5, exec_lo
	v_cmpx_le_u32_e64 v51, v20
	s_cbranch_execz .LBB366_62
; %bb.77:                               ;   in Loop: Header=BB366_63 Depth=1
	s_waitcnt lgkmcnt(1)
	v_add_co_u32 v17, vcc_lo, v17, v28
	v_add_co_ci_u32_e32 v18, vcc_lo, 0, v18, vcc_lo
	s_delay_alu instid0(VALU_DEP_2) | instskip(SKIP_1) | instid1(VALU_DEP_2)
	v_add_co_u32 v17, vcc_lo, v17, 0
	s_waitcnt lgkmcnt(0)
	v_add_co_ci_u32_e32 v18, vcc_lo, v18, v27, vcc_lo
	s_branch .LBB366_62
.LBB366_78:                             ;   in Loop: Header=BB366_63 Depth=1
                                        ; implicit-def: $vgpr17_vgpr18
	s_cbranch_execz .LBB366_63
; %bb.79:
	s_and_saveexec_b32 s5, s3
	s_cbranch_execz .LBB366_81
; %bb.80:
	s_add_i32 s14, s15, 32
	s_mov_b32 s15, 0
	v_add_co_u32 v17, vcc_lo, v15, v13
	s_lshl_b64 s[14:15], s[14:15], 4
	v_dual_mov_b32 v19, 2 :: v_dual_mov_b32 v20, 0
	s_add_u32 s14, s10, s14
	s_addc_u32 s15, s11, s15
	v_add_co_ci_u32_e32 v18, vcc_lo, v16, v14, vcc_lo
	v_dual_mov_b32 v26, s15 :: v_dual_mov_b32 v25, s14
	;;#ASMSTART
	global_store_dwordx4 v[25:26], v[17:20] off	
s_waitcnt vmcnt(0)
	;;#ASMEND
	ds_store_b128 v20, v[13:16] offset:18432
.LBB366_81:
	s_or_b32 exec_lo, exec_lo, s5
	v_cmp_eq_u32_e32 vcc_lo, 0, v0
	s_and_b32 exec_lo, exec_lo, vcc_lo
	s_cbranch_execz .LBB366_83
; %bb.82:
	v_mov_b32_e32 v13, 0
	ds_store_b64 v13, v[15:16] offset:88
.LBB366_83:
	s_or_b32 exec_lo, exec_lo, s4
	s_waitcnt lgkmcnt(1)
	v_cndmask_b32_e64 v16, v29, v23, s3
	v_cmp_ne_u32_e32 vcc_lo, 0, v0
	v_mov_b32_e32 v15, 0
	s_waitcnt lgkmcnt(0)
	s_barrier
	buffer_gl0_inv
	v_cndmask_b32_e32 v16, 0, v16, vcc_lo
	ds_load_b64 v[13:14], v15 offset:88
	v_cndmask_b32_e64 v17, v30, v24, s3
	s_waitcnt lgkmcnt(0)
	s_barrier
	buffer_gl0_inv
	v_cndmask_b32_e32 v17, 0, v17, vcc_lo
	v_add_co_u32 v29, vcc_lo, v13, v16
	s_delay_alu instid0(VALU_DEP_2) | instskip(SKIP_3) | instid1(VALU_DEP_2)
	v_add_co_ci_u32_e32 v30, vcc_lo, v14, v17, vcc_lo
	ds_load_b128 v[13:16], v15 offset:18432
	v_add_co_u32 v27, vcc_lo, v29, v39
	v_add_co_ci_u32_e32 v28, vcc_lo, 0, v30, vcc_lo
	v_add_co_u32 v25, vcc_lo, v27, v38
	s_delay_alu instid0(VALU_DEP_2) | instskip(NEXT) | instid1(VALU_DEP_2)
	v_add_co_ci_u32_e32 v26, vcc_lo, 0, v28, vcc_lo
	v_add_co_u32 v23, vcc_lo, v25, v37
	s_delay_alu instid0(VALU_DEP_2) | instskip(NEXT) | instid1(VALU_DEP_2)
	;; [unrolled: 3-line block ×3, first 2 shown]
	v_add_co_ci_u32_e32 v20, vcc_lo, 0, v24, vcc_lo
	v_add_co_u32 v17, vcc_lo, v19, v36
	s_delay_alu instid0(VALU_DEP_2)
	v_add_co_ci_u32_e32 v18, vcc_lo, 0, v20, vcc_lo
	s_load_b64 s[4:5], s[0:1], 0x28
	s_branch .LBB366_112
.LBB366_84:
                                        ; implicit-def: $vgpr17_vgpr18
                                        ; implicit-def: $vgpr19_vgpr20
                                        ; implicit-def: $vgpr23_vgpr24
                                        ; implicit-def: $vgpr25_vgpr26
                                        ; implicit-def: $vgpr27_vgpr28
                                        ; implicit-def: $vgpr29_vgpr30
                                        ; implicit-def: $vgpr15_vgpr16
	s_load_b64 s[4:5], s[0:1], 0x28
	s_and_b32 vcc_lo, exec_lo, s3
	s_cbranch_vccz .LBB366_112
; %bb.85:
	s_waitcnt lgkmcnt(0)
	v_dual_mov_b32 v14, 0 :: v_dual_mov_b32 v15, v21
	v_mov_b32_dpp v16, v21 row_shr:1 row_mask:0xf bank_mask:0xf
	s_delay_alu instid0(VALU_DEP_2)
	v_mov_b32_dpp v13, v14 row_shr:1 row_mask:0xf bank_mask:0xf
	s_and_saveexec_b32 s0, s2
; %bb.86:
	s_delay_alu instid0(VALU_DEP_2) | instskip(SKIP_1) | instid1(VALU_DEP_2)
	v_add_co_u32 v15, vcc_lo, v21, v16
	v_add_co_ci_u32_e32 v14, vcc_lo, 0, v22, vcc_lo
	v_add_co_u32 v21, vcc_lo, 0, v15
	s_delay_alu instid0(VALU_DEP_2) | instskip(NEXT) | instid1(VALU_DEP_1)
	v_add_co_ci_u32_e32 v22, vcc_lo, v13, v14, vcc_lo
	v_mov_b32_e32 v14, v22
; %bb.87:
	s_or_b32 exec_lo, exec_lo, s0
	v_mov_b32_dpp v13, v15 row_shr:2 row_mask:0xf bank_mask:0xf
	s_delay_alu instid0(VALU_DEP_2)
	v_mov_b32_dpp v16, v14 row_shr:2 row_mask:0xf bank_mask:0xf
	v_cmp_lt_u32_e32 vcc_lo, 1, v41
	s_and_saveexec_b32 s1, vcc_lo
; %bb.88:
	s_delay_alu instid0(VALU_DEP_3) | instskip(NEXT) | instid1(VALU_DEP_1)
	v_add_co_u32 v15, s0, v21, v13
	v_add_co_ci_u32_e64 v14, s0, 0, v22, s0
	s_delay_alu instid0(VALU_DEP_2) | instskip(NEXT) | instid1(VALU_DEP_1)
	v_add_co_u32 v13, s0, 0, v15
	v_add_co_ci_u32_e64 v14, s0, v16, v14, s0
	s_delay_alu instid0(VALU_DEP_1)
	v_dual_mov_b32 v22, v14 :: v_dual_mov_b32 v21, v13
; %bb.89:
	s_or_b32 exec_lo, exec_lo, s1
	v_mov_b32_dpp v13, v15 row_shr:4 row_mask:0xf bank_mask:0xf
	v_mov_b32_dpp v16, v14 row_shr:4 row_mask:0xf bank_mask:0xf
	v_cmp_lt_u32_e64 s0, 3, v41
	s_delay_alu instid0(VALU_DEP_1)
	s_and_saveexec_b32 s3, s0
; %bb.90:
	s_delay_alu instid0(VALU_DEP_3) | instskip(NEXT) | instid1(VALU_DEP_1)
	v_add_co_u32 v15, s1, v21, v13
	v_add_co_ci_u32_e64 v14, s1, 0, v22, s1
	s_delay_alu instid0(VALU_DEP_2) | instskip(NEXT) | instid1(VALU_DEP_1)
	v_add_co_u32 v13, s1, 0, v15
	v_add_co_ci_u32_e64 v14, s1, v16, v14, s1
	s_delay_alu instid0(VALU_DEP_1)
	v_dual_mov_b32 v22, v14 :: v_dual_mov_b32 v21, v13
; %bb.91:
	s_or_b32 exec_lo, exec_lo, s3
	v_mov_b32_dpp v16, v15 row_shr:8 row_mask:0xf bank_mask:0xf
	v_mov_b32_dpp v13, v14 row_shr:8 row_mask:0xf bank_mask:0xf
	v_cmp_lt_u32_e64 s1, 7, v41
	s_delay_alu instid0(VALU_DEP_1)
	s_and_saveexec_b32 s14, s1
; %bb.92:
	s_delay_alu instid0(VALU_DEP_3) | instskip(NEXT) | instid1(VALU_DEP_1)
	v_add_co_u32 v15, s3, v21, v16
	v_add_co_ci_u32_e64 v14, s3, 0, v22, s3
	s_delay_alu instid0(VALU_DEP_2) | instskip(NEXT) | instid1(VALU_DEP_1)
	v_add_co_u32 v21, s3, 0, v15
	v_add_co_ci_u32_e64 v22, s3, v13, v14, s3
	s_delay_alu instid0(VALU_DEP_1)
	v_mov_b32_e32 v14, v22
; %bb.93:
	s_or_b32 exec_lo, exec_lo, s14
	ds_swizzle_b32 v15, v15 offset:swizzle(BROADCAST,32,15)
	ds_swizzle_b32 v13, v14 offset:swizzle(BROADCAST,32,15)
	v_and_b32_e32 v14, 16, v40
	s_mov_b32 s14, exec_lo
	s_delay_alu instid0(VALU_DEP_1)
	v_cmpx_ne_u32_e32 0, v14
	s_cbranch_execz .LBB366_95
; %bb.94:
	s_waitcnt lgkmcnt(1)
	v_add_co_u32 v14, s3, v21, v15
	s_delay_alu instid0(VALU_DEP_1) | instskip(NEXT) | instid1(VALU_DEP_2)
	v_add_co_ci_u32_e64 v15, s3, 0, v22, s3
	v_add_co_u32 v21, s3, v14, 0
	s_waitcnt lgkmcnt(0)
	s_delay_alu instid0(VALU_DEP_2)
	v_add_co_ci_u32_e64 v22, s3, v15, v13, s3
.LBB366_95:
	s_or_b32 exec_lo, exec_lo, s14
	s_waitcnt lgkmcnt(0)
	v_and_b32_e32 v13, 0x1e0, v0
	v_lshrrev_b32_e32 v15, 5, v0
	s_mov_b32 s14, exec_lo
	s_delay_alu instid0(VALU_DEP_2) | instskip(NEXT) | instid1(VALU_DEP_1)
	v_min_u32_e32 v13, 0x160, v13
	v_or_b32_e32 v13, 31, v13
	s_delay_alu instid0(VALU_DEP_1)
	v_cmpx_eq_u32_e64 v13, v0
	s_cbranch_execz .LBB366_97
; %bb.96:
	v_lshlrev_b32_e32 v13, 3, v15
	ds_store_b64 v13, v[21:22]
.LBB366_97:
	s_or_b32 exec_lo, exec_lo, s14
	s_delay_alu instid0(SALU_CYCLE_1)
	s_mov_b32 s14, exec_lo
	s_waitcnt lgkmcnt(0)
	s_barrier
	buffer_gl0_inv
	v_cmpx_gt_u32_e32 12, v0
	s_cbranch_execz .LBB366_107
; %bb.98:
	v_mad_i32_i24 v13, 0xffffffd8, v0, v35
	ds_load_b64 v[13:14], v13
	s_waitcnt lgkmcnt(0)
	v_mov_b32_dpp v18, v13 row_shr:1 row_mask:0xf bank_mask:0xf
	v_mov_b32_dpp v17, v14 row_shr:1 row_mask:0xf bank_mask:0xf
	v_mov_b32_e32 v16, v13
	s_and_saveexec_b32 s3, s2
; %bb.99:
	s_delay_alu instid0(VALU_DEP_3) | instskip(NEXT) | instid1(VALU_DEP_1)
	v_add_co_u32 v16, s2, v13, v18
	v_add_co_ci_u32_e64 v14, s2, 0, v14, s2
	s_delay_alu instid0(VALU_DEP_2) | instskip(NEXT) | instid1(VALU_DEP_1)
	v_add_co_u32 v13, s2, 0, v16
	v_add_co_ci_u32_e64 v14, s2, v17, v14, s2
; %bb.100:
	s_or_b32 exec_lo, exec_lo, s3
	v_mov_b32_dpp v18, v16 row_shr:2 row_mask:0xf bank_mask:0xf
	s_delay_alu instid0(VALU_DEP_2)
	v_mov_b32_dpp v17, v14 row_shr:2 row_mask:0xf bank_mask:0xf
	s_and_saveexec_b32 s2, vcc_lo
; %bb.101:
	s_delay_alu instid0(VALU_DEP_2) | instskip(SKIP_1) | instid1(VALU_DEP_2)
	v_add_co_u32 v16, vcc_lo, v13, v18
	v_add_co_ci_u32_e32 v14, vcc_lo, 0, v14, vcc_lo
	v_add_co_u32 v13, vcc_lo, 0, v16
	s_delay_alu instid0(VALU_DEP_2)
	v_add_co_ci_u32_e32 v14, vcc_lo, v17, v14, vcc_lo
; %bb.102:
	s_or_b32 exec_lo, exec_lo, s2
	v_mov_b32_dpp v18, v16 row_shr:4 row_mask:0xf bank_mask:0xf
	s_delay_alu instid0(VALU_DEP_2)
	v_mov_b32_dpp v17, v14 row_shr:4 row_mask:0xf bank_mask:0xf
	s_and_saveexec_b32 s2, s0
; %bb.103:
	s_delay_alu instid0(VALU_DEP_2) | instskip(SKIP_1) | instid1(VALU_DEP_2)
	v_add_co_u32 v16, vcc_lo, v13, v18
	v_add_co_ci_u32_e32 v14, vcc_lo, 0, v14, vcc_lo
	v_add_co_u32 v13, vcc_lo, 0, v16
	s_delay_alu instid0(VALU_DEP_2)
	v_add_co_ci_u32_e32 v14, vcc_lo, v17, v14, vcc_lo
; %bb.104:
	s_or_b32 exec_lo, exec_lo, s2
	v_mul_i32_i24_e32 v17, 0xffffffd8, v0
	v_mov_b32_dpp v18, v16 row_shr:8 row_mask:0xf bank_mask:0xf
	s_delay_alu instid0(VALU_DEP_3)
	v_mov_b32_dpp v16, v14 row_shr:8 row_mask:0xf bank_mask:0xf
	s_and_saveexec_b32 s0, s1
; %bb.105:
	s_delay_alu instid0(VALU_DEP_2) | instskip(SKIP_1) | instid1(VALU_DEP_2)
	v_add_co_u32 v13, vcc_lo, v13, v18
	v_add_co_ci_u32_e32 v14, vcc_lo, 0, v14, vcc_lo
	v_add_co_u32 v13, vcc_lo, v13, 0
	s_delay_alu instid0(VALU_DEP_2)
	v_add_co_ci_u32_e32 v14, vcc_lo, v14, v16, vcc_lo
; %bb.106:
	s_or_b32 exec_lo, exec_lo, s0
	v_add_nc_u32_e32 v16, v35, v17
	ds_store_b64 v16, v[13:14]
.LBB366_107:
	s_or_b32 exec_lo, exec_lo, s14
	v_mov_b32_e32 v17, 0
	v_mov_b32_e32 v18, 0
	s_mov_b32 s0, exec_lo
	s_waitcnt lgkmcnt(0)
	s_barrier
	buffer_gl0_inv
	v_cmpx_lt_u32_e32 31, v0
	s_cbranch_execz .LBB366_109
; %bb.108:
	v_lshl_add_u32 v13, v15, 3, -8
	ds_load_b64 v[17:18], v13
.LBB366_109:
	s_or_b32 exec_lo, exec_lo, s0
	v_dual_mov_b32 v16, 0 :: v_dual_add_nc_u32 v13, -1, v40
	s_delay_alu instid0(VALU_DEP_1) | instskip(SKIP_4) | instid1(VALU_DEP_3)
	v_cmp_gt_i32_e32 vcc_lo, 0, v13
	v_cndmask_b32_e32 v13, v13, v40, vcc_lo
	s_waitcnt lgkmcnt(0)
	v_add_co_u32 v14, vcc_lo, v17, v21
	v_add_co_ci_u32_e32 v15, vcc_lo, v18, v22, vcc_lo
	v_lshlrev_b32_e32 v13, 2, v13
	v_cmp_eq_u32_e32 vcc_lo, 0, v0
	ds_bpermute_b32 v19, v13, v14
	ds_bpermute_b32 v20, v13, v15
	ds_load_b64 v[13:14], v16 offset:88
	s_and_saveexec_b32 s0, vcc_lo
	s_cbranch_execz .LBB366_111
; %bb.110:
	s_add_u32 s2, s10, 0x200
	s_addc_u32 s3, s11, 0
	s_delay_alu instid0(SALU_CYCLE_1)
	v_dual_mov_b32 v15, 2 :: v_dual_mov_b32 v22, s3
	v_mov_b32_e32 v21, s2
	s_waitcnt lgkmcnt(0)
	;;#ASMSTART
	global_store_dwordx4 v[21:22], v[13:16] off	
s_waitcnt vmcnt(0)
	;;#ASMEND
.LBB366_111:
	s_or_b32 exec_lo, exec_lo, s0
	v_cmp_eq_u32_e64 s0, 0, v40
	s_waitcnt lgkmcnt(0)
	s_barrier
	buffer_gl0_inv
	v_cndmask_b32_e64 v15, v19, v17, s0
	v_cndmask_b32_e64 v16, v20, v18, s0
	s_delay_alu instid0(VALU_DEP_2) | instskip(NEXT) | instid1(VALU_DEP_2)
	v_cndmask_b32_e64 v29, v15, 0, vcc_lo
	v_cndmask_b32_e64 v30, v16, 0, vcc_lo
	v_mov_b32_e32 v15, 0
	v_mov_b32_e32 v16, 0
	s_delay_alu instid0(VALU_DEP_4) | instskip(NEXT) | instid1(VALU_DEP_4)
	v_add_co_u32 v27, vcc_lo, v29, v39
	v_add_co_ci_u32_e32 v28, vcc_lo, 0, v30, vcc_lo
	s_delay_alu instid0(VALU_DEP_2) | instskip(NEXT) | instid1(VALU_DEP_2)
	v_add_co_u32 v25, vcc_lo, v27, v38
	v_add_co_ci_u32_e32 v26, vcc_lo, 0, v28, vcc_lo
	s_delay_alu instid0(VALU_DEP_2) | instskip(NEXT) | instid1(VALU_DEP_2)
	;; [unrolled: 3-line block ×4, first 2 shown]
	v_add_co_u32 v17, vcc_lo, v19, v36
	v_add_co_ci_u32_e32 v18, vcc_lo, 0, v20, vcc_lo
.LBB366_112:
	s_waitcnt lgkmcnt(0)
	v_cmp_gt_u64_e32 vcc_lo, 0x181, v[13:14]
	v_lshrrev_b32_e32 v36, 8, v34
	v_lshrrev_b32_e32 v35, 16, v34
	s_mov_b32 s0, -1
	s_cbranch_vccnz .LBB366_116
; %bb.113:
	s_and_b32 vcc_lo, exec_lo, s0
	s_cbranch_vccnz .LBB366_135
.LBB366_114:
	v_cmp_eq_u32_e32 vcc_lo, 0, v0
	s_and_b32 s0, vcc_lo, s12
	s_delay_alu instid0(SALU_CYCLE_1)
	s_and_saveexec_b32 s1, s0
	s_cbranch_execnz .LBB366_151
.LBB366_115:
	s_nop 0
	s_sendmsg sendmsg(MSG_DEALLOC_VGPRS)
	s_endpgm
.LBB366_116:
	v_add_co_u32 v21, vcc_lo, v15, v13
	v_add_co_ci_u32_e32 v22, vcc_lo, v16, v14, vcc_lo
	s_lshl_b64 s[0:1], s[6:7], 3
	s_delay_alu instid0(SALU_CYCLE_1) | instskip(NEXT) | instid1(VALU_DEP_1)
	s_add_u32 s0, s4, s0
	v_cmp_lt_u64_e32 vcc_lo, v[29:30], v[21:22]
	s_addc_u32 s1, s5, s1
	s_or_b32 s3, s13, vcc_lo
	s_delay_alu instid0(SALU_CYCLE_1)
	s_and_saveexec_b32 s2, s3
	s_cbranch_execz .LBB366_119
; %bb.117:
	v_and_b32_e32 v37, 1, v34
	s_delay_alu instid0(VALU_DEP_1)
	v_cmp_eq_u32_e32 vcc_lo, 1, v37
	s_and_b32 exec_lo, exec_lo, vcc_lo
	s_cbranch_execz .LBB366_119
; %bb.118:
	v_lshlrev_b64 v[37:38], 3, v[29:30]
	s_delay_alu instid0(VALU_DEP_1) | instskip(NEXT) | instid1(VALU_DEP_2)
	v_add_co_u32 v37, vcc_lo, s0, v37
	v_add_co_ci_u32_e32 v38, vcc_lo, s1, v38, vcc_lo
	global_store_b64 v[37:38], v[9:10], off
.LBB366_119:
	s_or_b32 exec_lo, exec_lo, s2
	v_cmp_lt_u64_e32 vcc_lo, v[27:28], v[21:22]
	s_or_b32 s3, s13, vcc_lo
	s_delay_alu instid0(SALU_CYCLE_1)
	s_and_saveexec_b32 s2, s3
	s_cbranch_execz .LBB366_122
; %bb.120:
	v_and_b32_e32 v30, 1, v36
	s_delay_alu instid0(VALU_DEP_1)
	v_cmp_eq_u32_e32 vcc_lo, 1, v30
	s_and_b32 exec_lo, exec_lo, vcc_lo
	s_cbranch_execz .LBB366_122
; %bb.121:
	v_lshlrev_b64 v[37:38], 3, v[27:28]
	s_delay_alu instid0(VALU_DEP_1) | instskip(NEXT) | instid1(VALU_DEP_2)
	v_add_co_u32 v37, vcc_lo, s0, v37
	v_add_co_ci_u32_e32 v38, vcc_lo, s1, v38, vcc_lo
	global_store_b64 v[37:38], v[11:12], off
.LBB366_122:
	s_or_b32 exec_lo, exec_lo, s2
	v_cmp_lt_u64_e32 vcc_lo, v[25:26], v[21:22]
	;; [unrolled: 19-line block ×5, first 2 shown]
	s_or_b32 s3, s13, vcc_lo
	s_delay_alu instid0(SALU_CYCLE_1)
	s_and_saveexec_b32 s2, s3
	s_cbranch_execz .LBB366_134
; %bb.132:
	v_and_b32_e32 v20, 1, v31
	s_delay_alu instid0(VALU_DEP_1)
	v_cmp_eq_u32_e32 vcc_lo, 1, v20
	s_and_b32 exec_lo, exec_lo, vcc_lo
	s_cbranch_execz .LBB366_134
; %bb.133:
	v_lshlrev_b64 v[20:21], 3, v[17:18]
	s_delay_alu instid0(VALU_DEP_1) | instskip(NEXT) | instid1(VALU_DEP_2)
	v_add_co_u32 v20, vcc_lo, s0, v20
	v_add_co_ci_u32_e32 v21, vcc_lo, s1, v21, vcc_lo
	global_store_b64 v[20:21], v[3:4], off
.LBB366_134:
	s_or_b32 exec_lo, exec_lo, s2
	s_branch .LBB366_114
.LBB366_135:
	v_and_b32_e32 v18, 1, v34
	s_mov_b32 s0, exec_lo
	s_delay_alu instid0(VALU_DEP_1)
	v_cmpx_eq_u32_e32 1, v18
	s_cbranch_execz .LBB366_137
; %bb.136:
	v_sub_nc_u32_e32 v18, v29, v15
	s_delay_alu instid0(VALU_DEP_1)
	v_lshlrev_b32_e32 v18, 3, v18
	ds_store_b64 v18, v[9:10]
.LBB366_137:
	s_or_b32 exec_lo, exec_lo, s0
	v_and_b32_e32 v9, 1, v36
	s_mov_b32 s0, exec_lo
	s_delay_alu instid0(VALU_DEP_1)
	v_cmpx_eq_u32_e32 1, v9
	s_cbranch_execz .LBB366_139
; %bb.138:
	v_sub_nc_u32_e32 v9, v27, v15
	s_delay_alu instid0(VALU_DEP_1)
	v_lshlrev_b32_e32 v9, 3, v9
	ds_store_b64 v9, v[11:12]
.LBB366_139:
	s_or_b32 exec_lo, exec_lo, s0
	;; [unrolled: 12-line block ×6, first 2 shown]
	v_mov_b32_e32 v3, 0
	s_mov_b32 s1, exec_lo
	s_waitcnt lgkmcnt(0)
	s_waitcnt_vscnt null, 0x0
	s_barrier
	buffer_gl0_inv
	v_mov_b32_e32 v1, v3
	s_delay_alu instid0(VALU_DEP_1)
	v_cmpx_gt_u64_e64 v[13:14], v[0:1]
	s_cbranch_execz .LBB366_150
; %bb.148:
	v_lshlrev_b64 v[4:5], 3, v[15:16]
	s_lshl_b64 s[2:3], s[6:7], 3
	v_add_nc_u32_e32 v2, 0x180, v0
	s_delay_alu instid0(VALU_DEP_2) | instskip(NEXT) | instid1(VALU_DEP_3)
	v_add_co_u32 v4, vcc_lo, s4, v4
	v_add_co_ci_u32_e32 v5, vcc_lo, s5, v5, vcc_lo
	s_delay_alu instid0(VALU_DEP_2) | instskip(NEXT) | instid1(VALU_DEP_2)
	v_add_co_u32 v6, vcc_lo, v4, s2
	v_add_co_ci_u32_e32 v7, vcc_lo, s3, v5, vcc_lo
	v_dual_mov_b32 v5, v1 :: v_dual_mov_b32 v4, v0
	s_mov_b32 s2, 0
	.p2align	6
.LBB366_149:                            ; =>This Inner Loop Header: Depth=1
	s_delay_alu instid0(VALU_DEP_1) | instskip(NEXT) | instid1(VALU_DEP_2)
	v_lshlrev_b32_e32 v1, 3, v4
	v_lshlrev_b64 v[10:11], 3, v[4:5]
	v_dual_mov_b32 v5, v3 :: v_dual_mov_b32 v4, v2
	v_cmp_le_u64_e32 vcc_lo, v[13:14], v[2:3]
	v_add_nc_u32_e32 v2, 0x180, v2
	ds_load_b64 v[8:9], v1
	v_add_co_u32 v10, s0, v6, v10
	s_delay_alu instid0(VALU_DEP_1)
	v_add_co_ci_u32_e64 v11, s0, v7, v11, s0
	s_or_b32 s2, vcc_lo, s2
	s_waitcnt lgkmcnt(0)
	global_store_b64 v[10:11], v[8:9], off
	s_and_not1_b32 exec_lo, exec_lo, s2
	s_cbranch_execnz .LBB366_149
.LBB366_150:
	s_or_b32 exec_lo, exec_lo, s1
	v_cmp_eq_u32_e32 vcc_lo, 0, v0
	s_and_b32 s0, vcc_lo, s12
	s_delay_alu instid0(SALU_CYCLE_1)
	s_and_saveexec_b32 s1, s0
	s_cbranch_execz .LBB366_115
.LBB366_151:
	v_add_co_u32 v0, vcc_lo, v15, v13
	v_add_co_ci_u32_e32 v1, vcc_lo, v16, v14, vcc_lo
	v_mov_b32_e32 v2, 0
	s_delay_alu instid0(VALU_DEP_3) | instskip(NEXT) | instid1(VALU_DEP_3)
	v_add_co_u32 v0, vcc_lo, v0, s6
	v_add_co_ci_u32_e32 v1, vcc_lo, s7, v1, vcc_lo
	global_store_b64 v2, v[0:1], s[8:9]
	s_nop 0
	s_sendmsg sendmsg(MSG_DEALLOC_VGPRS)
	s_endpgm
	.section	.rodata,"a",@progbits
	.p2align	6, 0x0
	.amdhsa_kernel _ZN7rocprim17ROCPRIM_400000_NS6detail17trampoline_kernelINS0_14default_configENS1_25partition_config_selectorILNS1_17partition_subalgoE6ExNS0_10empty_typeEbEEZZNS1_14partition_implILS5_6ELb0ES3_mN6thrust23THRUST_200600_302600_NS6detail15normal_iteratorINSA_10device_ptrIxEEEEPS6_SG_NS0_5tupleIJSF_S6_EEENSH_IJSG_SG_EEES6_PlJ7is_evenIxEEEE10hipError_tPvRmT3_T4_T5_T6_T7_T9_mT8_P12ihipStream_tbDpT10_ENKUlT_T0_E_clISt17integral_constantIbLb0EES16_EEDaS11_S12_EUlS11_E_NS1_11comp_targetILNS1_3genE9ELNS1_11target_archE1100ELNS1_3gpuE3ELNS1_3repE0EEENS1_30default_config_static_selectorELNS0_4arch9wavefront6targetE0EEEvT1_
		.amdhsa_group_segment_fixed_size 18448
		.amdhsa_private_segment_fixed_size 0
		.amdhsa_kernarg_size 112
		.amdhsa_user_sgpr_count 15
		.amdhsa_user_sgpr_dispatch_ptr 0
		.amdhsa_user_sgpr_queue_ptr 0
		.amdhsa_user_sgpr_kernarg_segment_ptr 1
		.amdhsa_user_sgpr_dispatch_id 0
		.amdhsa_user_sgpr_private_segment_size 0
		.amdhsa_wavefront_size32 1
		.amdhsa_uses_dynamic_stack 0
		.amdhsa_enable_private_segment 0
		.amdhsa_system_sgpr_workgroup_id_x 1
		.amdhsa_system_sgpr_workgroup_id_y 0
		.amdhsa_system_sgpr_workgroup_id_z 0
		.amdhsa_system_sgpr_workgroup_info 0
		.amdhsa_system_vgpr_workitem_id 0
		.amdhsa_next_free_vgpr 54
		.amdhsa_next_free_sgpr 20
		.amdhsa_reserve_vcc 1
		.amdhsa_float_round_mode_32 0
		.amdhsa_float_round_mode_16_64 0
		.amdhsa_float_denorm_mode_32 3
		.amdhsa_float_denorm_mode_16_64 3
		.amdhsa_dx10_clamp 1
		.amdhsa_ieee_mode 1
		.amdhsa_fp16_overflow 0
		.amdhsa_workgroup_processor_mode 1
		.amdhsa_memory_ordered 1
		.amdhsa_forward_progress 0
		.amdhsa_shared_vgpr_count 0
		.amdhsa_exception_fp_ieee_invalid_op 0
		.amdhsa_exception_fp_denorm_src 0
		.amdhsa_exception_fp_ieee_div_zero 0
		.amdhsa_exception_fp_ieee_overflow 0
		.amdhsa_exception_fp_ieee_underflow 0
		.amdhsa_exception_fp_ieee_inexact 0
		.amdhsa_exception_int_div_zero 0
	.end_amdhsa_kernel
	.section	.text._ZN7rocprim17ROCPRIM_400000_NS6detail17trampoline_kernelINS0_14default_configENS1_25partition_config_selectorILNS1_17partition_subalgoE6ExNS0_10empty_typeEbEEZZNS1_14partition_implILS5_6ELb0ES3_mN6thrust23THRUST_200600_302600_NS6detail15normal_iteratorINSA_10device_ptrIxEEEEPS6_SG_NS0_5tupleIJSF_S6_EEENSH_IJSG_SG_EEES6_PlJ7is_evenIxEEEE10hipError_tPvRmT3_T4_T5_T6_T7_T9_mT8_P12ihipStream_tbDpT10_ENKUlT_T0_E_clISt17integral_constantIbLb0EES16_EEDaS11_S12_EUlS11_E_NS1_11comp_targetILNS1_3genE9ELNS1_11target_archE1100ELNS1_3gpuE3ELNS1_3repE0EEENS1_30default_config_static_selectorELNS0_4arch9wavefront6targetE0EEEvT1_,"axG",@progbits,_ZN7rocprim17ROCPRIM_400000_NS6detail17trampoline_kernelINS0_14default_configENS1_25partition_config_selectorILNS1_17partition_subalgoE6ExNS0_10empty_typeEbEEZZNS1_14partition_implILS5_6ELb0ES3_mN6thrust23THRUST_200600_302600_NS6detail15normal_iteratorINSA_10device_ptrIxEEEEPS6_SG_NS0_5tupleIJSF_S6_EEENSH_IJSG_SG_EEES6_PlJ7is_evenIxEEEE10hipError_tPvRmT3_T4_T5_T6_T7_T9_mT8_P12ihipStream_tbDpT10_ENKUlT_T0_E_clISt17integral_constantIbLb0EES16_EEDaS11_S12_EUlS11_E_NS1_11comp_targetILNS1_3genE9ELNS1_11target_archE1100ELNS1_3gpuE3ELNS1_3repE0EEENS1_30default_config_static_selectorELNS0_4arch9wavefront6targetE0EEEvT1_,comdat
.Lfunc_end366:
	.size	_ZN7rocprim17ROCPRIM_400000_NS6detail17trampoline_kernelINS0_14default_configENS1_25partition_config_selectorILNS1_17partition_subalgoE6ExNS0_10empty_typeEbEEZZNS1_14partition_implILS5_6ELb0ES3_mN6thrust23THRUST_200600_302600_NS6detail15normal_iteratorINSA_10device_ptrIxEEEEPS6_SG_NS0_5tupleIJSF_S6_EEENSH_IJSG_SG_EEES6_PlJ7is_evenIxEEEE10hipError_tPvRmT3_T4_T5_T6_T7_T9_mT8_P12ihipStream_tbDpT10_ENKUlT_T0_E_clISt17integral_constantIbLb0EES16_EEDaS11_S12_EUlS11_E_NS1_11comp_targetILNS1_3genE9ELNS1_11target_archE1100ELNS1_3gpuE3ELNS1_3repE0EEENS1_30default_config_static_selectorELNS0_4arch9wavefront6targetE0EEEvT1_, .Lfunc_end366-_ZN7rocprim17ROCPRIM_400000_NS6detail17trampoline_kernelINS0_14default_configENS1_25partition_config_selectorILNS1_17partition_subalgoE6ExNS0_10empty_typeEbEEZZNS1_14partition_implILS5_6ELb0ES3_mN6thrust23THRUST_200600_302600_NS6detail15normal_iteratorINSA_10device_ptrIxEEEEPS6_SG_NS0_5tupleIJSF_S6_EEENSH_IJSG_SG_EEES6_PlJ7is_evenIxEEEE10hipError_tPvRmT3_T4_T5_T6_T7_T9_mT8_P12ihipStream_tbDpT10_ENKUlT_T0_E_clISt17integral_constantIbLb0EES16_EEDaS11_S12_EUlS11_E_NS1_11comp_targetILNS1_3genE9ELNS1_11target_archE1100ELNS1_3gpuE3ELNS1_3repE0EEENS1_30default_config_static_selectorELNS0_4arch9wavefront6targetE0EEEvT1_
                                        ; -- End function
	.section	.AMDGPU.csdata,"",@progbits
; Kernel info:
; codeLenInByte = 6524
; NumSgprs: 22
; NumVgprs: 54
; ScratchSize: 0
; MemoryBound: 0
; FloatMode: 240
; IeeeMode: 1
; LDSByteSize: 18448 bytes/workgroup (compile time only)
; SGPRBlocks: 2
; VGPRBlocks: 6
; NumSGPRsForWavesPerEU: 22
; NumVGPRsForWavesPerEU: 54
; Occupancy: 15
; WaveLimiterHint : 1
; COMPUTE_PGM_RSRC2:SCRATCH_EN: 0
; COMPUTE_PGM_RSRC2:USER_SGPR: 15
; COMPUTE_PGM_RSRC2:TRAP_HANDLER: 0
; COMPUTE_PGM_RSRC2:TGID_X_EN: 1
; COMPUTE_PGM_RSRC2:TGID_Y_EN: 0
; COMPUTE_PGM_RSRC2:TGID_Z_EN: 0
; COMPUTE_PGM_RSRC2:TIDIG_COMP_CNT: 0
	.section	.text._ZN7rocprim17ROCPRIM_400000_NS6detail17trampoline_kernelINS0_14default_configENS1_25partition_config_selectorILNS1_17partition_subalgoE6ExNS0_10empty_typeEbEEZZNS1_14partition_implILS5_6ELb0ES3_mN6thrust23THRUST_200600_302600_NS6detail15normal_iteratorINSA_10device_ptrIxEEEEPS6_SG_NS0_5tupleIJSF_S6_EEENSH_IJSG_SG_EEES6_PlJ7is_evenIxEEEE10hipError_tPvRmT3_T4_T5_T6_T7_T9_mT8_P12ihipStream_tbDpT10_ENKUlT_T0_E_clISt17integral_constantIbLb0EES16_EEDaS11_S12_EUlS11_E_NS1_11comp_targetILNS1_3genE8ELNS1_11target_archE1030ELNS1_3gpuE2ELNS1_3repE0EEENS1_30default_config_static_selectorELNS0_4arch9wavefront6targetE0EEEvT1_,"axG",@progbits,_ZN7rocprim17ROCPRIM_400000_NS6detail17trampoline_kernelINS0_14default_configENS1_25partition_config_selectorILNS1_17partition_subalgoE6ExNS0_10empty_typeEbEEZZNS1_14partition_implILS5_6ELb0ES3_mN6thrust23THRUST_200600_302600_NS6detail15normal_iteratorINSA_10device_ptrIxEEEEPS6_SG_NS0_5tupleIJSF_S6_EEENSH_IJSG_SG_EEES6_PlJ7is_evenIxEEEE10hipError_tPvRmT3_T4_T5_T6_T7_T9_mT8_P12ihipStream_tbDpT10_ENKUlT_T0_E_clISt17integral_constantIbLb0EES16_EEDaS11_S12_EUlS11_E_NS1_11comp_targetILNS1_3genE8ELNS1_11target_archE1030ELNS1_3gpuE2ELNS1_3repE0EEENS1_30default_config_static_selectorELNS0_4arch9wavefront6targetE0EEEvT1_,comdat
	.protected	_ZN7rocprim17ROCPRIM_400000_NS6detail17trampoline_kernelINS0_14default_configENS1_25partition_config_selectorILNS1_17partition_subalgoE6ExNS0_10empty_typeEbEEZZNS1_14partition_implILS5_6ELb0ES3_mN6thrust23THRUST_200600_302600_NS6detail15normal_iteratorINSA_10device_ptrIxEEEEPS6_SG_NS0_5tupleIJSF_S6_EEENSH_IJSG_SG_EEES6_PlJ7is_evenIxEEEE10hipError_tPvRmT3_T4_T5_T6_T7_T9_mT8_P12ihipStream_tbDpT10_ENKUlT_T0_E_clISt17integral_constantIbLb0EES16_EEDaS11_S12_EUlS11_E_NS1_11comp_targetILNS1_3genE8ELNS1_11target_archE1030ELNS1_3gpuE2ELNS1_3repE0EEENS1_30default_config_static_selectorELNS0_4arch9wavefront6targetE0EEEvT1_ ; -- Begin function _ZN7rocprim17ROCPRIM_400000_NS6detail17trampoline_kernelINS0_14default_configENS1_25partition_config_selectorILNS1_17partition_subalgoE6ExNS0_10empty_typeEbEEZZNS1_14partition_implILS5_6ELb0ES3_mN6thrust23THRUST_200600_302600_NS6detail15normal_iteratorINSA_10device_ptrIxEEEEPS6_SG_NS0_5tupleIJSF_S6_EEENSH_IJSG_SG_EEES6_PlJ7is_evenIxEEEE10hipError_tPvRmT3_T4_T5_T6_T7_T9_mT8_P12ihipStream_tbDpT10_ENKUlT_T0_E_clISt17integral_constantIbLb0EES16_EEDaS11_S12_EUlS11_E_NS1_11comp_targetILNS1_3genE8ELNS1_11target_archE1030ELNS1_3gpuE2ELNS1_3repE0EEENS1_30default_config_static_selectorELNS0_4arch9wavefront6targetE0EEEvT1_
	.globl	_ZN7rocprim17ROCPRIM_400000_NS6detail17trampoline_kernelINS0_14default_configENS1_25partition_config_selectorILNS1_17partition_subalgoE6ExNS0_10empty_typeEbEEZZNS1_14partition_implILS5_6ELb0ES3_mN6thrust23THRUST_200600_302600_NS6detail15normal_iteratorINSA_10device_ptrIxEEEEPS6_SG_NS0_5tupleIJSF_S6_EEENSH_IJSG_SG_EEES6_PlJ7is_evenIxEEEE10hipError_tPvRmT3_T4_T5_T6_T7_T9_mT8_P12ihipStream_tbDpT10_ENKUlT_T0_E_clISt17integral_constantIbLb0EES16_EEDaS11_S12_EUlS11_E_NS1_11comp_targetILNS1_3genE8ELNS1_11target_archE1030ELNS1_3gpuE2ELNS1_3repE0EEENS1_30default_config_static_selectorELNS0_4arch9wavefront6targetE0EEEvT1_
	.p2align	8
	.type	_ZN7rocprim17ROCPRIM_400000_NS6detail17trampoline_kernelINS0_14default_configENS1_25partition_config_selectorILNS1_17partition_subalgoE6ExNS0_10empty_typeEbEEZZNS1_14partition_implILS5_6ELb0ES3_mN6thrust23THRUST_200600_302600_NS6detail15normal_iteratorINSA_10device_ptrIxEEEEPS6_SG_NS0_5tupleIJSF_S6_EEENSH_IJSG_SG_EEES6_PlJ7is_evenIxEEEE10hipError_tPvRmT3_T4_T5_T6_T7_T9_mT8_P12ihipStream_tbDpT10_ENKUlT_T0_E_clISt17integral_constantIbLb0EES16_EEDaS11_S12_EUlS11_E_NS1_11comp_targetILNS1_3genE8ELNS1_11target_archE1030ELNS1_3gpuE2ELNS1_3repE0EEENS1_30default_config_static_selectorELNS0_4arch9wavefront6targetE0EEEvT1_,@function
_ZN7rocprim17ROCPRIM_400000_NS6detail17trampoline_kernelINS0_14default_configENS1_25partition_config_selectorILNS1_17partition_subalgoE6ExNS0_10empty_typeEbEEZZNS1_14partition_implILS5_6ELb0ES3_mN6thrust23THRUST_200600_302600_NS6detail15normal_iteratorINSA_10device_ptrIxEEEEPS6_SG_NS0_5tupleIJSF_S6_EEENSH_IJSG_SG_EEES6_PlJ7is_evenIxEEEE10hipError_tPvRmT3_T4_T5_T6_T7_T9_mT8_P12ihipStream_tbDpT10_ENKUlT_T0_E_clISt17integral_constantIbLb0EES16_EEDaS11_S12_EUlS11_E_NS1_11comp_targetILNS1_3genE8ELNS1_11target_archE1030ELNS1_3gpuE2ELNS1_3repE0EEENS1_30default_config_static_selectorELNS0_4arch9wavefront6targetE0EEEvT1_: ; @_ZN7rocprim17ROCPRIM_400000_NS6detail17trampoline_kernelINS0_14default_configENS1_25partition_config_selectorILNS1_17partition_subalgoE6ExNS0_10empty_typeEbEEZZNS1_14partition_implILS5_6ELb0ES3_mN6thrust23THRUST_200600_302600_NS6detail15normal_iteratorINSA_10device_ptrIxEEEEPS6_SG_NS0_5tupleIJSF_S6_EEENSH_IJSG_SG_EEES6_PlJ7is_evenIxEEEE10hipError_tPvRmT3_T4_T5_T6_T7_T9_mT8_P12ihipStream_tbDpT10_ENKUlT_T0_E_clISt17integral_constantIbLb0EES16_EEDaS11_S12_EUlS11_E_NS1_11comp_targetILNS1_3genE8ELNS1_11target_archE1030ELNS1_3gpuE2ELNS1_3repE0EEENS1_30default_config_static_selectorELNS0_4arch9wavefront6targetE0EEEvT1_
; %bb.0:
	.section	.rodata,"a",@progbits
	.p2align	6, 0x0
	.amdhsa_kernel _ZN7rocprim17ROCPRIM_400000_NS6detail17trampoline_kernelINS0_14default_configENS1_25partition_config_selectorILNS1_17partition_subalgoE6ExNS0_10empty_typeEbEEZZNS1_14partition_implILS5_6ELb0ES3_mN6thrust23THRUST_200600_302600_NS6detail15normal_iteratorINSA_10device_ptrIxEEEEPS6_SG_NS0_5tupleIJSF_S6_EEENSH_IJSG_SG_EEES6_PlJ7is_evenIxEEEE10hipError_tPvRmT3_T4_T5_T6_T7_T9_mT8_P12ihipStream_tbDpT10_ENKUlT_T0_E_clISt17integral_constantIbLb0EES16_EEDaS11_S12_EUlS11_E_NS1_11comp_targetILNS1_3genE8ELNS1_11target_archE1030ELNS1_3gpuE2ELNS1_3repE0EEENS1_30default_config_static_selectorELNS0_4arch9wavefront6targetE0EEEvT1_
		.amdhsa_group_segment_fixed_size 0
		.amdhsa_private_segment_fixed_size 0
		.amdhsa_kernarg_size 112
		.amdhsa_user_sgpr_count 15
		.amdhsa_user_sgpr_dispatch_ptr 0
		.amdhsa_user_sgpr_queue_ptr 0
		.amdhsa_user_sgpr_kernarg_segment_ptr 1
		.amdhsa_user_sgpr_dispatch_id 0
		.amdhsa_user_sgpr_private_segment_size 0
		.amdhsa_wavefront_size32 1
		.amdhsa_uses_dynamic_stack 0
		.amdhsa_enable_private_segment 0
		.amdhsa_system_sgpr_workgroup_id_x 1
		.amdhsa_system_sgpr_workgroup_id_y 0
		.amdhsa_system_sgpr_workgroup_id_z 0
		.amdhsa_system_sgpr_workgroup_info 0
		.amdhsa_system_vgpr_workitem_id 0
		.amdhsa_next_free_vgpr 1
		.amdhsa_next_free_sgpr 1
		.amdhsa_reserve_vcc 0
		.amdhsa_float_round_mode_32 0
		.amdhsa_float_round_mode_16_64 0
		.amdhsa_float_denorm_mode_32 3
		.amdhsa_float_denorm_mode_16_64 3
		.amdhsa_dx10_clamp 1
		.amdhsa_ieee_mode 1
		.amdhsa_fp16_overflow 0
		.amdhsa_workgroup_processor_mode 1
		.amdhsa_memory_ordered 1
		.amdhsa_forward_progress 0
		.amdhsa_shared_vgpr_count 0
		.amdhsa_exception_fp_ieee_invalid_op 0
		.amdhsa_exception_fp_denorm_src 0
		.amdhsa_exception_fp_ieee_div_zero 0
		.amdhsa_exception_fp_ieee_overflow 0
		.amdhsa_exception_fp_ieee_underflow 0
		.amdhsa_exception_fp_ieee_inexact 0
		.amdhsa_exception_int_div_zero 0
	.end_amdhsa_kernel
	.section	.text._ZN7rocprim17ROCPRIM_400000_NS6detail17trampoline_kernelINS0_14default_configENS1_25partition_config_selectorILNS1_17partition_subalgoE6ExNS0_10empty_typeEbEEZZNS1_14partition_implILS5_6ELb0ES3_mN6thrust23THRUST_200600_302600_NS6detail15normal_iteratorINSA_10device_ptrIxEEEEPS6_SG_NS0_5tupleIJSF_S6_EEENSH_IJSG_SG_EEES6_PlJ7is_evenIxEEEE10hipError_tPvRmT3_T4_T5_T6_T7_T9_mT8_P12ihipStream_tbDpT10_ENKUlT_T0_E_clISt17integral_constantIbLb0EES16_EEDaS11_S12_EUlS11_E_NS1_11comp_targetILNS1_3genE8ELNS1_11target_archE1030ELNS1_3gpuE2ELNS1_3repE0EEENS1_30default_config_static_selectorELNS0_4arch9wavefront6targetE0EEEvT1_,"axG",@progbits,_ZN7rocprim17ROCPRIM_400000_NS6detail17trampoline_kernelINS0_14default_configENS1_25partition_config_selectorILNS1_17partition_subalgoE6ExNS0_10empty_typeEbEEZZNS1_14partition_implILS5_6ELb0ES3_mN6thrust23THRUST_200600_302600_NS6detail15normal_iteratorINSA_10device_ptrIxEEEEPS6_SG_NS0_5tupleIJSF_S6_EEENSH_IJSG_SG_EEES6_PlJ7is_evenIxEEEE10hipError_tPvRmT3_T4_T5_T6_T7_T9_mT8_P12ihipStream_tbDpT10_ENKUlT_T0_E_clISt17integral_constantIbLb0EES16_EEDaS11_S12_EUlS11_E_NS1_11comp_targetILNS1_3genE8ELNS1_11target_archE1030ELNS1_3gpuE2ELNS1_3repE0EEENS1_30default_config_static_selectorELNS0_4arch9wavefront6targetE0EEEvT1_,comdat
.Lfunc_end367:
	.size	_ZN7rocprim17ROCPRIM_400000_NS6detail17trampoline_kernelINS0_14default_configENS1_25partition_config_selectorILNS1_17partition_subalgoE6ExNS0_10empty_typeEbEEZZNS1_14partition_implILS5_6ELb0ES3_mN6thrust23THRUST_200600_302600_NS6detail15normal_iteratorINSA_10device_ptrIxEEEEPS6_SG_NS0_5tupleIJSF_S6_EEENSH_IJSG_SG_EEES6_PlJ7is_evenIxEEEE10hipError_tPvRmT3_T4_T5_T6_T7_T9_mT8_P12ihipStream_tbDpT10_ENKUlT_T0_E_clISt17integral_constantIbLb0EES16_EEDaS11_S12_EUlS11_E_NS1_11comp_targetILNS1_3genE8ELNS1_11target_archE1030ELNS1_3gpuE2ELNS1_3repE0EEENS1_30default_config_static_selectorELNS0_4arch9wavefront6targetE0EEEvT1_, .Lfunc_end367-_ZN7rocprim17ROCPRIM_400000_NS6detail17trampoline_kernelINS0_14default_configENS1_25partition_config_selectorILNS1_17partition_subalgoE6ExNS0_10empty_typeEbEEZZNS1_14partition_implILS5_6ELb0ES3_mN6thrust23THRUST_200600_302600_NS6detail15normal_iteratorINSA_10device_ptrIxEEEEPS6_SG_NS0_5tupleIJSF_S6_EEENSH_IJSG_SG_EEES6_PlJ7is_evenIxEEEE10hipError_tPvRmT3_T4_T5_T6_T7_T9_mT8_P12ihipStream_tbDpT10_ENKUlT_T0_E_clISt17integral_constantIbLb0EES16_EEDaS11_S12_EUlS11_E_NS1_11comp_targetILNS1_3genE8ELNS1_11target_archE1030ELNS1_3gpuE2ELNS1_3repE0EEENS1_30default_config_static_selectorELNS0_4arch9wavefront6targetE0EEEvT1_
                                        ; -- End function
	.section	.AMDGPU.csdata,"",@progbits
; Kernel info:
; codeLenInByte = 0
; NumSgprs: 0
; NumVgprs: 0
; ScratchSize: 0
; MemoryBound: 0
; FloatMode: 240
; IeeeMode: 1
; LDSByteSize: 0 bytes/workgroup (compile time only)
; SGPRBlocks: 0
; VGPRBlocks: 0
; NumSGPRsForWavesPerEU: 1
; NumVGPRsForWavesPerEU: 1
; Occupancy: 16
; WaveLimiterHint : 0
; COMPUTE_PGM_RSRC2:SCRATCH_EN: 0
; COMPUTE_PGM_RSRC2:USER_SGPR: 15
; COMPUTE_PGM_RSRC2:TRAP_HANDLER: 0
; COMPUTE_PGM_RSRC2:TGID_X_EN: 1
; COMPUTE_PGM_RSRC2:TGID_Y_EN: 0
; COMPUTE_PGM_RSRC2:TGID_Z_EN: 0
; COMPUTE_PGM_RSRC2:TIDIG_COMP_CNT: 0
	.section	.text._ZN7rocprim17ROCPRIM_400000_NS6detail17trampoline_kernelINS0_14default_configENS1_25partition_config_selectorILNS1_17partition_subalgoE6ExNS0_10empty_typeEbEEZZNS1_14partition_implILS5_6ELb0ES3_mN6thrust23THRUST_200600_302600_NS6detail15normal_iteratorINSA_10device_ptrIxEEEEPS6_SG_NS0_5tupleIJSF_S6_EEENSH_IJSG_SG_EEES6_PlJ7is_evenIxEEEE10hipError_tPvRmT3_T4_T5_T6_T7_T9_mT8_P12ihipStream_tbDpT10_ENKUlT_T0_E_clISt17integral_constantIbLb1EES16_EEDaS11_S12_EUlS11_E_NS1_11comp_targetILNS1_3genE0ELNS1_11target_archE4294967295ELNS1_3gpuE0ELNS1_3repE0EEENS1_30default_config_static_selectorELNS0_4arch9wavefront6targetE0EEEvT1_,"axG",@progbits,_ZN7rocprim17ROCPRIM_400000_NS6detail17trampoline_kernelINS0_14default_configENS1_25partition_config_selectorILNS1_17partition_subalgoE6ExNS0_10empty_typeEbEEZZNS1_14partition_implILS5_6ELb0ES3_mN6thrust23THRUST_200600_302600_NS6detail15normal_iteratorINSA_10device_ptrIxEEEEPS6_SG_NS0_5tupleIJSF_S6_EEENSH_IJSG_SG_EEES6_PlJ7is_evenIxEEEE10hipError_tPvRmT3_T4_T5_T6_T7_T9_mT8_P12ihipStream_tbDpT10_ENKUlT_T0_E_clISt17integral_constantIbLb1EES16_EEDaS11_S12_EUlS11_E_NS1_11comp_targetILNS1_3genE0ELNS1_11target_archE4294967295ELNS1_3gpuE0ELNS1_3repE0EEENS1_30default_config_static_selectorELNS0_4arch9wavefront6targetE0EEEvT1_,comdat
	.protected	_ZN7rocprim17ROCPRIM_400000_NS6detail17trampoline_kernelINS0_14default_configENS1_25partition_config_selectorILNS1_17partition_subalgoE6ExNS0_10empty_typeEbEEZZNS1_14partition_implILS5_6ELb0ES3_mN6thrust23THRUST_200600_302600_NS6detail15normal_iteratorINSA_10device_ptrIxEEEEPS6_SG_NS0_5tupleIJSF_S6_EEENSH_IJSG_SG_EEES6_PlJ7is_evenIxEEEE10hipError_tPvRmT3_T4_T5_T6_T7_T9_mT8_P12ihipStream_tbDpT10_ENKUlT_T0_E_clISt17integral_constantIbLb1EES16_EEDaS11_S12_EUlS11_E_NS1_11comp_targetILNS1_3genE0ELNS1_11target_archE4294967295ELNS1_3gpuE0ELNS1_3repE0EEENS1_30default_config_static_selectorELNS0_4arch9wavefront6targetE0EEEvT1_ ; -- Begin function _ZN7rocprim17ROCPRIM_400000_NS6detail17trampoline_kernelINS0_14default_configENS1_25partition_config_selectorILNS1_17partition_subalgoE6ExNS0_10empty_typeEbEEZZNS1_14partition_implILS5_6ELb0ES3_mN6thrust23THRUST_200600_302600_NS6detail15normal_iteratorINSA_10device_ptrIxEEEEPS6_SG_NS0_5tupleIJSF_S6_EEENSH_IJSG_SG_EEES6_PlJ7is_evenIxEEEE10hipError_tPvRmT3_T4_T5_T6_T7_T9_mT8_P12ihipStream_tbDpT10_ENKUlT_T0_E_clISt17integral_constantIbLb1EES16_EEDaS11_S12_EUlS11_E_NS1_11comp_targetILNS1_3genE0ELNS1_11target_archE4294967295ELNS1_3gpuE0ELNS1_3repE0EEENS1_30default_config_static_selectorELNS0_4arch9wavefront6targetE0EEEvT1_
	.globl	_ZN7rocprim17ROCPRIM_400000_NS6detail17trampoline_kernelINS0_14default_configENS1_25partition_config_selectorILNS1_17partition_subalgoE6ExNS0_10empty_typeEbEEZZNS1_14partition_implILS5_6ELb0ES3_mN6thrust23THRUST_200600_302600_NS6detail15normal_iteratorINSA_10device_ptrIxEEEEPS6_SG_NS0_5tupleIJSF_S6_EEENSH_IJSG_SG_EEES6_PlJ7is_evenIxEEEE10hipError_tPvRmT3_T4_T5_T6_T7_T9_mT8_P12ihipStream_tbDpT10_ENKUlT_T0_E_clISt17integral_constantIbLb1EES16_EEDaS11_S12_EUlS11_E_NS1_11comp_targetILNS1_3genE0ELNS1_11target_archE4294967295ELNS1_3gpuE0ELNS1_3repE0EEENS1_30default_config_static_selectorELNS0_4arch9wavefront6targetE0EEEvT1_
	.p2align	8
	.type	_ZN7rocprim17ROCPRIM_400000_NS6detail17trampoline_kernelINS0_14default_configENS1_25partition_config_selectorILNS1_17partition_subalgoE6ExNS0_10empty_typeEbEEZZNS1_14partition_implILS5_6ELb0ES3_mN6thrust23THRUST_200600_302600_NS6detail15normal_iteratorINSA_10device_ptrIxEEEEPS6_SG_NS0_5tupleIJSF_S6_EEENSH_IJSG_SG_EEES6_PlJ7is_evenIxEEEE10hipError_tPvRmT3_T4_T5_T6_T7_T9_mT8_P12ihipStream_tbDpT10_ENKUlT_T0_E_clISt17integral_constantIbLb1EES16_EEDaS11_S12_EUlS11_E_NS1_11comp_targetILNS1_3genE0ELNS1_11target_archE4294967295ELNS1_3gpuE0ELNS1_3repE0EEENS1_30default_config_static_selectorELNS0_4arch9wavefront6targetE0EEEvT1_,@function
_ZN7rocprim17ROCPRIM_400000_NS6detail17trampoline_kernelINS0_14default_configENS1_25partition_config_selectorILNS1_17partition_subalgoE6ExNS0_10empty_typeEbEEZZNS1_14partition_implILS5_6ELb0ES3_mN6thrust23THRUST_200600_302600_NS6detail15normal_iteratorINSA_10device_ptrIxEEEEPS6_SG_NS0_5tupleIJSF_S6_EEENSH_IJSG_SG_EEES6_PlJ7is_evenIxEEEE10hipError_tPvRmT3_T4_T5_T6_T7_T9_mT8_P12ihipStream_tbDpT10_ENKUlT_T0_E_clISt17integral_constantIbLb1EES16_EEDaS11_S12_EUlS11_E_NS1_11comp_targetILNS1_3genE0ELNS1_11target_archE4294967295ELNS1_3gpuE0ELNS1_3repE0EEENS1_30default_config_static_selectorELNS0_4arch9wavefront6targetE0EEEvT1_: ; @_ZN7rocprim17ROCPRIM_400000_NS6detail17trampoline_kernelINS0_14default_configENS1_25partition_config_selectorILNS1_17partition_subalgoE6ExNS0_10empty_typeEbEEZZNS1_14partition_implILS5_6ELb0ES3_mN6thrust23THRUST_200600_302600_NS6detail15normal_iteratorINSA_10device_ptrIxEEEEPS6_SG_NS0_5tupleIJSF_S6_EEENSH_IJSG_SG_EEES6_PlJ7is_evenIxEEEE10hipError_tPvRmT3_T4_T5_T6_T7_T9_mT8_P12ihipStream_tbDpT10_ENKUlT_T0_E_clISt17integral_constantIbLb1EES16_EEDaS11_S12_EUlS11_E_NS1_11comp_targetILNS1_3genE0ELNS1_11target_archE4294967295ELNS1_3gpuE0ELNS1_3repE0EEENS1_30default_config_static_selectorELNS0_4arch9wavefront6targetE0EEEvT1_
; %bb.0:
	.section	.rodata,"a",@progbits
	.p2align	6, 0x0
	.amdhsa_kernel _ZN7rocprim17ROCPRIM_400000_NS6detail17trampoline_kernelINS0_14default_configENS1_25partition_config_selectorILNS1_17partition_subalgoE6ExNS0_10empty_typeEbEEZZNS1_14partition_implILS5_6ELb0ES3_mN6thrust23THRUST_200600_302600_NS6detail15normal_iteratorINSA_10device_ptrIxEEEEPS6_SG_NS0_5tupleIJSF_S6_EEENSH_IJSG_SG_EEES6_PlJ7is_evenIxEEEE10hipError_tPvRmT3_T4_T5_T6_T7_T9_mT8_P12ihipStream_tbDpT10_ENKUlT_T0_E_clISt17integral_constantIbLb1EES16_EEDaS11_S12_EUlS11_E_NS1_11comp_targetILNS1_3genE0ELNS1_11target_archE4294967295ELNS1_3gpuE0ELNS1_3repE0EEENS1_30default_config_static_selectorELNS0_4arch9wavefront6targetE0EEEvT1_
		.amdhsa_group_segment_fixed_size 0
		.amdhsa_private_segment_fixed_size 0
		.amdhsa_kernarg_size 128
		.amdhsa_user_sgpr_count 15
		.amdhsa_user_sgpr_dispatch_ptr 0
		.amdhsa_user_sgpr_queue_ptr 0
		.amdhsa_user_sgpr_kernarg_segment_ptr 1
		.amdhsa_user_sgpr_dispatch_id 0
		.amdhsa_user_sgpr_private_segment_size 0
		.amdhsa_wavefront_size32 1
		.amdhsa_uses_dynamic_stack 0
		.amdhsa_enable_private_segment 0
		.amdhsa_system_sgpr_workgroup_id_x 1
		.amdhsa_system_sgpr_workgroup_id_y 0
		.amdhsa_system_sgpr_workgroup_id_z 0
		.amdhsa_system_sgpr_workgroup_info 0
		.amdhsa_system_vgpr_workitem_id 0
		.amdhsa_next_free_vgpr 1
		.amdhsa_next_free_sgpr 1
		.amdhsa_reserve_vcc 0
		.amdhsa_float_round_mode_32 0
		.amdhsa_float_round_mode_16_64 0
		.amdhsa_float_denorm_mode_32 3
		.amdhsa_float_denorm_mode_16_64 3
		.amdhsa_dx10_clamp 1
		.amdhsa_ieee_mode 1
		.amdhsa_fp16_overflow 0
		.amdhsa_workgroup_processor_mode 1
		.amdhsa_memory_ordered 1
		.amdhsa_forward_progress 0
		.amdhsa_shared_vgpr_count 0
		.amdhsa_exception_fp_ieee_invalid_op 0
		.amdhsa_exception_fp_denorm_src 0
		.amdhsa_exception_fp_ieee_div_zero 0
		.amdhsa_exception_fp_ieee_overflow 0
		.amdhsa_exception_fp_ieee_underflow 0
		.amdhsa_exception_fp_ieee_inexact 0
		.amdhsa_exception_int_div_zero 0
	.end_amdhsa_kernel
	.section	.text._ZN7rocprim17ROCPRIM_400000_NS6detail17trampoline_kernelINS0_14default_configENS1_25partition_config_selectorILNS1_17partition_subalgoE6ExNS0_10empty_typeEbEEZZNS1_14partition_implILS5_6ELb0ES3_mN6thrust23THRUST_200600_302600_NS6detail15normal_iteratorINSA_10device_ptrIxEEEEPS6_SG_NS0_5tupleIJSF_S6_EEENSH_IJSG_SG_EEES6_PlJ7is_evenIxEEEE10hipError_tPvRmT3_T4_T5_T6_T7_T9_mT8_P12ihipStream_tbDpT10_ENKUlT_T0_E_clISt17integral_constantIbLb1EES16_EEDaS11_S12_EUlS11_E_NS1_11comp_targetILNS1_3genE0ELNS1_11target_archE4294967295ELNS1_3gpuE0ELNS1_3repE0EEENS1_30default_config_static_selectorELNS0_4arch9wavefront6targetE0EEEvT1_,"axG",@progbits,_ZN7rocprim17ROCPRIM_400000_NS6detail17trampoline_kernelINS0_14default_configENS1_25partition_config_selectorILNS1_17partition_subalgoE6ExNS0_10empty_typeEbEEZZNS1_14partition_implILS5_6ELb0ES3_mN6thrust23THRUST_200600_302600_NS6detail15normal_iteratorINSA_10device_ptrIxEEEEPS6_SG_NS0_5tupleIJSF_S6_EEENSH_IJSG_SG_EEES6_PlJ7is_evenIxEEEE10hipError_tPvRmT3_T4_T5_T6_T7_T9_mT8_P12ihipStream_tbDpT10_ENKUlT_T0_E_clISt17integral_constantIbLb1EES16_EEDaS11_S12_EUlS11_E_NS1_11comp_targetILNS1_3genE0ELNS1_11target_archE4294967295ELNS1_3gpuE0ELNS1_3repE0EEENS1_30default_config_static_selectorELNS0_4arch9wavefront6targetE0EEEvT1_,comdat
.Lfunc_end368:
	.size	_ZN7rocprim17ROCPRIM_400000_NS6detail17trampoline_kernelINS0_14default_configENS1_25partition_config_selectorILNS1_17partition_subalgoE6ExNS0_10empty_typeEbEEZZNS1_14partition_implILS5_6ELb0ES3_mN6thrust23THRUST_200600_302600_NS6detail15normal_iteratorINSA_10device_ptrIxEEEEPS6_SG_NS0_5tupleIJSF_S6_EEENSH_IJSG_SG_EEES6_PlJ7is_evenIxEEEE10hipError_tPvRmT3_T4_T5_T6_T7_T9_mT8_P12ihipStream_tbDpT10_ENKUlT_T0_E_clISt17integral_constantIbLb1EES16_EEDaS11_S12_EUlS11_E_NS1_11comp_targetILNS1_3genE0ELNS1_11target_archE4294967295ELNS1_3gpuE0ELNS1_3repE0EEENS1_30default_config_static_selectorELNS0_4arch9wavefront6targetE0EEEvT1_, .Lfunc_end368-_ZN7rocprim17ROCPRIM_400000_NS6detail17trampoline_kernelINS0_14default_configENS1_25partition_config_selectorILNS1_17partition_subalgoE6ExNS0_10empty_typeEbEEZZNS1_14partition_implILS5_6ELb0ES3_mN6thrust23THRUST_200600_302600_NS6detail15normal_iteratorINSA_10device_ptrIxEEEEPS6_SG_NS0_5tupleIJSF_S6_EEENSH_IJSG_SG_EEES6_PlJ7is_evenIxEEEE10hipError_tPvRmT3_T4_T5_T6_T7_T9_mT8_P12ihipStream_tbDpT10_ENKUlT_T0_E_clISt17integral_constantIbLb1EES16_EEDaS11_S12_EUlS11_E_NS1_11comp_targetILNS1_3genE0ELNS1_11target_archE4294967295ELNS1_3gpuE0ELNS1_3repE0EEENS1_30default_config_static_selectorELNS0_4arch9wavefront6targetE0EEEvT1_
                                        ; -- End function
	.section	.AMDGPU.csdata,"",@progbits
; Kernel info:
; codeLenInByte = 0
; NumSgprs: 0
; NumVgprs: 0
; ScratchSize: 0
; MemoryBound: 0
; FloatMode: 240
; IeeeMode: 1
; LDSByteSize: 0 bytes/workgroup (compile time only)
; SGPRBlocks: 0
; VGPRBlocks: 0
; NumSGPRsForWavesPerEU: 1
; NumVGPRsForWavesPerEU: 1
; Occupancy: 16
; WaveLimiterHint : 0
; COMPUTE_PGM_RSRC2:SCRATCH_EN: 0
; COMPUTE_PGM_RSRC2:USER_SGPR: 15
; COMPUTE_PGM_RSRC2:TRAP_HANDLER: 0
; COMPUTE_PGM_RSRC2:TGID_X_EN: 1
; COMPUTE_PGM_RSRC2:TGID_Y_EN: 0
; COMPUTE_PGM_RSRC2:TGID_Z_EN: 0
; COMPUTE_PGM_RSRC2:TIDIG_COMP_CNT: 0
	.section	.text._ZN7rocprim17ROCPRIM_400000_NS6detail17trampoline_kernelINS0_14default_configENS1_25partition_config_selectorILNS1_17partition_subalgoE6ExNS0_10empty_typeEbEEZZNS1_14partition_implILS5_6ELb0ES3_mN6thrust23THRUST_200600_302600_NS6detail15normal_iteratorINSA_10device_ptrIxEEEEPS6_SG_NS0_5tupleIJSF_S6_EEENSH_IJSG_SG_EEES6_PlJ7is_evenIxEEEE10hipError_tPvRmT3_T4_T5_T6_T7_T9_mT8_P12ihipStream_tbDpT10_ENKUlT_T0_E_clISt17integral_constantIbLb1EES16_EEDaS11_S12_EUlS11_E_NS1_11comp_targetILNS1_3genE5ELNS1_11target_archE942ELNS1_3gpuE9ELNS1_3repE0EEENS1_30default_config_static_selectorELNS0_4arch9wavefront6targetE0EEEvT1_,"axG",@progbits,_ZN7rocprim17ROCPRIM_400000_NS6detail17trampoline_kernelINS0_14default_configENS1_25partition_config_selectorILNS1_17partition_subalgoE6ExNS0_10empty_typeEbEEZZNS1_14partition_implILS5_6ELb0ES3_mN6thrust23THRUST_200600_302600_NS6detail15normal_iteratorINSA_10device_ptrIxEEEEPS6_SG_NS0_5tupleIJSF_S6_EEENSH_IJSG_SG_EEES6_PlJ7is_evenIxEEEE10hipError_tPvRmT3_T4_T5_T6_T7_T9_mT8_P12ihipStream_tbDpT10_ENKUlT_T0_E_clISt17integral_constantIbLb1EES16_EEDaS11_S12_EUlS11_E_NS1_11comp_targetILNS1_3genE5ELNS1_11target_archE942ELNS1_3gpuE9ELNS1_3repE0EEENS1_30default_config_static_selectorELNS0_4arch9wavefront6targetE0EEEvT1_,comdat
	.protected	_ZN7rocprim17ROCPRIM_400000_NS6detail17trampoline_kernelINS0_14default_configENS1_25partition_config_selectorILNS1_17partition_subalgoE6ExNS0_10empty_typeEbEEZZNS1_14partition_implILS5_6ELb0ES3_mN6thrust23THRUST_200600_302600_NS6detail15normal_iteratorINSA_10device_ptrIxEEEEPS6_SG_NS0_5tupleIJSF_S6_EEENSH_IJSG_SG_EEES6_PlJ7is_evenIxEEEE10hipError_tPvRmT3_T4_T5_T6_T7_T9_mT8_P12ihipStream_tbDpT10_ENKUlT_T0_E_clISt17integral_constantIbLb1EES16_EEDaS11_S12_EUlS11_E_NS1_11comp_targetILNS1_3genE5ELNS1_11target_archE942ELNS1_3gpuE9ELNS1_3repE0EEENS1_30default_config_static_selectorELNS0_4arch9wavefront6targetE0EEEvT1_ ; -- Begin function _ZN7rocprim17ROCPRIM_400000_NS6detail17trampoline_kernelINS0_14default_configENS1_25partition_config_selectorILNS1_17partition_subalgoE6ExNS0_10empty_typeEbEEZZNS1_14partition_implILS5_6ELb0ES3_mN6thrust23THRUST_200600_302600_NS6detail15normal_iteratorINSA_10device_ptrIxEEEEPS6_SG_NS0_5tupleIJSF_S6_EEENSH_IJSG_SG_EEES6_PlJ7is_evenIxEEEE10hipError_tPvRmT3_T4_T5_T6_T7_T9_mT8_P12ihipStream_tbDpT10_ENKUlT_T0_E_clISt17integral_constantIbLb1EES16_EEDaS11_S12_EUlS11_E_NS1_11comp_targetILNS1_3genE5ELNS1_11target_archE942ELNS1_3gpuE9ELNS1_3repE0EEENS1_30default_config_static_selectorELNS0_4arch9wavefront6targetE0EEEvT1_
	.globl	_ZN7rocprim17ROCPRIM_400000_NS6detail17trampoline_kernelINS0_14default_configENS1_25partition_config_selectorILNS1_17partition_subalgoE6ExNS0_10empty_typeEbEEZZNS1_14partition_implILS5_6ELb0ES3_mN6thrust23THRUST_200600_302600_NS6detail15normal_iteratorINSA_10device_ptrIxEEEEPS6_SG_NS0_5tupleIJSF_S6_EEENSH_IJSG_SG_EEES6_PlJ7is_evenIxEEEE10hipError_tPvRmT3_T4_T5_T6_T7_T9_mT8_P12ihipStream_tbDpT10_ENKUlT_T0_E_clISt17integral_constantIbLb1EES16_EEDaS11_S12_EUlS11_E_NS1_11comp_targetILNS1_3genE5ELNS1_11target_archE942ELNS1_3gpuE9ELNS1_3repE0EEENS1_30default_config_static_selectorELNS0_4arch9wavefront6targetE0EEEvT1_
	.p2align	8
	.type	_ZN7rocprim17ROCPRIM_400000_NS6detail17trampoline_kernelINS0_14default_configENS1_25partition_config_selectorILNS1_17partition_subalgoE6ExNS0_10empty_typeEbEEZZNS1_14partition_implILS5_6ELb0ES3_mN6thrust23THRUST_200600_302600_NS6detail15normal_iteratorINSA_10device_ptrIxEEEEPS6_SG_NS0_5tupleIJSF_S6_EEENSH_IJSG_SG_EEES6_PlJ7is_evenIxEEEE10hipError_tPvRmT3_T4_T5_T6_T7_T9_mT8_P12ihipStream_tbDpT10_ENKUlT_T0_E_clISt17integral_constantIbLb1EES16_EEDaS11_S12_EUlS11_E_NS1_11comp_targetILNS1_3genE5ELNS1_11target_archE942ELNS1_3gpuE9ELNS1_3repE0EEENS1_30default_config_static_selectorELNS0_4arch9wavefront6targetE0EEEvT1_,@function
_ZN7rocprim17ROCPRIM_400000_NS6detail17trampoline_kernelINS0_14default_configENS1_25partition_config_selectorILNS1_17partition_subalgoE6ExNS0_10empty_typeEbEEZZNS1_14partition_implILS5_6ELb0ES3_mN6thrust23THRUST_200600_302600_NS6detail15normal_iteratorINSA_10device_ptrIxEEEEPS6_SG_NS0_5tupleIJSF_S6_EEENSH_IJSG_SG_EEES6_PlJ7is_evenIxEEEE10hipError_tPvRmT3_T4_T5_T6_T7_T9_mT8_P12ihipStream_tbDpT10_ENKUlT_T0_E_clISt17integral_constantIbLb1EES16_EEDaS11_S12_EUlS11_E_NS1_11comp_targetILNS1_3genE5ELNS1_11target_archE942ELNS1_3gpuE9ELNS1_3repE0EEENS1_30default_config_static_selectorELNS0_4arch9wavefront6targetE0EEEvT1_: ; @_ZN7rocprim17ROCPRIM_400000_NS6detail17trampoline_kernelINS0_14default_configENS1_25partition_config_selectorILNS1_17partition_subalgoE6ExNS0_10empty_typeEbEEZZNS1_14partition_implILS5_6ELb0ES3_mN6thrust23THRUST_200600_302600_NS6detail15normal_iteratorINSA_10device_ptrIxEEEEPS6_SG_NS0_5tupleIJSF_S6_EEENSH_IJSG_SG_EEES6_PlJ7is_evenIxEEEE10hipError_tPvRmT3_T4_T5_T6_T7_T9_mT8_P12ihipStream_tbDpT10_ENKUlT_T0_E_clISt17integral_constantIbLb1EES16_EEDaS11_S12_EUlS11_E_NS1_11comp_targetILNS1_3genE5ELNS1_11target_archE942ELNS1_3gpuE9ELNS1_3repE0EEENS1_30default_config_static_selectorELNS0_4arch9wavefront6targetE0EEEvT1_
; %bb.0:
	.section	.rodata,"a",@progbits
	.p2align	6, 0x0
	.amdhsa_kernel _ZN7rocprim17ROCPRIM_400000_NS6detail17trampoline_kernelINS0_14default_configENS1_25partition_config_selectorILNS1_17partition_subalgoE6ExNS0_10empty_typeEbEEZZNS1_14partition_implILS5_6ELb0ES3_mN6thrust23THRUST_200600_302600_NS6detail15normal_iteratorINSA_10device_ptrIxEEEEPS6_SG_NS0_5tupleIJSF_S6_EEENSH_IJSG_SG_EEES6_PlJ7is_evenIxEEEE10hipError_tPvRmT3_T4_T5_T6_T7_T9_mT8_P12ihipStream_tbDpT10_ENKUlT_T0_E_clISt17integral_constantIbLb1EES16_EEDaS11_S12_EUlS11_E_NS1_11comp_targetILNS1_3genE5ELNS1_11target_archE942ELNS1_3gpuE9ELNS1_3repE0EEENS1_30default_config_static_selectorELNS0_4arch9wavefront6targetE0EEEvT1_
		.amdhsa_group_segment_fixed_size 0
		.amdhsa_private_segment_fixed_size 0
		.amdhsa_kernarg_size 128
		.amdhsa_user_sgpr_count 15
		.amdhsa_user_sgpr_dispatch_ptr 0
		.amdhsa_user_sgpr_queue_ptr 0
		.amdhsa_user_sgpr_kernarg_segment_ptr 1
		.amdhsa_user_sgpr_dispatch_id 0
		.amdhsa_user_sgpr_private_segment_size 0
		.amdhsa_wavefront_size32 1
		.amdhsa_uses_dynamic_stack 0
		.amdhsa_enable_private_segment 0
		.amdhsa_system_sgpr_workgroup_id_x 1
		.amdhsa_system_sgpr_workgroup_id_y 0
		.amdhsa_system_sgpr_workgroup_id_z 0
		.amdhsa_system_sgpr_workgroup_info 0
		.amdhsa_system_vgpr_workitem_id 0
		.amdhsa_next_free_vgpr 1
		.amdhsa_next_free_sgpr 1
		.amdhsa_reserve_vcc 0
		.amdhsa_float_round_mode_32 0
		.amdhsa_float_round_mode_16_64 0
		.amdhsa_float_denorm_mode_32 3
		.amdhsa_float_denorm_mode_16_64 3
		.amdhsa_dx10_clamp 1
		.amdhsa_ieee_mode 1
		.amdhsa_fp16_overflow 0
		.amdhsa_workgroup_processor_mode 1
		.amdhsa_memory_ordered 1
		.amdhsa_forward_progress 0
		.amdhsa_shared_vgpr_count 0
		.amdhsa_exception_fp_ieee_invalid_op 0
		.amdhsa_exception_fp_denorm_src 0
		.amdhsa_exception_fp_ieee_div_zero 0
		.amdhsa_exception_fp_ieee_overflow 0
		.amdhsa_exception_fp_ieee_underflow 0
		.amdhsa_exception_fp_ieee_inexact 0
		.amdhsa_exception_int_div_zero 0
	.end_amdhsa_kernel
	.section	.text._ZN7rocprim17ROCPRIM_400000_NS6detail17trampoline_kernelINS0_14default_configENS1_25partition_config_selectorILNS1_17partition_subalgoE6ExNS0_10empty_typeEbEEZZNS1_14partition_implILS5_6ELb0ES3_mN6thrust23THRUST_200600_302600_NS6detail15normal_iteratorINSA_10device_ptrIxEEEEPS6_SG_NS0_5tupleIJSF_S6_EEENSH_IJSG_SG_EEES6_PlJ7is_evenIxEEEE10hipError_tPvRmT3_T4_T5_T6_T7_T9_mT8_P12ihipStream_tbDpT10_ENKUlT_T0_E_clISt17integral_constantIbLb1EES16_EEDaS11_S12_EUlS11_E_NS1_11comp_targetILNS1_3genE5ELNS1_11target_archE942ELNS1_3gpuE9ELNS1_3repE0EEENS1_30default_config_static_selectorELNS0_4arch9wavefront6targetE0EEEvT1_,"axG",@progbits,_ZN7rocprim17ROCPRIM_400000_NS6detail17trampoline_kernelINS0_14default_configENS1_25partition_config_selectorILNS1_17partition_subalgoE6ExNS0_10empty_typeEbEEZZNS1_14partition_implILS5_6ELb0ES3_mN6thrust23THRUST_200600_302600_NS6detail15normal_iteratorINSA_10device_ptrIxEEEEPS6_SG_NS0_5tupleIJSF_S6_EEENSH_IJSG_SG_EEES6_PlJ7is_evenIxEEEE10hipError_tPvRmT3_T4_T5_T6_T7_T9_mT8_P12ihipStream_tbDpT10_ENKUlT_T0_E_clISt17integral_constantIbLb1EES16_EEDaS11_S12_EUlS11_E_NS1_11comp_targetILNS1_3genE5ELNS1_11target_archE942ELNS1_3gpuE9ELNS1_3repE0EEENS1_30default_config_static_selectorELNS0_4arch9wavefront6targetE0EEEvT1_,comdat
.Lfunc_end369:
	.size	_ZN7rocprim17ROCPRIM_400000_NS6detail17trampoline_kernelINS0_14default_configENS1_25partition_config_selectorILNS1_17partition_subalgoE6ExNS0_10empty_typeEbEEZZNS1_14partition_implILS5_6ELb0ES3_mN6thrust23THRUST_200600_302600_NS6detail15normal_iteratorINSA_10device_ptrIxEEEEPS6_SG_NS0_5tupleIJSF_S6_EEENSH_IJSG_SG_EEES6_PlJ7is_evenIxEEEE10hipError_tPvRmT3_T4_T5_T6_T7_T9_mT8_P12ihipStream_tbDpT10_ENKUlT_T0_E_clISt17integral_constantIbLb1EES16_EEDaS11_S12_EUlS11_E_NS1_11comp_targetILNS1_3genE5ELNS1_11target_archE942ELNS1_3gpuE9ELNS1_3repE0EEENS1_30default_config_static_selectorELNS0_4arch9wavefront6targetE0EEEvT1_, .Lfunc_end369-_ZN7rocprim17ROCPRIM_400000_NS6detail17trampoline_kernelINS0_14default_configENS1_25partition_config_selectorILNS1_17partition_subalgoE6ExNS0_10empty_typeEbEEZZNS1_14partition_implILS5_6ELb0ES3_mN6thrust23THRUST_200600_302600_NS6detail15normal_iteratorINSA_10device_ptrIxEEEEPS6_SG_NS0_5tupleIJSF_S6_EEENSH_IJSG_SG_EEES6_PlJ7is_evenIxEEEE10hipError_tPvRmT3_T4_T5_T6_T7_T9_mT8_P12ihipStream_tbDpT10_ENKUlT_T0_E_clISt17integral_constantIbLb1EES16_EEDaS11_S12_EUlS11_E_NS1_11comp_targetILNS1_3genE5ELNS1_11target_archE942ELNS1_3gpuE9ELNS1_3repE0EEENS1_30default_config_static_selectorELNS0_4arch9wavefront6targetE0EEEvT1_
                                        ; -- End function
	.section	.AMDGPU.csdata,"",@progbits
; Kernel info:
; codeLenInByte = 0
; NumSgprs: 0
; NumVgprs: 0
; ScratchSize: 0
; MemoryBound: 0
; FloatMode: 240
; IeeeMode: 1
; LDSByteSize: 0 bytes/workgroup (compile time only)
; SGPRBlocks: 0
; VGPRBlocks: 0
; NumSGPRsForWavesPerEU: 1
; NumVGPRsForWavesPerEU: 1
; Occupancy: 16
; WaveLimiterHint : 0
; COMPUTE_PGM_RSRC2:SCRATCH_EN: 0
; COMPUTE_PGM_RSRC2:USER_SGPR: 15
; COMPUTE_PGM_RSRC2:TRAP_HANDLER: 0
; COMPUTE_PGM_RSRC2:TGID_X_EN: 1
; COMPUTE_PGM_RSRC2:TGID_Y_EN: 0
; COMPUTE_PGM_RSRC2:TGID_Z_EN: 0
; COMPUTE_PGM_RSRC2:TIDIG_COMP_CNT: 0
	.section	.text._ZN7rocprim17ROCPRIM_400000_NS6detail17trampoline_kernelINS0_14default_configENS1_25partition_config_selectorILNS1_17partition_subalgoE6ExNS0_10empty_typeEbEEZZNS1_14partition_implILS5_6ELb0ES3_mN6thrust23THRUST_200600_302600_NS6detail15normal_iteratorINSA_10device_ptrIxEEEEPS6_SG_NS0_5tupleIJSF_S6_EEENSH_IJSG_SG_EEES6_PlJ7is_evenIxEEEE10hipError_tPvRmT3_T4_T5_T6_T7_T9_mT8_P12ihipStream_tbDpT10_ENKUlT_T0_E_clISt17integral_constantIbLb1EES16_EEDaS11_S12_EUlS11_E_NS1_11comp_targetILNS1_3genE4ELNS1_11target_archE910ELNS1_3gpuE8ELNS1_3repE0EEENS1_30default_config_static_selectorELNS0_4arch9wavefront6targetE0EEEvT1_,"axG",@progbits,_ZN7rocprim17ROCPRIM_400000_NS6detail17trampoline_kernelINS0_14default_configENS1_25partition_config_selectorILNS1_17partition_subalgoE6ExNS0_10empty_typeEbEEZZNS1_14partition_implILS5_6ELb0ES3_mN6thrust23THRUST_200600_302600_NS6detail15normal_iteratorINSA_10device_ptrIxEEEEPS6_SG_NS0_5tupleIJSF_S6_EEENSH_IJSG_SG_EEES6_PlJ7is_evenIxEEEE10hipError_tPvRmT3_T4_T5_T6_T7_T9_mT8_P12ihipStream_tbDpT10_ENKUlT_T0_E_clISt17integral_constantIbLb1EES16_EEDaS11_S12_EUlS11_E_NS1_11comp_targetILNS1_3genE4ELNS1_11target_archE910ELNS1_3gpuE8ELNS1_3repE0EEENS1_30default_config_static_selectorELNS0_4arch9wavefront6targetE0EEEvT1_,comdat
	.protected	_ZN7rocprim17ROCPRIM_400000_NS6detail17trampoline_kernelINS0_14default_configENS1_25partition_config_selectorILNS1_17partition_subalgoE6ExNS0_10empty_typeEbEEZZNS1_14partition_implILS5_6ELb0ES3_mN6thrust23THRUST_200600_302600_NS6detail15normal_iteratorINSA_10device_ptrIxEEEEPS6_SG_NS0_5tupleIJSF_S6_EEENSH_IJSG_SG_EEES6_PlJ7is_evenIxEEEE10hipError_tPvRmT3_T4_T5_T6_T7_T9_mT8_P12ihipStream_tbDpT10_ENKUlT_T0_E_clISt17integral_constantIbLb1EES16_EEDaS11_S12_EUlS11_E_NS1_11comp_targetILNS1_3genE4ELNS1_11target_archE910ELNS1_3gpuE8ELNS1_3repE0EEENS1_30default_config_static_selectorELNS0_4arch9wavefront6targetE0EEEvT1_ ; -- Begin function _ZN7rocprim17ROCPRIM_400000_NS6detail17trampoline_kernelINS0_14default_configENS1_25partition_config_selectorILNS1_17partition_subalgoE6ExNS0_10empty_typeEbEEZZNS1_14partition_implILS5_6ELb0ES3_mN6thrust23THRUST_200600_302600_NS6detail15normal_iteratorINSA_10device_ptrIxEEEEPS6_SG_NS0_5tupleIJSF_S6_EEENSH_IJSG_SG_EEES6_PlJ7is_evenIxEEEE10hipError_tPvRmT3_T4_T5_T6_T7_T9_mT8_P12ihipStream_tbDpT10_ENKUlT_T0_E_clISt17integral_constantIbLb1EES16_EEDaS11_S12_EUlS11_E_NS1_11comp_targetILNS1_3genE4ELNS1_11target_archE910ELNS1_3gpuE8ELNS1_3repE0EEENS1_30default_config_static_selectorELNS0_4arch9wavefront6targetE0EEEvT1_
	.globl	_ZN7rocprim17ROCPRIM_400000_NS6detail17trampoline_kernelINS0_14default_configENS1_25partition_config_selectorILNS1_17partition_subalgoE6ExNS0_10empty_typeEbEEZZNS1_14partition_implILS5_6ELb0ES3_mN6thrust23THRUST_200600_302600_NS6detail15normal_iteratorINSA_10device_ptrIxEEEEPS6_SG_NS0_5tupleIJSF_S6_EEENSH_IJSG_SG_EEES6_PlJ7is_evenIxEEEE10hipError_tPvRmT3_T4_T5_T6_T7_T9_mT8_P12ihipStream_tbDpT10_ENKUlT_T0_E_clISt17integral_constantIbLb1EES16_EEDaS11_S12_EUlS11_E_NS1_11comp_targetILNS1_3genE4ELNS1_11target_archE910ELNS1_3gpuE8ELNS1_3repE0EEENS1_30default_config_static_selectorELNS0_4arch9wavefront6targetE0EEEvT1_
	.p2align	8
	.type	_ZN7rocprim17ROCPRIM_400000_NS6detail17trampoline_kernelINS0_14default_configENS1_25partition_config_selectorILNS1_17partition_subalgoE6ExNS0_10empty_typeEbEEZZNS1_14partition_implILS5_6ELb0ES3_mN6thrust23THRUST_200600_302600_NS6detail15normal_iteratorINSA_10device_ptrIxEEEEPS6_SG_NS0_5tupleIJSF_S6_EEENSH_IJSG_SG_EEES6_PlJ7is_evenIxEEEE10hipError_tPvRmT3_T4_T5_T6_T7_T9_mT8_P12ihipStream_tbDpT10_ENKUlT_T0_E_clISt17integral_constantIbLb1EES16_EEDaS11_S12_EUlS11_E_NS1_11comp_targetILNS1_3genE4ELNS1_11target_archE910ELNS1_3gpuE8ELNS1_3repE0EEENS1_30default_config_static_selectorELNS0_4arch9wavefront6targetE0EEEvT1_,@function
_ZN7rocprim17ROCPRIM_400000_NS6detail17trampoline_kernelINS0_14default_configENS1_25partition_config_selectorILNS1_17partition_subalgoE6ExNS0_10empty_typeEbEEZZNS1_14partition_implILS5_6ELb0ES3_mN6thrust23THRUST_200600_302600_NS6detail15normal_iteratorINSA_10device_ptrIxEEEEPS6_SG_NS0_5tupleIJSF_S6_EEENSH_IJSG_SG_EEES6_PlJ7is_evenIxEEEE10hipError_tPvRmT3_T4_T5_T6_T7_T9_mT8_P12ihipStream_tbDpT10_ENKUlT_T0_E_clISt17integral_constantIbLb1EES16_EEDaS11_S12_EUlS11_E_NS1_11comp_targetILNS1_3genE4ELNS1_11target_archE910ELNS1_3gpuE8ELNS1_3repE0EEENS1_30default_config_static_selectorELNS0_4arch9wavefront6targetE0EEEvT1_: ; @_ZN7rocprim17ROCPRIM_400000_NS6detail17trampoline_kernelINS0_14default_configENS1_25partition_config_selectorILNS1_17partition_subalgoE6ExNS0_10empty_typeEbEEZZNS1_14partition_implILS5_6ELb0ES3_mN6thrust23THRUST_200600_302600_NS6detail15normal_iteratorINSA_10device_ptrIxEEEEPS6_SG_NS0_5tupleIJSF_S6_EEENSH_IJSG_SG_EEES6_PlJ7is_evenIxEEEE10hipError_tPvRmT3_T4_T5_T6_T7_T9_mT8_P12ihipStream_tbDpT10_ENKUlT_T0_E_clISt17integral_constantIbLb1EES16_EEDaS11_S12_EUlS11_E_NS1_11comp_targetILNS1_3genE4ELNS1_11target_archE910ELNS1_3gpuE8ELNS1_3repE0EEENS1_30default_config_static_selectorELNS0_4arch9wavefront6targetE0EEEvT1_
; %bb.0:
	.section	.rodata,"a",@progbits
	.p2align	6, 0x0
	.amdhsa_kernel _ZN7rocprim17ROCPRIM_400000_NS6detail17trampoline_kernelINS0_14default_configENS1_25partition_config_selectorILNS1_17partition_subalgoE6ExNS0_10empty_typeEbEEZZNS1_14partition_implILS5_6ELb0ES3_mN6thrust23THRUST_200600_302600_NS6detail15normal_iteratorINSA_10device_ptrIxEEEEPS6_SG_NS0_5tupleIJSF_S6_EEENSH_IJSG_SG_EEES6_PlJ7is_evenIxEEEE10hipError_tPvRmT3_T4_T5_T6_T7_T9_mT8_P12ihipStream_tbDpT10_ENKUlT_T0_E_clISt17integral_constantIbLb1EES16_EEDaS11_S12_EUlS11_E_NS1_11comp_targetILNS1_3genE4ELNS1_11target_archE910ELNS1_3gpuE8ELNS1_3repE0EEENS1_30default_config_static_selectorELNS0_4arch9wavefront6targetE0EEEvT1_
		.amdhsa_group_segment_fixed_size 0
		.amdhsa_private_segment_fixed_size 0
		.amdhsa_kernarg_size 128
		.amdhsa_user_sgpr_count 15
		.amdhsa_user_sgpr_dispatch_ptr 0
		.amdhsa_user_sgpr_queue_ptr 0
		.amdhsa_user_sgpr_kernarg_segment_ptr 1
		.amdhsa_user_sgpr_dispatch_id 0
		.amdhsa_user_sgpr_private_segment_size 0
		.amdhsa_wavefront_size32 1
		.amdhsa_uses_dynamic_stack 0
		.amdhsa_enable_private_segment 0
		.amdhsa_system_sgpr_workgroup_id_x 1
		.amdhsa_system_sgpr_workgroup_id_y 0
		.amdhsa_system_sgpr_workgroup_id_z 0
		.amdhsa_system_sgpr_workgroup_info 0
		.amdhsa_system_vgpr_workitem_id 0
		.amdhsa_next_free_vgpr 1
		.amdhsa_next_free_sgpr 1
		.amdhsa_reserve_vcc 0
		.amdhsa_float_round_mode_32 0
		.amdhsa_float_round_mode_16_64 0
		.amdhsa_float_denorm_mode_32 3
		.amdhsa_float_denorm_mode_16_64 3
		.amdhsa_dx10_clamp 1
		.amdhsa_ieee_mode 1
		.amdhsa_fp16_overflow 0
		.amdhsa_workgroup_processor_mode 1
		.amdhsa_memory_ordered 1
		.amdhsa_forward_progress 0
		.amdhsa_shared_vgpr_count 0
		.amdhsa_exception_fp_ieee_invalid_op 0
		.amdhsa_exception_fp_denorm_src 0
		.amdhsa_exception_fp_ieee_div_zero 0
		.amdhsa_exception_fp_ieee_overflow 0
		.amdhsa_exception_fp_ieee_underflow 0
		.amdhsa_exception_fp_ieee_inexact 0
		.amdhsa_exception_int_div_zero 0
	.end_amdhsa_kernel
	.section	.text._ZN7rocprim17ROCPRIM_400000_NS6detail17trampoline_kernelINS0_14default_configENS1_25partition_config_selectorILNS1_17partition_subalgoE6ExNS0_10empty_typeEbEEZZNS1_14partition_implILS5_6ELb0ES3_mN6thrust23THRUST_200600_302600_NS6detail15normal_iteratorINSA_10device_ptrIxEEEEPS6_SG_NS0_5tupleIJSF_S6_EEENSH_IJSG_SG_EEES6_PlJ7is_evenIxEEEE10hipError_tPvRmT3_T4_T5_T6_T7_T9_mT8_P12ihipStream_tbDpT10_ENKUlT_T0_E_clISt17integral_constantIbLb1EES16_EEDaS11_S12_EUlS11_E_NS1_11comp_targetILNS1_3genE4ELNS1_11target_archE910ELNS1_3gpuE8ELNS1_3repE0EEENS1_30default_config_static_selectorELNS0_4arch9wavefront6targetE0EEEvT1_,"axG",@progbits,_ZN7rocprim17ROCPRIM_400000_NS6detail17trampoline_kernelINS0_14default_configENS1_25partition_config_selectorILNS1_17partition_subalgoE6ExNS0_10empty_typeEbEEZZNS1_14partition_implILS5_6ELb0ES3_mN6thrust23THRUST_200600_302600_NS6detail15normal_iteratorINSA_10device_ptrIxEEEEPS6_SG_NS0_5tupleIJSF_S6_EEENSH_IJSG_SG_EEES6_PlJ7is_evenIxEEEE10hipError_tPvRmT3_T4_T5_T6_T7_T9_mT8_P12ihipStream_tbDpT10_ENKUlT_T0_E_clISt17integral_constantIbLb1EES16_EEDaS11_S12_EUlS11_E_NS1_11comp_targetILNS1_3genE4ELNS1_11target_archE910ELNS1_3gpuE8ELNS1_3repE0EEENS1_30default_config_static_selectorELNS0_4arch9wavefront6targetE0EEEvT1_,comdat
.Lfunc_end370:
	.size	_ZN7rocprim17ROCPRIM_400000_NS6detail17trampoline_kernelINS0_14default_configENS1_25partition_config_selectorILNS1_17partition_subalgoE6ExNS0_10empty_typeEbEEZZNS1_14partition_implILS5_6ELb0ES3_mN6thrust23THRUST_200600_302600_NS6detail15normal_iteratorINSA_10device_ptrIxEEEEPS6_SG_NS0_5tupleIJSF_S6_EEENSH_IJSG_SG_EEES6_PlJ7is_evenIxEEEE10hipError_tPvRmT3_T4_T5_T6_T7_T9_mT8_P12ihipStream_tbDpT10_ENKUlT_T0_E_clISt17integral_constantIbLb1EES16_EEDaS11_S12_EUlS11_E_NS1_11comp_targetILNS1_3genE4ELNS1_11target_archE910ELNS1_3gpuE8ELNS1_3repE0EEENS1_30default_config_static_selectorELNS0_4arch9wavefront6targetE0EEEvT1_, .Lfunc_end370-_ZN7rocprim17ROCPRIM_400000_NS6detail17trampoline_kernelINS0_14default_configENS1_25partition_config_selectorILNS1_17partition_subalgoE6ExNS0_10empty_typeEbEEZZNS1_14partition_implILS5_6ELb0ES3_mN6thrust23THRUST_200600_302600_NS6detail15normal_iteratorINSA_10device_ptrIxEEEEPS6_SG_NS0_5tupleIJSF_S6_EEENSH_IJSG_SG_EEES6_PlJ7is_evenIxEEEE10hipError_tPvRmT3_T4_T5_T6_T7_T9_mT8_P12ihipStream_tbDpT10_ENKUlT_T0_E_clISt17integral_constantIbLb1EES16_EEDaS11_S12_EUlS11_E_NS1_11comp_targetILNS1_3genE4ELNS1_11target_archE910ELNS1_3gpuE8ELNS1_3repE0EEENS1_30default_config_static_selectorELNS0_4arch9wavefront6targetE0EEEvT1_
                                        ; -- End function
	.section	.AMDGPU.csdata,"",@progbits
; Kernel info:
; codeLenInByte = 0
; NumSgprs: 0
; NumVgprs: 0
; ScratchSize: 0
; MemoryBound: 0
; FloatMode: 240
; IeeeMode: 1
; LDSByteSize: 0 bytes/workgroup (compile time only)
; SGPRBlocks: 0
; VGPRBlocks: 0
; NumSGPRsForWavesPerEU: 1
; NumVGPRsForWavesPerEU: 1
; Occupancy: 16
; WaveLimiterHint : 0
; COMPUTE_PGM_RSRC2:SCRATCH_EN: 0
; COMPUTE_PGM_RSRC2:USER_SGPR: 15
; COMPUTE_PGM_RSRC2:TRAP_HANDLER: 0
; COMPUTE_PGM_RSRC2:TGID_X_EN: 1
; COMPUTE_PGM_RSRC2:TGID_Y_EN: 0
; COMPUTE_PGM_RSRC2:TGID_Z_EN: 0
; COMPUTE_PGM_RSRC2:TIDIG_COMP_CNT: 0
	.section	.text._ZN7rocprim17ROCPRIM_400000_NS6detail17trampoline_kernelINS0_14default_configENS1_25partition_config_selectorILNS1_17partition_subalgoE6ExNS0_10empty_typeEbEEZZNS1_14partition_implILS5_6ELb0ES3_mN6thrust23THRUST_200600_302600_NS6detail15normal_iteratorINSA_10device_ptrIxEEEEPS6_SG_NS0_5tupleIJSF_S6_EEENSH_IJSG_SG_EEES6_PlJ7is_evenIxEEEE10hipError_tPvRmT3_T4_T5_T6_T7_T9_mT8_P12ihipStream_tbDpT10_ENKUlT_T0_E_clISt17integral_constantIbLb1EES16_EEDaS11_S12_EUlS11_E_NS1_11comp_targetILNS1_3genE3ELNS1_11target_archE908ELNS1_3gpuE7ELNS1_3repE0EEENS1_30default_config_static_selectorELNS0_4arch9wavefront6targetE0EEEvT1_,"axG",@progbits,_ZN7rocprim17ROCPRIM_400000_NS6detail17trampoline_kernelINS0_14default_configENS1_25partition_config_selectorILNS1_17partition_subalgoE6ExNS0_10empty_typeEbEEZZNS1_14partition_implILS5_6ELb0ES3_mN6thrust23THRUST_200600_302600_NS6detail15normal_iteratorINSA_10device_ptrIxEEEEPS6_SG_NS0_5tupleIJSF_S6_EEENSH_IJSG_SG_EEES6_PlJ7is_evenIxEEEE10hipError_tPvRmT3_T4_T5_T6_T7_T9_mT8_P12ihipStream_tbDpT10_ENKUlT_T0_E_clISt17integral_constantIbLb1EES16_EEDaS11_S12_EUlS11_E_NS1_11comp_targetILNS1_3genE3ELNS1_11target_archE908ELNS1_3gpuE7ELNS1_3repE0EEENS1_30default_config_static_selectorELNS0_4arch9wavefront6targetE0EEEvT1_,comdat
	.protected	_ZN7rocprim17ROCPRIM_400000_NS6detail17trampoline_kernelINS0_14default_configENS1_25partition_config_selectorILNS1_17partition_subalgoE6ExNS0_10empty_typeEbEEZZNS1_14partition_implILS5_6ELb0ES3_mN6thrust23THRUST_200600_302600_NS6detail15normal_iteratorINSA_10device_ptrIxEEEEPS6_SG_NS0_5tupleIJSF_S6_EEENSH_IJSG_SG_EEES6_PlJ7is_evenIxEEEE10hipError_tPvRmT3_T4_T5_T6_T7_T9_mT8_P12ihipStream_tbDpT10_ENKUlT_T0_E_clISt17integral_constantIbLb1EES16_EEDaS11_S12_EUlS11_E_NS1_11comp_targetILNS1_3genE3ELNS1_11target_archE908ELNS1_3gpuE7ELNS1_3repE0EEENS1_30default_config_static_selectorELNS0_4arch9wavefront6targetE0EEEvT1_ ; -- Begin function _ZN7rocprim17ROCPRIM_400000_NS6detail17trampoline_kernelINS0_14default_configENS1_25partition_config_selectorILNS1_17partition_subalgoE6ExNS0_10empty_typeEbEEZZNS1_14partition_implILS5_6ELb0ES3_mN6thrust23THRUST_200600_302600_NS6detail15normal_iteratorINSA_10device_ptrIxEEEEPS6_SG_NS0_5tupleIJSF_S6_EEENSH_IJSG_SG_EEES6_PlJ7is_evenIxEEEE10hipError_tPvRmT3_T4_T5_T6_T7_T9_mT8_P12ihipStream_tbDpT10_ENKUlT_T0_E_clISt17integral_constantIbLb1EES16_EEDaS11_S12_EUlS11_E_NS1_11comp_targetILNS1_3genE3ELNS1_11target_archE908ELNS1_3gpuE7ELNS1_3repE0EEENS1_30default_config_static_selectorELNS0_4arch9wavefront6targetE0EEEvT1_
	.globl	_ZN7rocprim17ROCPRIM_400000_NS6detail17trampoline_kernelINS0_14default_configENS1_25partition_config_selectorILNS1_17partition_subalgoE6ExNS0_10empty_typeEbEEZZNS1_14partition_implILS5_6ELb0ES3_mN6thrust23THRUST_200600_302600_NS6detail15normal_iteratorINSA_10device_ptrIxEEEEPS6_SG_NS0_5tupleIJSF_S6_EEENSH_IJSG_SG_EEES6_PlJ7is_evenIxEEEE10hipError_tPvRmT3_T4_T5_T6_T7_T9_mT8_P12ihipStream_tbDpT10_ENKUlT_T0_E_clISt17integral_constantIbLb1EES16_EEDaS11_S12_EUlS11_E_NS1_11comp_targetILNS1_3genE3ELNS1_11target_archE908ELNS1_3gpuE7ELNS1_3repE0EEENS1_30default_config_static_selectorELNS0_4arch9wavefront6targetE0EEEvT1_
	.p2align	8
	.type	_ZN7rocprim17ROCPRIM_400000_NS6detail17trampoline_kernelINS0_14default_configENS1_25partition_config_selectorILNS1_17partition_subalgoE6ExNS0_10empty_typeEbEEZZNS1_14partition_implILS5_6ELb0ES3_mN6thrust23THRUST_200600_302600_NS6detail15normal_iteratorINSA_10device_ptrIxEEEEPS6_SG_NS0_5tupleIJSF_S6_EEENSH_IJSG_SG_EEES6_PlJ7is_evenIxEEEE10hipError_tPvRmT3_T4_T5_T6_T7_T9_mT8_P12ihipStream_tbDpT10_ENKUlT_T0_E_clISt17integral_constantIbLb1EES16_EEDaS11_S12_EUlS11_E_NS1_11comp_targetILNS1_3genE3ELNS1_11target_archE908ELNS1_3gpuE7ELNS1_3repE0EEENS1_30default_config_static_selectorELNS0_4arch9wavefront6targetE0EEEvT1_,@function
_ZN7rocprim17ROCPRIM_400000_NS6detail17trampoline_kernelINS0_14default_configENS1_25partition_config_selectorILNS1_17partition_subalgoE6ExNS0_10empty_typeEbEEZZNS1_14partition_implILS5_6ELb0ES3_mN6thrust23THRUST_200600_302600_NS6detail15normal_iteratorINSA_10device_ptrIxEEEEPS6_SG_NS0_5tupleIJSF_S6_EEENSH_IJSG_SG_EEES6_PlJ7is_evenIxEEEE10hipError_tPvRmT3_T4_T5_T6_T7_T9_mT8_P12ihipStream_tbDpT10_ENKUlT_T0_E_clISt17integral_constantIbLb1EES16_EEDaS11_S12_EUlS11_E_NS1_11comp_targetILNS1_3genE3ELNS1_11target_archE908ELNS1_3gpuE7ELNS1_3repE0EEENS1_30default_config_static_selectorELNS0_4arch9wavefront6targetE0EEEvT1_: ; @_ZN7rocprim17ROCPRIM_400000_NS6detail17trampoline_kernelINS0_14default_configENS1_25partition_config_selectorILNS1_17partition_subalgoE6ExNS0_10empty_typeEbEEZZNS1_14partition_implILS5_6ELb0ES3_mN6thrust23THRUST_200600_302600_NS6detail15normal_iteratorINSA_10device_ptrIxEEEEPS6_SG_NS0_5tupleIJSF_S6_EEENSH_IJSG_SG_EEES6_PlJ7is_evenIxEEEE10hipError_tPvRmT3_T4_T5_T6_T7_T9_mT8_P12ihipStream_tbDpT10_ENKUlT_T0_E_clISt17integral_constantIbLb1EES16_EEDaS11_S12_EUlS11_E_NS1_11comp_targetILNS1_3genE3ELNS1_11target_archE908ELNS1_3gpuE7ELNS1_3repE0EEENS1_30default_config_static_selectorELNS0_4arch9wavefront6targetE0EEEvT1_
; %bb.0:
	.section	.rodata,"a",@progbits
	.p2align	6, 0x0
	.amdhsa_kernel _ZN7rocprim17ROCPRIM_400000_NS6detail17trampoline_kernelINS0_14default_configENS1_25partition_config_selectorILNS1_17partition_subalgoE6ExNS0_10empty_typeEbEEZZNS1_14partition_implILS5_6ELb0ES3_mN6thrust23THRUST_200600_302600_NS6detail15normal_iteratorINSA_10device_ptrIxEEEEPS6_SG_NS0_5tupleIJSF_S6_EEENSH_IJSG_SG_EEES6_PlJ7is_evenIxEEEE10hipError_tPvRmT3_T4_T5_T6_T7_T9_mT8_P12ihipStream_tbDpT10_ENKUlT_T0_E_clISt17integral_constantIbLb1EES16_EEDaS11_S12_EUlS11_E_NS1_11comp_targetILNS1_3genE3ELNS1_11target_archE908ELNS1_3gpuE7ELNS1_3repE0EEENS1_30default_config_static_selectorELNS0_4arch9wavefront6targetE0EEEvT1_
		.amdhsa_group_segment_fixed_size 0
		.amdhsa_private_segment_fixed_size 0
		.amdhsa_kernarg_size 128
		.amdhsa_user_sgpr_count 15
		.amdhsa_user_sgpr_dispatch_ptr 0
		.amdhsa_user_sgpr_queue_ptr 0
		.amdhsa_user_sgpr_kernarg_segment_ptr 1
		.amdhsa_user_sgpr_dispatch_id 0
		.amdhsa_user_sgpr_private_segment_size 0
		.amdhsa_wavefront_size32 1
		.amdhsa_uses_dynamic_stack 0
		.amdhsa_enable_private_segment 0
		.amdhsa_system_sgpr_workgroup_id_x 1
		.amdhsa_system_sgpr_workgroup_id_y 0
		.amdhsa_system_sgpr_workgroup_id_z 0
		.amdhsa_system_sgpr_workgroup_info 0
		.amdhsa_system_vgpr_workitem_id 0
		.amdhsa_next_free_vgpr 1
		.amdhsa_next_free_sgpr 1
		.amdhsa_reserve_vcc 0
		.amdhsa_float_round_mode_32 0
		.amdhsa_float_round_mode_16_64 0
		.amdhsa_float_denorm_mode_32 3
		.amdhsa_float_denorm_mode_16_64 3
		.amdhsa_dx10_clamp 1
		.amdhsa_ieee_mode 1
		.amdhsa_fp16_overflow 0
		.amdhsa_workgroup_processor_mode 1
		.amdhsa_memory_ordered 1
		.amdhsa_forward_progress 0
		.amdhsa_shared_vgpr_count 0
		.amdhsa_exception_fp_ieee_invalid_op 0
		.amdhsa_exception_fp_denorm_src 0
		.amdhsa_exception_fp_ieee_div_zero 0
		.amdhsa_exception_fp_ieee_overflow 0
		.amdhsa_exception_fp_ieee_underflow 0
		.amdhsa_exception_fp_ieee_inexact 0
		.amdhsa_exception_int_div_zero 0
	.end_amdhsa_kernel
	.section	.text._ZN7rocprim17ROCPRIM_400000_NS6detail17trampoline_kernelINS0_14default_configENS1_25partition_config_selectorILNS1_17partition_subalgoE6ExNS0_10empty_typeEbEEZZNS1_14partition_implILS5_6ELb0ES3_mN6thrust23THRUST_200600_302600_NS6detail15normal_iteratorINSA_10device_ptrIxEEEEPS6_SG_NS0_5tupleIJSF_S6_EEENSH_IJSG_SG_EEES6_PlJ7is_evenIxEEEE10hipError_tPvRmT3_T4_T5_T6_T7_T9_mT8_P12ihipStream_tbDpT10_ENKUlT_T0_E_clISt17integral_constantIbLb1EES16_EEDaS11_S12_EUlS11_E_NS1_11comp_targetILNS1_3genE3ELNS1_11target_archE908ELNS1_3gpuE7ELNS1_3repE0EEENS1_30default_config_static_selectorELNS0_4arch9wavefront6targetE0EEEvT1_,"axG",@progbits,_ZN7rocprim17ROCPRIM_400000_NS6detail17trampoline_kernelINS0_14default_configENS1_25partition_config_selectorILNS1_17partition_subalgoE6ExNS0_10empty_typeEbEEZZNS1_14partition_implILS5_6ELb0ES3_mN6thrust23THRUST_200600_302600_NS6detail15normal_iteratorINSA_10device_ptrIxEEEEPS6_SG_NS0_5tupleIJSF_S6_EEENSH_IJSG_SG_EEES6_PlJ7is_evenIxEEEE10hipError_tPvRmT3_T4_T5_T6_T7_T9_mT8_P12ihipStream_tbDpT10_ENKUlT_T0_E_clISt17integral_constantIbLb1EES16_EEDaS11_S12_EUlS11_E_NS1_11comp_targetILNS1_3genE3ELNS1_11target_archE908ELNS1_3gpuE7ELNS1_3repE0EEENS1_30default_config_static_selectorELNS0_4arch9wavefront6targetE0EEEvT1_,comdat
.Lfunc_end371:
	.size	_ZN7rocprim17ROCPRIM_400000_NS6detail17trampoline_kernelINS0_14default_configENS1_25partition_config_selectorILNS1_17partition_subalgoE6ExNS0_10empty_typeEbEEZZNS1_14partition_implILS5_6ELb0ES3_mN6thrust23THRUST_200600_302600_NS6detail15normal_iteratorINSA_10device_ptrIxEEEEPS6_SG_NS0_5tupleIJSF_S6_EEENSH_IJSG_SG_EEES6_PlJ7is_evenIxEEEE10hipError_tPvRmT3_T4_T5_T6_T7_T9_mT8_P12ihipStream_tbDpT10_ENKUlT_T0_E_clISt17integral_constantIbLb1EES16_EEDaS11_S12_EUlS11_E_NS1_11comp_targetILNS1_3genE3ELNS1_11target_archE908ELNS1_3gpuE7ELNS1_3repE0EEENS1_30default_config_static_selectorELNS0_4arch9wavefront6targetE0EEEvT1_, .Lfunc_end371-_ZN7rocprim17ROCPRIM_400000_NS6detail17trampoline_kernelINS0_14default_configENS1_25partition_config_selectorILNS1_17partition_subalgoE6ExNS0_10empty_typeEbEEZZNS1_14partition_implILS5_6ELb0ES3_mN6thrust23THRUST_200600_302600_NS6detail15normal_iteratorINSA_10device_ptrIxEEEEPS6_SG_NS0_5tupleIJSF_S6_EEENSH_IJSG_SG_EEES6_PlJ7is_evenIxEEEE10hipError_tPvRmT3_T4_T5_T6_T7_T9_mT8_P12ihipStream_tbDpT10_ENKUlT_T0_E_clISt17integral_constantIbLb1EES16_EEDaS11_S12_EUlS11_E_NS1_11comp_targetILNS1_3genE3ELNS1_11target_archE908ELNS1_3gpuE7ELNS1_3repE0EEENS1_30default_config_static_selectorELNS0_4arch9wavefront6targetE0EEEvT1_
                                        ; -- End function
	.section	.AMDGPU.csdata,"",@progbits
; Kernel info:
; codeLenInByte = 0
; NumSgprs: 0
; NumVgprs: 0
; ScratchSize: 0
; MemoryBound: 0
; FloatMode: 240
; IeeeMode: 1
; LDSByteSize: 0 bytes/workgroup (compile time only)
; SGPRBlocks: 0
; VGPRBlocks: 0
; NumSGPRsForWavesPerEU: 1
; NumVGPRsForWavesPerEU: 1
; Occupancy: 16
; WaveLimiterHint : 0
; COMPUTE_PGM_RSRC2:SCRATCH_EN: 0
; COMPUTE_PGM_RSRC2:USER_SGPR: 15
; COMPUTE_PGM_RSRC2:TRAP_HANDLER: 0
; COMPUTE_PGM_RSRC2:TGID_X_EN: 1
; COMPUTE_PGM_RSRC2:TGID_Y_EN: 0
; COMPUTE_PGM_RSRC2:TGID_Z_EN: 0
; COMPUTE_PGM_RSRC2:TIDIG_COMP_CNT: 0
	.section	.text._ZN7rocprim17ROCPRIM_400000_NS6detail17trampoline_kernelINS0_14default_configENS1_25partition_config_selectorILNS1_17partition_subalgoE6ExNS0_10empty_typeEbEEZZNS1_14partition_implILS5_6ELb0ES3_mN6thrust23THRUST_200600_302600_NS6detail15normal_iteratorINSA_10device_ptrIxEEEEPS6_SG_NS0_5tupleIJSF_S6_EEENSH_IJSG_SG_EEES6_PlJ7is_evenIxEEEE10hipError_tPvRmT3_T4_T5_T6_T7_T9_mT8_P12ihipStream_tbDpT10_ENKUlT_T0_E_clISt17integral_constantIbLb1EES16_EEDaS11_S12_EUlS11_E_NS1_11comp_targetILNS1_3genE2ELNS1_11target_archE906ELNS1_3gpuE6ELNS1_3repE0EEENS1_30default_config_static_selectorELNS0_4arch9wavefront6targetE0EEEvT1_,"axG",@progbits,_ZN7rocprim17ROCPRIM_400000_NS6detail17trampoline_kernelINS0_14default_configENS1_25partition_config_selectorILNS1_17partition_subalgoE6ExNS0_10empty_typeEbEEZZNS1_14partition_implILS5_6ELb0ES3_mN6thrust23THRUST_200600_302600_NS6detail15normal_iteratorINSA_10device_ptrIxEEEEPS6_SG_NS0_5tupleIJSF_S6_EEENSH_IJSG_SG_EEES6_PlJ7is_evenIxEEEE10hipError_tPvRmT3_T4_T5_T6_T7_T9_mT8_P12ihipStream_tbDpT10_ENKUlT_T0_E_clISt17integral_constantIbLb1EES16_EEDaS11_S12_EUlS11_E_NS1_11comp_targetILNS1_3genE2ELNS1_11target_archE906ELNS1_3gpuE6ELNS1_3repE0EEENS1_30default_config_static_selectorELNS0_4arch9wavefront6targetE0EEEvT1_,comdat
	.protected	_ZN7rocprim17ROCPRIM_400000_NS6detail17trampoline_kernelINS0_14default_configENS1_25partition_config_selectorILNS1_17partition_subalgoE6ExNS0_10empty_typeEbEEZZNS1_14partition_implILS5_6ELb0ES3_mN6thrust23THRUST_200600_302600_NS6detail15normal_iteratorINSA_10device_ptrIxEEEEPS6_SG_NS0_5tupleIJSF_S6_EEENSH_IJSG_SG_EEES6_PlJ7is_evenIxEEEE10hipError_tPvRmT3_T4_T5_T6_T7_T9_mT8_P12ihipStream_tbDpT10_ENKUlT_T0_E_clISt17integral_constantIbLb1EES16_EEDaS11_S12_EUlS11_E_NS1_11comp_targetILNS1_3genE2ELNS1_11target_archE906ELNS1_3gpuE6ELNS1_3repE0EEENS1_30default_config_static_selectorELNS0_4arch9wavefront6targetE0EEEvT1_ ; -- Begin function _ZN7rocprim17ROCPRIM_400000_NS6detail17trampoline_kernelINS0_14default_configENS1_25partition_config_selectorILNS1_17partition_subalgoE6ExNS0_10empty_typeEbEEZZNS1_14partition_implILS5_6ELb0ES3_mN6thrust23THRUST_200600_302600_NS6detail15normal_iteratorINSA_10device_ptrIxEEEEPS6_SG_NS0_5tupleIJSF_S6_EEENSH_IJSG_SG_EEES6_PlJ7is_evenIxEEEE10hipError_tPvRmT3_T4_T5_T6_T7_T9_mT8_P12ihipStream_tbDpT10_ENKUlT_T0_E_clISt17integral_constantIbLb1EES16_EEDaS11_S12_EUlS11_E_NS1_11comp_targetILNS1_3genE2ELNS1_11target_archE906ELNS1_3gpuE6ELNS1_3repE0EEENS1_30default_config_static_selectorELNS0_4arch9wavefront6targetE0EEEvT1_
	.globl	_ZN7rocprim17ROCPRIM_400000_NS6detail17trampoline_kernelINS0_14default_configENS1_25partition_config_selectorILNS1_17partition_subalgoE6ExNS0_10empty_typeEbEEZZNS1_14partition_implILS5_6ELb0ES3_mN6thrust23THRUST_200600_302600_NS6detail15normal_iteratorINSA_10device_ptrIxEEEEPS6_SG_NS0_5tupleIJSF_S6_EEENSH_IJSG_SG_EEES6_PlJ7is_evenIxEEEE10hipError_tPvRmT3_T4_T5_T6_T7_T9_mT8_P12ihipStream_tbDpT10_ENKUlT_T0_E_clISt17integral_constantIbLb1EES16_EEDaS11_S12_EUlS11_E_NS1_11comp_targetILNS1_3genE2ELNS1_11target_archE906ELNS1_3gpuE6ELNS1_3repE0EEENS1_30default_config_static_selectorELNS0_4arch9wavefront6targetE0EEEvT1_
	.p2align	8
	.type	_ZN7rocprim17ROCPRIM_400000_NS6detail17trampoline_kernelINS0_14default_configENS1_25partition_config_selectorILNS1_17partition_subalgoE6ExNS0_10empty_typeEbEEZZNS1_14partition_implILS5_6ELb0ES3_mN6thrust23THRUST_200600_302600_NS6detail15normal_iteratorINSA_10device_ptrIxEEEEPS6_SG_NS0_5tupleIJSF_S6_EEENSH_IJSG_SG_EEES6_PlJ7is_evenIxEEEE10hipError_tPvRmT3_T4_T5_T6_T7_T9_mT8_P12ihipStream_tbDpT10_ENKUlT_T0_E_clISt17integral_constantIbLb1EES16_EEDaS11_S12_EUlS11_E_NS1_11comp_targetILNS1_3genE2ELNS1_11target_archE906ELNS1_3gpuE6ELNS1_3repE0EEENS1_30default_config_static_selectorELNS0_4arch9wavefront6targetE0EEEvT1_,@function
_ZN7rocprim17ROCPRIM_400000_NS6detail17trampoline_kernelINS0_14default_configENS1_25partition_config_selectorILNS1_17partition_subalgoE6ExNS0_10empty_typeEbEEZZNS1_14partition_implILS5_6ELb0ES3_mN6thrust23THRUST_200600_302600_NS6detail15normal_iteratorINSA_10device_ptrIxEEEEPS6_SG_NS0_5tupleIJSF_S6_EEENSH_IJSG_SG_EEES6_PlJ7is_evenIxEEEE10hipError_tPvRmT3_T4_T5_T6_T7_T9_mT8_P12ihipStream_tbDpT10_ENKUlT_T0_E_clISt17integral_constantIbLb1EES16_EEDaS11_S12_EUlS11_E_NS1_11comp_targetILNS1_3genE2ELNS1_11target_archE906ELNS1_3gpuE6ELNS1_3repE0EEENS1_30default_config_static_selectorELNS0_4arch9wavefront6targetE0EEEvT1_: ; @_ZN7rocprim17ROCPRIM_400000_NS6detail17trampoline_kernelINS0_14default_configENS1_25partition_config_selectorILNS1_17partition_subalgoE6ExNS0_10empty_typeEbEEZZNS1_14partition_implILS5_6ELb0ES3_mN6thrust23THRUST_200600_302600_NS6detail15normal_iteratorINSA_10device_ptrIxEEEEPS6_SG_NS0_5tupleIJSF_S6_EEENSH_IJSG_SG_EEES6_PlJ7is_evenIxEEEE10hipError_tPvRmT3_T4_T5_T6_T7_T9_mT8_P12ihipStream_tbDpT10_ENKUlT_T0_E_clISt17integral_constantIbLb1EES16_EEDaS11_S12_EUlS11_E_NS1_11comp_targetILNS1_3genE2ELNS1_11target_archE906ELNS1_3gpuE6ELNS1_3repE0EEENS1_30default_config_static_selectorELNS0_4arch9wavefront6targetE0EEEvT1_
; %bb.0:
	.section	.rodata,"a",@progbits
	.p2align	6, 0x0
	.amdhsa_kernel _ZN7rocprim17ROCPRIM_400000_NS6detail17trampoline_kernelINS0_14default_configENS1_25partition_config_selectorILNS1_17partition_subalgoE6ExNS0_10empty_typeEbEEZZNS1_14partition_implILS5_6ELb0ES3_mN6thrust23THRUST_200600_302600_NS6detail15normal_iteratorINSA_10device_ptrIxEEEEPS6_SG_NS0_5tupleIJSF_S6_EEENSH_IJSG_SG_EEES6_PlJ7is_evenIxEEEE10hipError_tPvRmT3_T4_T5_T6_T7_T9_mT8_P12ihipStream_tbDpT10_ENKUlT_T0_E_clISt17integral_constantIbLb1EES16_EEDaS11_S12_EUlS11_E_NS1_11comp_targetILNS1_3genE2ELNS1_11target_archE906ELNS1_3gpuE6ELNS1_3repE0EEENS1_30default_config_static_selectorELNS0_4arch9wavefront6targetE0EEEvT1_
		.amdhsa_group_segment_fixed_size 0
		.amdhsa_private_segment_fixed_size 0
		.amdhsa_kernarg_size 128
		.amdhsa_user_sgpr_count 15
		.amdhsa_user_sgpr_dispatch_ptr 0
		.amdhsa_user_sgpr_queue_ptr 0
		.amdhsa_user_sgpr_kernarg_segment_ptr 1
		.amdhsa_user_sgpr_dispatch_id 0
		.amdhsa_user_sgpr_private_segment_size 0
		.amdhsa_wavefront_size32 1
		.amdhsa_uses_dynamic_stack 0
		.amdhsa_enable_private_segment 0
		.amdhsa_system_sgpr_workgroup_id_x 1
		.amdhsa_system_sgpr_workgroup_id_y 0
		.amdhsa_system_sgpr_workgroup_id_z 0
		.amdhsa_system_sgpr_workgroup_info 0
		.amdhsa_system_vgpr_workitem_id 0
		.amdhsa_next_free_vgpr 1
		.amdhsa_next_free_sgpr 1
		.amdhsa_reserve_vcc 0
		.amdhsa_float_round_mode_32 0
		.amdhsa_float_round_mode_16_64 0
		.amdhsa_float_denorm_mode_32 3
		.amdhsa_float_denorm_mode_16_64 3
		.amdhsa_dx10_clamp 1
		.amdhsa_ieee_mode 1
		.amdhsa_fp16_overflow 0
		.amdhsa_workgroup_processor_mode 1
		.amdhsa_memory_ordered 1
		.amdhsa_forward_progress 0
		.amdhsa_shared_vgpr_count 0
		.amdhsa_exception_fp_ieee_invalid_op 0
		.amdhsa_exception_fp_denorm_src 0
		.amdhsa_exception_fp_ieee_div_zero 0
		.amdhsa_exception_fp_ieee_overflow 0
		.amdhsa_exception_fp_ieee_underflow 0
		.amdhsa_exception_fp_ieee_inexact 0
		.amdhsa_exception_int_div_zero 0
	.end_amdhsa_kernel
	.section	.text._ZN7rocprim17ROCPRIM_400000_NS6detail17trampoline_kernelINS0_14default_configENS1_25partition_config_selectorILNS1_17partition_subalgoE6ExNS0_10empty_typeEbEEZZNS1_14partition_implILS5_6ELb0ES3_mN6thrust23THRUST_200600_302600_NS6detail15normal_iteratorINSA_10device_ptrIxEEEEPS6_SG_NS0_5tupleIJSF_S6_EEENSH_IJSG_SG_EEES6_PlJ7is_evenIxEEEE10hipError_tPvRmT3_T4_T5_T6_T7_T9_mT8_P12ihipStream_tbDpT10_ENKUlT_T0_E_clISt17integral_constantIbLb1EES16_EEDaS11_S12_EUlS11_E_NS1_11comp_targetILNS1_3genE2ELNS1_11target_archE906ELNS1_3gpuE6ELNS1_3repE0EEENS1_30default_config_static_selectorELNS0_4arch9wavefront6targetE0EEEvT1_,"axG",@progbits,_ZN7rocprim17ROCPRIM_400000_NS6detail17trampoline_kernelINS0_14default_configENS1_25partition_config_selectorILNS1_17partition_subalgoE6ExNS0_10empty_typeEbEEZZNS1_14partition_implILS5_6ELb0ES3_mN6thrust23THRUST_200600_302600_NS6detail15normal_iteratorINSA_10device_ptrIxEEEEPS6_SG_NS0_5tupleIJSF_S6_EEENSH_IJSG_SG_EEES6_PlJ7is_evenIxEEEE10hipError_tPvRmT3_T4_T5_T6_T7_T9_mT8_P12ihipStream_tbDpT10_ENKUlT_T0_E_clISt17integral_constantIbLb1EES16_EEDaS11_S12_EUlS11_E_NS1_11comp_targetILNS1_3genE2ELNS1_11target_archE906ELNS1_3gpuE6ELNS1_3repE0EEENS1_30default_config_static_selectorELNS0_4arch9wavefront6targetE0EEEvT1_,comdat
.Lfunc_end372:
	.size	_ZN7rocprim17ROCPRIM_400000_NS6detail17trampoline_kernelINS0_14default_configENS1_25partition_config_selectorILNS1_17partition_subalgoE6ExNS0_10empty_typeEbEEZZNS1_14partition_implILS5_6ELb0ES3_mN6thrust23THRUST_200600_302600_NS6detail15normal_iteratorINSA_10device_ptrIxEEEEPS6_SG_NS0_5tupleIJSF_S6_EEENSH_IJSG_SG_EEES6_PlJ7is_evenIxEEEE10hipError_tPvRmT3_T4_T5_T6_T7_T9_mT8_P12ihipStream_tbDpT10_ENKUlT_T0_E_clISt17integral_constantIbLb1EES16_EEDaS11_S12_EUlS11_E_NS1_11comp_targetILNS1_3genE2ELNS1_11target_archE906ELNS1_3gpuE6ELNS1_3repE0EEENS1_30default_config_static_selectorELNS0_4arch9wavefront6targetE0EEEvT1_, .Lfunc_end372-_ZN7rocprim17ROCPRIM_400000_NS6detail17trampoline_kernelINS0_14default_configENS1_25partition_config_selectorILNS1_17partition_subalgoE6ExNS0_10empty_typeEbEEZZNS1_14partition_implILS5_6ELb0ES3_mN6thrust23THRUST_200600_302600_NS6detail15normal_iteratorINSA_10device_ptrIxEEEEPS6_SG_NS0_5tupleIJSF_S6_EEENSH_IJSG_SG_EEES6_PlJ7is_evenIxEEEE10hipError_tPvRmT3_T4_T5_T6_T7_T9_mT8_P12ihipStream_tbDpT10_ENKUlT_T0_E_clISt17integral_constantIbLb1EES16_EEDaS11_S12_EUlS11_E_NS1_11comp_targetILNS1_3genE2ELNS1_11target_archE906ELNS1_3gpuE6ELNS1_3repE0EEENS1_30default_config_static_selectorELNS0_4arch9wavefront6targetE0EEEvT1_
                                        ; -- End function
	.section	.AMDGPU.csdata,"",@progbits
; Kernel info:
; codeLenInByte = 0
; NumSgprs: 0
; NumVgprs: 0
; ScratchSize: 0
; MemoryBound: 0
; FloatMode: 240
; IeeeMode: 1
; LDSByteSize: 0 bytes/workgroup (compile time only)
; SGPRBlocks: 0
; VGPRBlocks: 0
; NumSGPRsForWavesPerEU: 1
; NumVGPRsForWavesPerEU: 1
; Occupancy: 16
; WaveLimiterHint : 0
; COMPUTE_PGM_RSRC2:SCRATCH_EN: 0
; COMPUTE_PGM_RSRC2:USER_SGPR: 15
; COMPUTE_PGM_RSRC2:TRAP_HANDLER: 0
; COMPUTE_PGM_RSRC2:TGID_X_EN: 1
; COMPUTE_PGM_RSRC2:TGID_Y_EN: 0
; COMPUTE_PGM_RSRC2:TGID_Z_EN: 0
; COMPUTE_PGM_RSRC2:TIDIG_COMP_CNT: 0
	.section	.text._ZN7rocprim17ROCPRIM_400000_NS6detail17trampoline_kernelINS0_14default_configENS1_25partition_config_selectorILNS1_17partition_subalgoE6ExNS0_10empty_typeEbEEZZNS1_14partition_implILS5_6ELb0ES3_mN6thrust23THRUST_200600_302600_NS6detail15normal_iteratorINSA_10device_ptrIxEEEEPS6_SG_NS0_5tupleIJSF_S6_EEENSH_IJSG_SG_EEES6_PlJ7is_evenIxEEEE10hipError_tPvRmT3_T4_T5_T6_T7_T9_mT8_P12ihipStream_tbDpT10_ENKUlT_T0_E_clISt17integral_constantIbLb1EES16_EEDaS11_S12_EUlS11_E_NS1_11comp_targetILNS1_3genE10ELNS1_11target_archE1200ELNS1_3gpuE4ELNS1_3repE0EEENS1_30default_config_static_selectorELNS0_4arch9wavefront6targetE0EEEvT1_,"axG",@progbits,_ZN7rocprim17ROCPRIM_400000_NS6detail17trampoline_kernelINS0_14default_configENS1_25partition_config_selectorILNS1_17partition_subalgoE6ExNS0_10empty_typeEbEEZZNS1_14partition_implILS5_6ELb0ES3_mN6thrust23THRUST_200600_302600_NS6detail15normal_iteratorINSA_10device_ptrIxEEEEPS6_SG_NS0_5tupleIJSF_S6_EEENSH_IJSG_SG_EEES6_PlJ7is_evenIxEEEE10hipError_tPvRmT3_T4_T5_T6_T7_T9_mT8_P12ihipStream_tbDpT10_ENKUlT_T0_E_clISt17integral_constantIbLb1EES16_EEDaS11_S12_EUlS11_E_NS1_11comp_targetILNS1_3genE10ELNS1_11target_archE1200ELNS1_3gpuE4ELNS1_3repE0EEENS1_30default_config_static_selectorELNS0_4arch9wavefront6targetE0EEEvT1_,comdat
	.protected	_ZN7rocprim17ROCPRIM_400000_NS6detail17trampoline_kernelINS0_14default_configENS1_25partition_config_selectorILNS1_17partition_subalgoE6ExNS0_10empty_typeEbEEZZNS1_14partition_implILS5_6ELb0ES3_mN6thrust23THRUST_200600_302600_NS6detail15normal_iteratorINSA_10device_ptrIxEEEEPS6_SG_NS0_5tupleIJSF_S6_EEENSH_IJSG_SG_EEES6_PlJ7is_evenIxEEEE10hipError_tPvRmT3_T4_T5_T6_T7_T9_mT8_P12ihipStream_tbDpT10_ENKUlT_T0_E_clISt17integral_constantIbLb1EES16_EEDaS11_S12_EUlS11_E_NS1_11comp_targetILNS1_3genE10ELNS1_11target_archE1200ELNS1_3gpuE4ELNS1_3repE0EEENS1_30default_config_static_selectorELNS0_4arch9wavefront6targetE0EEEvT1_ ; -- Begin function _ZN7rocprim17ROCPRIM_400000_NS6detail17trampoline_kernelINS0_14default_configENS1_25partition_config_selectorILNS1_17partition_subalgoE6ExNS0_10empty_typeEbEEZZNS1_14partition_implILS5_6ELb0ES3_mN6thrust23THRUST_200600_302600_NS6detail15normal_iteratorINSA_10device_ptrIxEEEEPS6_SG_NS0_5tupleIJSF_S6_EEENSH_IJSG_SG_EEES6_PlJ7is_evenIxEEEE10hipError_tPvRmT3_T4_T5_T6_T7_T9_mT8_P12ihipStream_tbDpT10_ENKUlT_T0_E_clISt17integral_constantIbLb1EES16_EEDaS11_S12_EUlS11_E_NS1_11comp_targetILNS1_3genE10ELNS1_11target_archE1200ELNS1_3gpuE4ELNS1_3repE0EEENS1_30default_config_static_selectorELNS0_4arch9wavefront6targetE0EEEvT1_
	.globl	_ZN7rocprim17ROCPRIM_400000_NS6detail17trampoline_kernelINS0_14default_configENS1_25partition_config_selectorILNS1_17partition_subalgoE6ExNS0_10empty_typeEbEEZZNS1_14partition_implILS5_6ELb0ES3_mN6thrust23THRUST_200600_302600_NS6detail15normal_iteratorINSA_10device_ptrIxEEEEPS6_SG_NS0_5tupleIJSF_S6_EEENSH_IJSG_SG_EEES6_PlJ7is_evenIxEEEE10hipError_tPvRmT3_T4_T5_T6_T7_T9_mT8_P12ihipStream_tbDpT10_ENKUlT_T0_E_clISt17integral_constantIbLb1EES16_EEDaS11_S12_EUlS11_E_NS1_11comp_targetILNS1_3genE10ELNS1_11target_archE1200ELNS1_3gpuE4ELNS1_3repE0EEENS1_30default_config_static_selectorELNS0_4arch9wavefront6targetE0EEEvT1_
	.p2align	8
	.type	_ZN7rocprim17ROCPRIM_400000_NS6detail17trampoline_kernelINS0_14default_configENS1_25partition_config_selectorILNS1_17partition_subalgoE6ExNS0_10empty_typeEbEEZZNS1_14partition_implILS5_6ELb0ES3_mN6thrust23THRUST_200600_302600_NS6detail15normal_iteratorINSA_10device_ptrIxEEEEPS6_SG_NS0_5tupleIJSF_S6_EEENSH_IJSG_SG_EEES6_PlJ7is_evenIxEEEE10hipError_tPvRmT3_T4_T5_T6_T7_T9_mT8_P12ihipStream_tbDpT10_ENKUlT_T0_E_clISt17integral_constantIbLb1EES16_EEDaS11_S12_EUlS11_E_NS1_11comp_targetILNS1_3genE10ELNS1_11target_archE1200ELNS1_3gpuE4ELNS1_3repE0EEENS1_30default_config_static_selectorELNS0_4arch9wavefront6targetE0EEEvT1_,@function
_ZN7rocprim17ROCPRIM_400000_NS6detail17trampoline_kernelINS0_14default_configENS1_25partition_config_selectorILNS1_17partition_subalgoE6ExNS0_10empty_typeEbEEZZNS1_14partition_implILS5_6ELb0ES3_mN6thrust23THRUST_200600_302600_NS6detail15normal_iteratorINSA_10device_ptrIxEEEEPS6_SG_NS0_5tupleIJSF_S6_EEENSH_IJSG_SG_EEES6_PlJ7is_evenIxEEEE10hipError_tPvRmT3_T4_T5_T6_T7_T9_mT8_P12ihipStream_tbDpT10_ENKUlT_T0_E_clISt17integral_constantIbLb1EES16_EEDaS11_S12_EUlS11_E_NS1_11comp_targetILNS1_3genE10ELNS1_11target_archE1200ELNS1_3gpuE4ELNS1_3repE0EEENS1_30default_config_static_selectorELNS0_4arch9wavefront6targetE0EEEvT1_: ; @_ZN7rocprim17ROCPRIM_400000_NS6detail17trampoline_kernelINS0_14default_configENS1_25partition_config_selectorILNS1_17partition_subalgoE6ExNS0_10empty_typeEbEEZZNS1_14partition_implILS5_6ELb0ES3_mN6thrust23THRUST_200600_302600_NS6detail15normal_iteratorINSA_10device_ptrIxEEEEPS6_SG_NS0_5tupleIJSF_S6_EEENSH_IJSG_SG_EEES6_PlJ7is_evenIxEEEE10hipError_tPvRmT3_T4_T5_T6_T7_T9_mT8_P12ihipStream_tbDpT10_ENKUlT_T0_E_clISt17integral_constantIbLb1EES16_EEDaS11_S12_EUlS11_E_NS1_11comp_targetILNS1_3genE10ELNS1_11target_archE1200ELNS1_3gpuE4ELNS1_3repE0EEENS1_30default_config_static_selectorELNS0_4arch9wavefront6targetE0EEEvT1_
; %bb.0:
	.section	.rodata,"a",@progbits
	.p2align	6, 0x0
	.amdhsa_kernel _ZN7rocprim17ROCPRIM_400000_NS6detail17trampoline_kernelINS0_14default_configENS1_25partition_config_selectorILNS1_17partition_subalgoE6ExNS0_10empty_typeEbEEZZNS1_14partition_implILS5_6ELb0ES3_mN6thrust23THRUST_200600_302600_NS6detail15normal_iteratorINSA_10device_ptrIxEEEEPS6_SG_NS0_5tupleIJSF_S6_EEENSH_IJSG_SG_EEES6_PlJ7is_evenIxEEEE10hipError_tPvRmT3_T4_T5_T6_T7_T9_mT8_P12ihipStream_tbDpT10_ENKUlT_T0_E_clISt17integral_constantIbLb1EES16_EEDaS11_S12_EUlS11_E_NS1_11comp_targetILNS1_3genE10ELNS1_11target_archE1200ELNS1_3gpuE4ELNS1_3repE0EEENS1_30default_config_static_selectorELNS0_4arch9wavefront6targetE0EEEvT1_
		.amdhsa_group_segment_fixed_size 0
		.amdhsa_private_segment_fixed_size 0
		.amdhsa_kernarg_size 128
		.amdhsa_user_sgpr_count 15
		.amdhsa_user_sgpr_dispatch_ptr 0
		.amdhsa_user_sgpr_queue_ptr 0
		.amdhsa_user_sgpr_kernarg_segment_ptr 1
		.amdhsa_user_sgpr_dispatch_id 0
		.amdhsa_user_sgpr_private_segment_size 0
		.amdhsa_wavefront_size32 1
		.amdhsa_uses_dynamic_stack 0
		.amdhsa_enable_private_segment 0
		.amdhsa_system_sgpr_workgroup_id_x 1
		.amdhsa_system_sgpr_workgroup_id_y 0
		.amdhsa_system_sgpr_workgroup_id_z 0
		.amdhsa_system_sgpr_workgroup_info 0
		.amdhsa_system_vgpr_workitem_id 0
		.amdhsa_next_free_vgpr 1
		.amdhsa_next_free_sgpr 1
		.amdhsa_reserve_vcc 0
		.amdhsa_float_round_mode_32 0
		.amdhsa_float_round_mode_16_64 0
		.amdhsa_float_denorm_mode_32 3
		.amdhsa_float_denorm_mode_16_64 3
		.amdhsa_dx10_clamp 1
		.amdhsa_ieee_mode 1
		.amdhsa_fp16_overflow 0
		.amdhsa_workgroup_processor_mode 1
		.amdhsa_memory_ordered 1
		.amdhsa_forward_progress 0
		.amdhsa_shared_vgpr_count 0
		.amdhsa_exception_fp_ieee_invalid_op 0
		.amdhsa_exception_fp_denorm_src 0
		.amdhsa_exception_fp_ieee_div_zero 0
		.amdhsa_exception_fp_ieee_overflow 0
		.amdhsa_exception_fp_ieee_underflow 0
		.amdhsa_exception_fp_ieee_inexact 0
		.amdhsa_exception_int_div_zero 0
	.end_amdhsa_kernel
	.section	.text._ZN7rocprim17ROCPRIM_400000_NS6detail17trampoline_kernelINS0_14default_configENS1_25partition_config_selectorILNS1_17partition_subalgoE6ExNS0_10empty_typeEbEEZZNS1_14partition_implILS5_6ELb0ES3_mN6thrust23THRUST_200600_302600_NS6detail15normal_iteratorINSA_10device_ptrIxEEEEPS6_SG_NS0_5tupleIJSF_S6_EEENSH_IJSG_SG_EEES6_PlJ7is_evenIxEEEE10hipError_tPvRmT3_T4_T5_T6_T7_T9_mT8_P12ihipStream_tbDpT10_ENKUlT_T0_E_clISt17integral_constantIbLb1EES16_EEDaS11_S12_EUlS11_E_NS1_11comp_targetILNS1_3genE10ELNS1_11target_archE1200ELNS1_3gpuE4ELNS1_3repE0EEENS1_30default_config_static_selectorELNS0_4arch9wavefront6targetE0EEEvT1_,"axG",@progbits,_ZN7rocprim17ROCPRIM_400000_NS6detail17trampoline_kernelINS0_14default_configENS1_25partition_config_selectorILNS1_17partition_subalgoE6ExNS0_10empty_typeEbEEZZNS1_14partition_implILS5_6ELb0ES3_mN6thrust23THRUST_200600_302600_NS6detail15normal_iteratorINSA_10device_ptrIxEEEEPS6_SG_NS0_5tupleIJSF_S6_EEENSH_IJSG_SG_EEES6_PlJ7is_evenIxEEEE10hipError_tPvRmT3_T4_T5_T6_T7_T9_mT8_P12ihipStream_tbDpT10_ENKUlT_T0_E_clISt17integral_constantIbLb1EES16_EEDaS11_S12_EUlS11_E_NS1_11comp_targetILNS1_3genE10ELNS1_11target_archE1200ELNS1_3gpuE4ELNS1_3repE0EEENS1_30default_config_static_selectorELNS0_4arch9wavefront6targetE0EEEvT1_,comdat
.Lfunc_end373:
	.size	_ZN7rocprim17ROCPRIM_400000_NS6detail17trampoline_kernelINS0_14default_configENS1_25partition_config_selectorILNS1_17partition_subalgoE6ExNS0_10empty_typeEbEEZZNS1_14partition_implILS5_6ELb0ES3_mN6thrust23THRUST_200600_302600_NS6detail15normal_iteratorINSA_10device_ptrIxEEEEPS6_SG_NS0_5tupleIJSF_S6_EEENSH_IJSG_SG_EEES6_PlJ7is_evenIxEEEE10hipError_tPvRmT3_T4_T5_T6_T7_T9_mT8_P12ihipStream_tbDpT10_ENKUlT_T0_E_clISt17integral_constantIbLb1EES16_EEDaS11_S12_EUlS11_E_NS1_11comp_targetILNS1_3genE10ELNS1_11target_archE1200ELNS1_3gpuE4ELNS1_3repE0EEENS1_30default_config_static_selectorELNS0_4arch9wavefront6targetE0EEEvT1_, .Lfunc_end373-_ZN7rocprim17ROCPRIM_400000_NS6detail17trampoline_kernelINS0_14default_configENS1_25partition_config_selectorILNS1_17partition_subalgoE6ExNS0_10empty_typeEbEEZZNS1_14partition_implILS5_6ELb0ES3_mN6thrust23THRUST_200600_302600_NS6detail15normal_iteratorINSA_10device_ptrIxEEEEPS6_SG_NS0_5tupleIJSF_S6_EEENSH_IJSG_SG_EEES6_PlJ7is_evenIxEEEE10hipError_tPvRmT3_T4_T5_T6_T7_T9_mT8_P12ihipStream_tbDpT10_ENKUlT_T0_E_clISt17integral_constantIbLb1EES16_EEDaS11_S12_EUlS11_E_NS1_11comp_targetILNS1_3genE10ELNS1_11target_archE1200ELNS1_3gpuE4ELNS1_3repE0EEENS1_30default_config_static_selectorELNS0_4arch9wavefront6targetE0EEEvT1_
                                        ; -- End function
	.section	.AMDGPU.csdata,"",@progbits
; Kernel info:
; codeLenInByte = 0
; NumSgprs: 0
; NumVgprs: 0
; ScratchSize: 0
; MemoryBound: 0
; FloatMode: 240
; IeeeMode: 1
; LDSByteSize: 0 bytes/workgroup (compile time only)
; SGPRBlocks: 0
; VGPRBlocks: 0
; NumSGPRsForWavesPerEU: 1
; NumVGPRsForWavesPerEU: 1
; Occupancy: 16
; WaveLimiterHint : 0
; COMPUTE_PGM_RSRC2:SCRATCH_EN: 0
; COMPUTE_PGM_RSRC2:USER_SGPR: 15
; COMPUTE_PGM_RSRC2:TRAP_HANDLER: 0
; COMPUTE_PGM_RSRC2:TGID_X_EN: 1
; COMPUTE_PGM_RSRC2:TGID_Y_EN: 0
; COMPUTE_PGM_RSRC2:TGID_Z_EN: 0
; COMPUTE_PGM_RSRC2:TIDIG_COMP_CNT: 0
	.section	.text._ZN7rocprim17ROCPRIM_400000_NS6detail17trampoline_kernelINS0_14default_configENS1_25partition_config_selectorILNS1_17partition_subalgoE6ExNS0_10empty_typeEbEEZZNS1_14partition_implILS5_6ELb0ES3_mN6thrust23THRUST_200600_302600_NS6detail15normal_iteratorINSA_10device_ptrIxEEEEPS6_SG_NS0_5tupleIJSF_S6_EEENSH_IJSG_SG_EEES6_PlJ7is_evenIxEEEE10hipError_tPvRmT3_T4_T5_T6_T7_T9_mT8_P12ihipStream_tbDpT10_ENKUlT_T0_E_clISt17integral_constantIbLb1EES16_EEDaS11_S12_EUlS11_E_NS1_11comp_targetILNS1_3genE9ELNS1_11target_archE1100ELNS1_3gpuE3ELNS1_3repE0EEENS1_30default_config_static_selectorELNS0_4arch9wavefront6targetE0EEEvT1_,"axG",@progbits,_ZN7rocprim17ROCPRIM_400000_NS6detail17trampoline_kernelINS0_14default_configENS1_25partition_config_selectorILNS1_17partition_subalgoE6ExNS0_10empty_typeEbEEZZNS1_14partition_implILS5_6ELb0ES3_mN6thrust23THRUST_200600_302600_NS6detail15normal_iteratorINSA_10device_ptrIxEEEEPS6_SG_NS0_5tupleIJSF_S6_EEENSH_IJSG_SG_EEES6_PlJ7is_evenIxEEEE10hipError_tPvRmT3_T4_T5_T6_T7_T9_mT8_P12ihipStream_tbDpT10_ENKUlT_T0_E_clISt17integral_constantIbLb1EES16_EEDaS11_S12_EUlS11_E_NS1_11comp_targetILNS1_3genE9ELNS1_11target_archE1100ELNS1_3gpuE3ELNS1_3repE0EEENS1_30default_config_static_selectorELNS0_4arch9wavefront6targetE0EEEvT1_,comdat
	.protected	_ZN7rocprim17ROCPRIM_400000_NS6detail17trampoline_kernelINS0_14default_configENS1_25partition_config_selectorILNS1_17partition_subalgoE6ExNS0_10empty_typeEbEEZZNS1_14partition_implILS5_6ELb0ES3_mN6thrust23THRUST_200600_302600_NS6detail15normal_iteratorINSA_10device_ptrIxEEEEPS6_SG_NS0_5tupleIJSF_S6_EEENSH_IJSG_SG_EEES6_PlJ7is_evenIxEEEE10hipError_tPvRmT3_T4_T5_T6_T7_T9_mT8_P12ihipStream_tbDpT10_ENKUlT_T0_E_clISt17integral_constantIbLb1EES16_EEDaS11_S12_EUlS11_E_NS1_11comp_targetILNS1_3genE9ELNS1_11target_archE1100ELNS1_3gpuE3ELNS1_3repE0EEENS1_30default_config_static_selectorELNS0_4arch9wavefront6targetE0EEEvT1_ ; -- Begin function _ZN7rocprim17ROCPRIM_400000_NS6detail17trampoline_kernelINS0_14default_configENS1_25partition_config_selectorILNS1_17partition_subalgoE6ExNS0_10empty_typeEbEEZZNS1_14partition_implILS5_6ELb0ES3_mN6thrust23THRUST_200600_302600_NS6detail15normal_iteratorINSA_10device_ptrIxEEEEPS6_SG_NS0_5tupleIJSF_S6_EEENSH_IJSG_SG_EEES6_PlJ7is_evenIxEEEE10hipError_tPvRmT3_T4_T5_T6_T7_T9_mT8_P12ihipStream_tbDpT10_ENKUlT_T0_E_clISt17integral_constantIbLb1EES16_EEDaS11_S12_EUlS11_E_NS1_11comp_targetILNS1_3genE9ELNS1_11target_archE1100ELNS1_3gpuE3ELNS1_3repE0EEENS1_30default_config_static_selectorELNS0_4arch9wavefront6targetE0EEEvT1_
	.globl	_ZN7rocprim17ROCPRIM_400000_NS6detail17trampoline_kernelINS0_14default_configENS1_25partition_config_selectorILNS1_17partition_subalgoE6ExNS0_10empty_typeEbEEZZNS1_14partition_implILS5_6ELb0ES3_mN6thrust23THRUST_200600_302600_NS6detail15normal_iteratorINSA_10device_ptrIxEEEEPS6_SG_NS0_5tupleIJSF_S6_EEENSH_IJSG_SG_EEES6_PlJ7is_evenIxEEEE10hipError_tPvRmT3_T4_T5_T6_T7_T9_mT8_P12ihipStream_tbDpT10_ENKUlT_T0_E_clISt17integral_constantIbLb1EES16_EEDaS11_S12_EUlS11_E_NS1_11comp_targetILNS1_3genE9ELNS1_11target_archE1100ELNS1_3gpuE3ELNS1_3repE0EEENS1_30default_config_static_selectorELNS0_4arch9wavefront6targetE0EEEvT1_
	.p2align	8
	.type	_ZN7rocprim17ROCPRIM_400000_NS6detail17trampoline_kernelINS0_14default_configENS1_25partition_config_selectorILNS1_17partition_subalgoE6ExNS0_10empty_typeEbEEZZNS1_14partition_implILS5_6ELb0ES3_mN6thrust23THRUST_200600_302600_NS6detail15normal_iteratorINSA_10device_ptrIxEEEEPS6_SG_NS0_5tupleIJSF_S6_EEENSH_IJSG_SG_EEES6_PlJ7is_evenIxEEEE10hipError_tPvRmT3_T4_T5_T6_T7_T9_mT8_P12ihipStream_tbDpT10_ENKUlT_T0_E_clISt17integral_constantIbLb1EES16_EEDaS11_S12_EUlS11_E_NS1_11comp_targetILNS1_3genE9ELNS1_11target_archE1100ELNS1_3gpuE3ELNS1_3repE0EEENS1_30default_config_static_selectorELNS0_4arch9wavefront6targetE0EEEvT1_,@function
_ZN7rocprim17ROCPRIM_400000_NS6detail17trampoline_kernelINS0_14default_configENS1_25partition_config_selectorILNS1_17partition_subalgoE6ExNS0_10empty_typeEbEEZZNS1_14partition_implILS5_6ELb0ES3_mN6thrust23THRUST_200600_302600_NS6detail15normal_iteratorINSA_10device_ptrIxEEEEPS6_SG_NS0_5tupleIJSF_S6_EEENSH_IJSG_SG_EEES6_PlJ7is_evenIxEEEE10hipError_tPvRmT3_T4_T5_T6_T7_T9_mT8_P12ihipStream_tbDpT10_ENKUlT_T0_E_clISt17integral_constantIbLb1EES16_EEDaS11_S12_EUlS11_E_NS1_11comp_targetILNS1_3genE9ELNS1_11target_archE1100ELNS1_3gpuE3ELNS1_3repE0EEENS1_30default_config_static_selectorELNS0_4arch9wavefront6targetE0EEEvT1_: ; @_ZN7rocprim17ROCPRIM_400000_NS6detail17trampoline_kernelINS0_14default_configENS1_25partition_config_selectorILNS1_17partition_subalgoE6ExNS0_10empty_typeEbEEZZNS1_14partition_implILS5_6ELb0ES3_mN6thrust23THRUST_200600_302600_NS6detail15normal_iteratorINSA_10device_ptrIxEEEEPS6_SG_NS0_5tupleIJSF_S6_EEENSH_IJSG_SG_EEES6_PlJ7is_evenIxEEEE10hipError_tPvRmT3_T4_T5_T6_T7_T9_mT8_P12ihipStream_tbDpT10_ENKUlT_T0_E_clISt17integral_constantIbLb1EES16_EEDaS11_S12_EUlS11_E_NS1_11comp_targetILNS1_3genE9ELNS1_11target_archE1100ELNS1_3gpuE3ELNS1_3repE0EEENS1_30default_config_static_selectorELNS0_4arch9wavefront6targetE0EEEvT1_
; %bb.0:
	s_clause 0x3
	s_load_b64 s[12:13], s[0:1], 0x28
	s_load_b128 s[8:11], s[0:1], 0x40
	s_load_b64 s[16:17], s[0:1], 0x50
	s_load_b64 s[14:15], s[0:1], 0x60
	v_cmp_eq_u32_e64 s2, 0, v0
	s_delay_alu instid0(VALU_DEP_1)
	s_and_saveexec_b32 s3, s2
	s_cbranch_execz .LBB374_4
; %bb.1:
	s_mov_b32 s5, exec_lo
	s_mov_b32 s4, exec_lo
	v_mbcnt_lo_u32_b32 v1, s5, 0
                                        ; implicit-def: $vgpr2
	s_delay_alu instid0(VALU_DEP_1)
	v_cmpx_eq_u32_e32 0, v1
	s_cbranch_execz .LBB374_3
; %bb.2:
	s_load_b64 s[6:7], s[0:1], 0x70
	s_bcnt1_i32_b32 s5, s5
	s_delay_alu instid0(SALU_CYCLE_1)
	v_dual_mov_b32 v2, 0 :: v_dual_mov_b32 v3, s5
	s_waitcnt lgkmcnt(0)
	global_atomic_add_u32 v2, v2, v3, s[6:7] glc
.LBB374_3:
	s_or_b32 exec_lo, exec_lo, s4
	s_waitcnt vmcnt(0)
	v_readfirstlane_b32 s4, v2
	s_delay_alu instid0(VALU_DEP_1)
	v_dual_mov_b32 v2, 0 :: v_dual_add_nc_u32 v1, s4, v1
	ds_store_b32 v2, v1
.LBB374_4:
	s_or_b32 exec_lo, exec_lo, s3
	v_mov_b32_e32 v2, 0
	s_clause 0x1
	s_load_b128 s[4:7], s[0:1], 0x8
	s_load_b32 s0, s[0:1], 0x68
	s_waitcnt lgkmcnt(0)
	s_barrier
	buffer_gl0_inv
	ds_load_b32 v1, v2
	s_waitcnt lgkmcnt(0)
	s_barrier
	buffer_gl0_inv
	global_load_b64 v[21:22], v2, s[10:11]
	s_lshl_b64 s[10:11], s[6:7], 3
	s_delay_alu instid0(SALU_CYCLE_1)
	s_add_u32 s1, s4, s10
	s_mul_i32 s4, s0, 0x900
	s_addc_u32 s3, s5, s11
	v_readfirstlane_b32 s10, v1
	v_mul_lo_u32 v1, 0x900, v1
	s_add_i32 s5, s4, s6
	s_add_i32 s11, s0, -1
	s_sub_i32 s0, s16, s5
	s_add_u32 s4, s6, s4
	s_addc_u32 s5, s7, 0
	s_cmp_eq_u32 s10, s11
	v_cmp_ge_u64_e64 s4, s[4:5], s[16:17]
	v_lshlrev_b64 v[1:2], 3, v[1:2]
	s_cselect_b32 s5, -1, 0
	s_delay_alu instid0(VALU_DEP_2) | instid1(SALU_CYCLE_1)
	s_and_b32 s4, s4, s5
	s_delay_alu instid0(VALU_DEP_1) | instskip(NEXT) | instid1(VALU_DEP_2)
	v_add_co_u32 v17, vcc_lo, s1, v1
	v_add_co_ci_u32_e32 v18, vcc_lo, s3, v2, vcc_lo
	s_xor_b32 s6, s4, -1
	s_mov_b32 s1, -1
	s_and_b32 vcc_lo, exec_lo, s6
	s_cbranch_vccz .LBB374_6
; %bb.5:
	v_lshlrev_b32_e32 v13, 3, v0
	s_mov_b32 s1, 0
	s_delay_alu instid0(VALU_DEP_1) | instskip(SKIP_1) | instid1(VALU_DEP_2)
	v_add_co_u32 v1, vcc_lo, v17, v13
	v_add_co_ci_u32_e32 v2, vcc_lo, 0, v18, vcc_lo
	v_add_co_u32 v3, vcc_lo, 0x1000, v1
	s_delay_alu instid0(VALU_DEP_2)
	v_add_co_ci_u32_e32 v4, vcc_lo, 0, v2, vcc_lo
	v_add_co_u32 v5, vcc_lo, 0x2000, v1
	v_add_co_ci_u32_e32 v6, vcc_lo, 0, v2, vcc_lo
	v_add_co_u32 v7, vcc_lo, 0x3000, v1
	v_add_co_ci_u32_e32 v8, vcc_lo, 0, v2, vcc_lo
	s_clause 0x5
	flat_load_b64 v[9:10], v[1:2]
	flat_load_b64 v[1:2], v[1:2] offset:3072
	flat_load_b64 v[3:4], v[3:4] offset:2048
	;; [unrolled: 1-line block ×3, first 2 shown]
	flat_load_b64 v[11:12], v[7:8]
	flat_load_b64 v[7:8], v[7:8] offset:3072
	s_waitcnt vmcnt(4) lgkmcnt(4)
	ds_store_2addr_stride64_b64 v13, v[9:10], v[1:2] offset1:6
	s_waitcnt vmcnt(2) lgkmcnt(3)
	ds_store_2addr_stride64_b64 v13, v[3:4], v[5:6] offset0:12 offset1:18
	s_waitcnt vmcnt(0) lgkmcnt(2)
	ds_store_2addr_stride64_b64 v13, v[11:12], v[7:8] offset0:24 offset1:30
	s_waitcnt lgkmcnt(0)
	s_barrier
.LBB374_6:
	s_and_not1_b32 vcc_lo, exec_lo, s1
	s_addk_i32 s0, 0x900
	s_cbranch_vccnz .LBB374_20
; %bb.7:
	s_mov_b32 s1, exec_lo
                                        ; implicit-def: $vgpr1_vgpr2_vgpr3_vgpr4_vgpr5_vgpr6_vgpr7_vgpr8_vgpr9_vgpr10_vgpr11_vgpr12_vgpr13_vgpr14_vgpr15_vgpr16
	v_cmpx_gt_u32_e64 s0, v0
	s_cbranch_execz .LBB374_9
; %bb.8:
	v_lshlrev_b32_e32 v1, 3, v0
	s_delay_alu instid0(VALU_DEP_1)
	v_add_co_u32 v1, vcc_lo, v17, v1
	v_add_co_ci_u32_e32 v2, vcc_lo, 0, v18, vcc_lo
	flat_load_b64 v[1:2], v[1:2]
.LBB374_9:
	s_or_b32 exec_lo, exec_lo, s1
	v_add_nc_u32_e32 v13, 0x180, v0
	s_mov_b32 s1, exec_lo
	s_delay_alu instid0(VALU_DEP_1)
	v_cmpx_gt_u32_e64 s0, v13
	s_cbranch_execz .LBB374_11
; %bb.10:
	v_lshlrev_b32_e32 v3, 3, v0
	s_delay_alu instid0(VALU_DEP_1)
	v_add_co_u32 v3, vcc_lo, v17, v3
	v_add_co_ci_u32_e32 v4, vcc_lo, 0, v18, vcc_lo
	flat_load_b64 v[3:4], v[3:4] offset:3072
.LBB374_11:
	s_or_b32 exec_lo, exec_lo, s1
	v_add_nc_u32_e32 v13, 0x300, v0
	s_mov_b32 s1, exec_lo
	s_delay_alu instid0(VALU_DEP_1)
	v_cmpx_gt_u32_e64 s0, v13
	s_cbranch_execz .LBB374_13
; %bb.12:
	v_lshlrev_b32_e32 v5, 3, v13
	s_delay_alu instid0(VALU_DEP_1)
	v_add_co_u32 v5, vcc_lo, v17, v5
	v_add_co_ci_u32_e32 v6, vcc_lo, 0, v18, vcc_lo
	flat_load_b64 v[5:6], v[5:6]
.LBB374_13:
	s_or_b32 exec_lo, exec_lo, s1
	v_add_nc_u32_e32 v13, 0x480, v0
	s_mov_b32 s1, exec_lo
	s_delay_alu instid0(VALU_DEP_1)
	v_cmpx_gt_u32_e64 s0, v13
	s_cbranch_execz .LBB374_15
; %bb.14:
	v_lshlrev_b32_e32 v7, 3, v13
	s_delay_alu instid0(VALU_DEP_1)
	v_add_co_u32 v7, vcc_lo, v17, v7
	v_add_co_ci_u32_e32 v8, vcc_lo, 0, v18, vcc_lo
	flat_load_b64 v[7:8], v[7:8]
.LBB374_15:
	s_or_b32 exec_lo, exec_lo, s1
	v_or_b32_e32 v13, 0x600, v0
	s_mov_b32 s1, exec_lo
	s_delay_alu instid0(VALU_DEP_1)
	v_cmpx_gt_u32_e64 s0, v13
	s_cbranch_execz .LBB374_17
; %bb.16:
	v_lshlrev_b32_e32 v9, 3, v13
	s_delay_alu instid0(VALU_DEP_1)
	v_add_co_u32 v9, vcc_lo, v17, v9
	v_add_co_ci_u32_e32 v10, vcc_lo, 0, v18, vcc_lo
	flat_load_b64 v[9:10], v[9:10]
.LBB374_17:
	s_or_b32 exec_lo, exec_lo, s1
	v_add_nc_u32_e32 v13, 0x780, v0
	s_mov_b32 s1, exec_lo
	s_delay_alu instid0(VALU_DEP_1)
	v_cmpx_gt_u32_e64 s0, v13
	s_cbranch_execz .LBB374_19
; %bb.18:
	v_lshlrev_b32_e32 v11, 3, v13
	s_delay_alu instid0(VALU_DEP_1)
	v_add_co_u32 v11, vcc_lo, v17, v11
	v_add_co_ci_u32_e32 v12, vcc_lo, 0, v18, vcc_lo
	flat_load_b64 v[11:12], v[11:12]
.LBB374_19:
	s_or_b32 exec_lo, exec_lo, s1
	v_lshlrev_b32_e32 v13, 3, v0
	s_waitcnt vmcnt(0) lgkmcnt(0)
	ds_store_2addr_stride64_b64 v13, v[1:2], v[3:4] offset1:6
	ds_store_2addr_stride64_b64 v13, v[5:6], v[7:8] offset0:12 offset1:18
	ds_store_2addr_stride64_b64 v13, v[9:10], v[11:12] offset0:24 offset1:30
	s_waitcnt lgkmcnt(0)
	s_barrier
.LBB374_20:
	v_mul_u32_u24_e32 v13, 6, v0
	s_waitcnt vmcnt(0)
	buffer_gl0_inv
	s_and_not1_b32 vcc_lo, exec_lo, s6
	v_lshlrev_b32_e32 v37, 3, v13
	ds_load_b128 v[9:12], v37
	ds_load_b128 v[5:8], v37 offset:16
	ds_load_b128 v[1:4], v37 offset:32
	s_waitcnt lgkmcnt(0)
	s_barrier
	buffer_gl0_inv
	v_xor_b32_e32 v16, -1, v9
	v_xor_b32_e32 v18, -1, v11
	;; [unrolled: 1-line block ×6, first 2 shown]
	s_cbranch_vccnz .LBB374_22
; %bb.21:
	v_and_b32_e32 v20, 1, v18
	v_and_b32_e32 v23, 1, v19
	;; [unrolled: 1-line block ×5, first 2 shown]
	v_lshlrev_b16 v20, 8, v20
	v_lshlrev_b16 v23, 8, v23
	v_and_b32_e32 v33, 1, v15
	s_delay_alu instid0(VALU_DEP_3) | instskip(NEXT) | instid1(VALU_DEP_3)
	v_or_b32_e32 v20, v24, v20
	v_or_b32_e32 v23, v25, v23
	s_delay_alu instid0(VALU_DEP_2) | instskip(NEXT) | instid1(VALU_DEP_2)
	v_and_b32_e32 v20, 0xffff, v20
	v_lshlrev_b32_e32 v23, 16, v23
	s_delay_alu instid0(VALU_DEP_1)
	v_or_b32_e32 v36, v20, v23
	s_cbranch_execz .LBB374_23
	s_branch .LBB374_24
.LBB374_22:
                                        ; implicit-def: $vgpr33
                                        ; implicit-def: $vgpr34
                                        ; implicit-def: $vgpr36
.LBB374_23:
	v_or_b32_e32 v20, 1, v13
	v_add_nc_u32_e32 v23, 3, v13
	v_add_nc_u32_e32 v24, 2, v13
	s_delay_alu instid0(VALU_DEP_3) | instskip(SKIP_1) | instid1(VALU_DEP_4)
	v_cmp_gt_u32_e32 vcc_lo, s0, v20
	v_cndmask_b32_e64 v20, 0, 1, vcc_lo
	v_cmp_gt_u32_e32 vcc_lo, s0, v23
	s_delay_alu instid0(VALU_DEP_2)
	v_and_b32_e32 v18, v20, v18
	v_cndmask_b32_e64 v23, 0, 1, vcc_lo
	v_cmp_gt_u32_e32 vcc_lo, s0, v13
	v_add_nc_u32_e32 v20, 4, v13
	v_add_nc_u32_e32 v13, 5, v13
	v_lshlrev_b16 v18, 8, v18
	v_and_b32_e32 v19, v23, v19
	v_cndmask_b32_e64 v25, 0, 1, vcc_lo
	v_cmp_gt_u32_e32 vcc_lo, s0, v24
	s_delay_alu instid0(VALU_DEP_3) | instskip(NEXT) | instid1(VALU_DEP_3)
	v_lshlrev_b16 v19, 8, v19
	v_and_b32_e32 v16, v25, v16
	v_cndmask_b32_e64 v24, 0, 1, vcc_lo
	v_cmp_gt_u32_e32 vcc_lo, s0, v20
	s_delay_alu instid0(VALU_DEP_3) | instskip(NEXT) | instid1(VALU_DEP_3)
	v_or_b32_e32 v16, v16, v18
	v_and_b32_e32 v17, v24, v17
	v_cndmask_b32_e64 v18, 0, 1, vcc_lo
	v_cmp_gt_u32_e32 vcc_lo, s0, v13
	s_delay_alu instid0(VALU_DEP_4) | instskip(NEXT) | instid1(VALU_DEP_4)
	v_and_b32_e32 v16, 0xffff, v16
	v_or_b32_e32 v17, v17, v19
	s_delay_alu instid0(VALU_DEP_4) | instskip(SKIP_1) | instid1(VALU_DEP_3)
	v_and_b32_e32 v34, v18, v14
	v_cndmask_b32_e64 v13, 0, 1, vcc_lo
	v_lshlrev_b32_e32 v17, 16, v17
	s_delay_alu instid0(VALU_DEP_2) | instskip(NEXT) | instid1(VALU_DEP_2)
	v_and_b32_e32 v33, v13, v15
	v_or_b32_e32 v36, v16, v17
.LBB374_24:
	s_delay_alu instid0(VALU_DEP_1)
	v_dual_mov_b32 v14, 0 :: v_dual_and_b32 v41, 0xff, v36
	v_bfe_u32 v40, v36, 8, 8
	v_bfe_u32 v39, v36, 16, 8
	v_lshrrev_b32_e32 v35, 24, v36
	v_and_b32_e32 v38, 0xff, v34
	v_mbcnt_lo_u32_b32 v42, -1, 0
	v_add_co_u32 v13, s0, v40, v41
	s_delay_alu instid0(VALU_DEP_1) | instskip(SKIP_1) | instid1(VALU_DEP_3)
	v_add_co_ci_u32_e64 v15, null, 0, 0, s0
	v_and_b32_e32 v16, 0xff, v33
	v_add_co_u32 v13, vcc_lo, v13, v39
	s_delay_alu instid0(VALU_DEP_3) | instskip(SKIP_1) | instid1(VALU_DEP_3)
	v_add_co_ci_u32_e32 v15, vcc_lo, 0, v15, vcc_lo
	v_and_b32_e32 v43, 15, v42
	v_add_co_u32 v13, vcc_lo, v13, v35
	s_delay_alu instid0(VALU_DEP_3) | instskip(NEXT) | instid1(VALU_DEP_3)
	v_add_co_ci_u32_e32 v15, vcc_lo, 0, v15, vcc_lo
	v_cmp_ne_u32_e64 s0, 0, v43
	s_delay_alu instid0(VALU_DEP_3) | instskip(NEXT) | instid1(VALU_DEP_3)
	v_add_co_u32 v13, vcc_lo, v13, v38
	v_add_co_ci_u32_e32 v15, vcc_lo, 0, v15, vcc_lo
	s_cmp_lg_u32 s10, 0
	s_delay_alu instid0(VALU_DEP_2) | instskip(NEXT) | instid1(VALU_DEP_2)
	v_add_co_u32 v23, vcc_lo, v13, v16
	v_add_co_ci_u32_e32 v24, vcc_lo, 0, v15, vcc_lo
	s_mov_b32 s1, -1
	s_cbranch_scc0 .LBB374_93
; %bb.25:
	s_delay_alu instid0(VALU_DEP_2)
	v_mov_b32_e32 v15, v23
	v_mov_b32_dpp v13, v23 row_shr:1 row_mask:0xf bank_mask:0xf
	v_mov_b32_dpp v18, v14 row_shr:1 row_mask:0xf bank_mask:0xf
	v_dual_mov_b32 v17, v23 :: v_dual_mov_b32 v16, v24
	s_and_saveexec_b32 s1, s0
; %bb.26:
	s_delay_alu instid0(VALU_DEP_3) | instskip(SKIP_1) | instid1(VALU_DEP_2)
	v_add_co_u32 v17, vcc_lo, v23, v13
	v_add_co_ci_u32_e32 v14, vcc_lo, 0, v24, vcc_lo
	v_add_co_u32 v13, vcc_lo, 0, v17
	s_delay_alu instid0(VALU_DEP_2) | instskip(NEXT) | instid1(VALU_DEP_1)
	v_add_co_ci_u32_e32 v14, vcc_lo, v18, v14, vcc_lo
	v_dual_mov_b32 v16, v14 :: v_dual_mov_b32 v15, v13
; %bb.27:
	s_or_b32 exec_lo, exec_lo, s1
	v_mov_b32_dpp v13, v17 row_shr:2 row_mask:0xf bank_mask:0xf
	v_mov_b32_dpp v18, v14 row_shr:2 row_mask:0xf bank_mask:0xf
	v_cmp_lt_u32_e32 vcc_lo, 1, v43
	s_and_saveexec_b32 s3, vcc_lo
; %bb.28:
	s_delay_alu instid0(VALU_DEP_3) | instskip(NEXT) | instid1(VALU_DEP_1)
	v_add_co_u32 v17, s1, v15, v13
	v_add_co_ci_u32_e64 v14, s1, 0, v16, s1
	s_delay_alu instid0(VALU_DEP_2) | instskip(NEXT) | instid1(VALU_DEP_1)
	v_add_co_u32 v13, s1, 0, v17
	v_add_co_ci_u32_e64 v14, s1, v18, v14, s1
	s_delay_alu instid0(VALU_DEP_1)
	v_dual_mov_b32 v16, v14 :: v_dual_mov_b32 v15, v13
; %bb.29:
	s_or_b32 exec_lo, exec_lo, s3
	v_mov_b32_dpp v13, v17 row_shr:4 row_mask:0xf bank_mask:0xf
	v_mov_b32_dpp v18, v14 row_shr:4 row_mask:0xf bank_mask:0xf
	v_cmp_lt_u32_e64 s1, 3, v43
	s_delay_alu instid0(VALU_DEP_1)
	s_and_saveexec_b32 s4, s1
; %bb.30:
	s_delay_alu instid0(VALU_DEP_3) | instskip(NEXT) | instid1(VALU_DEP_1)
	v_add_co_u32 v17, s3, v15, v13
	v_add_co_ci_u32_e64 v14, s3, 0, v16, s3
	s_delay_alu instid0(VALU_DEP_2) | instskip(NEXT) | instid1(VALU_DEP_1)
	v_add_co_u32 v13, s3, 0, v17
	v_add_co_ci_u32_e64 v14, s3, v18, v14, s3
	s_delay_alu instid0(VALU_DEP_1)
	v_dual_mov_b32 v16, v14 :: v_dual_mov_b32 v15, v13
; %bb.31:
	s_or_b32 exec_lo, exec_lo, s4
	v_mov_b32_dpp v18, v17 row_shr:8 row_mask:0xf bank_mask:0xf
	v_mov_b32_dpp v13, v14 row_shr:8 row_mask:0xf bank_mask:0xf
	v_cmp_lt_u32_e64 s3, 7, v43
	s_delay_alu instid0(VALU_DEP_1)
	s_and_saveexec_b32 s7, s3
; %bb.32:
	s_delay_alu instid0(VALU_DEP_3) | instskip(NEXT) | instid1(VALU_DEP_1)
	v_add_co_u32 v17, s4, v15, v18
	v_add_co_ci_u32_e64 v14, s4, 0, v16, s4
	s_delay_alu instid0(VALU_DEP_2) | instskip(NEXT) | instid1(VALU_DEP_1)
	v_add_co_u32 v15, s4, 0, v17
	v_add_co_ci_u32_e64 v16, s4, v13, v14, s4
	s_delay_alu instid0(VALU_DEP_1)
	v_mov_b32_e32 v14, v16
; %bb.33:
	s_or_b32 exec_lo, exec_lo, s7
	ds_swizzle_b32 v13, v17 offset:swizzle(BROADCAST,32,15)
	ds_swizzle_b32 v18, v14 offset:swizzle(BROADCAST,32,15)
	v_and_b32_e32 v19, 16, v42
	s_mov_b32 s7, exec_lo
	s_delay_alu instid0(VALU_DEP_1)
	v_cmpx_ne_u32_e32 0, v19
	s_cbranch_execz .LBB374_35
; %bb.34:
	s_waitcnt lgkmcnt(1)
	v_add_co_u32 v17, s4, v15, v13
	s_delay_alu instid0(VALU_DEP_1) | instskip(NEXT) | instid1(VALU_DEP_2)
	v_add_co_ci_u32_e64 v14, s4, 0, v16, s4
	v_add_co_u32 v13, s4, 0, v17
	s_waitcnt lgkmcnt(0)
	s_delay_alu instid0(VALU_DEP_2) | instskip(NEXT) | instid1(VALU_DEP_1)
	v_add_co_ci_u32_e64 v14, s4, v18, v14, s4
	v_dual_mov_b32 v16, v14 :: v_dual_mov_b32 v15, v13
.LBB374_35:
	s_or_b32 exec_lo, exec_lo, s7
	s_waitcnt lgkmcnt(1)
	v_and_b32_e32 v13, 0x1e0, v0
	s_mov_b32 s7, exec_lo
	s_delay_alu instid0(VALU_DEP_1) | instskip(SKIP_1) | instid1(VALU_DEP_1)
	v_min_u32_e32 v13, 0x160, v13
	s_waitcnt lgkmcnt(0)
	v_or_b32_e32 v18, 31, v13
	v_lshrrev_b32_e32 v13, 5, v0
	s_delay_alu instid0(VALU_DEP_2)
	v_cmpx_eq_u32_e64 v18, v0
	s_cbranch_execz .LBB374_37
; %bb.36:
	s_delay_alu instid0(VALU_DEP_2)
	v_lshlrev_b32_e32 v18, 3, v13
	ds_store_b64 v18, v[15:16]
.LBB374_37:
	s_or_b32 exec_lo, exec_lo, s7
	s_delay_alu instid0(SALU_CYCLE_1)
	s_mov_b32 s7, exec_lo
	s_waitcnt lgkmcnt(0)
	s_barrier
	buffer_gl0_inv
	v_cmpx_gt_u32_e32 12, v0
	s_cbranch_execz .LBB374_47
; %bb.38:
	v_lshlrev_b32_e32 v18, 3, v0
	ds_load_b64 v[15:16], v18
	s_waitcnt lgkmcnt(0)
	v_mov_b32_e32 v19, v15
	v_mov_b32_dpp v25, v15 row_shr:1 row_mask:0xf bank_mask:0xf
	v_mov_b32_dpp v20, v16 row_shr:1 row_mask:0xf bank_mask:0xf
	s_and_saveexec_b32 s11, s0
; %bb.39:
	s_delay_alu instid0(VALU_DEP_2) | instskip(NEXT) | instid1(VALU_DEP_1)
	v_add_co_u32 v19, s4, v15, v25
	v_add_co_ci_u32_e64 v16, s4, 0, v16, s4
	s_delay_alu instid0(VALU_DEP_2) | instskip(NEXT) | instid1(VALU_DEP_1)
	v_add_co_u32 v15, s4, 0, v19
	v_add_co_ci_u32_e64 v16, s4, v20, v16, s4
; %bb.40:
	s_or_b32 exec_lo, exec_lo, s11
	v_mov_b32_dpp v25, v19 row_shr:2 row_mask:0xf bank_mask:0xf
	s_delay_alu instid0(VALU_DEP_2)
	v_mov_b32_dpp v20, v16 row_shr:2 row_mask:0xf bank_mask:0xf
	s_and_saveexec_b32 s4, vcc_lo
; %bb.41:
	s_delay_alu instid0(VALU_DEP_2) | instskip(SKIP_1) | instid1(VALU_DEP_2)
	v_add_co_u32 v19, vcc_lo, v15, v25
	v_add_co_ci_u32_e32 v16, vcc_lo, 0, v16, vcc_lo
	v_add_co_u32 v15, vcc_lo, 0, v19
	s_delay_alu instid0(VALU_DEP_2)
	v_add_co_ci_u32_e32 v16, vcc_lo, v20, v16, vcc_lo
; %bb.42:
	s_or_b32 exec_lo, exec_lo, s4
	v_mov_b32_dpp v25, v19 row_shr:4 row_mask:0xf bank_mask:0xf
	s_delay_alu instid0(VALU_DEP_2)
	v_mov_b32_dpp v20, v16 row_shr:4 row_mask:0xf bank_mask:0xf
	s_and_saveexec_b32 s4, s1
; %bb.43:
	s_delay_alu instid0(VALU_DEP_2) | instskip(SKIP_1) | instid1(VALU_DEP_2)
	v_add_co_u32 v19, vcc_lo, v15, v25
	v_add_co_ci_u32_e32 v16, vcc_lo, 0, v16, vcc_lo
	v_add_co_u32 v15, vcc_lo, 0, v19
	s_delay_alu instid0(VALU_DEP_2)
	v_add_co_ci_u32_e32 v16, vcc_lo, v20, v16, vcc_lo
; %bb.44:
	s_or_b32 exec_lo, exec_lo, s4
	v_mov_b32_dpp v20, v19 row_shr:8 row_mask:0xf bank_mask:0xf
	s_delay_alu instid0(VALU_DEP_2)
	v_mov_b32_dpp v19, v16 row_shr:8 row_mask:0xf bank_mask:0xf
	s_and_saveexec_b32 s1, s3
; %bb.45:
	s_delay_alu instid0(VALU_DEP_2) | instskip(SKIP_1) | instid1(VALU_DEP_2)
	v_add_co_u32 v15, vcc_lo, v15, v20
	v_add_co_ci_u32_e32 v16, vcc_lo, 0, v16, vcc_lo
	v_add_co_u32 v15, vcc_lo, v15, 0
	s_delay_alu instid0(VALU_DEP_2)
	v_add_co_ci_u32_e32 v16, vcc_lo, v16, v19, vcc_lo
; %bb.46:
	s_or_b32 exec_lo, exec_lo, s1
	ds_store_b64 v18, v[15:16]
.LBB374_47:
	s_or_b32 exec_lo, exec_lo, s7
	v_cmp_gt_u32_e32 vcc_lo, 32, v0
	s_mov_b32 s3, exec_lo
	s_waitcnt lgkmcnt(0)
	s_barrier
	buffer_gl0_inv
                                        ; implicit-def: $vgpr25_vgpr26
	v_cmpx_lt_u32_e32 31, v0
	s_cbranch_execz .LBB374_49
; %bb.48:
	v_lshl_add_u32 v13, v13, 3, -8
	ds_load_b64 v[25:26], v13
	s_waitcnt lgkmcnt(0)
	v_add_co_u32 v17, s1, v17, v25
	s_delay_alu instid0(VALU_DEP_1)
	v_add_co_ci_u32_e64 v14, s1, v14, v26, s1
.LBB374_49:
	s_or_b32 exec_lo, exec_lo, s3
	v_add_nc_u32_e32 v13, -1, v42
	s_delay_alu instid0(VALU_DEP_1) | instskip(NEXT) | instid1(VALU_DEP_1)
	v_cmp_gt_i32_e64 s1, 0, v13
	v_cndmask_b32_e64 v13, v13, v42, s1
	v_cmp_eq_u32_e64 s1, 0, v42
	s_delay_alu instid0(VALU_DEP_2)
	v_lshlrev_b32_e32 v13, 2, v13
	ds_bpermute_b32 v31, v13, v17
	ds_bpermute_b32 v32, v13, v14
	s_and_saveexec_b32 s3, vcc_lo
	s_cbranch_execz .LBB374_92
; %bb.50:
	v_mov_b32_e32 v16, 0
	ds_load_b64 v[13:14], v16 offset:88
	s_and_saveexec_b32 s4, s1
	s_cbranch_execz .LBB374_52
; %bb.51:
	s_add_i32 s16, s10, 32
	s_mov_b32 s17, 0
	s_delay_alu instid0(SALU_CYCLE_1) | instskip(NEXT) | instid1(SALU_CYCLE_1)
	s_lshl_b64 s[16:17], s[16:17], 4
	s_add_u32 s16, s14, s16
	s_addc_u32 s17, s15, s17
	s_delay_alu instid0(SALU_CYCLE_1)
	v_dual_mov_b32 v15, 1 :: v_dual_mov_b32 v18, s17
	v_mov_b32_e32 v17, s16
	s_waitcnt lgkmcnt(0)
	;;#ASMSTART
	global_store_dwordx4 v[17:18], v[13:16] off	
s_waitcnt vmcnt(0)
	;;#ASMEND
.LBB374_52:
	s_or_b32 exec_lo, exec_lo, s4
	v_xad_u32 v27, v42, -1, s10
	s_mov_b32 s7, 0
	s_mov_b32 s4, exec_lo
	s_delay_alu instid0(VALU_DEP_1) | instskip(NEXT) | instid1(VALU_DEP_1)
	v_add_nc_u32_e32 v15, 32, v27
	v_lshlrev_b64 v[15:16], 4, v[15:16]
	s_delay_alu instid0(VALU_DEP_1) | instskip(NEXT) | instid1(VALU_DEP_2)
	v_add_co_u32 v15, vcc_lo, s14, v15
	v_add_co_ci_u32_e32 v16, vcc_lo, s15, v16, vcc_lo
	;;#ASMSTART
	global_load_dwordx4 v[17:20], v[15:16] off glc	
s_waitcnt vmcnt(0)
	;;#ASMEND
	v_and_b32_e32 v20, 0xff, v18
	v_and_b32_e32 v28, 0xff00, v18
	v_or3_b32 v17, v17, 0, 0
	v_and_b32_e32 v29, 0xff000000, v18
	v_and_b32_e32 v18, 0xff0000, v18
	s_delay_alu instid0(VALU_DEP_4) | instskip(SKIP_2) | instid1(VALU_DEP_3)
	v_or3_b32 v20, 0, v20, v28
	v_and_b32_e32 v28, 0xff, v19
	v_or3_b32 v17, v17, 0, 0
	v_or3_b32 v18, v20, v18, v29
	s_delay_alu instid0(VALU_DEP_3)
	v_cmpx_eq_u16_e32 0, v28
	s_cbranch_execz .LBB374_58
; %bb.53:
	s_mov_b32 s11, 1
	.p2align	6
.LBB374_54:                             ; =>This Loop Header: Depth=1
                                        ;     Child Loop BB374_55 Depth 2
	s_delay_alu instid0(SALU_CYCLE_1)
	s_max_u32 s16, s11, 1
.LBB374_55:                             ;   Parent Loop BB374_54 Depth=1
                                        ; =>  This Inner Loop Header: Depth=2
	s_delay_alu instid0(SALU_CYCLE_1)
	s_add_i32 s16, s16, -1
	s_sleep 1
	s_cmp_eq_u32 s16, 0
	s_cbranch_scc0 .LBB374_55
; %bb.56:                               ;   in Loop: Header=BB374_54 Depth=1
	;;#ASMSTART
	global_load_dwordx4 v[17:20], v[15:16] off glc	
s_waitcnt vmcnt(0)
	;;#ASMEND
	v_and_b32_e32 v20, 0xff, v19
	s_cmp_lt_u32 s11, 32
	s_cselect_b32 s16, -1, 0
	s_delay_alu instid0(SALU_CYCLE_1) | instskip(NEXT) | instid1(VALU_DEP_1)
	s_cmp_lg_u32 s16, 0
	v_cmp_ne_u16_e32 vcc_lo, 0, v20
	s_addc_u32 s11, s11, 0
	s_or_b32 s7, vcc_lo, s7
	s_delay_alu instid0(SALU_CYCLE_1)
	s_and_not1_b32 exec_lo, exec_lo, s7
	s_cbranch_execnz .LBB374_54
; %bb.57:
	s_or_b32 exec_lo, exec_lo, s7
.LBB374_58:
	s_delay_alu instid0(SALU_CYCLE_1)
	s_or_b32 exec_lo, exec_lo, s4
	v_cmp_ne_u32_e32 vcc_lo, 31, v42
	v_and_b32_e32 v16, 0xff, v19
	v_lshlrev_b32_e64 v45, v42, -1
	s_mov_b32 s4, exec_lo
	v_add_co_ci_u32_e32 v15, vcc_lo, 0, v42, vcc_lo
	s_delay_alu instid0(VALU_DEP_3) | instskip(SKIP_1) | instid1(VALU_DEP_3)
	v_cmp_eq_u16_e32 vcc_lo, 2, v16
	v_mov_b32_e32 v16, v17
	v_lshlrev_b32_e32 v44, 2, v15
	v_and_or_b32 v15, vcc_lo, v45, 0x80000000
	ds_bpermute_b32 v28, v44, v17
	ds_bpermute_b32 v20, v44, v18
	v_ctz_i32_b32_e32 v15, v15
	s_delay_alu instid0(VALU_DEP_1)
	v_cmpx_lt_u32_e64 v42, v15
	s_cbranch_execz .LBB374_60
; %bb.59:
	s_waitcnt lgkmcnt(1)
	v_add_co_u32 v16, vcc_lo, v17, v28
	v_add_co_ci_u32_e32 v18, vcc_lo, 0, v18, vcc_lo
	s_delay_alu instid0(VALU_DEP_2) | instskip(SKIP_1) | instid1(VALU_DEP_2)
	v_add_co_u32 v17, vcc_lo, 0, v16
	s_waitcnt lgkmcnt(0)
	v_add_co_ci_u32_e32 v18, vcc_lo, v20, v18, vcc_lo
.LBB374_60:
	s_or_b32 exec_lo, exec_lo, s4
	v_cmp_gt_u32_e32 vcc_lo, 30, v42
	v_add_nc_u32_e32 v47, 2, v42
	s_mov_b32 s4, exec_lo
	s_waitcnt lgkmcnt(0)
	v_cndmask_b32_e64 v20, 0, 1, vcc_lo
	s_delay_alu instid0(VALU_DEP_1) | instskip(NEXT) | instid1(VALU_DEP_1)
	v_lshlrev_b32_e32 v20, 1, v20
	v_add_lshl_u32 v46, v20, v42, 2
	ds_bpermute_b32 v28, v46, v16
	ds_bpermute_b32 v20, v46, v18
	v_cmpx_le_u32_e64 v47, v15
	s_cbranch_execz .LBB374_62
; %bb.61:
	s_waitcnt lgkmcnt(1)
	v_add_co_u32 v16, vcc_lo, v17, v28
	v_add_co_ci_u32_e32 v18, vcc_lo, 0, v18, vcc_lo
	s_delay_alu instid0(VALU_DEP_2) | instskip(SKIP_1) | instid1(VALU_DEP_2)
	v_add_co_u32 v17, vcc_lo, 0, v16
	s_waitcnt lgkmcnt(0)
	v_add_co_ci_u32_e32 v18, vcc_lo, v20, v18, vcc_lo
.LBB374_62:
	s_or_b32 exec_lo, exec_lo, s4
	v_cmp_gt_u32_e32 vcc_lo, 28, v42
	v_add_nc_u32_e32 v49, 4, v42
	s_mov_b32 s4, exec_lo
	s_waitcnt lgkmcnt(0)
	v_cndmask_b32_e64 v20, 0, 1, vcc_lo
	s_delay_alu instid0(VALU_DEP_1) | instskip(NEXT) | instid1(VALU_DEP_1)
	v_lshlrev_b32_e32 v20, 2, v20
	v_add_lshl_u32 v48, v20, v42, 2
	ds_bpermute_b32 v28, v48, v16
	ds_bpermute_b32 v20, v48, v18
	v_cmpx_le_u32_e64 v49, v15
	;; [unrolled: 22-line block ×4, first 2 shown]
	s_cbranch_execz .LBB374_68
; %bb.67:
	s_waitcnt lgkmcnt(1)
	v_add_co_u32 v15, vcc_lo, v17, v20
	v_add_co_ci_u32_e32 v18, vcc_lo, 0, v18, vcc_lo
	s_delay_alu instid0(VALU_DEP_2) | instskip(SKIP_1) | instid1(VALU_DEP_2)
	v_add_co_u32 v17, vcc_lo, v15, 0
	s_waitcnt lgkmcnt(0)
	v_add_co_ci_u32_e32 v18, vcc_lo, v18, v16, vcc_lo
.LBB374_68:
	s_or_b32 exec_lo, exec_lo, s4
	v_mov_b32_e32 v28, 0
	s_branch .LBB374_70
.LBB374_69:                             ;   in Loop: Header=BB374_70 Depth=1
	s_or_b32 exec_lo, exec_lo, s4
	v_add_co_u32 v17, vcc_lo, v17, v15
	v_subrev_nc_u32_e32 v27, 32, v27
	v_add_co_ci_u32_e32 v18, vcc_lo, v18, v16, vcc_lo
.LBB374_70:                             ; =>This Loop Header: Depth=1
                                        ;     Child Loop BB374_73 Depth 2
                                        ;       Child Loop BB374_74 Depth 3
	v_and_b32_e32 v15, 0xff, v19
	s_delay_alu instid0(VALU_DEP_1) | instskip(SKIP_2) | instid1(VALU_DEP_1)
	v_cmp_ne_u16_e32 vcc_lo, 2, v15
	v_cndmask_b32_e64 v15, 0, 1, vcc_lo
	;;#ASMSTART
	;;#ASMEND
	v_cmp_ne_u32_e32 vcc_lo, 0, v15
	s_waitcnt lgkmcnt(0)
	v_dual_mov_b32 v15, v17 :: v_dual_mov_b32 v16, v18
	s_cmp_lg_u32 vcc_lo, exec_lo
	s_cbranch_scc1 .LBB374_87
; %bb.71:                               ;   in Loop: Header=BB374_70 Depth=1
	v_lshlrev_b64 v[17:18], 4, v[27:28]
	s_mov_b32 s4, exec_lo
	s_delay_alu instid0(VALU_DEP_1) | instskip(NEXT) | instid1(VALU_DEP_2)
	v_add_co_u32 v29, vcc_lo, s14, v17
	v_add_co_ci_u32_e32 v30, vcc_lo, s15, v18, vcc_lo
	;;#ASMSTART
	global_load_dwordx4 v[17:20], v[29:30] off glc	
s_waitcnt vmcnt(0)
	;;#ASMEND
	v_and_b32_e32 v20, 0xff, v18
	v_and_b32_e32 v54, 0xff00, v18
	v_or3_b32 v17, v17, 0, 0
	v_and_b32_e32 v55, 0xff000000, v18
	v_and_b32_e32 v18, 0xff0000, v18
	s_delay_alu instid0(VALU_DEP_4) | instskip(SKIP_2) | instid1(VALU_DEP_3)
	v_or3_b32 v20, 0, v20, v54
	v_and_b32_e32 v54, 0xff, v19
	v_or3_b32 v17, v17, 0, 0
	v_or3_b32 v18, v20, v18, v55
	s_delay_alu instid0(VALU_DEP_3)
	v_cmpx_eq_u16_e32 0, v54
	s_cbranch_execz .LBB374_77
; %bb.72:                               ;   in Loop: Header=BB374_70 Depth=1
	s_mov_b32 s11, 1
	s_mov_b32 s7, 0
	.p2align	6
.LBB374_73:                             ;   Parent Loop BB374_70 Depth=1
                                        ; =>  This Loop Header: Depth=2
                                        ;       Child Loop BB374_74 Depth 3
	s_max_u32 s16, s11, 1
.LBB374_74:                             ;   Parent Loop BB374_70 Depth=1
                                        ;     Parent Loop BB374_73 Depth=2
                                        ; =>    This Inner Loop Header: Depth=3
	s_delay_alu instid0(SALU_CYCLE_1)
	s_add_i32 s16, s16, -1
	s_sleep 1
	s_cmp_eq_u32 s16, 0
	s_cbranch_scc0 .LBB374_74
; %bb.75:                               ;   in Loop: Header=BB374_73 Depth=2
	;;#ASMSTART
	global_load_dwordx4 v[17:20], v[29:30] off glc	
s_waitcnt vmcnt(0)
	;;#ASMEND
	v_and_b32_e32 v20, 0xff, v19
	s_cmp_lt_u32 s11, 32
	s_cselect_b32 s16, -1, 0
	s_delay_alu instid0(SALU_CYCLE_1) | instskip(NEXT) | instid1(VALU_DEP_1)
	s_cmp_lg_u32 s16, 0
	v_cmp_ne_u16_e32 vcc_lo, 0, v20
	s_addc_u32 s11, s11, 0
	s_or_b32 s7, vcc_lo, s7
	s_delay_alu instid0(SALU_CYCLE_1)
	s_and_not1_b32 exec_lo, exec_lo, s7
	s_cbranch_execnz .LBB374_73
; %bb.76:                               ;   in Loop: Header=BB374_70 Depth=1
	s_or_b32 exec_lo, exec_lo, s7
.LBB374_77:                             ;   in Loop: Header=BB374_70 Depth=1
	s_delay_alu instid0(SALU_CYCLE_1)
	s_or_b32 exec_lo, exec_lo, s4
	v_dual_mov_b32 v29, v17 :: v_dual_and_b32 v20, 0xff, v19
	ds_bpermute_b32 v54, v44, v17
	ds_bpermute_b32 v30, v44, v18
	s_mov_b32 s4, exec_lo
	v_cmp_eq_u16_e32 vcc_lo, 2, v20
	v_and_or_b32 v20, vcc_lo, v45, 0x80000000
	s_delay_alu instid0(VALU_DEP_1) | instskip(NEXT) | instid1(VALU_DEP_1)
	v_ctz_i32_b32_e32 v20, v20
	v_cmpx_lt_u32_e64 v42, v20
	s_cbranch_execz .LBB374_79
; %bb.78:                               ;   in Loop: Header=BB374_70 Depth=1
	s_waitcnt lgkmcnt(1)
	v_add_co_u32 v29, vcc_lo, v17, v54
	v_add_co_ci_u32_e32 v18, vcc_lo, 0, v18, vcc_lo
	s_delay_alu instid0(VALU_DEP_2) | instskip(SKIP_1) | instid1(VALU_DEP_2)
	v_add_co_u32 v17, vcc_lo, 0, v29
	s_waitcnt lgkmcnt(0)
	v_add_co_ci_u32_e32 v18, vcc_lo, v30, v18, vcc_lo
.LBB374_79:                             ;   in Loop: Header=BB374_70 Depth=1
	s_or_b32 exec_lo, exec_lo, s4
	s_waitcnt lgkmcnt(1)
	ds_bpermute_b32 v54, v46, v29
	s_waitcnt lgkmcnt(1)
	ds_bpermute_b32 v30, v46, v18
	s_mov_b32 s4, exec_lo
	v_cmpx_le_u32_e64 v47, v20
	s_cbranch_execz .LBB374_81
; %bb.80:                               ;   in Loop: Header=BB374_70 Depth=1
	s_waitcnt lgkmcnt(1)
	v_add_co_u32 v29, vcc_lo, v17, v54
	v_add_co_ci_u32_e32 v18, vcc_lo, 0, v18, vcc_lo
	s_delay_alu instid0(VALU_DEP_2) | instskip(SKIP_1) | instid1(VALU_DEP_2)
	v_add_co_u32 v17, vcc_lo, 0, v29
	s_waitcnt lgkmcnt(0)
	v_add_co_ci_u32_e32 v18, vcc_lo, v30, v18, vcc_lo
.LBB374_81:                             ;   in Loop: Header=BB374_70 Depth=1
	s_or_b32 exec_lo, exec_lo, s4
	s_waitcnt lgkmcnt(1)
	ds_bpermute_b32 v54, v48, v29
	s_waitcnt lgkmcnt(1)
	ds_bpermute_b32 v30, v48, v18
	s_mov_b32 s4, exec_lo
	v_cmpx_le_u32_e64 v49, v20
	;; [unrolled: 17-line block ×3, first 2 shown]
	s_cbranch_execz .LBB374_85
; %bb.84:                               ;   in Loop: Header=BB374_70 Depth=1
	s_waitcnt lgkmcnt(1)
	v_add_co_u32 v29, vcc_lo, v17, v54
	v_add_co_ci_u32_e32 v18, vcc_lo, 0, v18, vcc_lo
	s_delay_alu instid0(VALU_DEP_2) | instskip(SKIP_1) | instid1(VALU_DEP_2)
	v_add_co_u32 v17, vcc_lo, 0, v29
	s_waitcnt lgkmcnt(0)
	v_add_co_ci_u32_e32 v18, vcc_lo, v30, v18, vcc_lo
.LBB374_85:                             ;   in Loop: Header=BB374_70 Depth=1
	s_or_b32 exec_lo, exec_lo, s4
	s_waitcnt lgkmcnt(0)
	ds_bpermute_b32 v30, v52, v29
	ds_bpermute_b32 v29, v52, v18
	s_mov_b32 s4, exec_lo
	v_cmpx_le_u32_e64 v53, v20
	s_cbranch_execz .LBB374_69
; %bb.86:                               ;   in Loop: Header=BB374_70 Depth=1
	s_waitcnt lgkmcnt(1)
	v_add_co_u32 v17, vcc_lo, v17, v30
	v_add_co_ci_u32_e32 v18, vcc_lo, 0, v18, vcc_lo
	s_delay_alu instid0(VALU_DEP_2) | instskip(SKIP_1) | instid1(VALU_DEP_2)
	v_add_co_u32 v17, vcc_lo, v17, 0
	s_waitcnt lgkmcnt(0)
	v_add_co_ci_u32_e32 v18, vcc_lo, v18, v29, vcc_lo
	s_branch .LBB374_69
.LBB374_87:                             ;   in Loop: Header=BB374_70 Depth=1
                                        ; implicit-def: $vgpr17_vgpr18
	s_cbranch_execz .LBB374_70
; %bb.88:
	s_and_saveexec_b32 s4, s1
	s_cbranch_execz .LBB374_90
; %bb.89:
	s_add_i32 s10, s10, 32
	s_mov_b32 s11, 0
	v_add_co_u32 v17, vcc_lo, v15, v13
	s_lshl_b64 s[10:11], s[10:11], 4
	v_dual_mov_b32 v19, 2 :: v_dual_mov_b32 v20, 0
	s_add_u32 s10, s14, s10
	s_addc_u32 s11, s15, s11
	v_add_co_ci_u32_e32 v18, vcc_lo, v16, v14, vcc_lo
	v_dual_mov_b32 v28, s11 :: v_dual_mov_b32 v27, s10
	;;#ASMSTART
	global_store_dwordx4 v[27:28], v[17:20] off	
s_waitcnt vmcnt(0)
	;;#ASMEND
	ds_store_b128 v20, v[13:16] offset:18432
.LBB374_90:
	s_or_b32 exec_lo, exec_lo, s4
	s_delay_alu instid0(SALU_CYCLE_1)
	s_and_b32 exec_lo, exec_lo, s2
	s_cbranch_execz .LBB374_92
; %bb.91:
	v_mov_b32_e32 v13, 0
	ds_store_b64 v13, v[15:16] offset:88
.LBB374_92:
	s_or_b32 exec_lo, exec_lo, s3
	v_mov_b32_e32 v15, 0
	s_waitcnt lgkmcnt(0)
	s_barrier
	buffer_gl0_inv
	v_cndmask_b32_e64 v16, v31, v25, s1
	ds_load_b64 v[13:14], v15 offset:88
	v_cndmask_b32_e64 v17, v32, v26, s1
	s_waitcnt lgkmcnt(0)
	s_barrier
	v_cndmask_b32_e64 v16, v16, 0, s2
	buffer_gl0_inv
	v_cndmask_b32_e64 v17, v17, 0, s2
	v_add_co_u32 v31, vcc_lo, v13, v16
	s_delay_alu instid0(VALU_DEP_2) | instskip(SKIP_3) | instid1(VALU_DEP_2)
	v_add_co_ci_u32_e32 v32, vcc_lo, v14, v17, vcc_lo
	ds_load_b128 v[13:16], v15 offset:18432
	v_add_co_u32 v29, vcc_lo, v31, v41
	v_add_co_ci_u32_e32 v30, vcc_lo, 0, v32, vcc_lo
	v_add_co_u32 v27, vcc_lo, v29, v40
	s_delay_alu instid0(VALU_DEP_2) | instskip(NEXT) | instid1(VALU_DEP_2)
	v_add_co_ci_u32_e32 v28, vcc_lo, 0, v30, vcc_lo
	v_add_co_u32 v25, vcc_lo, v27, v39
	s_delay_alu instid0(VALU_DEP_2) | instskip(NEXT) | instid1(VALU_DEP_2)
	;; [unrolled: 3-line block ×3, first 2 shown]
	v_add_co_ci_u32_e32 v20, vcc_lo, 0, v26, vcc_lo
	v_add_co_u32 v17, vcc_lo, v19, v38
	s_delay_alu instid0(VALU_DEP_2)
	v_add_co_ci_u32_e32 v18, vcc_lo, 0, v20, vcc_lo
	s_branch .LBB374_121
.LBB374_93:
                                        ; implicit-def: $vgpr17_vgpr18
                                        ; implicit-def: $vgpr19_vgpr20
                                        ; implicit-def: $vgpr25_vgpr26
                                        ; implicit-def: $vgpr27_vgpr28
                                        ; implicit-def: $vgpr29_vgpr30
                                        ; implicit-def: $vgpr31_vgpr32
                                        ; implicit-def: $vgpr15_vgpr16
	s_and_b32 vcc_lo, exec_lo, s1
	s_cbranch_vccz .LBB374_121
; %bb.94:
	s_waitcnt lgkmcnt(0)
	v_dual_mov_b32 v14, 0 :: v_dual_mov_b32 v15, v23
	v_mov_b32_dpp v16, v23 row_shr:1 row_mask:0xf bank_mask:0xf
	s_delay_alu instid0(VALU_DEP_2)
	v_mov_b32_dpp v13, v14 row_shr:1 row_mask:0xf bank_mask:0xf
	s_and_saveexec_b32 s1, s0
; %bb.95:
	s_delay_alu instid0(VALU_DEP_2) | instskip(SKIP_1) | instid1(VALU_DEP_2)
	v_add_co_u32 v15, vcc_lo, v23, v16
	v_add_co_ci_u32_e32 v14, vcc_lo, 0, v24, vcc_lo
	v_add_co_u32 v23, vcc_lo, 0, v15
	s_delay_alu instid0(VALU_DEP_2) | instskip(NEXT) | instid1(VALU_DEP_1)
	v_add_co_ci_u32_e32 v24, vcc_lo, v13, v14, vcc_lo
	v_mov_b32_e32 v14, v24
; %bb.96:
	s_or_b32 exec_lo, exec_lo, s1
	v_mov_b32_dpp v13, v15 row_shr:2 row_mask:0xf bank_mask:0xf
	s_delay_alu instid0(VALU_DEP_2)
	v_mov_b32_dpp v16, v14 row_shr:2 row_mask:0xf bank_mask:0xf
	v_cmp_lt_u32_e32 vcc_lo, 1, v43
	s_and_saveexec_b32 s3, vcc_lo
; %bb.97:
	s_delay_alu instid0(VALU_DEP_3) | instskip(NEXT) | instid1(VALU_DEP_1)
	v_add_co_u32 v15, s1, v23, v13
	v_add_co_ci_u32_e64 v14, s1, 0, v24, s1
	s_delay_alu instid0(VALU_DEP_2) | instskip(NEXT) | instid1(VALU_DEP_1)
	v_add_co_u32 v13, s1, 0, v15
	v_add_co_ci_u32_e64 v14, s1, v16, v14, s1
	s_delay_alu instid0(VALU_DEP_1)
	v_dual_mov_b32 v24, v14 :: v_dual_mov_b32 v23, v13
; %bb.98:
	s_or_b32 exec_lo, exec_lo, s3
	v_mov_b32_dpp v13, v15 row_shr:4 row_mask:0xf bank_mask:0xf
	v_mov_b32_dpp v16, v14 row_shr:4 row_mask:0xf bank_mask:0xf
	v_cmp_lt_u32_e64 s1, 3, v43
	s_delay_alu instid0(VALU_DEP_1)
	s_and_saveexec_b32 s4, s1
; %bb.99:
	s_delay_alu instid0(VALU_DEP_3) | instskip(NEXT) | instid1(VALU_DEP_1)
	v_add_co_u32 v15, s3, v23, v13
	v_add_co_ci_u32_e64 v14, s3, 0, v24, s3
	s_delay_alu instid0(VALU_DEP_2) | instskip(NEXT) | instid1(VALU_DEP_1)
	v_add_co_u32 v13, s3, 0, v15
	v_add_co_ci_u32_e64 v14, s3, v16, v14, s3
	s_delay_alu instid0(VALU_DEP_1)
	v_dual_mov_b32 v24, v14 :: v_dual_mov_b32 v23, v13
; %bb.100:
	s_or_b32 exec_lo, exec_lo, s4
	v_mov_b32_dpp v16, v15 row_shr:8 row_mask:0xf bank_mask:0xf
	v_mov_b32_dpp v13, v14 row_shr:8 row_mask:0xf bank_mask:0xf
	v_cmp_lt_u32_e64 s3, 7, v43
	s_delay_alu instid0(VALU_DEP_1)
	s_and_saveexec_b32 s7, s3
; %bb.101:
	s_delay_alu instid0(VALU_DEP_3) | instskip(NEXT) | instid1(VALU_DEP_1)
	v_add_co_u32 v15, s4, v23, v16
	v_add_co_ci_u32_e64 v14, s4, 0, v24, s4
	s_delay_alu instid0(VALU_DEP_2) | instskip(NEXT) | instid1(VALU_DEP_1)
	v_add_co_u32 v23, s4, 0, v15
	v_add_co_ci_u32_e64 v24, s4, v13, v14, s4
	s_delay_alu instid0(VALU_DEP_1)
	v_mov_b32_e32 v14, v24
; %bb.102:
	s_or_b32 exec_lo, exec_lo, s7
	ds_swizzle_b32 v15, v15 offset:swizzle(BROADCAST,32,15)
	ds_swizzle_b32 v13, v14 offset:swizzle(BROADCAST,32,15)
	v_and_b32_e32 v14, 16, v42
	s_mov_b32 s7, exec_lo
	s_delay_alu instid0(VALU_DEP_1)
	v_cmpx_ne_u32_e32 0, v14
	s_cbranch_execz .LBB374_104
; %bb.103:
	s_waitcnt lgkmcnt(1)
	v_add_co_u32 v14, s4, v23, v15
	s_delay_alu instid0(VALU_DEP_1) | instskip(NEXT) | instid1(VALU_DEP_2)
	v_add_co_ci_u32_e64 v15, s4, 0, v24, s4
	v_add_co_u32 v23, s4, v14, 0
	s_waitcnt lgkmcnt(0)
	s_delay_alu instid0(VALU_DEP_2)
	v_add_co_ci_u32_e64 v24, s4, v15, v13, s4
.LBB374_104:
	s_or_b32 exec_lo, exec_lo, s7
	s_waitcnt lgkmcnt(0)
	v_and_b32_e32 v13, 0x1e0, v0
	v_lshrrev_b32_e32 v15, 5, v0
	s_mov_b32 s7, exec_lo
	s_delay_alu instid0(VALU_DEP_2) | instskip(NEXT) | instid1(VALU_DEP_1)
	v_min_u32_e32 v13, 0x160, v13
	v_or_b32_e32 v13, 31, v13
	s_delay_alu instid0(VALU_DEP_1)
	v_cmpx_eq_u32_e64 v13, v0
	s_cbranch_execz .LBB374_106
; %bb.105:
	v_lshlrev_b32_e32 v13, 3, v15
	ds_store_b64 v13, v[23:24]
.LBB374_106:
	s_or_b32 exec_lo, exec_lo, s7
	s_delay_alu instid0(SALU_CYCLE_1)
	s_mov_b32 s7, exec_lo
	s_waitcnt lgkmcnt(0)
	s_barrier
	buffer_gl0_inv
	v_cmpx_gt_u32_e32 12, v0
	s_cbranch_execz .LBB374_116
; %bb.107:
	v_mad_i32_i24 v13, 0xffffffd8, v0, v37
	ds_load_b64 v[13:14], v13
	s_waitcnt lgkmcnt(0)
	v_mov_b32_dpp v18, v13 row_shr:1 row_mask:0xf bank_mask:0xf
	v_mov_b32_dpp v17, v14 row_shr:1 row_mask:0xf bank_mask:0xf
	v_mov_b32_e32 v16, v13
	s_and_saveexec_b32 s4, s0
; %bb.108:
	s_delay_alu instid0(VALU_DEP_3) | instskip(NEXT) | instid1(VALU_DEP_1)
	v_add_co_u32 v16, s0, v13, v18
	v_add_co_ci_u32_e64 v14, s0, 0, v14, s0
	s_delay_alu instid0(VALU_DEP_2) | instskip(NEXT) | instid1(VALU_DEP_1)
	v_add_co_u32 v13, s0, 0, v16
	v_add_co_ci_u32_e64 v14, s0, v17, v14, s0
; %bb.109:
	s_or_b32 exec_lo, exec_lo, s4
	v_mov_b32_dpp v18, v16 row_shr:2 row_mask:0xf bank_mask:0xf
	s_delay_alu instid0(VALU_DEP_2)
	v_mov_b32_dpp v17, v14 row_shr:2 row_mask:0xf bank_mask:0xf
	s_and_saveexec_b32 s0, vcc_lo
; %bb.110:
	s_delay_alu instid0(VALU_DEP_2) | instskip(SKIP_1) | instid1(VALU_DEP_2)
	v_add_co_u32 v16, vcc_lo, v13, v18
	v_add_co_ci_u32_e32 v14, vcc_lo, 0, v14, vcc_lo
	v_add_co_u32 v13, vcc_lo, 0, v16
	s_delay_alu instid0(VALU_DEP_2)
	v_add_co_ci_u32_e32 v14, vcc_lo, v17, v14, vcc_lo
; %bb.111:
	s_or_b32 exec_lo, exec_lo, s0
	v_mov_b32_dpp v18, v16 row_shr:4 row_mask:0xf bank_mask:0xf
	s_delay_alu instid0(VALU_DEP_2)
	v_mov_b32_dpp v17, v14 row_shr:4 row_mask:0xf bank_mask:0xf
	s_and_saveexec_b32 s0, s1
; %bb.112:
	s_delay_alu instid0(VALU_DEP_2) | instskip(SKIP_1) | instid1(VALU_DEP_2)
	v_add_co_u32 v16, vcc_lo, v13, v18
	v_add_co_ci_u32_e32 v14, vcc_lo, 0, v14, vcc_lo
	v_add_co_u32 v13, vcc_lo, 0, v16
	s_delay_alu instid0(VALU_DEP_2)
	v_add_co_ci_u32_e32 v14, vcc_lo, v17, v14, vcc_lo
; %bb.113:
	s_or_b32 exec_lo, exec_lo, s0
	v_mul_i32_i24_e32 v17, 0xffffffd8, v0
	v_mov_b32_dpp v18, v16 row_shr:8 row_mask:0xf bank_mask:0xf
	s_delay_alu instid0(VALU_DEP_3)
	v_mov_b32_dpp v16, v14 row_shr:8 row_mask:0xf bank_mask:0xf
	s_and_saveexec_b32 s0, s3
; %bb.114:
	s_delay_alu instid0(VALU_DEP_2) | instskip(SKIP_1) | instid1(VALU_DEP_2)
	v_add_co_u32 v13, vcc_lo, v13, v18
	v_add_co_ci_u32_e32 v14, vcc_lo, 0, v14, vcc_lo
	v_add_co_u32 v13, vcc_lo, v13, 0
	s_delay_alu instid0(VALU_DEP_2)
	v_add_co_ci_u32_e32 v14, vcc_lo, v14, v16, vcc_lo
; %bb.115:
	s_or_b32 exec_lo, exec_lo, s0
	v_add_nc_u32_e32 v16, v37, v17
	ds_store_b64 v16, v[13:14]
.LBB374_116:
	s_or_b32 exec_lo, exec_lo, s7
	v_mov_b32_e32 v17, 0
	v_mov_b32_e32 v18, 0
	s_mov_b32 s0, exec_lo
	s_waitcnt lgkmcnt(0)
	s_barrier
	buffer_gl0_inv
	v_cmpx_lt_u32_e32 31, v0
	s_cbranch_execz .LBB374_118
; %bb.117:
	v_lshl_add_u32 v13, v15, 3, -8
	ds_load_b64 v[17:18], v13
.LBB374_118:
	s_or_b32 exec_lo, exec_lo, s0
	v_dual_mov_b32 v16, 0 :: v_dual_add_nc_u32 v13, -1, v42
	s_delay_alu instid0(VALU_DEP_1) | instskip(SKIP_4) | instid1(VALU_DEP_3)
	v_cmp_gt_i32_e32 vcc_lo, 0, v13
	v_cndmask_b32_e32 v13, v13, v42, vcc_lo
	s_waitcnt lgkmcnt(0)
	v_add_co_u32 v14, vcc_lo, v17, v23
	v_add_co_ci_u32_e32 v15, vcc_lo, v18, v24, vcc_lo
	v_lshlrev_b32_e32 v13, 2, v13
	ds_bpermute_b32 v19, v13, v14
	ds_bpermute_b32 v20, v13, v15
	ds_load_b64 v[13:14], v16 offset:88
	s_and_saveexec_b32 s0, s2
	s_cbranch_execz .LBB374_120
; %bb.119:
	s_add_u32 s10, s14, 0x200
	s_addc_u32 s11, s15, 0
	s_delay_alu instid0(SALU_CYCLE_1)
	v_dual_mov_b32 v15, 2 :: v_dual_mov_b32 v24, s11
	v_mov_b32_e32 v23, s10
	s_waitcnt lgkmcnt(0)
	;;#ASMSTART
	global_store_dwordx4 v[23:24], v[13:16] off	
s_waitcnt vmcnt(0)
	;;#ASMEND
.LBB374_120:
	s_or_b32 exec_lo, exec_lo, s0
	v_cmp_eq_u32_e32 vcc_lo, 0, v42
	s_waitcnt lgkmcnt(0)
	s_barrier
	buffer_gl0_inv
	v_dual_cndmask_b32 v15, v19, v17 :: v_dual_cndmask_b32 v16, v20, v18
	s_delay_alu instid0(VALU_DEP_1) | instskip(NEXT) | instid1(VALU_DEP_2)
	v_cndmask_b32_e64 v31, v15, 0, s2
	v_cndmask_b32_e64 v32, v16, 0, s2
	v_mov_b32_e32 v15, 0
	v_mov_b32_e32 v16, 0
	s_delay_alu instid0(VALU_DEP_4) | instskip(NEXT) | instid1(VALU_DEP_4)
	v_add_co_u32 v29, vcc_lo, v31, v41
	v_add_co_ci_u32_e32 v30, vcc_lo, 0, v32, vcc_lo
	s_delay_alu instid0(VALU_DEP_2) | instskip(NEXT) | instid1(VALU_DEP_2)
	v_add_co_u32 v27, vcc_lo, v29, v40
	v_add_co_ci_u32_e32 v28, vcc_lo, 0, v30, vcc_lo
	s_delay_alu instid0(VALU_DEP_2) | instskip(NEXT) | instid1(VALU_DEP_2)
	;; [unrolled: 3-line block ×4, first 2 shown]
	v_add_co_u32 v17, vcc_lo, v19, v38
	v_add_co_ci_u32_e32 v18, vcc_lo, 0, v20, vcc_lo
.LBB374_121:
	s_waitcnt lgkmcnt(0)
	v_cmp_gt_u64_e32 vcc_lo, 0x181, v[13:14]
	v_lshrrev_b32_e32 v38, 8, v36
	v_lshrrev_b32_e32 v37, 16, v36
	s_mov_b32 s0, -1
	s_cbranch_vccnz .LBB374_125
; %bb.122:
	s_and_b32 vcc_lo, exec_lo, s0
	s_cbranch_vccnz .LBB374_144
.LBB374_123:
	s_and_b32 s0, s2, s5
	s_delay_alu instid0(SALU_CYCLE_1)
	s_and_saveexec_b32 s1, s0
	s_cbranch_execnz .LBB374_160
.LBB374_124:
	s_nop 0
	s_sendmsg sendmsg(MSG_DEALLOC_VGPRS)
	s_endpgm
.LBB374_125:
	v_add_co_u32 v23, vcc_lo, v15, v13
	v_add_co_ci_u32_e32 v24, vcc_lo, v16, v14, vcc_lo
	v_lshlrev_b64 v[39:40], 3, v[21:22]
	s_delay_alu instid0(VALU_DEP_2) | instskip(NEXT) | instid1(VALU_DEP_2)
	v_cmp_lt_u64_e32 vcc_lo, v[31:32], v[23:24]
	v_add_co_u32 v39, s0, s12, v39
	s_delay_alu instid0(VALU_DEP_1) | instskip(SKIP_1) | instid1(SALU_CYCLE_1)
	v_add_co_ci_u32_e64 v40, s0, s13, v40, s0
	s_or_b32 s1, s6, vcc_lo
	s_and_saveexec_b32 s0, s1
	s_cbranch_execz .LBB374_128
; %bb.126:
	v_and_b32_e32 v41, 1, v36
	s_delay_alu instid0(VALU_DEP_1)
	v_cmp_eq_u32_e32 vcc_lo, 1, v41
	s_and_b32 exec_lo, exec_lo, vcc_lo
	s_cbranch_execz .LBB374_128
; %bb.127:
	v_lshlrev_b64 v[41:42], 3, v[31:32]
	s_delay_alu instid0(VALU_DEP_1) | instskip(NEXT) | instid1(VALU_DEP_2)
	v_add_co_u32 v41, vcc_lo, v39, v41
	v_add_co_ci_u32_e32 v42, vcc_lo, v40, v42, vcc_lo
	global_store_b64 v[41:42], v[9:10], off
.LBB374_128:
	s_or_b32 exec_lo, exec_lo, s0
	v_cmp_lt_u64_e32 vcc_lo, v[29:30], v[23:24]
	s_or_b32 s1, s6, vcc_lo
	s_delay_alu instid0(SALU_CYCLE_1)
	s_and_saveexec_b32 s0, s1
	s_cbranch_execz .LBB374_131
; %bb.129:
	v_and_b32_e32 v32, 1, v38
	s_delay_alu instid0(VALU_DEP_1)
	v_cmp_eq_u32_e32 vcc_lo, 1, v32
	s_and_b32 exec_lo, exec_lo, vcc_lo
	s_cbranch_execz .LBB374_131
; %bb.130:
	v_lshlrev_b64 v[41:42], 3, v[29:30]
	s_delay_alu instid0(VALU_DEP_1) | instskip(NEXT) | instid1(VALU_DEP_2)
	v_add_co_u32 v41, vcc_lo, v39, v41
	v_add_co_ci_u32_e32 v42, vcc_lo, v40, v42, vcc_lo
	global_store_b64 v[41:42], v[11:12], off
.LBB374_131:
	s_or_b32 exec_lo, exec_lo, s0
	v_cmp_lt_u64_e32 vcc_lo, v[27:28], v[23:24]
	s_or_b32 s1, s6, vcc_lo
	s_delay_alu instid0(SALU_CYCLE_1)
	;; [unrolled: 19-line block ×5, first 2 shown]
	s_and_saveexec_b32 s0, s1
	s_cbranch_execz .LBB374_143
; %bb.141:
	v_and_b32_e32 v20, 1, v33
	s_delay_alu instid0(VALU_DEP_1)
	v_cmp_eq_u32_e32 vcc_lo, 1, v20
	s_and_b32 exec_lo, exec_lo, vcc_lo
	s_cbranch_execz .LBB374_143
; %bb.142:
	v_lshlrev_b64 v[23:24], 3, v[17:18]
	s_delay_alu instid0(VALU_DEP_1) | instskip(NEXT) | instid1(VALU_DEP_2)
	v_add_co_u32 v23, vcc_lo, v39, v23
	v_add_co_ci_u32_e32 v24, vcc_lo, v40, v24, vcc_lo
	global_store_b64 v[23:24], v[3:4], off
.LBB374_143:
	s_or_b32 exec_lo, exec_lo, s0
	s_branch .LBB374_123
.LBB374_144:
	v_and_b32_e32 v18, 1, v36
	s_mov_b32 s0, exec_lo
	s_delay_alu instid0(VALU_DEP_1)
	v_cmpx_eq_u32_e32 1, v18
	s_cbranch_execz .LBB374_146
; %bb.145:
	v_sub_nc_u32_e32 v18, v31, v15
	s_delay_alu instid0(VALU_DEP_1)
	v_lshlrev_b32_e32 v18, 3, v18
	ds_store_b64 v18, v[9:10]
.LBB374_146:
	s_or_b32 exec_lo, exec_lo, s0
	v_and_b32_e32 v9, 1, v38
	s_mov_b32 s0, exec_lo
	s_delay_alu instid0(VALU_DEP_1)
	v_cmpx_eq_u32_e32 1, v9
	s_cbranch_execz .LBB374_148
; %bb.147:
	v_sub_nc_u32_e32 v9, v29, v15
	s_delay_alu instid0(VALU_DEP_1)
	v_lshlrev_b32_e32 v9, 3, v9
	ds_store_b64 v9, v[11:12]
.LBB374_148:
	s_or_b32 exec_lo, exec_lo, s0
	;; [unrolled: 12-line block ×6, first 2 shown]
	v_mov_b32_e32 v1, 0
	s_mov_b32 s1, exec_lo
	s_waitcnt lgkmcnt(0)
	s_waitcnt_vscnt null, 0x0
	s_barrier
	buffer_gl0_inv
	v_cmpx_gt_u64_e64 v[13:14], v[0:1]
	s_cbranch_execz .LBB374_159
; %bb.157:
	v_lshlrev_b64 v[2:3], 3, v[15:16]
	v_lshlrev_b64 v[4:5], 3, v[21:22]
	s_mov_b32 s3, 0
	s_delay_alu instid0(VALU_DEP_2) | instskip(NEXT) | instid1(VALU_DEP_3)
	v_add_co_u32 v6, vcc_lo, s12, v2
	v_add_co_ci_u32_e32 v7, vcc_lo, s13, v3, vcc_lo
	v_dual_mov_b32 v3, v1 :: v_dual_mov_b32 v2, v0
	s_delay_alu instid0(VALU_DEP_3) | instskip(NEXT) | instid1(VALU_DEP_3)
	v_add_co_u32 v4, vcc_lo, v6, v4
	v_add_co_ci_u32_e32 v5, vcc_lo, v7, v5, vcc_lo
	v_add_nc_u32_e32 v0, 0x180, v0
	.p2align	6
.LBB374_158:                            ; =>This Inner Loop Header: Depth=1
	s_delay_alu instid0(VALU_DEP_4) | instskip(SKIP_2) | instid1(VALU_DEP_4)
	v_lshlrev_b32_e32 v6, 3, v2
	v_lshlrev_b64 v[8:9], 3, v[2:3]
	v_mov_b32_e32 v3, v1
	v_cmp_le_u64_e32 vcc_lo, v[13:14], v[0:1]
	v_mov_b32_e32 v2, v0
	ds_load_b64 v[6:7], v6
	v_add_nc_u32_e32 v0, 0x180, v0
	v_add_co_u32 v8, s0, v4, v8
	s_delay_alu instid0(VALU_DEP_1)
	v_add_co_ci_u32_e64 v9, s0, v5, v9, s0
	s_or_b32 s3, vcc_lo, s3
	s_waitcnt lgkmcnt(0)
	global_store_b64 v[8:9], v[6:7], off
	s_and_not1_b32 exec_lo, exec_lo, s3
	s_cbranch_execnz .LBB374_158
.LBB374_159:
	s_or_b32 exec_lo, exec_lo, s1
	s_and_b32 s0, s2, s5
	s_delay_alu instid0(SALU_CYCLE_1)
	s_and_saveexec_b32 s1, s0
	s_cbranch_execz .LBB374_124
.LBB374_160:
	v_add_co_u32 v0, vcc_lo, v15, v13
	v_add_co_ci_u32_e32 v1, vcc_lo, v16, v14, vcc_lo
	v_mov_b32_e32 v2, 0
	s_delay_alu instid0(VALU_DEP_3) | instskip(NEXT) | instid1(VALU_DEP_3)
	v_add_co_u32 v0, vcc_lo, v0, v21
	v_add_co_ci_u32_e32 v1, vcc_lo, v1, v22, vcc_lo
	global_store_b64 v2, v[0:1], s[8:9]
	s_nop 0
	s_sendmsg sendmsg(MSG_DEALLOC_VGPRS)
	s_endpgm
	.section	.rodata,"a",@progbits
	.p2align	6, 0x0
	.amdhsa_kernel _ZN7rocprim17ROCPRIM_400000_NS6detail17trampoline_kernelINS0_14default_configENS1_25partition_config_selectorILNS1_17partition_subalgoE6ExNS0_10empty_typeEbEEZZNS1_14partition_implILS5_6ELb0ES3_mN6thrust23THRUST_200600_302600_NS6detail15normal_iteratorINSA_10device_ptrIxEEEEPS6_SG_NS0_5tupleIJSF_S6_EEENSH_IJSG_SG_EEES6_PlJ7is_evenIxEEEE10hipError_tPvRmT3_T4_T5_T6_T7_T9_mT8_P12ihipStream_tbDpT10_ENKUlT_T0_E_clISt17integral_constantIbLb1EES16_EEDaS11_S12_EUlS11_E_NS1_11comp_targetILNS1_3genE9ELNS1_11target_archE1100ELNS1_3gpuE3ELNS1_3repE0EEENS1_30default_config_static_selectorELNS0_4arch9wavefront6targetE0EEEvT1_
		.amdhsa_group_segment_fixed_size 18448
		.amdhsa_private_segment_fixed_size 0
		.amdhsa_kernarg_size 128
		.amdhsa_user_sgpr_count 15
		.amdhsa_user_sgpr_dispatch_ptr 0
		.amdhsa_user_sgpr_queue_ptr 0
		.amdhsa_user_sgpr_kernarg_segment_ptr 1
		.amdhsa_user_sgpr_dispatch_id 0
		.amdhsa_user_sgpr_private_segment_size 0
		.amdhsa_wavefront_size32 1
		.amdhsa_uses_dynamic_stack 0
		.amdhsa_enable_private_segment 0
		.amdhsa_system_sgpr_workgroup_id_x 1
		.amdhsa_system_sgpr_workgroup_id_y 0
		.amdhsa_system_sgpr_workgroup_id_z 0
		.amdhsa_system_sgpr_workgroup_info 0
		.amdhsa_system_vgpr_workitem_id 0
		.amdhsa_next_free_vgpr 56
		.amdhsa_next_free_sgpr 18
		.amdhsa_reserve_vcc 1
		.amdhsa_float_round_mode_32 0
		.amdhsa_float_round_mode_16_64 0
		.amdhsa_float_denorm_mode_32 3
		.amdhsa_float_denorm_mode_16_64 3
		.amdhsa_dx10_clamp 1
		.amdhsa_ieee_mode 1
		.amdhsa_fp16_overflow 0
		.amdhsa_workgroup_processor_mode 1
		.amdhsa_memory_ordered 1
		.amdhsa_forward_progress 0
		.amdhsa_shared_vgpr_count 0
		.amdhsa_exception_fp_ieee_invalid_op 0
		.amdhsa_exception_fp_denorm_src 0
		.amdhsa_exception_fp_ieee_div_zero 0
		.amdhsa_exception_fp_ieee_overflow 0
		.amdhsa_exception_fp_ieee_underflow 0
		.amdhsa_exception_fp_ieee_inexact 0
		.amdhsa_exception_int_div_zero 0
	.end_amdhsa_kernel
	.section	.text._ZN7rocprim17ROCPRIM_400000_NS6detail17trampoline_kernelINS0_14default_configENS1_25partition_config_selectorILNS1_17partition_subalgoE6ExNS0_10empty_typeEbEEZZNS1_14partition_implILS5_6ELb0ES3_mN6thrust23THRUST_200600_302600_NS6detail15normal_iteratorINSA_10device_ptrIxEEEEPS6_SG_NS0_5tupleIJSF_S6_EEENSH_IJSG_SG_EEES6_PlJ7is_evenIxEEEE10hipError_tPvRmT3_T4_T5_T6_T7_T9_mT8_P12ihipStream_tbDpT10_ENKUlT_T0_E_clISt17integral_constantIbLb1EES16_EEDaS11_S12_EUlS11_E_NS1_11comp_targetILNS1_3genE9ELNS1_11target_archE1100ELNS1_3gpuE3ELNS1_3repE0EEENS1_30default_config_static_selectorELNS0_4arch9wavefront6targetE0EEEvT1_,"axG",@progbits,_ZN7rocprim17ROCPRIM_400000_NS6detail17trampoline_kernelINS0_14default_configENS1_25partition_config_selectorILNS1_17partition_subalgoE6ExNS0_10empty_typeEbEEZZNS1_14partition_implILS5_6ELb0ES3_mN6thrust23THRUST_200600_302600_NS6detail15normal_iteratorINSA_10device_ptrIxEEEEPS6_SG_NS0_5tupleIJSF_S6_EEENSH_IJSG_SG_EEES6_PlJ7is_evenIxEEEE10hipError_tPvRmT3_T4_T5_T6_T7_T9_mT8_P12ihipStream_tbDpT10_ENKUlT_T0_E_clISt17integral_constantIbLb1EES16_EEDaS11_S12_EUlS11_E_NS1_11comp_targetILNS1_3genE9ELNS1_11target_archE1100ELNS1_3gpuE3ELNS1_3repE0EEENS1_30default_config_static_selectorELNS0_4arch9wavefront6targetE0EEEvT1_,comdat
.Lfunc_end374:
	.size	_ZN7rocprim17ROCPRIM_400000_NS6detail17trampoline_kernelINS0_14default_configENS1_25partition_config_selectorILNS1_17partition_subalgoE6ExNS0_10empty_typeEbEEZZNS1_14partition_implILS5_6ELb0ES3_mN6thrust23THRUST_200600_302600_NS6detail15normal_iteratorINSA_10device_ptrIxEEEEPS6_SG_NS0_5tupleIJSF_S6_EEENSH_IJSG_SG_EEES6_PlJ7is_evenIxEEEE10hipError_tPvRmT3_T4_T5_T6_T7_T9_mT8_P12ihipStream_tbDpT10_ENKUlT_T0_E_clISt17integral_constantIbLb1EES16_EEDaS11_S12_EUlS11_E_NS1_11comp_targetILNS1_3genE9ELNS1_11target_archE1100ELNS1_3gpuE3ELNS1_3repE0EEENS1_30default_config_static_selectorELNS0_4arch9wavefront6targetE0EEEvT1_, .Lfunc_end374-_ZN7rocprim17ROCPRIM_400000_NS6detail17trampoline_kernelINS0_14default_configENS1_25partition_config_selectorILNS1_17partition_subalgoE6ExNS0_10empty_typeEbEEZZNS1_14partition_implILS5_6ELb0ES3_mN6thrust23THRUST_200600_302600_NS6detail15normal_iteratorINSA_10device_ptrIxEEEEPS6_SG_NS0_5tupleIJSF_S6_EEENSH_IJSG_SG_EEES6_PlJ7is_evenIxEEEE10hipError_tPvRmT3_T4_T5_T6_T7_T9_mT8_P12ihipStream_tbDpT10_ENKUlT_T0_E_clISt17integral_constantIbLb1EES16_EEDaS11_S12_EUlS11_E_NS1_11comp_targetILNS1_3genE9ELNS1_11target_archE1100ELNS1_3gpuE3ELNS1_3repE0EEENS1_30default_config_static_selectorELNS0_4arch9wavefront6targetE0EEEvT1_
                                        ; -- End function
	.section	.AMDGPU.csdata,"",@progbits
; Kernel info:
; codeLenInByte = 6752
; NumSgprs: 20
; NumVgprs: 56
; ScratchSize: 0
; MemoryBound: 0
; FloatMode: 240
; IeeeMode: 1
; LDSByteSize: 18448 bytes/workgroup (compile time only)
; SGPRBlocks: 2
; VGPRBlocks: 6
; NumSGPRsForWavesPerEU: 20
; NumVGPRsForWavesPerEU: 56
; Occupancy: 15
; WaveLimiterHint : 1
; COMPUTE_PGM_RSRC2:SCRATCH_EN: 0
; COMPUTE_PGM_RSRC2:USER_SGPR: 15
; COMPUTE_PGM_RSRC2:TRAP_HANDLER: 0
; COMPUTE_PGM_RSRC2:TGID_X_EN: 1
; COMPUTE_PGM_RSRC2:TGID_Y_EN: 0
; COMPUTE_PGM_RSRC2:TGID_Z_EN: 0
; COMPUTE_PGM_RSRC2:TIDIG_COMP_CNT: 0
	.section	.text._ZN7rocprim17ROCPRIM_400000_NS6detail17trampoline_kernelINS0_14default_configENS1_25partition_config_selectorILNS1_17partition_subalgoE6ExNS0_10empty_typeEbEEZZNS1_14partition_implILS5_6ELb0ES3_mN6thrust23THRUST_200600_302600_NS6detail15normal_iteratorINSA_10device_ptrIxEEEEPS6_SG_NS0_5tupleIJSF_S6_EEENSH_IJSG_SG_EEES6_PlJ7is_evenIxEEEE10hipError_tPvRmT3_T4_T5_T6_T7_T9_mT8_P12ihipStream_tbDpT10_ENKUlT_T0_E_clISt17integral_constantIbLb1EES16_EEDaS11_S12_EUlS11_E_NS1_11comp_targetILNS1_3genE8ELNS1_11target_archE1030ELNS1_3gpuE2ELNS1_3repE0EEENS1_30default_config_static_selectorELNS0_4arch9wavefront6targetE0EEEvT1_,"axG",@progbits,_ZN7rocprim17ROCPRIM_400000_NS6detail17trampoline_kernelINS0_14default_configENS1_25partition_config_selectorILNS1_17partition_subalgoE6ExNS0_10empty_typeEbEEZZNS1_14partition_implILS5_6ELb0ES3_mN6thrust23THRUST_200600_302600_NS6detail15normal_iteratorINSA_10device_ptrIxEEEEPS6_SG_NS0_5tupleIJSF_S6_EEENSH_IJSG_SG_EEES6_PlJ7is_evenIxEEEE10hipError_tPvRmT3_T4_T5_T6_T7_T9_mT8_P12ihipStream_tbDpT10_ENKUlT_T0_E_clISt17integral_constantIbLb1EES16_EEDaS11_S12_EUlS11_E_NS1_11comp_targetILNS1_3genE8ELNS1_11target_archE1030ELNS1_3gpuE2ELNS1_3repE0EEENS1_30default_config_static_selectorELNS0_4arch9wavefront6targetE0EEEvT1_,comdat
	.protected	_ZN7rocprim17ROCPRIM_400000_NS6detail17trampoline_kernelINS0_14default_configENS1_25partition_config_selectorILNS1_17partition_subalgoE6ExNS0_10empty_typeEbEEZZNS1_14partition_implILS5_6ELb0ES3_mN6thrust23THRUST_200600_302600_NS6detail15normal_iteratorINSA_10device_ptrIxEEEEPS6_SG_NS0_5tupleIJSF_S6_EEENSH_IJSG_SG_EEES6_PlJ7is_evenIxEEEE10hipError_tPvRmT3_T4_T5_T6_T7_T9_mT8_P12ihipStream_tbDpT10_ENKUlT_T0_E_clISt17integral_constantIbLb1EES16_EEDaS11_S12_EUlS11_E_NS1_11comp_targetILNS1_3genE8ELNS1_11target_archE1030ELNS1_3gpuE2ELNS1_3repE0EEENS1_30default_config_static_selectorELNS0_4arch9wavefront6targetE0EEEvT1_ ; -- Begin function _ZN7rocprim17ROCPRIM_400000_NS6detail17trampoline_kernelINS0_14default_configENS1_25partition_config_selectorILNS1_17partition_subalgoE6ExNS0_10empty_typeEbEEZZNS1_14partition_implILS5_6ELb0ES3_mN6thrust23THRUST_200600_302600_NS6detail15normal_iteratorINSA_10device_ptrIxEEEEPS6_SG_NS0_5tupleIJSF_S6_EEENSH_IJSG_SG_EEES6_PlJ7is_evenIxEEEE10hipError_tPvRmT3_T4_T5_T6_T7_T9_mT8_P12ihipStream_tbDpT10_ENKUlT_T0_E_clISt17integral_constantIbLb1EES16_EEDaS11_S12_EUlS11_E_NS1_11comp_targetILNS1_3genE8ELNS1_11target_archE1030ELNS1_3gpuE2ELNS1_3repE0EEENS1_30default_config_static_selectorELNS0_4arch9wavefront6targetE0EEEvT1_
	.globl	_ZN7rocprim17ROCPRIM_400000_NS6detail17trampoline_kernelINS0_14default_configENS1_25partition_config_selectorILNS1_17partition_subalgoE6ExNS0_10empty_typeEbEEZZNS1_14partition_implILS5_6ELb0ES3_mN6thrust23THRUST_200600_302600_NS6detail15normal_iteratorINSA_10device_ptrIxEEEEPS6_SG_NS0_5tupleIJSF_S6_EEENSH_IJSG_SG_EEES6_PlJ7is_evenIxEEEE10hipError_tPvRmT3_T4_T5_T6_T7_T9_mT8_P12ihipStream_tbDpT10_ENKUlT_T0_E_clISt17integral_constantIbLb1EES16_EEDaS11_S12_EUlS11_E_NS1_11comp_targetILNS1_3genE8ELNS1_11target_archE1030ELNS1_3gpuE2ELNS1_3repE0EEENS1_30default_config_static_selectorELNS0_4arch9wavefront6targetE0EEEvT1_
	.p2align	8
	.type	_ZN7rocprim17ROCPRIM_400000_NS6detail17trampoline_kernelINS0_14default_configENS1_25partition_config_selectorILNS1_17partition_subalgoE6ExNS0_10empty_typeEbEEZZNS1_14partition_implILS5_6ELb0ES3_mN6thrust23THRUST_200600_302600_NS6detail15normal_iteratorINSA_10device_ptrIxEEEEPS6_SG_NS0_5tupleIJSF_S6_EEENSH_IJSG_SG_EEES6_PlJ7is_evenIxEEEE10hipError_tPvRmT3_T4_T5_T6_T7_T9_mT8_P12ihipStream_tbDpT10_ENKUlT_T0_E_clISt17integral_constantIbLb1EES16_EEDaS11_S12_EUlS11_E_NS1_11comp_targetILNS1_3genE8ELNS1_11target_archE1030ELNS1_3gpuE2ELNS1_3repE0EEENS1_30default_config_static_selectorELNS0_4arch9wavefront6targetE0EEEvT1_,@function
_ZN7rocprim17ROCPRIM_400000_NS6detail17trampoline_kernelINS0_14default_configENS1_25partition_config_selectorILNS1_17partition_subalgoE6ExNS0_10empty_typeEbEEZZNS1_14partition_implILS5_6ELb0ES3_mN6thrust23THRUST_200600_302600_NS6detail15normal_iteratorINSA_10device_ptrIxEEEEPS6_SG_NS0_5tupleIJSF_S6_EEENSH_IJSG_SG_EEES6_PlJ7is_evenIxEEEE10hipError_tPvRmT3_T4_T5_T6_T7_T9_mT8_P12ihipStream_tbDpT10_ENKUlT_T0_E_clISt17integral_constantIbLb1EES16_EEDaS11_S12_EUlS11_E_NS1_11comp_targetILNS1_3genE8ELNS1_11target_archE1030ELNS1_3gpuE2ELNS1_3repE0EEENS1_30default_config_static_selectorELNS0_4arch9wavefront6targetE0EEEvT1_: ; @_ZN7rocprim17ROCPRIM_400000_NS6detail17trampoline_kernelINS0_14default_configENS1_25partition_config_selectorILNS1_17partition_subalgoE6ExNS0_10empty_typeEbEEZZNS1_14partition_implILS5_6ELb0ES3_mN6thrust23THRUST_200600_302600_NS6detail15normal_iteratorINSA_10device_ptrIxEEEEPS6_SG_NS0_5tupleIJSF_S6_EEENSH_IJSG_SG_EEES6_PlJ7is_evenIxEEEE10hipError_tPvRmT3_T4_T5_T6_T7_T9_mT8_P12ihipStream_tbDpT10_ENKUlT_T0_E_clISt17integral_constantIbLb1EES16_EEDaS11_S12_EUlS11_E_NS1_11comp_targetILNS1_3genE8ELNS1_11target_archE1030ELNS1_3gpuE2ELNS1_3repE0EEENS1_30default_config_static_selectorELNS0_4arch9wavefront6targetE0EEEvT1_
; %bb.0:
	.section	.rodata,"a",@progbits
	.p2align	6, 0x0
	.amdhsa_kernel _ZN7rocprim17ROCPRIM_400000_NS6detail17trampoline_kernelINS0_14default_configENS1_25partition_config_selectorILNS1_17partition_subalgoE6ExNS0_10empty_typeEbEEZZNS1_14partition_implILS5_6ELb0ES3_mN6thrust23THRUST_200600_302600_NS6detail15normal_iteratorINSA_10device_ptrIxEEEEPS6_SG_NS0_5tupleIJSF_S6_EEENSH_IJSG_SG_EEES6_PlJ7is_evenIxEEEE10hipError_tPvRmT3_T4_T5_T6_T7_T9_mT8_P12ihipStream_tbDpT10_ENKUlT_T0_E_clISt17integral_constantIbLb1EES16_EEDaS11_S12_EUlS11_E_NS1_11comp_targetILNS1_3genE8ELNS1_11target_archE1030ELNS1_3gpuE2ELNS1_3repE0EEENS1_30default_config_static_selectorELNS0_4arch9wavefront6targetE0EEEvT1_
		.amdhsa_group_segment_fixed_size 0
		.amdhsa_private_segment_fixed_size 0
		.amdhsa_kernarg_size 128
		.amdhsa_user_sgpr_count 15
		.amdhsa_user_sgpr_dispatch_ptr 0
		.amdhsa_user_sgpr_queue_ptr 0
		.amdhsa_user_sgpr_kernarg_segment_ptr 1
		.amdhsa_user_sgpr_dispatch_id 0
		.amdhsa_user_sgpr_private_segment_size 0
		.amdhsa_wavefront_size32 1
		.amdhsa_uses_dynamic_stack 0
		.amdhsa_enable_private_segment 0
		.amdhsa_system_sgpr_workgroup_id_x 1
		.amdhsa_system_sgpr_workgroup_id_y 0
		.amdhsa_system_sgpr_workgroup_id_z 0
		.amdhsa_system_sgpr_workgroup_info 0
		.amdhsa_system_vgpr_workitem_id 0
		.amdhsa_next_free_vgpr 1
		.amdhsa_next_free_sgpr 1
		.amdhsa_reserve_vcc 0
		.amdhsa_float_round_mode_32 0
		.amdhsa_float_round_mode_16_64 0
		.amdhsa_float_denorm_mode_32 3
		.amdhsa_float_denorm_mode_16_64 3
		.amdhsa_dx10_clamp 1
		.amdhsa_ieee_mode 1
		.amdhsa_fp16_overflow 0
		.amdhsa_workgroup_processor_mode 1
		.amdhsa_memory_ordered 1
		.amdhsa_forward_progress 0
		.amdhsa_shared_vgpr_count 0
		.amdhsa_exception_fp_ieee_invalid_op 0
		.amdhsa_exception_fp_denorm_src 0
		.amdhsa_exception_fp_ieee_div_zero 0
		.amdhsa_exception_fp_ieee_overflow 0
		.amdhsa_exception_fp_ieee_underflow 0
		.amdhsa_exception_fp_ieee_inexact 0
		.amdhsa_exception_int_div_zero 0
	.end_amdhsa_kernel
	.section	.text._ZN7rocprim17ROCPRIM_400000_NS6detail17trampoline_kernelINS0_14default_configENS1_25partition_config_selectorILNS1_17partition_subalgoE6ExNS0_10empty_typeEbEEZZNS1_14partition_implILS5_6ELb0ES3_mN6thrust23THRUST_200600_302600_NS6detail15normal_iteratorINSA_10device_ptrIxEEEEPS6_SG_NS0_5tupleIJSF_S6_EEENSH_IJSG_SG_EEES6_PlJ7is_evenIxEEEE10hipError_tPvRmT3_T4_T5_T6_T7_T9_mT8_P12ihipStream_tbDpT10_ENKUlT_T0_E_clISt17integral_constantIbLb1EES16_EEDaS11_S12_EUlS11_E_NS1_11comp_targetILNS1_3genE8ELNS1_11target_archE1030ELNS1_3gpuE2ELNS1_3repE0EEENS1_30default_config_static_selectorELNS0_4arch9wavefront6targetE0EEEvT1_,"axG",@progbits,_ZN7rocprim17ROCPRIM_400000_NS6detail17trampoline_kernelINS0_14default_configENS1_25partition_config_selectorILNS1_17partition_subalgoE6ExNS0_10empty_typeEbEEZZNS1_14partition_implILS5_6ELb0ES3_mN6thrust23THRUST_200600_302600_NS6detail15normal_iteratorINSA_10device_ptrIxEEEEPS6_SG_NS0_5tupleIJSF_S6_EEENSH_IJSG_SG_EEES6_PlJ7is_evenIxEEEE10hipError_tPvRmT3_T4_T5_T6_T7_T9_mT8_P12ihipStream_tbDpT10_ENKUlT_T0_E_clISt17integral_constantIbLb1EES16_EEDaS11_S12_EUlS11_E_NS1_11comp_targetILNS1_3genE8ELNS1_11target_archE1030ELNS1_3gpuE2ELNS1_3repE0EEENS1_30default_config_static_selectorELNS0_4arch9wavefront6targetE0EEEvT1_,comdat
.Lfunc_end375:
	.size	_ZN7rocprim17ROCPRIM_400000_NS6detail17trampoline_kernelINS0_14default_configENS1_25partition_config_selectorILNS1_17partition_subalgoE6ExNS0_10empty_typeEbEEZZNS1_14partition_implILS5_6ELb0ES3_mN6thrust23THRUST_200600_302600_NS6detail15normal_iteratorINSA_10device_ptrIxEEEEPS6_SG_NS0_5tupleIJSF_S6_EEENSH_IJSG_SG_EEES6_PlJ7is_evenIxEEEE10hipError_tPvRmT3_T4_T5_T6_T7_T9_mT8_P12ihipStream_tbDpT10_ENKUlT_T0_E_clISt17integral_constantIbLb1EES16_EEDaS11_S12_EUlS11_E_NS1_11comp_targetILNS1_3genE8ELNS1_11target_archE1030ELNS1_3gpuE2ELNS1_3repE0EEENS1_30default_config_static_selectorELNS0_4arch9wavefront6targetE0EEEvT1_, .Lfunc_end375-_ZN7rocprim17ROCPRIM_400000_NS6detail17trampoline_kernelINS0_14default_configENS1_25partition_config_selectorILNS1_17partition_subalgoE6ExNS0_10empty_typeEbEEZZNS1_14partition_implILS5_6ELb0ES3_mN6thrust23THRUST_200600_302600_NS6detail15normal_iteratorINSA_10device_ptrIxEEEEPS6_SG_NS0_5tupleIJSF_S6_EEENSH_IJSG_SG_EEES6_PlJ7is_evenIxEEEE10hipError_tPvRmT3_T4_T5_T6_T7_T9_mT8_P12ihipStream_tbDpT10_ENKUlT_T0_E_clISt17integral_constantIbLb1EES16_EEDaS11_S12_EUlS11_E_NS1_11comp_targetILNS1_3genE8ELNS1_11target_archE1030ELNS1_3gpuE2ELNS1_3repE0EEENS1_30default_config_static_selectorELNS0_4arch9wavefront6targetE0EEEvT1_
                                        ; -- End function
	.section	.AMDGPU.csdata,"",@progbits
; Kernel info:
; codeLenInByte = 0
; NumSgprs: 0
; NumVgprs: 0
; ScratchSize: 0
; MemoryBound: 0
; FloatMode: 240
; IeeeMode: 1
; LDSByteSize: 0 bytes/workgroup (compile time only)
; SGPRBlocks: 0
; VGPRBlocks: 0
; NumSGPRsForWavesPerEU: 1
; NumVGPRsForWavesPerEU: 1
; Occupancy: 16
; WaveLimiterHint : 0
; COMPUTE_PGM_RSRC2:SCRATCH_EN: 0
; COMPUTE_PGM_RSRC2:USER_SGPR: 15
; COMPUTE_PGM_RSRC2:TRAP_HANDLER: 0
; COMPUTE_PGM_RSRC2:TGID_X_EN: 1
; COMPUTE_PGM_RSRC2:TGID_Y_EN: 0
; COMPUTE_PGM_RSRC2:TGID_Z_EN: 0
; COMPUTE_PGM_RSRC2:TIDIG_COMP_CNT: 0
	.section	.text._ZN7rocprim17ROCPRIM_400000_NS6detail17trampoline_kernelINS0_14default_configENS1_25partition_config_selectorILNS1_17partition_subalgoE6ExNS0_10empty_typeEbEEZZNS1_14partition_implILS5_6ELb0ES3_mN6thrust23THRUST_200600_302600_NS6detail15normal_iteratorINSA_10device_ptrIxEEEEPS6_SG_NS0_5tupleIJSF_S6_EEENSH_IJSG_SG_EEES6_PlJ7is_evenIxEEEE10hipError_tPvRmT3_T4_T5_T6_T7_T9_mT8_P12ihipStream_tbDpT10_ENKUlT_T0_E_clISt17integral_constantIbLb1EES15_IbLb0EEEEDaS11_S12_EUlS11_E_NS1_11comp_targetILNS1_3genE0ELNS1_11target_archE4294967295ELNS1_3gpuE0ELNS1_3repE0EEENS1_30default_config_static_selectorELNS0_4arch9wavefront6targetE0EEEvT1_,"axG",@progbits,_ZN7rocprim17ROCPRIM_400000_NS6detail17trampoline_kernelINS0_14default_configENS1_25partition_config_selectorILNS1_17partition_subalgoE6ExNS0_10empty_typeEbEEZZNS1_14partition_implILS5_6ELb0ES3_mN6thrust23THRUST_200600_302600_NS6detail15normal_iteratorINSA_10device_ptrIxEEEEPS6_SG_NS0_5tupleIJSF_S6_EEENSH_IJSG_SG_EEES6_PlJ7is_evenIxEEEE10hipError_tPvRmT3_T4_T5_T6_T7_T9_mT8_P12ihipStream_tbDpT10_ENKUlT_T0_E_clISt17integral_constantIbLb1EES15_IbLb0EEEEDaS11_S12_EUlS11_E_NS1_11comp_targetILNS1_3genE0ELNS1_11target_archE4294967295ELNS1_3gpuE0ELNS1_3repE0EEENS1_30default_config_static_selectorELNS0_4arch9wavefront6targetE0EEEvT1_,comdat
	.protected	_ZN7rocprim17ROCPRIM_400000_NS6detail17trampoline_kernelINS0_14default_configENS1_25partition_config_selectorILNS1_17partition_subalgoE6ExNS0_10empty_typeEbEEZZNS1_14partition_implILS5_6ELb0ES3_mN6thrust23THRUST_200600_302600_NS6detail15normal_iteratorINSA_10device_ptrIxEEEEPS6_SG_NS0_5tupleIJSF_S6_EEENSH_IJSG_SG_EEES6_PlJ7is_evenIxEEEE10hipError_tPvRmT3_T4_T5_T6_T7_T9_mT8_P12ihipStream_tbDpT10_ENKUlT_T0_E_clISt17integral_constantIbLb1EES15_IbLb0EEEEDaS11_S12_EUlS11_E_NS1_11comp_targetILNS1_3genE0ELNS1_11target_archE4294967295ELNS1_3gpuE0ELNS1_3repE0EEENS1_30default_config_static_selectorELNS0_4arch9wavefront6targetE0EEEvT1_ ; -- Begin function _ZN7rocprim17ROCPRIM_400000_NS6detail17trampoline_kernelINS0_14default_configENS1_25partition_config_selectorILNS1_17partition_subalgoE6ExNS0_10empty_typeEbEEZZNS1_14partition_implILS5_6ELb0ES3_mN6thrust23THRUST_200600_302600_NS6detail15normal_iteratorINSA_10device_ptrIxEEEEPS6_SG_NS0_5tupleIJSF_S6_EEENSH_IJSG_SG_EEES6_PlJ7is_evenIxEEEE10hipError_tPvRmT3_T4_T5_T6_T7_T9_mT8_P12ihipStream_tbDpT10_ENKUlT_T0_E_clISt17integral_constantIbLb1EES15_IbLb0EEEEDaS11_S12_EUlS11_E_NS1_11comp_targetILNS1_3genE0ELNS1_11target_archE4294967295ELNS1_3gpuE0ELNS1_3repE0EEENS1_30default_config_static_selectorELNS0_4arch9wavefront6targetE0EEEvT1_
	.globl	_ZN7rocprim17ROCPRIM_400000_NS6detail17trampoline_kernelINS0_14default_configENS1_25partition_config_selectorILNS1_17partition_subalgoE6ExNS0_10empty_typeEbEEZZNS1_14partition_implILS5_6ELb0ES3_mN6thrust23THRUST_200600_302600_NS6detail15normal_iteratorINSA_10device_ptrIxEEEEPS6_SG_NS0_5tupleIJSF_S6_EEENSH_IJSG_SG_EEES6_PlJ7is_evenIxEEEE10hipError_tPvRmT3_T4_T5_T6_T7_T9_mT8_P12ihipStream_tbDpT10_ENKUlT_T0_E_clISt17integral_constantIbLb1EES15_IbLb0EEEEDaS11_S12_EUlS11_E_NS1_11comp_targetILNS1_3genE0ELNS1_11target_archE4294967295ELNS1_3gpuE0ELNS1_3repE0EEENS1_30default_config_static_selectorELNS0_4arch9wavefront6targetE0EEEvT1_
	.p2align	8
	.type	_ZN7rocprim17ROCPRIM_400000_NS6detail17trampoline_kernelINS0_14default_configENS1_25partition_config_selectorILNS1_17partition_subalgoE6ExNS0_10empty_typeEbEEZZNS1_14partition_implILS5_6ELb0ES3_mN6thrust23THRUST_200600_302600_NS6detail15normal_iteratorINSA_10device_ptrIxEEEEPS6_SG_NS0_5tupleIJSF_S6_EEENSH_IJSG_SG_EEES6_PlJ7is_evenIxEEEE10hipError_tPvRmT3_T4_T5_T6_T7_T9_mT8_P12ihipStream_tbDpT10_ENKUlT_T0_E_clISt17integral_constantIbLb1EES15_IbLb0EEEEDaS11_S12_EUlS11_E_NS1_11comp_targetILNS1_3genE0ELNS1_11target_archE4294967295ELNS1_3gpuE0ELNS1_3repE0EEENS1_30default_config_static_selectorELNS0_4arch9wavefront6targetE0EEEvT1_,@function
_ZN7rocprim17ROCPRIM_400000_NS6detail17trampoline_kernelINS0_14default_configENS1_25partition_config_selectorILNS1_17partition_subalgoE6ExNS0_10empty_typeEbEEZZNS1_14partition_implILS5_6ELb0ES3_mN6thrust23THRUST_200600_302600_NS6detail15normal_iteratorINSA_10device_ptrIxEEEEPS6_SG_NS0_5tupleIJSF_S6_EEENSH_IJSG_SG_EEES6_PlJ7is_evenIxEEEE10hipError_tPvRmT3_T4_T5_T6_T7_T9_mT8_P12ihipStream_tbDpT10_ENKUlT_T0_E_clISt17integral_constantIbLb1EES15_IbLb0EEEEDaS11_S12_EUlS11_E_NS1_11comp_targetILNS1_3genE0ELNS1_11target_archE4294967295ELNS1_3gpuE0ELNS1_3repE0EEENS1_30default_config_static_selectorELNS0_4arch9wavefront6targetE0EEEvT1_: ; @_ZN7rocprim17ROCPRIM_400000_NS6detail17trampoline_kernelINS0_14default_configENS1_25partition_config_selectorILNS1_17partition_subalgoE6ExNS0_10empty_typeEbEEZZNS1_14partition_implILS5_6ELb0ES3_mN6thrust23THRUST_200600_302600_NS6detail15normal_iteratorINSA_10device_ptrIxEEEEPS6_SG_NS0_5tupleIJSF_S6_EEENSH_IJSG_SG_EEES6_PlJ7is_evenIxEEEE10hipError_tPvRmT3_T4_T5_T6_T7_T9_mT8_P12ihipStream_tbDpT10_ENKUlT_T0_E_clISt17integral_constantIbLb1EES15_IbLb0EEEEDaS11_S12_EUlS11_E_NS1_11comp_targetILNS1_3genE0ELNS1_11target_archE4294967295ELNS1_3gpuE0ELNS1_3repE0EEENS1_30default_config_static_selectorELNS0_4arch9wavefront6targetE0EEEvT1_
; %bb.0:
	.section	.rodata,"a",@progbits
	.p2align	6, 0x0
	.amdhsa_kernel _ZN7rocprim17ROCPRIM_400000_NS6detail17trampoline_kernelINS0_14default_configENS1_25partition_config_selectorILNS1_17partition_subalgoE6ExNS0_10empty_typeEbEEZZNS1_14partition_implILS5_6ELb0ES3_mN6thrust23THRUST_200600_302600_NS6detail15normal_iteratorINSA_10device_ptrIxEEEEPS6_SG_NS0_5tupleIJSF_S6_EEENSH_IJSG_SG_EEES6_PlJ7is_evenIxEEEE10hipError_tPvRmT3_T4_T5_T6_T7_T9_mT8_P12ihipStream_tbDpT10_ENKUlT_T0_E_clISt17integral_constantIbLb1EES15_IbLb0EEEEDaS11_S12_EUlS11_E_NS1_11comp_targetILNS1_3genE0ELNS1_11target_archE4294967295ELNS1_3gpuE0ELNS1_3repE0EEENS1_30default_config_static_selectorELNS0_4arch9wavefront6targetE0EEEvT1_
		.amdhsa_group_segment_fixed_size 0
		.amdhsa_private_segment_fixed_size 0
		.amdhsa_kernarg_size 112
		.amdhsa_user_sgpr_count 15
		.amdhsa_user_sgpr_dispatch_ptr 0
		.amdhsa_user_sgpr_queue_ptr 0
		.amdhsa_user_sgpr_kernarg_segment_ptr 1
		.amdhsa_user_sgpr_dispatch_id 0
		.amdhsa_user_sgpr_private_segment_size 0
		.amdhsa_wavefront_size32 1
		.amdhsa_uses_dynamic_stack 0
		.amdhsa_enable_private_segment 0
		.amdhsa_system_sgpr_workgroup_id_x 1
		.amdhsa_system_sgpr_workgroup_id_y 0
		.amdhsa_system_sgpr_workgroup_id_z 0
		.amdhsa_system_sgpr_workgroup_info 0
		.amdhsa_system_vgpr_workitem_id 0
		.amdhsa_next_free_vgpr 1
		.amdhsa_next_free_sgpr 1
		.amdhsa_reserve_vcc 0
		.amdhsa_float_round_mode_32 0
		.amdhsa_float_round_mode_16_64 0
		.amdhsa_float_denorm_mode_32 3
		.amdhsa_float_denorm_mode_16_64 3
		.amdhsa_dx10_clamp 1
		.amdhsa_ieee_mode 1
		.amdhsa_fp16_overflow 0
		.amdhsa_workgroup_processor_mode 1
		.amdhsa_memory_ordered 1
		.amdhsa_forward_progress 0
		.amdhsa_shared_vgpr_count 0
		.amdhsa_exception_fp_ieee_invalid_op 0
		.amdhsa_exception_fp_denorm_src 0
		.amdhsa_exception_fp_ieee_div_zero 0
		.amdhsa_exception_fp_ieee_overflow 0
		.amdhsa_exception_fp_ieee_underflow 0
		.amdhsa_exception_fp_ieee_inexact 0
		.amdhsa_exception_int_div_zero 0
	.end_amdhsa_kernel
	.section	.text._ZN7rocprim17ROCPRIM_400000_NS6detail17trampoline_kernelINS0_14default_configENS1_25partition_config_selectorILNS1_17partition_subalgoE6ExNS0_10empty_typeEbEEZZNS1_14partition_implILS5_6ELb0ES3_mN6thrust23THRUST_200600_302600_NS6detail15normal_iteratorINSA_10device_ptrIxEEEEPS6_SG_NS0_5tupleIJSF_S6_EEENSH_IJSG_SG_EEES6_PlJ7is_evenIxEEEE10hipError_tPvRmT3_T4_T5_T6_T7_T9_mT8_P12ihipStream_tbDpT10_ENKUlT_T0_E_clISt17integral_constantIbLb1EES15_IbLb0EEEEDaS11_S12_EUlS11_E_NS1_11comp_targetILNS1_3genE0ELNS1_11target_archE4294967295ELNS1_3gpuE0ELNS1_3repE0EEENS1_30default_config_static_selectorELNS0_4arch9wavefront6targetE0EEEvT1_,"axG",@progbits,_ZN7rocprim17ROCPRIM_400000_NS6detail17trampoline_kernelINS0_14default_configENS1_25partition_config_selectorILNS1_17partition_subalgoE6ExNS0_10empty_typeEbEEZZNS1_14partition_implILS5_6ELb0ES3_mN6thrust23THRUST_200600_302600_NS6detail15normal_iteratorINSA_10device_ptrIxEEEEPS6_SG_NS0_5tupleIJSF_S6_EEENSH_IJSG_SG_EEES6_PlJ7is_evenIxEEEE10hipError_tPvRmT3_T4_T5_T6_T7_T9_mT8_P12ihipStream_tbDpT10_ENKUlT_T0_E_clISt17integral_constantIbLb1EES15_IbLb0EEEEDaS11_S12_EUlS11_E_NS1_11comp_targetILNS1_3genE0ELNS1_11target_archE4294967295ELNS1_3gpuE0ELNS1_3repE0EEENS1_30default_config_static_selectorELNS0_4arch9wavefront6targetE0EEEvT1_,comdat
.Lfunc_end376:
	.size	_ZN7rocprim17ROCPRIM_400000_NS6detail17trampoline_kernelINS0_14default_configENS1_25partition_config_selectorILNS1_17partition_subalgoE6ExNS0_10empty_typeEbEEZZNS1_14partition_implILS5_6ELb0ES3_mN6thrust23THRUST_200600_302600_NS6detail15normal_iteratorINSA_10device_ptrIxEEEEPS6_SG_NS0_5tupleIJSF_S6_EEENSH_IJSG_SG_EEES6_PlJ7is_evenIxEEEE10hipError_tPvRmT3_T4_T5_T6_T7_T9_mT8_P12ihipStream_tbDpT10_ENKUlT_T0_E_clISt17integral_constantIbLb1EES15_IbLb0EEEEDaS11_S12_EUlS11_E_NS1_11comp_targetILNS1_3genE0ELNS1_11target_archE4294967295ELNS1_3gpuE0ELNS1_3repE0EEENS1_30default_config_static_selectorELNS0_4arch9wavefront6targetE0EEEvT1_, .Lfunc_end376-_ZN7rocprim17ROCPRIM_400000_NS6detail17trampoline_kernelINS0_14default_configENS1_25partition_config_selectorILNS1_17partition_subalgoE6ExNS0_10empty_typeEbEEZZNS1_14partition_implILS5_6ELb0ES3_mN6thrust23THRUST_200600_302600_NS6detail15normal_iteratorINSA_10device_ptrIxEEEEPS6_SG_NS0_5tupleIJSF_S6_EEENSH_IJSG_SG_EEES6_PlJ7is_evenIxEEEE10hipError_tPvRmT3_T4_T5_T6_T7_T9_mT8_P12ihipStream_tbDpT10_ENKUlT_T0_E_clISt17integral_constantIbLb1EES15_IbLb0EEEEDaS11_S12_EUlS11_E_NS1_11comp_targetILNS1_3genE0ELNS1_11target_archE4294967295ELNS1_3gpuE0ELNS1_3repE0EEENS1_30default_config_static_selectorELNS0_4arch9wavefront6targetE0EEEvT1_
                                        ; -- End function
	.section	.AMDGPU.csdata,"",@progbits
; Kernel info:
; codeLenInByte = 0
; NumSgprs: 0
; NumVgprs: 0
; ScratchSize: 0
; MemoryBound: 0
; FloatMode: 240
; IeeeMode: 1
; LDSByteSize: 0 bytes/workgroup (compile time only)
; SGPRBlocks: 0
; VGPRBlocks: 0
; NumSGPRsForWavesPerEU: 1
; NumVGPRsForWavesPerEU: 1
; Occupancy: 16
; WaveLimiterHint : 0
; COMPUTE_PGM_RSRC2:SCRATCH_EN: 0
; COMPUTE_PGM_RSRC2:USER_SGPR: 15
; COMPUTE_PGM_RSRC2:TRAP_HANDLER: 0
; COMPUTE_PGM_RSRC2:TGID_X_EN: 1
; COMPUTE_PGM_RSRC2:TGID_Y_EN: 0
; COMPUTE_PGM_RSRC2:TGID_Z_EN: 0
; COMPUTE_PGM_RSRC2:TIDIG_COMP_CNT: 0
	.section	.text._ZN7rocprim17ROCPRIM_400000_NS6detail17trampoline_kernelINS0_14default_configENS1_25partition_config_selectorILNS1_17partition_subalgoE6ExNS0_10empty_typeEbEEZZNS1_14partition_implILS5_6ELb0ES3_mN6thrust23THRUST_200600_302600_NS6detail15normal_iteratorINSA_10device_ptrIxEEEEPS6_SG_NS0_5tupleIJSF_S6_EEENSH_IJSG_SG_EEES6_PlJ7is_evenIxEEEE10hipError_tPvRmT3_T4_T5_T6_T7_T9_mT8_P12ihipStream_tbDpT10_ENKUlT_T0_E_clISt17integral_constantIbLb1EES15_IbLb0EEEEDaS11_S12_EUlS11_E_NS1_11comp_targetILNS1_3genE5ELNS1_11target_archE942ELNS1_3gpuE9ELNS1_3repE0EEENS1_30default_config_static_selectorELNS0_4arch9wavefront6targetE0EEEvT1_,"axG",@progbits,_ZN7rocprim17ROCPRIM_400000_NS6detail17trampoline_kernelINS0_14default_configENS1_25partition_config_selectorILNS1_17partition_subalgoE6ExNS0_10empty_typeEbEEZZNS1_14partition_implILS5_6ELb0ES3_mN6thrust23THRUST_200600_302600_NS6detail15normal_iteratorINSA_10device_ptrIxEEEEPS6_SG_NS0_5tupleIJSF_S6_EEENSH_IJSG_SG_EEES6_PlJ7is_evenIxEEEE10hipError_tPvRmT3_T4_T5_T6_T7_T9_mT8_P12ihipStream_tbDpT10_ENKUlT_T0_E_clISt17integral_constantIbLb1EES15_IbLb0EEEEDaS11_S12_EUlS11_E_NS1_11comp_targetILNS1_3genE5ELNS1_11target_archE942ELNS1_3gpuE9ELNS1_3repE0EEENS1_30default_config_static_selectorELNS0_4arch9wavefront6targetE0EEEvT1_,comdat
	.protected	_ZN7rocprim17ROCPRIM_400000_NS6detail17trampoline_kernelINS0_14default_configENS1_25partition_config_selectorILNS1_17partition_subalgoE6ExNS0_10empty_typeEbEEZZNS1_14partition_implILS5_6ELb0ES3_mN6thrust23THRUST_200600_302600_NS6detail15normal_iteratorINSA_10device_ptrIxEEEEPS6_SG_NS0_5tupleIJSF_S6_EEENSH_IJSG_SG_EEES6_PlJ7is_evenIxEEEE10hipError_tPvRmT3_T4_T5_T6_T7_T9_mT8_P12ihipStream_tbDpT10_ENKUlT_T0_E_clISt17integral_constantIbLb1EES15_IbLb0EEEEDaS11_S12_EUlS11_E_NS1_11comp_targetILNS1_3genE5ELNS1_11target_archE942ELNS1_3gpuE9ELNS1_3repE0EEENS1_30default_config_static_selectorELNS0_4arch9wavefront6targetE0EEEvT1_ ; -- Begin function _ZN7rocprim17ROCPRIM_400000_NS6detail17trampoline_kernelINS0_14default_configENS1_25partition_config_selectorILNS1_17partition_subalgoE6ExNS0_10empty_typeEbEEZZNS1_14partition_implILS5_6ELb0ES3_mN6thrust23THRUST_200600_302600_NS6detail15normal_iteratorINSA_10device_ptrIxEEEEPS6_SG_NS0_5tupleIJSF_S6_EEENSH_IJSG_SG_EEES6_PlJ7is_evenIxEEEE10hipError_tPvRmT3_T4_T5_T6_T7_T9_mT8_P12ihipStream_tbDpT10_ENKUlT_T0_E_clISt17integral_constantIbLb1EES15_IbLb0EEEEDaS11_S12_EUlS11_E_NS1_11comp_targetILNS1_3genE5ELNS1_11target_archE942ELNS1_3gpuE9ELNS1_3repE0EEENS1_30default_config_static_selectorELNS0_4arch9wavefront6targetE0EEEvT1_
	.globl	_ZN7rocprim17ROCPRIM_400000_NS6detail17trampoline_kernelINS0_14default_configENS1_25partition_config_selectorILNS1_17partition_subalgoE6ExNS0_10empty_typeEbEEZZNS1_14partition_implILS5_6ELb0ES3_mN6thrust23THRUST_200600_302600_NS6detail15normal_iteratorINSA_10device_ptrIxEEEEPS6_SG_NS0_5tupleIJSF_S6_EEENSH_IJSG_SG_EEES6_PlJ7is_evenIxEEEE10hipError_tPvRmT3_T4_T5_T6_T7_T9_mT8_P12ihipStream_tbDpT10_ENKUlT_T0_E_clISt17integral_constantIbLb1EES15_IbLb0EEEEDaS11_S12_EUlS11_E_NS1_11comp_targetILNS1_3genE5ELNS1_11target_archE942ELNS1_3gpuE9ELNS1_3repE0EEENS1_30default_config_static_selectorELNS0_4arch9wavefront6targetE0EEEvT1_
	.p2align	8
	.type	_ZN7rocprim17ROCPRIM_400000_NS6detail17trampoline_kernelINS0_14default_configENS1_25partition_config_selectorILNS1_17partition_subalgoE6ExNS0_10empty_typeEbEEZZNS1_14partition_implILS5_6ELb0ES3_mN6thrust23THRUST_200600_302600_NS6detail15normal_iteratorINSA_10device_ptrIxEEEEPS6_SG_NS0_5tupleIJSF_S6_EEENSH_IJSG_SG_EEES6_PlJ7is_evenIxEEEE10hipError_tPvRmT3_T4_T5_T6_T7_T9_mT8_P12ihipStream_tbDpT10_ENKUlT_T0_E_clISt17integral_constantIbLb1EES15_IbLb0EEEEDaS11_S12_EUlS11_E_NS1_11comp_targetILNS1_3genE5ELNS1_11target_archE942ELNS1_3gpuE9ELNS1_3repE0EEENS1_30default_config_static_selectorELNS0_4arch9wavefront6targetE0EEEvT1_,@function
_ZN7rocprim17ROCPRIM_400000_NS6detail17trampoline_kernelINS0_14default_configENS1_25partition_config_selectorILNS1_17partition_subalgoE6ExNS0_10empty_typeEbEEZZNS1_14partition_implILS5_6ELb0ES3_mN6thrust23THRUST_200600_302600_NS6detail15normal_iteratorINSA_10device_ptrIxEEEEPS6_SG_NS0_5tupleIJSF_S6_EEENSH_IJSG_SG_EEES6_PlJ7is_evenIxEEEE10hipError_tPvRmT3_T4_T5_T6_T7_T9_mT8_P12ihipStream_tbDpT10_ENKUlT_T0_E_clISt17integral_constantIbLb1EES15_IbLb0EEEEDaS11_S12_EUlS11_E_NS1_11comp_targetILNS1_3genE5ELNS1_11target_archE942ELNS1_3gpuE9ELNS1_3repE0EEENS1_30default_config_static_selectorELNS0_4arch9wavefront6targetE0EEEvT1_: ; @_ZN7rocprim17ROCPRIM_400000_NS6detail17trampoline_kernelINS0_14default_configENS1_25partition_config_selectorILNS1_17partition_subalgoE6ExNS0_10empty_typeEbEEZZNS1_14partition_implILS5_6ELb0ES3_mN6thrust23THRUST_200600_302600_NS6detail15normal_iteratorINSA_10device_ptrIxEEEEPS6_SG_NS0_5tupleIJSF_S6_EEENSH_IJSG_SG_EEES6_PlJ7is_evenIxEEEE10hipError_tPvRmT3_T4_T5_T6_T7_T9_mT8_P12ihipStream_tbDpT10_ENKUlT_T0_E_clISt17integral_constantIbLb1EES15_IbLb0EEEEDaS11_S12_EUlS11_E_NS1_11comp_targetILNS1_3genE5ELNS1_11target_archE942ELNS1_3gpuE9ELNS1_3repE0EEENS1_30default_config_static_selectorELNS0_4arch9wavefront6targetE0EEEvT1_
; %bb.0:
	.section	.rodata,"a",@progbits
	.p2align	6, 0x0
	.amdhsa_kernel _ZN7rocprim17ROCPRIM_400000_NS6detail17trampoline_kernelINS0_14default_configENS1_25partition_config_selectorILNS1_17partition_subalgoE6ExNS0_10empty_typeEbEEZZNS1_14partition_implILS5_6ELb0ES3_mN6thrust23THRUST_200600_302600_NS6detail15normal_iteratorINSA_10device_ptrIxEEEEPS6_SG_NS0_5tupleIJSF_S6_EEENSH_IJSG_SG_EEES6_PlJ7is_evenIxEEEE10hipError_tPvRmT3_T4_T5_T6_T7_T9_mT8_P12ihipStream_tbDpT10_ENKUlT_T0_E_clISt17integral_constantIbLb1EES15_IbLb0EEEEDaS11_S12_EUlS11_E_NS1_11comp_targetILNS1_3genE5ELNS1_11target_archE942ELNS1_3gpuE9ELNS1_3repE0EEENS1_30default_config_static_selectorELNS0_4arch9wavefront6targetE0EEEvT1_
		.amdhsa_group_segment_fixed_size 0
		.amdhsa_private_segment_fixed_size 0
		.amdhsa_kernarg_size 112
		.amdhsa_user_sgpr_count 15
		.amdhsa_user_sgpr_dispatch_ptr 0
		.amdhsa_user_sgpr_queue_ptr 0
		.amdhsa_user_sgpr_kernarg_segment_ptr 1
		.amdhsa_user_sgpr_dispatch_id 0
		.amdhsa_user_sgpr_private_segment_size 0
		.amdhsa_wavefront_size32 1
		.amdhsa_uses_dynamic_stack 0
		.amdhsa_enable_private_segment 0
		.amdhsa_system_sgpr_workgroup_id_x 1
		.amdhsa_system_sgpr_workgroup_id_y 0
		.amdhsa_system_sgpr_workgroup_id_z 0
		.amdhsa_system_sgpr_workgroup_info 0
		.amdhsa_system_vgpr_workitem_id 0
		.amdhsa_next_free_vgpr 1
		.amdhsa_next_free_sgpr 1
		.amdhsa_reserve_vcc 0
		.amdhsa_float_round_mode_32 0
		.amdhsa_float_round_mode_16_64 0
		.amdhsa_float_denorm_mode_32 3
		.amdhsa_float_denorm_mode_16_64 3
		.amdhsa_dx10_clamp 1
		.amdhsa_ieee_mode 1
		.amdhsa_fp16_overflow 0
		.amdhsa_workgroup_processor_mode 1
		.amdhsa_memory_ordered 1
		.amdhsa_forward_progress 0
		.amdhsa_shared_vgpr_count 0
		.amdhsa_exception_fp_ieee_invalid_op 0
		.amdhsa_exception_fp_denorm_src 0
		.amdhsa_exception_fp_ieee_div_zero 0
		.amdhsa_exception_fp_ieee_overflow 0
		.amdhsa_exception_fp_ieee_underflow 0
		.amdhsa_exception_fp_ieee_inexact 0
		.amdhsa_exception_int_div_zero 0
	.end_amdhsa_kernel
	.section	.text._ZN7rocprim17ROCPRIM_400000_NS6detail17trampoline_kernelINS0_14default_configENS1_25partition_config_selectorILNS1_17partition_subalgoE6ExNS0_10empty_typeEbEEZZNS1_14partition_implILS5_6ELb0ES3_mN6thrust23THRUST_200600_302600_NS6detail15normal_iteratorINSA_10device_ptrIxEEEEPS6_SG_NS0_5tupleIJSF_S6_EEENSH_IJSG_SG_EEES6_PlJ7is_evenIxEEEE10hipError_tPvRmT3_T4_T5_T6_T7_T9_mT8_P12ihipStream_tbDpT10_ENKUlT_T0_E_clISt17integral_constantIbLb1EES15_IbLb0EEEEDaS11_S12_EUlS11_E_NS1_11comp_targetILNS1_3genE5ELNS1_11target_archE942ELNS1_3gpuE9ELNS1_3repE0EEENS1_30default_config_static_selectorELNS0_4arch9wavefront6targetE0EEEvT1_,"axG",@progbits,_ZN7rocprim17ROCPRIM_400000_NS6detail17trampoline_kernelINS0_14default_configENS1_25partition_config_selectorILNS1_17partition_subalgoE6ExNS0_10empty_typeEbEEZZNS1_14partition_implILS5_6ELb0ES3_mN6thrust23THRUST_200600_302600_NS6detail15normal_iteratorINSA_10device_ptrIxEEEEPS6_SG_NS0_5tupleIJSF_S6_EEENSH_IJSG_SG_EEES6_PlJ7is_evenIxEEEE10hipError_tPvRmT3_T4_T5_T6_T7_T9_mT8_P12ihipStream_tbDpT10_ENKUlT_T0_E_clISt17integral_constantIbLb1EES15_IbLb0EEEEDaS11_S12_EUlS11_E_NS1_11comp_targetILNS1_3genE5ELNS1_11target_archE942ELNS1_3gpuE9ELNS1_3repE0EEENS1_30default_config_static_selectorELNS0_4arch9wavefront6targetE0EEEvT1_,comdat
.Lfunc_end377:
	.size	_ZN7rocprim17ROCPRIM_400000_NS6detail17trampoline_kernelINS0_14default_configENS1_25partition_config_selectorILNS1_17partition_subalgoE6ExNS0_10empty_typeEbEEZZNS1_14partition_implILS5_6ELb0ES3_mN6thrust23THRUST_200600_302600_NS6detail15normal_iteratorINSA_10device_ptrIxEEEEPS6_SG_NS0_5tupleIJSF_S6_EEENSH_IJSG_SG_EEES6_PlJ7is_evenIxEEEE10hipError_tPvRmT3_T4_T5_T6_T7_T9_mT8_P12ihipStream_tbDpT10_ENKUlT_T0_E_clISt17integral_constantIbLb1EES15_IbLb0EEEEDaS11_S12_EUlS11_E_NS1_11comp_targetILNS1_3genE5ELNS1_11target_archE942ELNS1_3gpuE9ELNS1_3repE0EEENS1_30default_config_static_selectorELNS0_4arch9wavefront6targetE0EEEvT1_, .Lfunc_end377-_ZN7rocprim17ROCPRIM_400000_NS6detail17trampoline_kernelINS0_14default_configENS1_25partition_config_selectorILNS1_17partition_subalgoE6ExNS0_10empty_typeEbEEZZNS1_14partition_implILS5_6ELb0ES3_mN6thrust23THRUST_200600_302600_NS6detail15normal_iteratorINSA_10device_ptrIxEEEEPS6_SG_NS0_5tupleIJSF_S6_EEENSH_IJSG_SG_EEES6_PlJ7is_evenIxEEEE10hipError_tPvRmT3_T4_T5_T6_T7_T9_mT8_P12ihipStream_tbDpT10_ENKUlT_T0_E_clISt17integral_constantIbLb1EES15_IbLb0EEEEDaS11_S12_EUlS11_E_NS1_11comp_targetILNS1_3genE5ELNS1_11target_archE942ELNS1_3gpuE9ELNS1_3repE0EEENS1_30default_config_static_selectorELNS0_4arch9wavefront6targetE0EEEvT1_
                                        ; -- End function
	.section	.AMDGPU.csdata,"",@progbits
; Kernel info:
; codeLenInByte = 0
; NumSgprs: 0
; NumVgprs: 0
; ScratchSize: 0
; MemoryBound: 0
; FloatMode: 240
; IeeeMode: 1
; LDSByteSize: 0 bytes/workgroup (compile time only)
; SGPRBlocks: 0
; VGPRBlocks: 0
; NumSGPRsForWavesPerEU: 1
; NumVGPRsForWavesPerEU: 1
; Occupancy: 16
; WaveLimiterHint : 0
; COMPUTE_PGM_RSRC2:SCRATCH_EN: 0
; COMPUTE_PGM_RSRC2:USER_SGPR: 15
; COMPUTE_PGM_RSRC2:TRAP_HANDLER: 0
; COMPUTE_PGM_RSRC2:TGID_X_EN: 1
; COMPUTE_PGM_RSRC2:TGID_Y_EN: 0
; COMPUTE_PGM_RSRC2:TGID_Z_EN: 0
; COMPUTE_PGM_RSRC2:TIDIG_COMP_CNT: 0
	.section	.text._ZN7rocprim17ROCPRIM_400000_NS6detail17trampoline_kernelINS0_14default_configENS1_25partition_config_selectorILNS1_17partition_subalgoE6ExNS0_10empty_typeEbEEZZNS1_14partition_implILS5_6ELb0ES3_mN6thrust23THRUST_200600_302600_NS6detail15normal_iteratorINSA_10device_ptrIxEEEEPS6_SG_NS0_5tupleIJSF_S6_EEENSH_IJSG_SG_EEES6_PlJ7is_evenIxEEEE10hipError_tPvRmT3_T4_T5_T6_T7_T9_mT8_P12ihipStream_tbDpT10_ENKUlT_T0_E_clISt17integral_constantIbLb1EES15_IbLb0EEEEDaS11_S12_EUlS11_E_NS1_11comp_targetILNS1_3genE4ELNS1_11target_archE910ELNS1_3gpuE8ELNS1_3repE0EEENS1_30default_config_static_selectorELNS0_4arch9wavefront6targetE0EEEvT1_,"axG",@progbits,_ZN7rocprim17ROCPRIM_400000_NS6detail17trampoline_kernelINS0_14default_configENS1_25partition_config_selectorILNS1_17partition_subalgoE6ExNS0_10empty_typeEbEEZZNS1_14partition_implILS5_6ELb0ES3_mN6thrust23THRUST_200600_302600_NS6detail15normal_iteratorINSA_10device_ptrIxEEEEPS6_SG_NS0_5tupleIJSF_S6_EEENSH_IJSG_SG_EEES6_PlJ7is_evenIxEEEE10hipError_tPvRmT3_T4_T5_T6_T7_T9_mT8_P12ihipStream_tbDpT10_ENKUlT_T0_E_clISt17integral_constantIbLb1EES15_IbLb0EEEEDaS11_S12_EUlS11_E_NS1_11comp_targetILNS1_3genE4ELNS1_11target_archE910ELNS1_3gpuE8ELNS1_3repE0EEENS1_30default_config_static_selectorELNS0_4arch9wavefront6targetE0EEEvT1_,comdat
	.protected	_ZN7rocprim17ROCPRIM_400000_NS6detail17trampoline_kernelINS0_14default_configENS1_25partition_config_selectorILNS1_17partition_subalgoE6ExNS0_10empty_typeEbEEZZNS1_14partition_implILS5_6ELb0ES3_mN6thrust23THRUST_200600_302600_NS6detail15normal_iteratorINSA_10device_ptrIxEEEEPS6_SG_NS0_5tupleIJSF_S6_EEENSH_IJSG_SG_EEES6_PlJ7is_evenIxEEEE10hipError_tPvRmT3_T4_T5_T6_T7_T9_mT8_P12ihipStream_tbDpT10_ENKUlT_T0_E_clISt17integral_constantIbLb1EES15_IbLb0EEEEDaS11_S12_EUlS11_E_NS1_11comp_targetILNS1_3genE4ELNS1_11target_archE910ELNS1_3gpuE8ELNS1_3repE0EEENS1_30default_config_static_selectorELNS0_4arch9wavefront6targetE0EEEvT1_ ; -- Begin function _ZN7rocprim17ROCPRIM_400000_NS6detail17trampoline_kernelINS0_14default_configENS1_25partition_config_selectorILNS1_17partition_subalgoE6ExNS0_10empty_typeEbEEZZNS1_14partition_implILS5_6ELb0ES3_mN6thrust23THRUST_200600_302600_NS6detail15normal_iteratorINSA_10device_ptrIxEEEEPS6_SG_NS0_5tupleIJSF_S6_EEENSH_IJSG_SG_EEES6_PlJ7is_evenIxEEEE10hipError_tPvRmT3_T4_T5_T6_T7_T9_mT8_P12ihipStream_tbDpT10_ENKUlT_T0_E_clISt17integral_constantIbLb1EES15_IbLb0EEEEDaS11_S12_EUlS11_E_NS1_11comp_targetILNS1_3genE4ELNS1_11target_archE910ELNS1_3gpuE8ELNS1_3repE0EEENS1_30default_config_static_selectorELNS0_4arch9wavefront6targetE0EEEvT1_
	.globl	_ZN7rocprim17ROCPRIM_400000_NS6detail17trampoline_kernelINS0_14default_configENS1_25partition_config_selectorILNS1_17partition_subalgoE6ExNS0_10empty_typeEbEEZZNS1_14partition_implILS5_6ELb0ES3_mN6thrust23THRUST_200600_302600_NS6detail15normal_iteratorINSA_10device_ptrIxEEEEPS6_SG_NS0_5tupleIJSF_S6_EEENSH_IJSG_SG_EEES6_PlJ7is_evenIxEEEE10hipError_tPvRmT3_T4_T5_T6_T7_T9_mT8_P12ihipStream_tbDpT10_ENKUlT_T0_E_clISt17integral_constantIbLb1EES15_IbLb0EEEEDaS11_S12_EUlS11_E_NS1_11comp_targetILNS1_3genE4ELNS1_11target_archE910ELNS1_3gpuE8ELNS1_3repE0EEENS1_30default_config_static_selectorELNS0_4arch9wavefront6targetE0EEEvT1_
	.p2align	8
	.type	_ZN7rocprim17ROCPRIM_400000_NS6detail17trampoline_kernelINS0_14default_configENS1_25partition_config_selectorILNS1_17partition_subalgoE6ExNS0_10empty_typeEbEEZZNS1_14partition_implILS5_6ELb0ES3_mN6thrust23THRUST_200600_302600_NS6detail15normal_iteratorINSA_10device_ptrIxEEEEPS6_SG_NS0_5tupleIJSF_S6_EEENSH_IJSG_SG_EEES6_PlJ7is_evenIxEEEE10hipError_tPvRmT3_T4_T5_T6_T7_T9_mT8_P12ihipStream_tbDpT10_ENKUlT_T0_E_clISt17integral_constantIbLb1EES15_IbLb0EEEEDaS11_S12_EUlS11_E_NS1_11comp_targetILNS1_3genE4ELNS1_11target_archE910ELNS1_3gpuE8ELNS1_3repE0EEENS1_30default_config_static_selectorELNS0_4arch9wavefront6targetE0EEEvT1_,@function
_ZN7rocprim17ROCPRIM_400000_NS6detail17trampoline_kernelINS0_14default_configENS1_25partition_config_selectorILNS1_17partition_subalgoE6ExNS0_10empty_typeEbEEZZNS1_14partition_implILS5_6ELb0ES3_mN6thrust23THRUST_200600_302600_NS6detail15normal_iteratorINSA_10device_ptrIxEEEEPS6_SG_NS0_5tupleIJSF_S6_EEENSH_IJSG_SG_EEES6_PlJ7is_evenIxEEEE10hipError_tPvRmT3_T4_T5_T6_T7_T9_mT8_P12ihipStream_tbDpT10_ENKUlT_T0_E_clISt17integral_constantIbLb1EES15_IbLb0EEEEDaS11_S12_EUlS11_E_NS1_11comp_targetILNS1_3genE4ELNS1_11target_archE910ELNS1_3gpuE8ELNS1_3repE0EEENS1_30default_config_static_selectorELNS0_4arch9wavefront6targetE0EEEvT1_: ; @_ZN7rocprim17ROCPRIM_400000_NS6detail17trampoline_kernelINS0_14default_configENS1_25partition_config_selectorILNS1_17partition_subalgoE6ExNS0_10empty_typeEbEEZZNS1_14partition_implILS5_6ELb0ES3_mN6thrust23THRUST_200600_302600_NS6detail15normal_iteratorINSA_10device_ptrIxEEEEPS6_SG_NS0_5tupleIJSF_S6_EEENSH_IJSG_SG_EEES6_PlJ7is_evenIxEEEE10hipError_tPvRmT3_T4_T5_T6_T7_T9_mT8_P12ihipStream_tbDpT10_ENKUlT_T0_E_clISt17integral_constantIbLb1EES15_IbLb0EEEEDaS11_S12_EUlS11_E_NS1_11comp_targetILNS1_3genE4ELNS1_11target_archE910ELNS1_3gpuE8ELNS1_3repE0EEENS1_30default_config_static_selectorELNS0_4arch9wavefront6targetE0EEEvT1_
; %bb.0:
	.section	.rodata,"a",@progbits
	.p2align	6, 0x0
	.amdhsa_kernel _ZN7rocprim17ROCPRIM_400000_NS6detail17trampoline_kernelINS0_14default_configENS1_25partition_config_selectorILNS1_17partition_subalgoE6ExNS0_10empty_typeEbEEZZNS1_14partition_implILS5_6ELb0ES3_mN6thrust23THRUST_200600_302600_NS6detail15normal_iteratorINSA_10device_ptrIxEEEEPS6_SG_NS0_5tupleIJSF_S6_EEENSH_IJSG_SG_EEES6_PlJ7is_evenIxEEEE10hipError_tPvRmT3_T4_T5_T6_T7_T9_mT8_P12ihipStream_tbDpT10_ENKUlT_T0_E_clISt17integral_constantIbLb1EES15_IbLb0EEEEDaS11_S12_EUlS11_E_NS1_11comp_targetILNS1_3genE4ELNS1_11target_archE910ELNS1_3gpuE8ELNS1_3repE0EEENS1_30default_config_static_selectorELNS0_4arch9wavefront6targetE0EEEvT1_
		.amdhsa_group_segment_fixed_size 0
		.amdhsa_private_segment_fixed_size 0
		.amdhsa_kernarg_size 112
		.amdhsa_user_sgpr_count 15
		.amdhsa_user_sgpr_dispatch_ptr 0
		.amdhsa_user_sgpr_queue_ptr 0
		.amdhsa_user_sgpr_kernarg_segment_ptr 1
		.amdhsa_user_sgpr_dispatch_id 0
		.amdhsa_user_sgpr_private_segment_size 0
		.amdhsa_wavefront_size32 1
		.amdhsa_uses_dynamic_stack 0
		.amdhsa_enable_private_segment 0
		.amdhsa_system_sgpr_workgroup_id_x 1
		.amdhsa_system_sgpr_workgroup_id_y 0
		.amdhsa_system_sgpr_workgroup_id_z 0
		.amdhsa_system_sgpr_workgroup_info 0
		.amdhsa_system_vgpr_workitem_id 0
		.amdhsa_next_free_vgpr 1
		.amdhsa_next_free_sgpr 1
		.amdhsa_reserve_vcc 0
		.amdhsa_float_round_mode_32 0
		.amdhsa_float_round_mode_16_64 0
		.amdhsa_float_denorm_mode_32 3
		.amdhsa_float_denorm_mode_16_64 3
		.amdhsa_dx10_clamp 1
		.amdhsa_ieee_mode 1
		.amdhsa_fp16_overflow 0
		.amdhsa_workgroup_processor_mode 1
		.amdhsa_memory_ordered 1
		.amdhsa_forward_progress 0
		.amdhsa_shared_vgpr_count 0
		.amdhsa_exception_fp_ieee_invalid_op 0
		.amdhsa_exception_fp_denorm_src 0
		.amdhsa_exception_fp_ieee_div_zero 0
		.amdhsa_exception_fp_ieee_overflow 0
		.amdhsa_exception_fp_ieee_underflow 0
		.amdhsa_exception_fp_ieee_inexact 0
		.amdhsa_exception_int_div_zero 0
	.end_amdhsa_kernel
	.section	.text._ZN7rocprim17ROCPRIM_400000_NS6detail17trampoline_kernelINS0_14default_configENS1_25partition_config_selectorILNS1_17partition_subalgoE6ExNS0_10empty_typeEbEEZZNS1_14partition_implILS5_6ELb0ES3_mN6thrust23THRUST_200600_302600_NS6detail15normal_iteratorINSA_10device_ptrIxEEEEPS6_SG_NS0_5tupleIJSF_S6_EEENSH_IJSG_SG_EEES6_PlJ7is_evenIxEEEE10hipError_tPvRmT3_T4_T5_T6_T7_T9_mT8_P12ihipStream_tbDpT10_ENKUlT_T0_E_clISt17integral_constantIbLb1EES15_IbLb0EEEEDaS11_S12_EUlS11_E_NS1_11comp_targetILNS1_3genE4ELNS1_11target_archE910ELNS1_3gpuE8ELNS1_3repE0EEENS1_30default_config_static_selectorELNS0_4arch9wavefront6targetE0EEEvT1_,"axG",@progbits,_ZN7rocprim17ROCPRIM_400000_NS6detail17trampoline_kernelINS0_14default_configENS1_25partition_config_selectorILNS1_17partition_subalgoE6ExNS0_10empty_typeEbEEZZNS1_14partition_implILS5_6ELb0ES3_mN6thrust23THRUST_200600_302600_NS6detail15normal_iteratorINSA_10device_ptrIxEEEEPS6_SG_NS0_5tupleIJSF_S6_EEENSH_IJSG_SG_EEES6_PlJ7is_evenIxEEEE10hipError_tPvRmT3_T4_T5_T6_T7_T9_mT8_P12ihipStream_tbDpT10_ENKUlT_T0_E_clISt17integral_constantIbLb1EES15_IbLb0EEEEDaS11_S12_EUlS11_E_NS1_11comp_targetILNS1_3genE4ELNS1_11target_archE910ELNS1_3gpuE8ELNS1_3repE0EEENS1_30default_config_static_selectorELNS0_4arch9wavefront6targetE0EEEvT1_,comdat
.Lfunc_end378:
	.size	_ZN7rocprim17ROCPRIM_400000_NS6detail17trampoline_kernelINS0_14default_configENS1_25partition_config_selectorILNS1_17partition_subalgoE6ExNS0_10empty_typeEbEEZZNS1_14partition_implILS5_6ELb0ES3_mN6thrust23THRUST_200600_302600_NS6detail15normal_iteratorINSA_10device_ptrIxEEEEPS6_SG_NS0_5tupleIJSF_S6_EEENSH_IJSG_SG_EEES6_PlJ7is_evenIxEEEE10hipError_tPvRmT3_T4_T5_T6_T7_T9_mT8_P12ihipStream_tbDpT10_ENKUlT_T0_E_clISt17integral_constantIbLb1EES15_IbLb0EEEEDaS11_S12_EUlS11_E_NS1_11comp_targetILNS1_3genE4ELNS1_11target_archE910ELNS1_3gpuE8ELNS1_3repE0EEENS1_30default_config_static_selectorELNS0_4arch9wavefront6targetE0EEEvT1_, .Lfunc_end378-_ZN7rocprim17ROCPRIM_400000_NS6detail17trampoline_kernelINS0_14default_configENS1_25partition_config_selectorILNS1_17partition_subalgoE6ExNS0_10empty_typeEbEEZZNS1_14partition_implILS5_6ELb0ES3_mN6thrust23THRUST_200600_302600_NS6detail15normal_iteratorINSA_10device_ptrIxEEEEPS6_SG_NS0_5tupleIJSF_S6_EEENSH_IJSG_SG_EEES6_PlJ7is_evenIxEEEE10hipError_tPvRmT3_T4_T5_T6_T7_T9_mT8_P12ihipStream_tbDpT10_ENKUlT_T0_E_clISt17integral_constantIbLb1EES15_IbLb0EEEEDaS11_S12_EUlS11_E_NS1_11comp_targetILNS1_3genE4ELNS1_11target_archE910ELNS1_3gpuE8ELNS1_3repE0EEENS1_30default_config_static_selectorELNS0_4arch9wavefront6targetE0EEEvT1_
                                        ; -- End function
	.section	.AMDGPU.csdata,"",@progbits
; Kernel info:
; codeLenInByte = 0
; NumSgprs: 0
; NumVgprs: 0
; ScratchSize: 0
; MemoryBound: 0
; FloatMode: 240
; IeeeMode: 1
; LDSByteSize: 0 bytes/workgroup (compile time only)
; SGPRBlocks: 0
; VGPRBlocks: 0
; NumSGPRsForWavesPerEU: 1
; NumVGPRsForWavesPerEU: 1
; Occupancy: 16
; WaveLimiterHint : 0
; COMPUTE_PGM_RSRC2:SCRATCH_EN: 0
; COMPUTE_PGM_RSRC2:USER_SGPR: 15
; COMPUTE_PGM_RSRC2:TRAP_HANDLER: 0
; COMPUTE_PGM_RSRC2:TGID_X_EN: 1
; COMPUTE_PGM_RSRC2:TGID_Y_EN: 0
; COMPUTE_PGM_RSRC2:TGID_Z_EN: 0
; COMPUTE_PGM_RSRC2:TIDIG_COMP_CNT: 0
	.section	.text._ZN7rocprim17ROCPRIM_400000_NS6detail17trampoline_kernelINS0_14default_configENS1_25partition_config_selectorILNS1_17partition_subalgoE6ExNS0_10empty_typeEbEEZZNS1_14partition_implILS5_6ELb0ES3_mN6thrust23THRUST_200600_302600_NS6detail15normal_iteratorINSA_10device_ptrIxEEEEPS6_SG_NS0_5tupleIJSF_S6_EEENSH_IJSG_SG_EEES6_PlJ7is_evenIxEEEE10hipError_tPvRmT3_T4_T5_T6_T7_T9_mT8_P12ihipStream_tbDpT10_ENKUlT_T0_E_clISt17integral_constantIbLb1EES15_IbLb0EEEEDaS11_S12_EUlS11_E_NS1_11comp_targetILNS1_3genE3ELNS1_11target_archE908ELNS1_3gpuE7ELNS1_3repE0EEENS1_30default_config_static_selectorELNS0_4arch9wavefront6targetE0EEEvT1_,"axG",@progbits,_ZN7rocprim17ROCPRIM_400000_NS6detail17trampoline_kernelINS0_14default_configENS1_25partition_config_selectorILNS1_17partition_subalgoE6ExNS0_10empty_typeEbEEZZNS1_14partition_implILS5_6ELb0ES3_mN6thrust23THRUST_200600_302600_NS6detail15normal_iteratorINSA_10device_ptrIxEEEEPS6_SG_NS0_5tupleIJSF_S6_EEENSH_IJSG_SG_EEES6_PlJ7is_evenIxEEEE10hipError_tPvRmT3_T4_T5_T6_T7_T9_mT8_P12ihipStream_tbDpT10_ENKUlT_T0_E_clISt17integral_constantIbLb1EES15_IbLb0EEEEDaS11_S12_EUlS11_E_NS1_11comp_targetILNS1_3genE3ELNS1_11target_archE908ELNS1_3gpuE7ELNS1_3repE0EEENS1_30default_config_static_selectorELNS0_4arch9wavefront6targetE0EEEvT1_,comdat
	.protected	_ZN7rocprim17ROCPRIM_400000_NS6detail17trampoline_kernelINS0_14default_configENS1_25partition_config_selectorILNS1_17partition_subalgoE6ExNS0_10empty_typeEbEEZZNS1_14partition_implILS5_6ELb0ES3_mN6thrust23THRUST_200600_302600_NS6detail15normal_iteratorINSA_10device_ptrIxEEEEPS6_SG_NS0_5tupleIJSF_S6_EEENSH_IJSG_SG_EEES6_PlJ7is_evenIxEEEE10hipError_tPvRmT3_T4_T5_T6_T7_T9_mT8_P12ihipStream_tbDpT10_ENKUlT_T0_E_clISt17integral_constantIbLb1EES15_IbLb0EEEEDaS11_S12_EUlS11_E_NS1_11comp_targetILNS1_3genE3ELNS1_11target_archE908ELNS1_3gpuE7ELNS1_3repE0EEENS1_30default_config_static_selectorELNS0_4arch9wavefront6targetE0EEEvT1_ ; -- Begin function _ZN7rocprim17ROCPRIM_400000_NS6detail17trampoline_kernelINS0_14default_configENS1_25partition_config_selectorILNS1_17partition_subalgoE6ExNS0_10empty_typeEbEEZZNS1_14partition_implILS5_6ELb0ES3_mN6thrust23THRUST_200600_302600_NS6detail15normal_iteratorINSA_10device_ptrIxEEEEPS6_SG_NS0_5tupleIJSF_S6_EEENSH_IJSG_SG_EEES6_PlJ7is_evenIxEEEE10hipError_tPvRmT3_T4_T5_T6_T7_T9_mT8_P12ihipStream_tbDpT10_ENKUlT_T0_E_clISt17integral_constantIbLb1EES15_IbLb0EEEEDaS11_S12_EUlS11_E_NS1_11comp_targetILNS1_3genE3ELNS1_11target_archE908ELNS1_3gpuE7ELNS1_3repE0EEENS1_30default_config_static_selectorELNS0_4arch9wavefront6targetE0EEEvT1_
	.globl	_ZN7rocprim17ROCPRIM_400000_NS6detail17trampoline_kernelINS0_14default_configENS1_25partition_config_selectorILNS1_17partition_subalgoE6ExNS0_10empty_typeEbEEZZNS1_14partition_implILS5_6ELb0ES3_mN6thrust23THRUST_200600_302600_NS6detail15normal_iteratorINSA_10device_ptrIxEEEEPS6_SG_NS0_5tupleIJSF_S6_EEENSH_IJSG_SG_EEES6_PlJ7is_evenIxEEEE10hipError_tPvRmT3_T4_T5_T6_T7_T9_mT8_P12ihipStream_tbDpT10_ENKUlT_T0_E_clISt17integral_constantIbLb1EES15_IbLb0EEEEDaS11_S12_EUlS11_E_NS1_11comp_targetILNS1_3genE3ELNS1_11target_archE908ELNS1_3gpuE7ELNS1_3repE0EEENS1_30default_config_static_selectorELNS0_4arch9wavefront6targetE0EEEvT1_
	.p2align	8
	.type	_ZN7rocprim17ROCPRIM_400000_NS6detail17trampoline_kernelINS0_14default_configENS1_25partition_config_selectorILNS1_17partition_subalgoE6ExNS0_10empty_typeEbEEZZNS1_14partition_implILS5_6ELb0ES3_mN6thrust23THRUST_200600_302600_NS6detail15normal_iteratorINSA_10device_ptrIxEEEEPS6_SG_NS0_5tupleIJSF_S6_EEENSH_IJSG_SG_EEES6_PlJ7is_evenIxEEEE10hipError_tPvRmT3_T4_T5_T6_T7_T9_mT8_P12ihipStream_tbDpT10_ENKUlT_T0_E_clISt17integral_constantIbLb1EES15_IbLb0EEEEDaS11_S12_EUlS11_E_NS1_11comp_targetILNS1_3genE3ELNS1_11target_archE908ELNS1_3gpuE7ELNS1_3repE0EEENS1_30default_config_static_selectorELNS0_4arch9wavefront6targetE0EEEvT1_,@function
_ZN7rocprim17ROCPRIM_400000_NS6detail17trampoline_kernelINS0_14default_configENS1_25partition_config_selectorILNS1_17partition_subalgoE6ExNS0_10empty_typeEbEEZZNS1_14partition_implILS5_6ELb0ES3_mN6thrust23THRUST_200600_302600_NS6detail15normal_iteratorINSA_10device_ptrIxEEEEPS6_SG_NS0_5tupleIJSF_S6_EEENSH_IJSG_SG_EEES6_PlJ7is_evenIxEEEE10hipError_tPvRmT3_T4_T5_T6_T7_T9_mT8_P12ihipStream_tbDpT10_ENKUlT_T0_E_clISt17integral_constantIbLb1EES15_IbLb0EEEEDaS11_S12_EUlS11_E_NS1_11comp_targetILNS1_3genE3ELNS1_11target_archE908ELNS1_3gpuE7ELNS1_3repE0EEENS1_30default_config_static_selectorELNS0_4arch9wavefront6targetE0EEEvT1_: ; @_ZN7rocprim17ROCPRIM_400000_NS6detail17trampoline_kernelINS0_14default_configENS1_25partition_config_selectorILNS1_17partition_subalgoE6ExNS0_10empty_typeEbEEZZNS1_14partition_implILS5_6ELb0ES3_mN6thrust23THRUST_200600_302600_NS6detail15normal_iteratorINSA_10device_ptrIxEEEEPS6_SG_NS0_5tupleIJSF_S6_EEENSH_IJSG_SG_EEES6_PlJ7is_evenIxEEEE10hipError_tPvRmT3_T4_T5_T6_T7_T9_mT8_P12ihipStream_tbDpT10_ENKUlT_T0_E_clISt17integral_constantIbLb1EES15_IbLb0EEEEDaS11_S12_EUlS11_E_NS1_11comp_targetILNS1_3genE3ELNS1_11target_archE908ELNS1_3gpuE7ELNS1_3repE0EEENS1_30default_config_static_selectorELNS0_4arch9wavefront6targetE0EEEvT1_
; %bb.0:
	.section	.rodata,"a",@progbits
	.p2align	6, 0x0
	.amdhsa_kernel _ZN7rocprim17ROCPRIM_400000_NS6detail17trampoline_kernelINS0_14default_configENS1_25partition_config_selectorILNS1_17partition_subalgoE6ExNS0_10empty_typeEbEEZZNS1_14partition_implILS5_6ELb0ES3_mN6thrust23THRUST_200600_302600_NS6detail15normal_iteratorINSA_10device_ptrIxEEEEPS6_SG_NS0_5tupleIJSF_S6_EEENSH_IJSG_SG_EEES6_PlJ7is_evenIxEEEE10hipError_tPvRmT3_T4_T5_T6_T7_T9_mT8_P12ihipStream_tbDpT10_ENKUlT_T0_E_clISt17integral_constantIbLb1EES15_IbLb0EEEEDaS11_S12_EUlS11_E_NS1_11comp_targetILNS1_3genE3ELNS1_11target_archE908ELNS1_3gpuE7ELNS1_3repE0EEENS1_30default_config_static_selectorELNS0_4arch9wavefront6targetE0EEEvT1_
		.amdhsa_group_segment_fixed_size 0
		.amdhsa_private_segment_fixed_size 0
		.amdhsa_kernarg_size 112
		.amdhsa_user_sgpr_count 15
		.amdhsa_user_sgpr_dispatch_ptr 0
		.amdhsa_user_sgpr_queue_ptr 0
		.amdhsa_user_sgpr_kernarg_segment_ptr 1
		.amdhsa_user_sgpr_dispatch_id 0
		.amdhsa_user_sgpr_private_segment_size 0
		.amdhsa_wavefront_size32 1
		.amdhsa_uses_dynamic_stack 0
		.amdhsa_enable_private_segment 0
		.amdhsa_system_sgpr_workgroup_id_x 1
		.amdhsa_system_sgpr_workgroup_id_y 0
		.amdhsa_system_sgpr_workgroup_id_z 0
		.amdhsa_system_sgpr_workgroup_info 0
		.amdhsa_system_vgpr_workitem_id 0
		.amdhsa_next_free_vgpr 1
		.amdhsa_next_free_sgpr 1
		.amdhsa_reserve_vcc 0
		.amdhsa_float_round_mode_32 0
		.amdhsa_float_round_mode_16_64 0
		.amdhsa_float_denorm_mode_32 3
		.amdhsa_float_denorm_mode_16_64 3
		.amdhsa_dx10_clamp 1
		.amdhsa_ieee_mode 1
		.amdhsa_fp16_overflow 0
		.amdhsa_workgroup_processor_mode 1
		.amdhsa_memory_ordered 1
		.amdhsa_forward_progress 0
		.amdhsa_shared_vgpr_count 0
		.amdhsa_exception_fp_ieee_invalid_op 0
		.amdhsa_exception_fp_denorm_src 0
		.amdhsa_exception_fp_ieee_div_zero 0
		.amdhsa_exception_fp_ieee_overflow 0
		.amdhsa_exception_fp_ieee_underflow 0
		.amdhsa_exception_fp_ieee_inexact 0
		.amdhsa_exception_int_div_zero 0
	.end_amdhsa_kernel
	.section	.text._ZN7rocprim17ROCPRIM_400000_NS6detail17trampoline_kernelINS0_14default_configENS1_25partition_config_selectorILNS1_17partition_subalgoE6ExNS0_10empty_typeEbEEZZNS1_14partition_implILS5_6ELb0ES3_mN6thrust23THRUST_200600_302600_NS6detail15normal_iteratorINSA_10device_ptrIxEEEEPS6_SG_NS0_5tupleIJSF_S6_EEENSH_IJSG_SG_EEES6_PlJ7is_evenIxEEEE10hipError_tPvRmT3_T4_T5_T6_T7_T9_mT8_P12ihipStream_tbDpT10_ENKUlT_T0_E_clISt17integral_constantIbLb1EES15_IbLb0EEEEDaS11_S12_EUlS11_E_NS1_11comp_targetILNS1_3genE3ELNS1_11target_archE908ELNS1_3gpuE7ELNS1_3repE0EEENS1_30default_config_static_selectorELNS0_4arch9wavefront6targetE0EEEvT1_,"axG",@progbits,_ZN7rocprim17ROCPRIM_400000_NS6detail17trampoline_kernelINS0_14default_configENS1_25partition_config_selectorILNS1_17partition_subalgoE6ExNS0_10empty_typeEbEEZZNS1_14partition_implILS5_6ELb0ES3_mN6thrust23THRUST_200600_302600_NS6detail15normal_iteratorINSA_10device_ptrIxEEEEPS6_SG_NS0_5tupleIJSF_S6_EEENSH_IJSG_SG_EEES6_PlJ7is_evenIxEEEE10hipError_tPvRmT3_T4_T5_T6_T7_T9_mT8_P12ihipStream_tbDpT10_ENKUlT_T0_E_clISt17integral_constantIbLb1EES15_IbLb0EEEEDaS11_S12_EUlS11_E_NS1_11comp_targetILNS1_3genE3ELNS1_11target_archE908ELNS1_3gpuE7ELNS1_3repE0EEENS1_30default_config_static_selectorELNS0_4arch9wavefront6targetE0EEEvT1_,comdat
.Lfunc_end379:
	.size	_ZN7rocprim17ROCPRIM_400000_NS6detail17trampoline_kernelINS0_14default_configENS1_25partition_config_selectorILNS1_17partition_subalgoE6ExNS0_10empty_typeEbEEZZNS1_14partition_implILS5_6ELb0ES3_mN6thrust23THRUST_200600_302600_NS6detail15normal_iteratorINSA_10device_ptrIxEEEEPS6_SG_NS0_5tupleIJSF_S6_EEENSH_IJSG_SG_EEES6_PlJ7is_evenIxEEEE10hipError_tPvRmT3_T4_T5_T6_T7_T9_mT8_P12ihipStream_tbDpT10_ENKUlT_T0_E_clISt17integral_constantIbLb1EES15_IbLb0EEEEDaS11_S12_EUlS11_E_NS1_11comp_targetILNS1_3genE3ELNS1_11target_archE908ELNS1_3gpuE7ELNS1_3repE0EEENS1_30default_config_static_selectorELNS0_4arch9wavefront6targetE0EEEvT1_, .Lfunc_end379-_ZN7rocprim17ROCPRIM_400000_NS6detail17trampoline_kernelINS0_14default_configENS1_25partition_config_selectorILNS1_17partition_subalgoE6ExNS0_10empty_typeEbEEZZNS1_14partition_implILS5_6ELb0ES3_mN6thrust23THRUST_200600_302600_NS6detail15normal_iteratorINSA_10device_ptrIxEEEEPS6_SG_NS0_5tupleIJSF_S6_EEENSH_IJSG_SG_EEES6_PlJ7is_evenIxEEEE10hipError_tPvRmT3_T4_T5_T6_T7_T9_mT8_P12ihipStream_tbDpT10_ENKUlT_T0_E_clISt17integral_constantIbLb1EES15_IbLb0EEEEDaS11_S12_EUlS11_E_NS1_11comp_targetILNS1_3genE3ELNS1_11target_archE908ELNS1_3gpuE7ELNS1_3repE0EEENS1_30default_config_static_selectorELNS0_4arch9wavefront6targetE0EEEvT1_
                                        ; -- End function
	.section	.AMDGPU.csdata,"",@progbits
; Kernel info:
; codeLenInByte = 0
; NumSgprs: 0
; NumVgprs: 0
; ScratchSize: 0
; MemoryBound: 0
; FloatMode: 240
; IeeeMode: 1
; LDSByteSize: 0 bytes/workgroup (compile time only)
; SGPRBlocks: 0
; VGPRBlocks: 0
; NumSGPRsForWavesPerEU: 1
; NumVGPRsForWavesPerEU: 1
; Occupancy: 16
; WaveLimiterHint : 0
; COMPUTE_PGM_RSRC2:SCRATCH_EN: 0
; COMPUTE_PGM_RSRC2:USER_SGPR: 15
; COMPUTE_PGM_RSRC2:TRAP_HANDLER: 0
; COMPUTE_PGM_RSRC2:TGID_X_EN: 1
; COMPUTE_PGM_RSRC2:TGID_Y_EN: 0
; COMPUTE_PGM_RSRC2:TGID_Z_EN: 0
; COMPUTE_PGM_RSRC2:TIDIG_COMP_CNT: 0
	.section	.text._ZN7rocprim17ROCPRIM_400000_NS6detail17trampoline_kernelINS0_14default_configENS1_25partition_config_selectorILNS1_17partition_subalgoE6ExNS0_10empty_typeEbEEZZNS1_14partition_implILS5_6ELb0ES3_mN6thrust23THRUST_200600_302600_NS6detail15normal_iteratorINSA_10device_ptrIxEEEEPS6_SG_NS0_5tupleIJSF_S6_EEENSH_IJSG_SG_EEES6_PlJ7is_evenIxEEEE10hipError_tPvRmT3_T4_T5_T6_T7_T9_mT8_P12ihipStream_tbDpT10_ENKUlT_T0_E_clISt17integral_constantIbLb1EES15_IbLb0EEEEDaS11_S12_EUlS11_E_NS1_11comp_targetILNS1_3genE2ELNS1_11target_archE906ELNS1_3gpuE6ELNS1_3repE0EEENS1_30default_config_static_selectorELNS0_4arch9wavefront6targetE0EEEvT1_,"axG",@progbits,_ZN7rocprim17ROCPRIM_400000_NS6detail17trampoline_kernelINS0_14default_configENS1_25partition_config_selectorILNS1_17partition_subalgoE6ExNS0_10empty_typeEbEEZZNS1_14partition_implILS5_6ELb0ES3_mN6thrust23THRUST_200600_302600_NS6detail15normal_iteratorINSA_10device_ptrIxEEEEPS6_SG_NS0_5tupleIJSF_S6_EEENSH_IJSG_SG_EEES6_PlJ7is_evenIxEEEE10hipError_tPvRmT3_T4_T5_T6_T7_T9_mT8_P12ihipStream_tbDpT10_ENKUlT_T0_E_clISt17integral_constantIbLb1EES15_IbLb0EEEEDaS11_S12_EUlS11_E_NS1_11comp_targetILNS1_3genE2ELNS1_11target_archE906ELNS1_3gpuE6ELNS1_3repE0EEENS1_30default_config_static_selectorELNS0_4arch9wavefront6targetE0EEEvT1_,comdat
	.protected	_ZN7rocprim17ROCPRIM_400000_NS6detail17trampoline_kernelINS0_14default_configENS1_25partition_config_selectorILNS1_17partition_subalgoE6ExNS0_10empty_typeEbEEZZNS1_14partition_implILS5_6ELb0ES3_mN6thrust23THRUST_200600_302600_NS6detail15normal_iteratorINSA_10device_ptrIxEEEEPS6_SG_NS0_5tupleIJSF_S6_EEENSH_IJSG_SG_EEES6_PlJ7is_evenIxEEEE10hipError_tPvRmT3_T4_T5_T6_T7_T9_mT8_P12ihipStream_tbDpT10_ENKUlT_T0_E_clISt17integral_constantIbLb1EES15_IbLb0EEEEDaS11_S12_EUlS11_E_NS1_11comp_targetILNS1_3genE2ELNS1_11target_archE906ELNS1_3gpuE6ELNS1_3repE0EEENS1_30default_config_static_selectorELNS0_4arch9wavefront6targetE0EEEvT1_ ; -- Begin function _ZN7rocprim17ROCPRIM_400000_NS6detail17trampoline_kernelINS0_14default_configENS1_25partition_config_selectorILNS1_17partition_subalgoE6ExNS0_10empty_typeEbEEZZNS1_14partition_implILS5_6ELb0ES3_mN6thrust23THRUST_200600_302600_NS6detail15normal_iteratorINSA_10device_ptrIxEEEEPS6_SG_NS0_5tupleIJSF_S6_EEENSH_IJSG_SG_EEES6_PlJ7is_evenIxEEEE10hipError_tPvRmT3_T4_T5_T6_T7_T9_mT8_P12ihipStream_tbDpT10_ENKUlT_T0_E_clISt17integral_constantIbLb1EES15_IbLb0EEEEDaS11_S12_EUlS11_E_NS1_11comp_targetILNS1_3genE2ELNS1_11target_archE906ELNS1_3gpuE6ELNS1_3repE0EEENS1_30default_config_static_selectorELNS0_4arch9wavefront6targetE0EEEvT1_
	.globl	_ZN7rocprim17ROCPRIM_400000_NS6detail17trampoline_kernelINS0_14default_configENS1_25partition_config_selectorILNS1_17partition_subalgoE6ExNS0_10empty_typeEbEEZZNS1_14partition_implILS5_6ELb0ES3_mN6thrust23THRUST_200600_302600_NS6detail15normal_iteratorINSA_10device_ptrIxEEEEPS6_SG_NS0_5tupleIJSF_S6_EEENSH_IJSG_SG_EEES6_PlJ7is_evenIxEEEE10hipError_tPvRmT3_T4_T5_T6_T7_T9_mT8_P12ihipStream_tbDpT10_ENKUlT_T0_E_clISt17integral_constantIbLb1EES15_IbLb0EEEEDaS11_S12_EUlS11_E_NS1_11comp_targetILNS1_3genE2ELNS1_11target_archE906ELNS1_3gpuE6ELNS1_3repE0EEENS1_30default_config_static_selectorELNS0_4arch9wavefront6targetE0EEEvT1_
	.p2align	8
	.type	_ZN7rocprim17ROCPRIM_400000_NS6detail17trampoline_kernelINS0_14default_configENS1_25partition_config_selectorILNS1_17partition_subalgoE6ExNS0_10empty_typeEbEEZZNS1_14partition_implILS5_6ELb0ES3_mN6thrust23THRUST_200600_302600_NS6detail15normal_iteratorINSA_10device_ptrIxEEEEPS6_SG_NS0_5tupleIJSF_S6_EEENSH_IJSG_SG_EEES6_PlJ7is_evenIxEEEE10hipError_tPvRmT3_T4_T5_T6_T7_T9_mT8_P12ihipStream_tbDpT10_ENKUlT_T0_E_clISt17integral_constantIbLb1EES15_IbLb0EEEEDaS11_S12_EUlS11_E_NS1_11comp_targetILNS1_3genE2ELNS1_11target_archE906ELNS1_3gpuE6ELNS1_3repE0EEENS1_30default_config_static_selectorELNS0_4arch9wavefront6targetE0EEEvT1_,@function
_ZN7rocprim17ROCPRIM_400000_NS6detail17trampoline_kernelINS0_14default_configENS1_25partition_config_selectorILNS1_17partition_subalgoE6ExNS0_10empty_typeEbEEZZNS1_14partition_implILS5_6ELb0ES3_mN6thrust23THRUST_200600_302600_NS6detail15normal_iteratorINSA_10device_ptrIxEEEEPS6_SG_NS0_5tupleIJSF_S6_EEENSH_IJSG_SG_EEES6_PlJ7is_evenIxEEEE10hipError_tPvRmT3_T4_T5_T6_T7_T9_mT8_P12ihipStream_tbDpT10_ENKUlT_T0_E_clISt17integral_constantIbLb1EES15_IbLb0EEEEDaS11_S12_EUlS11_E_NS1_11comp_targetILNS1_3genE2ELNS1_11target_archE906ELNS1_3gpuE6ELNS1_3repE0EEENS1_30default_config_static_selectorELNS0_4arch9wavefront6targetE0EEEvT1_: ; @_ZN7rocprim17ROCPRIM_400000_NS6detail17trampoline_kernelINS0_14default_configENS1_25partition_config_selectorILNS1_17partition_subalgoE6ExNS0_10empty_typeEbEEZZNS1_14partition_implILS5_6ELb0ES3_mN6thrust23THRUST_200600_302600_NS6detail15normal_iteratorINSA_10device_ptrIxEEEEPS6_SG_NS0_5tupleIJSF_S6_EEENSH_IJSG_SG_EEES6_PlJ7is_evenIxEEEE10hipError_tPvRmT3_T4_T5_T6_T7_T9_mT8_P12ihipStream_tbDpT10_ENKUlT_T0_E_clISt17integral_constantIbLb1EES15_IbLb0EEEEDaS11_S12_EUlS11_E_NS1_11comp_targetILNS1_3genE2ELNS1_11target_archE906ELNS1_3gpuE6ELNS1_3repE0EEENS1_30default_config_static_selectorELNS0_4arch9wavefront6targetE0EEEvT1_
; %bb.0:
	.section	.rodata,"a",@progbits
	.p2align	6, 0x0
	.amdhsa_kernel _ZN7rocprim17ROCPRIM_400000_NS6detail17trampoline_kernelINS0_14default_configENS1_25partition_config_selectorILNS1_17partition_subalgoE6ExNS0_10empty_typeEbEEZZNS1_14partition_implILS5_6ELb0ES3_mN6thrust23THRUST_200600_302600_NS6detail15normal_iteratorINSA_10device_ptrIxEEEEPS6_SG_NS0_5tupleIJSF_S6_EEENSH_IJSG_SG_EEES6_PlJ7is_evenIxEEEE10hipError_tPvRmT3_T4_T5_T6_T7_T9_mT8_P12ihipStream_tbDpT10_ENKUlT_T0_E_clISt17integral_constantIbLb1EES15_IbLb0EEEEDaS11_S12_EUlS11_E_NS1_11comp_targetILNS1_3genE2ELNS1_11target_archE906ELNS1_3gpuE6ELNS1_3repE0EEENS1_30default_config_static_selectorELNS0_4arch9wavefront6targetE0EEEvT1_
		.amdhsa_group_segment_fixed_size 0
		.amdhsa_private_segment_fixed_size 0
		.amdhsa_kernarg_size 112
		.amdhsa_user_sgpr_count 15
		.amdhsa_user_sgpr_dispatch_ptr 0
		.amdhsa_user_sgpr_queue_ptr 0
		.amdhsa_user_sgpr_kernarg_segment_ptr 1
		.amdhsa_user_sgpr_dispatch_id 0
		.amdhsa_user_sgpr_private_segment_size 0
		.amdhsa_wavefront_size32 1
		.amdhsa_uses_dynamic_stack 0
		.amdhsa_enable_private_segment 0
		.amdhsa_system_sgpr_workgroup_id_x 1
		.amdhsa_system_sgpr_workgroup_id_y 0
		.amdhsa_system_sgpr_workgroup_id_z 0
		.amdhsa_system_sgpr_workgroup_info 0
		.amdhsa_system_vgpr_workitem_id 0
		.amdhsa_next_free_vgpr 1
		.amdhsa_next_free_sgpr 1
		.amdhsa_reserve_vcc 0
		.amdhsa_float_round_mode_32 0
		.amdhsa_float_round_mode_16_64 0
		.amdhsa_float_denorm_mode_32 3
		.amdhsa_float_denorm_mode_16_64 3
		.amdhsa_dx10_clamp 1
		.amdhsa_ieee_mode 1
		.amdhsa_fp16_overflow 0
		.amdhsa_workgroup_processor_mode 1
		.amdhsa_memory_ordered 1
		.amdhsa_forward_progress 0
		.amdhsa_shared_vgpr_count 0
		.amdhsa_exception_fp_ieee_invalid_op 0
		.amdhsa_exception_fp_denorm_src 0
		.amdhsa_exception_fp_ieee_div_zero 0
		.amdhsa_exception_fp_ieee_overflow 0
		.amdhsa_exception_fp_ieee_underflow 0
		.amdhsa_exception_fp_ieee_inexact 0
		.amdhsa_exception_int_div_zero 0
	.end_amdhsa_kernel
	.section	.text._ZN7rocprim17ROCPRIM_400000_NS6detail17trampoline_kernelINS0_14default_configENS1_25partition_config_selectorILNS1_17partition_subalgoE6ExNS0_10empty_typeEbEEZZNS1_14partition_implILS5_6ELb0ES3_mN6thrust23THRUST_200600_302600_NS6detail15normal_iteratorINSA_10device_ptrIxEEEEPS6_SG_NS0_5tupleIJSF_S6_EEENSH_IJSG_SG_EEES6_PlJ7is_evenIxEEEE10hipError_tPvRmT3_T4_T5_T6_T7_T9_mT8_P12ihipStream_tbDpT10_ENKUlT_T0_E_clISt17integral_constantIbLb1EES15_IbLb0EEEEDaS11_S12_EUlS11_E_NS1_11comp_targetILNS1_3genE2ELNS1_11target_archE906ELNS1_3gpuE6ELNS1_3repE0EEENS1_30default_config_static_selectorELNS0_4arch9wavefront6targetE0EEEvT1_,"axG",@progbits,_ZN7rocprim17ROCPRIM_400000_NS6detail17trampoline_kernelINS0_14default_configENS1_25partition_config_selectorILNS1_17partition_subalgoE6ExNS0_10empty_typeEbEEZZNS1_14partition_implILS5_6ELb0ES3_mN6thrust23THRUST_200600_302600_NS6detail15normal_iteratorINSA_10device_ptrIxEEEEPS6_SG_NS0_5tupleIJSF_S6_EEENSH_IJSG_SG_EEES6_PlJ7is_evenIxEEEE10hipError_tPvRmT3_T4_T5_T6_T7_T9_mT8_P12ihipStream_tbDpT10_ENKUlT_T0_E_clISt17integral_constantIbLb1EES15_IbLb0EEEEDaS11_S12_EUlS11_E_NS1_11comp_targetILNS1_3genE2ELNS1_11target_archE906ELNS1_3gpuE6ELNS1_3repE0EEENS1_30default_config_static_selectorELNS0_4arch9wavefront6targetE0EEEvT1_,comdat
.Lfunc_end380:
	.size	_ZN7rocprim17ROCPRIM_400000_NS6detail17trampoline_kernelINS0_14default_configENS1_25partition_config_selectorILNS1_17partition_subalgoE6ExNS0_10empty_typeEbEEZZNS1_14partition_implILS5_6ELb0ES3_mN6thrust23THRUST_200600_302600_NS6detail15normal_iteratorINSA_10device_ptrIxEEEEPS6_SG_NS0_5tupleIJSF_S6_EEENSH_IJSG_SG_EEES6_PlJ7is_evenIxEEEE10hipError_tPvRmT3_T4_T5_T6_T7_T9_mT8_P12ihipStream_tbDpT10_ENKUlT_T0_E_clISt17integral_constantIbLb1EES15_IbLb0EEEEDaS11_S12_EUlS11_E_NS1_11comp_targetILNS1_3genE2ELNS1_11target_archE906ELNS1_3gpuE6ELNS1_3repE0EEENS1_30default_config_static_selectorELNS0_4arch9wavefront6targetE0EEEvT1_, .Lfunc_end380-_ZN7rocprim17ROCPRIM_400000_NS6detail17trampoline_kernelINS0_14default_configENS1_25partition_config_selectorILNS1_17partition_subalgoE6ExNS0_10empty_typeEbEEZZNS1_14partition_implILS5_6ELb0ES3_mN6thrust23THRUST_200600_302600_NS6detail15normal_iteratorINSA_10device_ptrIxEEEEPS6_SG_NS0_5tupleIJSF_S6_EEENSH_IJSG_SG_EEES6_PlJ7is_evenIxEEEE10hipError_tPvRmT3_T4_T5_T6_T7_T9_mT8_P12ihipStream_tbDpT10_ENKUlT_T0_E_clISt17integral_constantIbLb1EES15_IbLb0EEEEDaS11_S12_EUlS11_E_NS1_11comp_targetILNS1_3genE2ELNS1_11target_archE906ELNS1_3gpuE6ELNS1_3repE0EEENS1_30default_config_static_selectorELNS0_4arch9wavefront6targetE0EEEvT1_
                                        ; -- End function
	.section	.AMDGPU.csdata,"",@progbits
; Kernel info:
; codeLenInByte = 0
; NumSgprs: 0
; NumVgprs: 0
; ScratchSize: 0
; MemoryBound: 0
; FloatMode: 240
; IeeeMode: 1
; LDSByteSize: 0 bytes/workgroup (compile time only)
; SGPRBlocks: 0
; VGPRBlocks: 0
; NumSGPRsForWavesPerEU: 1
; NumVGPRsForWavesPerEU: 1
; Occupancy: 16
; WaveLimiterHint : 0
; COMPUTE_PGM_RSRC2:SCRATCH_EN: 0
; COMPUTE_PGM_RSRC2:USER_SGPR: 15
; COMPUTE_PGM_RSRC2:TRAP_HANDLER: 0
; COMPUTE_PGM_RSRC2:TGID_X_EN: 1
; COMPUTE_PGM_RSRC2:TGID_Y_EN: 0
; COMPUTE_PGM_RSRC2:TGID_Z_EN: 0
; COMPUTE_PGM_RSRC2:TIDIG_COMP_CNT: 0
	.section	.text._ZN7rocprim17ROCPRIM_400000_NS6detail17trampoline_kernelINS0_14default_configENS1_25partition_config_selectorILNS1_17partition_subalgoE6ExNS0_10empty_typeEbEEZZNS1_14partition_implILS5_6ELb0ES3_mN6thrust23THRUST_200600_302600_NS6detail15normal_iteratorINSA_10device_ptrIxEEEEPS6_SG_NS0_5tupleIJSF_S6_EEENSH_IJSG_SG_EEES6_PlJ7is_evenIxEEEE10hipError_tPvRmT3_T4_T5_T6_T7_T9_mT8_P12ihipStream_tbDpT10_ENKUlT_T0_E_clISt17integral_constantIbLb1EES15_IbLb0EEEEDaS11_S12_EUlS11_E_NS1_11comp_targetILNS1_3genE10ELNS1_11target_archE1200ELNS1_3gpuE4ELNS1_3repE0EEENS1_30default_config_static_selectorELNS0_4arch9wavefront6targetE0EEEvT1_,"axG",@progbits,_ZN7rocprim17ROCPRIM_400000_NS6detail17trampoline_kernelINS0_14default_configENS1_25partition_config_selectorILNS1_17partition_subalgoE6ExNS0_10empty_typeEbEEZZNS1_14partition_implILS5_6ELb0ES3_mN6thrust23THRUST_200600_302600_NS6detail15normal_iteratorINSA_10device_ptrIxEEEEPS6_SG_NS0_5tupleIJSF_S6_EEENSH_IJSG_SG_EEES6_PlJ7is_evenIxEEEE10hipError_tPvRmT3_T4_T5_T6_T7_T9_mT8_P12ihipStream_tbDpT10_ENKUlT_T0_E_clISt17integral_constantIbLb1EES15_IbLb0EEEEDaS11_S12_EUlS11_E_NS1_11comp_targetILNS1_3genE10ELNS1_11target_archE1200ELNS1_3gpuE4ELNS1_3repE0EEENS1_30default_config_static_selectorELNS0_4arch9wavefront6targetE0EEEvT1_,comdat
	.protected	_ZN7rocprim17ROCPRIM_400000_NS6detail17trampoline_kernelINS0_14default_configENS1_25partition_config_selectorILNS1_17partition_subalgoE6ExNS0_10empty_typeEbEEZZNS1_14partition_implILS5_6ELb0ES3_mN6thrust23THRUST_200600_302600_NS6detail15normal_iteratorINSA_10device_ptrIxEEEEPS6_SG_NS0_5tupleIJSF_S6_EEENSH_IJSG_SG_EEES6_PlJ7is_evenIxEEEE10hipError_tPvRmT3_T4_T5_T6_T7_T9_mT8_P12ihipStream_tbDpT10_ENKUlT_T0_E_clISt17integral_constantIbLb1EES15_IbLb0EEEEDaS11_S12_EUlS11_E_NS1_11comp_targetILNS1_3genE10ELNS1_11target_archE1200ELNS1_3gpuE4ELNS1_3repE0EEENS1_30default_config_static_selectorELNS0_4arch9wavefront6targetE0EEEvT1_ ; -- Begin function _ZN7rocprim17ROCPRIM_400000_NS6detail17trampoline_kernelINS0_14default_configENS1_25partition_config_selectorILNS1_17partition_subalgoE6ExNS0_10empty_typeEbEEZZNS1_14partition_implILS5_6ELb0ES3_mN6thrust23THRUST_200600_302600_NS6detail15normal_iteratorINSA_10device_ptrIxEEEEPS6_SG_NS0_5tupleIJSF_S6_EEENSH_IJSG_SG_EEES6_PlJ7is_evenIxEEEE10hipError_tPvRmT3_T4_T5_T6_T7_T9_mT8_P12ihipStream_tbDpT10_ENKUlT_T0_E_clISt17integral_constantIbLb1EES15_IbLb0EEEEDaS11_S12_EUlS11_E_NS1_11comp_targetILNS1_3genE10ELNS1_11target_archE1200ELNS1_3gpuE4ELNS1_3repE0EEENS1_30default_config_static_selectorELNS0_4arch9wavefront6targetE0EEEvT1_
	.globl	_ZN7rocprim17ROCPRIM_400000_NS6detail17trampoline_kernelINS0_14default_configENS1_25partition_config_selectorILNS1_17partition_subalgoE6ExNS0_10empty_typeEbEEZZNS1_14partition_implILS5_6ELb0ES3_mN6thrust23THRUST_200600_302600_NS6detail15normal_iteratorINSA_10device_ptrIxEEEEPS6_SG_NS0_5tupleIJSF_S6_EEENSH_IJSG_SG_EEES6_PlJ7is_evenIxEEEE10hipError_tPvRmT3_T4_T5_T6_T7_T9_mT8_P12ihipStream_tbDpT10_ENKUlT_T0_E_clISt17integral_constantIbLb1EES15_IbLb0EEEEDaS11_S12_EUlS11_E_NS1_11comp_targetILNS1_3genE10ELNS1_11target_archE1200ELNS1_3gpuE4ELNS1_3repE0EEENS1_30default_config_static_selectorELNS0_4arch9wavefront6targetE0EEEvT1_
	.p2align	8
	.type	_ZN7rocprim17ROCPRIM_400000_NS6detail17trampoline_kernelINS0_14default_configENS1_25partition_config_selectorILNS1_17partition_subalgoE6ExNS0_10empty_typeEbEEZZNS1_14partition_implILS5_6ELb0ES3_mN6thrust23THRUST_200600_302600_NS6detail15normal_iteratorINSA_10device_ptrIxEEEEPS6_SG_NS0_5tupleIJSF_S6_EEENSH_IJSG_SG_EEES6_PlJ7is_evenIxEEEE10hipError_tPvRmT3_T4_T5_T6_T7_T9_mT8_P12ihipStream_tbDpT10_ENKUlT_T0_E_clISt17integral_constantIbLb1EES15_IbLb0EEEEDaS11_S12_EUlS11_E_NS1_11comp_targetILNS1_3genE10ELNS1_11target_archE1200ELNS1_3gpuE4ELNS1_3repE0EEENS1_30default_config_static_selectorELNS0_4arch9wavefront6targetE0EEEvT1_,@function
_ZN7rocprim17ROCPRIM_400000_NS6detail17trampoline_kernelINS0_14default_configENS1_25partition_config_selectorILNS1_17partition_subalgoE6ExNS0_10empty_typeEbEEZZNS1_14partition_implILS5_6ELb0ES3_mN6thrust23THRUST_200600_302600_NS6detail15normal_iteratorINSA_10device_ptrIxEEEEPS6_SG_NS0_5tupleIJSF_S6_EEENSH_IJSG_SG_EEES6_PlJ7is_evenIxEEEE10hipError_tPvRmT3_T4_T5_T6_T7_T9_mT8_P12ihipStream_tbDpT10_ENKUlT_T0_E_clISt17integral_constantIbLb1EES15_IbLb0EEEEDaS11_S12_EUlS11_E_NS1_11comp_targetILNS1_3genE10ELNS1_11target_archE1200ELNS1_3gpuE4ELNS1_3repE0EEENS1_30default_config_static_selectorELNS0_4arch9wavefront6targetE0EEEvT1_: ; @_ZN7rocprim17ROCPRIM_400000_NS6detail17trampoline_kernelINS0_14default_configENS1_25partition_config_selectorILNS1_17partition_subalgoE6ExNS0_10empty_typeEbEEZZNS1_14partition_implILS5_6ELb0ES3_mN6thrust23THRUST_200600_302600_NS6detail15normal_iteratorINSA_10device_ptrIxEEEEPS6_SG_NS0_5tupleIJSF_S6_EEENSH_IJSG_SG_EEES6_PlJ7is_evenIxEEEE10hipError_tPvRmT3_T4_T5_T6_T7_T9_mT8_P12ihipStream_tbDpT10_ENKUlT_T0_E_clISt17integral_constantIbLb1EES15_IbLb0EEEEDaS11_S12_EUlS11_E_NS1_11comp_targetILNS1_3genE10ELNS1_11target_archE1200ELNS1_3gpuE4ELNS1_3repE0EEENS1_30default_config_static_selectorELNS0_4arch9wavefront6targetE0EEEvT1_
; %bb.0:
	.section	.rodata,"a",@progbits
	.p2align	6, 0x0
	.amdhsa_kernel _ZN7rocprim17ROCPRIM_400000_NS6detail17trampoline_kernelINS0_14default_configENS1_25partition_config_selectorILNS1_17partition_subalgoE6ExNS0_10empty_typeEbEEZZNS1_14partition_implILS5_6ELb0ES3_mN6thrust23THRUST_200600_302600_NS6detail15normal_iteratorINSA_10device_ptrIxEEEEPS6_SG_NS0_5tupleIJSF_S6_EEENSH_IJSG_SG_EEES6_PlJ7is_evenIxEEEE10hipError_tPvRmT3_T4_T5_T6_T7_T9_mT8_P12ihipStream_tbDpT10_ENKUlT_T0_E_clISt17integral_constantIbLb1EES15_IbLb0EEEEDaS11_S12_EUlS11_E_NS1_11comp_targetILNS1_3genE10ELNS1_11target_archE1200ELNS1_3gpuE4ELNS1_3repE0EEENS1_30default_config_static_selectorELNS0_4arch9wavefront6targetE0EEEvT1_
		.amdhsa_group_segment_fixed_size 0
		.amdhsa_private_segment_fixed_size 0
		.amdhsa_kernarg_size 112
		.amdhsa_user_sgpr_count 15
		.amdhsa_user_sgpr_dispatch_ptr 0
		.amdhsa_user_sgpr_queue_ptr 0
		.amdhsa_user_sgpr_kernarg_segment_ptr 1
		.amdhsa_user_sgpr_dispatch_id 0
		.amdhsa_user_sgpr_private_segment_size 0
		.amdhsa_wavefront_size32 1
		.amdhsa_uses_dynamic_stack 0
		.amdhsa_enable_private_segment 0
		.amdhsa_system_sgpr_workgroup_id_x 1
		.amdhsa_system_sgpr_workgroup_id_y 0
		.amdhsa_system_sgpr_workgroup_id_z 0
		.amdhsa_system_sgpr_workgroup_info 0
		.amdhsa_system_vgpr_workitem_id 0
		.amdhsa_next_free_vgpr 1
		.amdhsa_next_free_sgpr 1
		.amdhsa_reserve_vcc 0
		.amdhsa_float_round_mode_32 0
		.amdhsa_float_round_mode_16_64 0
		.amdhsa_float_denorm_mode_32 3
		.amdhsa_float_denorm_mode_16_64 3
		.amdhsa_dx10_clamp 1
		.amdhsa_ieee_mode 1
		.amdhsa_fp16_overflow 0
		.amdhsa_workgroup_processor_mode 1
		.amdhsa_memory_ordered 1
		.amdhsa_forward_progress 0
		.amdhsa_shared_vgpr_count 0
		.amdhsa_exception_fp_ieee_invalid_op 0
		.amdhsa_exception_fp_denorm_src 0
		.amdhsa_exception_fp_ieee_div_zero 0
		.amdhsa_exception_fp_ieee_overflow 0
		.amdhsa_exception_fp_ieee_underflow 0
		.amdhsa_exception_fp_ieee_inexact 0
		.amdhsa_exception_int_div_zero 0
	.end_amdhsa_kernel
	.section	.text._ZN7rocprim17ROCPRIM_400000_NS6detail17trampoline_kernelINS0_14default_configENS1_25partition_config_selectorILNS1_17partition_subalgoE6ExNS0_10empty_typeEbEEZZNS1_14partition_implILS5_6ELb0ES3_mN6thrust23THRUST_200600_302600_NS6detail15normal_iteratorINSA_10device_ptrIxEEEEPS6_SG_NS0_5tupleIJSF_S6_EEENSH_IJSG_SG_EEES6_PlJ7is_evenIxEEEE10hipError_tPvRmT3_T4_T5_T6_T7_T9_mT8_P12ihipStream_tbDpT10_ENKUlT_T0_E_clISt17integral_constantIbLb1EES15_IbLb0EEEEDaS11_S12_EUlS11_E_NS1_11comp_targetILNS1_3genE10ELNS1_11target_archE1200ELNS1_3gpuE4ELNS1_3repE0EEENS1_30default_config_static_selectorELNS0_4arch9wavefront6targetE0EEEvT1_,"axG",@progbits,_ZN7rocprim17ROCPRIM_400000_NS6detail17trampoline_kernelINS0_14default_configENS1_25partition_config_selectorILNS1_17partition_subalgoE6ExNS0_10empty_typeEbEEZZNS1_14partition_implILS5_6ELb0ES3_mN6thrust23THRUST_200600_302600_NS6detail15normal_iteratorINSA_10device_ptrIxEEEEPS6_SG_NS0_5tupleIJSF_S6_EEENSH_IJSG_SG_EEES6_PlJ7is_evenIxEEEE10hipError_tPvRmT3_T4_T5_T6_T7_T9_mT8_P12ihipStream_tbDpT10_ENKUlT_T0_E_clISt17integral_constantIbLb1EES15_IbLb0EEEEDaS11_S12_EUlS11_E_NS1_11comp_targetILNS1_3genE10ELNS1_11target_archE1200ELNS1_3gpuE4ELNS1_3repE0EEENS1_30default_config_static_selectorELNS0_4arch9wavefront6targetE0EEEvT1_,comdat
.Lfunc_end381:
	.size	_ZN7rocprim17ROCPRIM_400000_NS6detail17trampoline_kernelINS0_14default_configENS1_25partition_config_selectorILNS1_17partition_subalgoE6ExNS0_10empty_typeEbEEZZNS1_14partition_implILS5_6ELb0ES3_mN6thrust23THRUST_200600_302600_NS6detail15normal_iteratorINSA_10device_ptrIxEEEEPS6_SG_NS0_5tupleIJSF_S6_EEENSH_IJSG_SG_EEES6_PlJ7is_evenIxEEEE10hipError_tPvRmT3_T4_T5_T6_T7_T9_mT8_P12ihipStream_tbDpT10_ENKUlT_T0_E_clISt17integral_constantIbLb1EES15_IbLb0EEEEDaS11_S12_EUlS11_E_NS1_11comp_targetILNS1_3genE10ELNS1_11target_archE1200ELNS1_3gpuE4ELNS1_3repE0EEENS1_30default_config_static_selectorELNS0_4arch9wavefront6targetE0EEEvT1_, .Lfunc_end381-_ZN7rocprim17ROCPRIM_400000_NS6detail17trampoline_kernelINS0_14default_configENS1_25partition_config_selectorILNS1_17partition_subalgoE6ExNS0_10empty_typeEbEEZZNS1_14partition_implILS5_6ELb0ES3_mN6thrust23THRUST_200600_302600_NS6detail15normal_iteratorINSA_10device_ptrIxEEEEPS6_SG_NS0_5tupleIJSF_S6_EEENSH_IJSG_SG_EEES6_PlJ7is_evenIxEEEE10hipError_tPvRmT3_T4_T5_T6_T7_T9_mT8_P12ihipStream_tbDpT10_ENKUlT_T0_E_clISt17integral_constantIbLb1EES15_IbLb0EEEEDaS11_S12_EUlS11_E_NS1_11comp_targetILNS1_3genE10ELNS1_11target_archE1200ELNS1_3gpuE4ELNS1_3repE0EEENS1_30default_config_static_selectorELNS0_4arch9wavefront6targetE0EEEvT1_
                                        ; -- End function
	.section	.AMDGPU.csdata,"",@progbits
; Kernel info:
; codeLenInByte = 0
; NumSgprs: 0
; NumVgprs: 0
; ScratchSize: 0
; MemoryBound: 0
; FloatMode: 240
; IeeeMode: 1
; LDSByteSize: 0 bytes/workgroup (compile time only)
; SGPRBlocks: 0
; VGPRBlocks: 0
; NumSGPRsForWavesPerEU: 1
; NumVGPRsForWavesPerEU: 1
; Occupancy: 16
; WaveLimiterHint : 0
; COMPUTE_PGM_RSRC2:SCRATCH_EN: 0
; COMPUTE_PGM_RSRC2:USER_SGPR: 15
; COMPUTE_PGM_RSRC2:TRAP_HANDLER: 0
; COMPUTE_PGM_RSRC2:TGID_X_EN: 1
; COMPUTE_PGM_RSRC2:TGID_Y_EN: 0
; COMPUTE_PGM_RSRC2:TGID_Z_EN: 0
; COMPUTE_PGM_RSRC2:TIDIG_COMP_CNT: 0
	.section	.text._ZN7rocprim17ROCPRIM_400000_NS6detail17trampoline_kernelINS0_14default_configENS1_25partition_config_selectorILNS1_17partition_subalgoE6ExNS0_10empty_typeEbEEZZNS1_14partition_implILS5_6ELb0ES3_mN6thrust23THRUST_200600_302600_NS6detail15normal_iteratorINSA_10device_ptrIxEEEEPS6_SG_NS0_5tupleIJSF_S6_EEENSH_IJSG_SG_EEES6_PlJ7is_evenIxEEEE10hipError_tPvRmT3_T4_T5_T6_T7_T9_mT8_P12ihipStream_tbDpT10_ENKUlT_T0_E_clISt17integral_constantIbLb1EES15_IbLb0EEEEDaS11_S12_EUlS11_E_NS1_11comp_targetILNS1_3genE9ELNS1_11target_archE1100ELNS1_3gpuE3ELNS1_3repE0EEENS1_30default_config_static_selectorELNS0_4arch9wavefront6targetE0EEEvT1_,"axG",@progbits,_ZN7rocprim17ROCPRIM_400000_NS6detail17trampoline_kernelINS0_14default_configENS1_25partition_config_selectorILNS1_17partition_subalgoE6ExNS0_10empty_typeEbEEZZNS1_14partition_implILS5_6ELb0ES3_mN6thrust23THRUST_200600_302600_NS6detail15normal_iteratorINSA_10device_ptrIxEEEEPS6_SG_NS0_5tupleIJSF_S6_EEENSH_IJSG_SG_EEES6_PlJ7is_evenIxEEEE10hipError_tPvRmT3_T4_T5_T6_T7_T9_mT8_P12ihipStream_tbDpT10_ENKUlT_T0_E_clISt17integral_constantIbLb1EES15_IbLb0EEEEDaS11_S12_EUlS11_E_NS1_11comp_targetILNS1_3genE9ELNS1_11target_archE1100ELNS1_3gpuE3ELNS1_3repE0EEENS1_30default_config_static_selectorELNS0_4arch9wavefront6targetE0EEEvT1_,comdat
	.protected	_ZN7rocprim17ROCPRIM_400000_NS6detail17trampoline_kernelINS0_14default_configENS1_25partition_config_selectorILNS1_17partition_subalgoE6ExNS0_10empty_typeEbEEZZNS1_14partition_implILS5_6ELb0ES3_mN6thrust23THRUST_200600_302600_NS6detail15normal_iteratorINSA_10device_ptrIxEEEEPS6_SG_NS0_5tupleIJSF_S6_EEENSH_IJSG_SG_EEES6_PlJ7is_evenIxEEEE10hipError_tPvRmT3_T4_T5_T6_T7_T9_mT8_P12ihipStream_tbDpT10_ENKUlT_T0_E_clISt17integral_constantIbLb1EES15_IbLb0EEEEDaS11_S12_EUlS11_E_NS1_11comp_targetILNS1_3genE9ELNS1_11target_archE1100ELNS1_3gpuE3ELNS1_3repE0EEENS1_30default_config_static_selectorELNS0_4arch9wavefront6targetE0EEEvT1_ ; -- Begin function _ZN7rocprim17ROCPRIM_400000_NS6detail17trampoline_kernelINS0_14default_configENS1_25partition_config_selectorILNS1_17partition_subalgoE6ExNS0_10empty_typeEbEEZZNS1_14partition_implILS5_6ELb0ES3_mN6thrust23THRUST_200600_302600_NS6detail15normal_iteratorINSA_10device_ptrIxEEEEPS6_SG_NS0_5tupleIJSF_S6_EEENSH_IJSG_SG_EEES6_PlJ7is_evenIxEEEE10hipError_tPvRmT3_T4_T5_T6_T7_T9_mT8_P12ihipStream_tbDpT10_ENKUlT_T0_E_clISt17integral_constantIbLb1EES15_IbLb0EEEEDaS11_S12_EUlS11_E_NS1_11comp_targetILNS1_3genE9ELNS1_11target_archE1100ELNS1_3gpuE3ELNS1_3repE0EEENS1_30default_config_static_selectorELNS0_4arch9wavefront6targetE0EEEvT1_
	.globl	_ZN7rocprim17ROCPRIM_400000_NS6detail17trampoline_kernelINS0_14default_configENS1_25partition_config_selectorILNS1_17partition_subalgoE6ExNS0_10empty_typeEbEEZZNS1_14partition_implILS5_6ELb0ES3_mN6thrust23THRUST_200600_302600_NS6detail15normal_iteratorINSA_10device_ptrIxEEEEPS6_SG_NS0_5tupleIJSF_S6_EEENSH_IJSG_SG_EEES6_PlJ7is_evenIxEEEE10hipError_tPvRmT3_T4_T5_T6_T7_T9_mT8_P12ihipStream_tbDpT10_ENKUlT_T0_E_clISt17integral_constantIbLb1EES15_IbLb0EEEEDaS11_S12_EUlS11_E_NS1_11comp_targetILNS1_3genE9ELNS1_11target_archE1100ELNS1_3gpuE3ELNS1_3repE0EEENS1_30default_config_static_selectorELNS0_4arch9wavefront6targetE0EEEvT1_
	.p2align	8
	.type	_ZN7rocprim17ROCPRIM_400000_NS6detail17trampoline_kernelINS0_14default_configENS1_25partition_config_selectorILNS1_17partition_subalgoE6ExNS0_10empty_typeEbEEZZNS1_14partition_implILS5_6ELb0ES3_mN6thrust23THRUST_200600_302600_NS6detail15normal_iteratorINSA_10device_ptrIxEEEEPS6_SG_NS0_5tupleIJSF_S6_EEENSH_IJSG_SG_EEES6_PlJ7is_evenIxEEEE10hipError_tPvRmT3_T4_T5_T6_T7_T9_mT8_P12ihipStream_tbDpT10_ENKUlT_T0_E_clISt17integral_constantIbLb1EES15_IbLb0EEEEDaS11_S12_EUlS11_E_NS1_11comp_targetILNS1_3genE9ELNS1_11target_archE1100ELNS1_3gpuE3ELNS1_3repE0EEENS1_30default_config_static_selectorELNS0_4arch9wavefront6targetE0EEEvT1_,@function
_ZN7rocprim17ROCPRIM_400000_NS6detail17trampoline_kernelINS0_14default_configENS1_25partition_config_selectorILNS1_17partition_subalgoE6ExNS0_10empty_typeEbEEZZNS1_14partition_implILS5_6ELb0ES3_mN6thrust23THRUST_200600_302600_NS6detail15normal_iteratorINSA_10device_ptrIxEEEEPS6_SG_NS0_5tupleIJSF_S6_EEENSH_IJSG_SG_EEES6_PlJ7is_evenIxEEEE10hipError_tPvRmT3_T4_T5_T6_T7_T9_mT8_P12ihipStream_tbDpT10_ENKUlT_T0_E_clISt17integral_constantIbLb1EES15_IbLb0EEEEDaS11_S12_EUlS11_E_NS1_11comp_targetILNS1_3genE9ELNS1_11target_archE1100ELNS1_3gpuE3ELNS1_3repE0EEENS1_30default_config_static_selectorELNS0_4arch9wavefront6targetE0EEEvT1_: ; @_ZN7rocprim17ROCPRIM_400000_NS6detail17trampoline_kernelINS0_14default_configENS1_25partition_config_selectorILNS1_17partition_subalgoE6ExNS0_10empty_typeEbEEZZNS1_14partition_implILS5_6ELb0ES3_mN6thrust23THRUST_200600_302600_NS6detail15normal_iteratorINSA_10device_ptrIxEEEEPS6_SG_NS0_5tupleIJSF_S6_EEENSH_IJSG_SG_EEES6_PlJ7is_evenIxEEEE10hipError_tPvRmT3_T4_T5_T6_T7_T9_mT8_P12ihipStream_tbDpT10_ENKUlT_T0_E_clISt17integral_constantIbLb1EES15_IbLb0EEEEDaS11_S12_EUlS11_E_NS1_11comp_targetILNS1_3genE9ELNS1_11target_archE1100ELNS1_3gpuE3ELNS1_3repE0EEENS1_30default_config_static_selectorELNS0_4arch9wavefront6targetE0EEEvT1_
; %bb.0:
	s_clause 0x3
	s_load_b128 s[16:19], s[0:1], 0x8
	s_load_b128 s[8:11], s[0:1], 0x40
	s_load_b32 s12, s[0:1], 0x68
	s_load_b64 s[4:5], s[0:1], 0x50
	s_waitcnt lgkmcnt(0)
	s_lshl_b64 s[2:3], s[18:19], 3
	s_load_b64 s[6:7], s[10:11], 0x0
	s_mul_i32 s10, s12, 0x900
	s_add_u32 s14, s16, s2
	s_addc_u32 s16, s17, s3
	s_add_i32 s2, s10, s18
	s_add_i32 s12, s12, -1
	s_sub_i32 s2, s4, s2
	s_add_u32 s10, s18, s10
	s_addc_u32 s11, s19, 0
	s_cmp_eq_u32 s15, s12
	v_cmp_ge_u64_e64 s3, s[10:11], s[4:5]
	s_cselect_b32 s12, -1, 0
	s_mov_b32 s5, 0
	s_mul_i32 s4, s15, 0x900
	s_delay_alu instid0(SALU_CYCLE_1) | instskip(NEXT) | instid1(VALU_DEP_1)
	s_lshl_b64 s[4:5], s[4:5], 3
	s_and_b32 s3, s12, s3
	s_delay_alu instid0(SALU_CYCLE_1)
	s_xor_b32 s13, s3, -1
	s_add_u32 s3, s14, s4
	s_addc_u32 s4, s16, s5
	s_and_b32 vcc_lo, exec_lo, s13
	s_mov_b32 s5, -1
	s_cbranch_vccz .LBB382_2
; %bb.1:
	v_lshlrev_b32_e32 v13, 3, v0
	s_delay_alu instid0(VALU_DEP_1) | instskip(NEXT) | instid1(VALU_DEP_1)
	v_add_co_u32 v1, s5, s3, v13
	v_add_co_ci_u32_e64 v2, null, s4, 0, s5
	s_mov_b32 s5, 0
	s_delay_alu instid0(VALU_DEP_2) | instskip(NEXT) | instid1(VALU_DEP_2)
	v_add_co_u32 v3, vcc_lo, 0x1000, v1
	v_add_co_ci_u32_e32 v4, vcc_lo, 0, v2, vcc_lo
	v_add_co_u32 v5, vcc_lo, 0x2000, v1
	v_add_co_ci_u32_e32 v6, vcc_lo, 0, v2, vcc_lo
	;; [unrolled: 2-line block ×3, first 2 shown]
	s_clause 0x5
	flat_load_b64 v[9:10], v[1:2]
	flat_load_b64 v[1:2], v[1:2] offset:3072
	flat_load_b64 v[3:4], v[3:4] offset:2048
	;; [unrolled: 1-line block ×3, first 2 shown]
	flat_load_b64 v[11:12], v[7:8]
	flat_load_b64 v[7:8], v[7:8] offset:3072
	s_waitcnt vmcnt(4) lgkmcnt(0)
	ds_store_2addr_stride64_b64 v13, v[9:10], v[1:2] offset1:6
	s_waitcnt vmcnt(2)
	ds_store_2addr_stride64_b64 v13, v[3:4], v[5:6] offset0:12 offset1:18
	s_waitcnt vmcnt(0)
	ds_store_2addr_stride64_b64 v13, v[11:12], v[7:8] offset0:24 offset1:30
	s_waitcnt lgkmcnt(0)
	s_barrier
.LBB382_2:
	s_and_not1_b32 vcc_lo, exec_lo, s5
	s_addk_i32 s2, 0x900
	s_cbranch_vccnz .LBB382_16
; %bb.3:
	s_mov_b32 s5, exec_lo
                                        ; implicit-def: $vgpr1_vgpr2_vgpr3_vgpr4_vgpr5_vgpr6_vgpr7_vgpr8_vgpr9_vgpr10_vgpr11_vgpr12_vgpr13_vgpr14_vgpr15_vgpr16
	v_cmpx_gt_u32_e64 s2, v0
	s_cbranch_execz .LBB382_5
; %bb.4:
	v_lshlrev_b32_e32 v1, 3, v0
	s_delay_alu instid0(VALU_DEP_1) | instskip(NEXT) | instid1(VALU_DEP_1)
	v_add_co_u32 v1, s10, s3, v1
	v_add_co_ci_u32_e64 v2, null, s4, 0, s10
	flat_load_b64 v[1:2], v[1:2]
.LBB382_5:
	s_or_b32 exec_lo, exec_lo, s5
	v_add_nc_u32_e32 v13, 0x180, v0
	s_mov_b32 s5, exec_lo
	s_delay_alu instid0(VALU_DEP_1)
	v_cmpx_gt_u32_e64 s2, v13
	s_cbranch_execz .LBB382_7
; %bb.6:
	v_lshlrev_b32_e32 v3, 3, v0
	s_delay_alu instid0(VALU_DEP_1) | instskip(NEXT) | instid1(VALU_DEP_1)
	v_add_co_u32 v3, s10, s3, v3
	v_add_co_ci_u32_e64 v4, null, s4, 0, s10
	flat_load_b64 v[3:4], v[3:4] offset:3072
.LBB382_7:
	s_or_b32 exec_lo, exec_lo, s5
	v_add_nc_u32_e32 v13, 0x300, v0
	s_mov_b32 s5, exec_lo
	s_delay_alu instid0(VALU_DEP_1)
	v_cmpx_gt_u32_e64 s2, v13
	s_cbranch_execz .LBB382_9
; %bb.8:
	v_lshlrev_b32_e32 v5, 3, v13
	s_delay_alu instid0(VALU_DEP_1) | instskip(NEXT) | instid1(VALU_DEP_1)
	v_add_co_u32 v5, s10, s3, v5
	v_add_co_ci_u32_e64 v6, null, s4, 0, s10
	flat_load_b64 v[5:6], v[5:6]
.LBB382_9:
	s_or_b32 exec_lo, exec_lo, s5
	v_add_nc_u32_e32 v13, 0x480, v0
	s_mov_b32 s5, exec_lo
	s_delay_alu instid0(VALU_DEP_1)
	v_cmpx_gt_u32_e64 s2, v13
	s_cbranch_execz .LBB382_11
; %bb.10:
	v_lshlrev_b32_e32 v7, 3, v13
	s_delay_alu instid0(VALU_DEP_1) | instskip(NEXT) | instid1(VALU_DEP_1)
	v_add_co_u32 v7, s10, s3, v7
	v_add_co_ci_u32_e64 v8, null, s4, 0, s10
	flat_load_b64 v[7:8], v[7:8]
.LBB382_11:
	s_or_b32 exec_lo, exec_lo, s5
	v_or_b32_e32 v13, 0x600, v0
	s_mov_b32 s5, exec_lo
	s_delay_alu instid0(VALU_DEP_1)
	v_cmpx_gt_u32_e64 s2, v13
	s_cbranch_execz .LBB382_13
; %bb.12:
	v_lshlrev_b32_e32 v9, 3, v13
	s_delay_alu instid0(VALU_DEP_1) | instskip(NEXT) | instid1(VALU_DEP_1)
	v_add_co_u32 v9, s10, s3, v9
	v_add_co_ci_u32_e64 v10, null, s4, 0, s10
	flat_load_b64 v[9:10], v[9:10]
.LBB382_13:
	s_or_b32 exec_lo, exec_lo, s5
	v_add_nc_u32_e32 v13, 0x780, v0
	s_mov_b32 s5, exec_lo
	s_delay_alu instid0(VALU_DEP_1)
	v_cmpx_gt_u32_e64 s2, v13
	s_cbranch_execz .LBB382_15
; %bb.14:
	v_lshlrev_b32_e32 v11, 3, v13
	s_delay_alu instid0(VALU_DEP_1) | instskip(NEXT) | instid1(VALU_DEP_1)
	v_add_co_u32 v11, s3, s3, v11
	v_add_co_ci_u32_e64 v12, null, s4, 0, s3
	flat_load_b64 v[11:12], v[11:12]
.LBB382_15:
	s_or_b32 exec_lo, exec_lo, s5
	v_lshlrev_b32_e32 v13, 3, v0
	s_waitcnt vmcnt(0) lgkmcnt(0)
	ds_store_2addr_stride64_b64 v13, v[1:2], v[3:4] offset1:6
	ds_store_2addr_stride64_b64 v13, v[5:6], v[7:8] offset0:12 offset1:18
	ds_store_2addr_stride64_b64 v13, v[9:10], v[11:12] offset0:24 offset1:30
	s_waitcnt lgkmcnt(0)
	s_barrier
.LBB382_16:
	v_mul_u32_u24_e32 v13, 6, v0
	s_waitcnt lgkmcnt(0)
	buffer_gl0_inv
	s_and_not1_b32 vcc_lo, exec_lo, s13
	v_lshlrev_b32_e32 v35, 3, v13
	ds_load_b128 v[9:12], v35
	ds_load_b128 v[5:8], v35 offset:16
	ds_load_b128 v[1:4], v35 offset:32
	s_waitcnt lgkmcnt(0)
	s_barrier
	buffer_gl0_inv
	v_xor_b32_e32 v16, -1, v9
	v_xor_b32_e32 v18, -1, v11
	;; [unrolled: 1-line block ×6, first 2 shown]
	s_cbranch_vccnz .LBB382_18
; %bb.17:
	v_and_b32_e32 v20, 1, v18
	v_and_b32_e32 v21, 1, v19
	;; [unrolled: 1-line block ×5, first 2 shown]
	v_lshlrev_b16 v20, 8, v20
	v_lshlrev_b16 v21, 8, v21
	v_and_b32_e32 v31, 1, v15
	s_delay_alu instid0(VALU_DEP_3) | instskip(NEXT) | instid1(VALU_DEP_3)
	v_or_b32_e32 v20, v22, v20
	v_or_b32_e32 v21, v23, v21
	s_delay_alu instid0(VALU_DEP_2) | instskip(NEXT) | instid1(VALU_DEP_2)
	v_and_b32_e32 v20, 0xffff, v20
	v_lshlrev_b32_e32 v21, 16, v21
	s_delay_alu instid0(VALU_DEP_1)
	v_or_b32_e32 v34, v20, v21
	s_load_b64 s[10:11], s[0:1], 0x60
	s_cbranch_execz .LBB382_19
	s_branch .LBB382_20
.LBB382_18:
                                        ; implicit-def: $vgpr31
                                        ; implicit-def: $vgpr32
                                        ; implicit-def: $vgpr34
	s_load_b64 s[10:11], s[0:1], 0x60
.LBB382_19:
	v_or_b32_e32 v20, 1, v13
	v_add_nc_u32_e32 v21, 3, v13
	v_add_nc_u32_e32 v22, 2, v13
	s_delay_alu instid0(VALU_DEP_3) | instskip(SKIP_1) | instid1(VALU_DEP_4)
	v_cmp_gt_u32_e32 vcc_lo, s2, v20
	v_cndmask_b32_e64 v20, 0, 1, vcc_lo
	v_cmp_gt_u32_e32 vcc_lo, s2, v21
	s_delay_alu instid0(VALU_DEP_2)
	v_and_b32_e32 v18, v20, v18
	v_cndmask_b32_e64 v21, 0, 1, vcc_lo
	v_cmp_gt_u32_e32 vcc_lo, s2, v13
	v_add_nc_u32_e32 v20, 4, v13
	v_add_nc_u32_e32 v13, 5, v13
	v_lshlrev_b16 v18, 8, v18
	v_and_b32_e32 v19, v21, v19
	v_cndmask_b32_e64 v23, 0, 1, vcc_lo
	v_cmp_gt_u32_e32 vcc_lo, s2, v22
	s_delay_alu instid0(VALU_DEP_3) | instskip(NEXT) | instid1(VALU_DEP_3)
	v_lshlrev_b16 v19, 8, v19
	v_and_b32_e32 v16, v23, v16
	v_cndmask_b32_e64 v22, 0, 1, vcc_lo
	v_cmp_gt_u32_e32 vcc_lo, s2, v20
	s_delay_alu instid0(VALU_DEP_3) | instskip(NEXT) | instid1(VALU_DEP_3)
	v_or_b32_e32 v16, v16, v18
	v_and_b32_e32 v17, v22, v17
	v_cndmask_b32_e64 v18, 0, 1, vcc_lo
	v_cmp_gt_u32_e32 vcc_lo, s2, v13
	s_delay_alu instid0(VALU_DEP_4) | instskip(NEXT) | instid1(VALU_DEP_4)
	v_and_b32_e32 v16, 0xffff, v16
	v_or_b32_e32 v17, v17, v19
	s_delay_alu instid0(VALU_DEP_4) | instskip(SKIP_1) | instid1(VALU_DEP_3)
	v_and_b32_e32 v32, v18, v14
	v_cndmask_b32_e64 v13, 0, 1, vcc_lo
	v_lshlrev_b32_e32 v17, 16, v17
	s_delay_alu instid0(VALU_DEP_2) | instskip(NEXT) | instid1(VALU_DEP_2)
	v_and_b32_e32 v31, v13, v15
	v_or_b32_e32 v34, v16, v17
.LBB382_20:
	s_delay_alu instid0(VALU_DEP_1)
	v_dual_mov_b32 v14, 0 :: v_dual_and_b32 v39, 0xff, v34
	v_bfe_u32 v38, v34, 8, 8
	v_bfe_u32 v37, v34, 16, 8
	v_lshrrev_b32_e32 v33, 24, v34
	v_and_b32_e32 v36, 0xff, v32
	v_mbcnt_lo_u32_b32 v40, -1, 0
	v_add_co_u32 v13, s2, v38, v39
	s_delay_alu instid0(VALU_DEP_1) | instskip(SKIP_1) | instid1(VALU_DEP_3)
	v_add_co_ci_u32_e64 v15, null, 0, 0, s2
	v_and_b32_e32 v16, 0xff, v31
	v_add_co_u32 v13, vcc_lo, v13, v37
	s_delay_alu instid0(VALU_DEP_3) | instskip(SKIP_1) | instid1(VALU_DEP_3)
	v_add_co_ci_u32_e32 v15, vcc_lo, 0, v15, vcc_lo
	v_and_b32_e32 v41, 15, v40
	v_add_co_u32 v13, vcc_lo, v13, v33
	s_delay_alu instid0(VALU_DEP_3) | instskip(NEXT) | instid1(VALU_DEP_3)
	v_add_co_ci_u32_e32 v15, vcc_lo, 0, v15, vcc_lo
	v_cmp_ne_u32_e64 s2, 0, v41
	s_delay_alu instid0(VALU_DEP_3) | instskip(NEXT) | instid1(VALU_DEP_3)
	v_add_co_u32 v13, vcc_lo, v13, v36
	v_add_co_ci_u32_e32 v15, vcc_lo, 0, v15, vcc_lo
	s_cmp_lg_u32 s15, 0
	s_delay_alu instid0(VALU_DEP_2) | instskip(NEXT) | instid1(VALU_DEP_2)
	v_add_co_u32 v21, vcc_lo, v13, v16
	v_add_co_ci_u32_e32 v22, vcc_lo, 0, v15, vcc_lo
	s_mov_b32 s3, -1
	s_cbranch_scc0 .LBB382_89
; %bb.21:
	s_delay_alu instid0(VALU_DEP_2)
	v_mov_b32_e32 v15, v21
	v_mov_b32_dpp v13, v21 row_shr:1 row_mask:0xf bank_mask:0xf
	v_mov_b32_dpp v18, v14 row_shr:1 row_mask:0xf bank_mask:0xf
	v_dual_mov_b32 v17, v21 :: v_dual_mov_b32 v16, v22
	s_and_saveexec_b32 s3, s2
; %bb.22:
	s_delay_alu instid0(VALU_DEP_3) | instskip(SKIP_1) | instid1(VALU_DEP_2)
	v_add_co_u32 v17, vcc_lo, v21, v13
	v_add_co_ci_u32_e32 v14, vcc_lo, 0, v22, vcc_lo
	v_add_co_u32 v13, vcc_lo, 0, v17
	s_delay_alu instid0(VALU_DEP_2) | instskip(NEXT) | instid1(VALU_DEP_1)
	v_add_co_ci_u32_e32 v14, vcc_lo, v18, v14, vcc_lo
	v_dual_mov_b32 v16, v14 :: v_dual_mov_b32 v15, v13
; %bb.23:
	s_or_b32 exec_lo, exec_lo, s3
	v_mov_b32_dpp v13, v17 row_shr:2 row_mask:0xf bank_mask:0xf
	v_mov_b32_dpp v18, v14 row_shr:2 row_mask:0xf bank_mask:0xf
	v_cmp_lt_u32_e32 vcc_lo, 1, v41
	s_and_saveexec_b32 s4, vcc_lo
; %bb.24:
	s_delay_alu instid0(VALU_DEP_3) | instskip(NEXT) | instid1(VALU_DEP_1)
	v_add_co_u32 v17, s3, v15, v13
	v_add_co_ci_u32_e64 v14, s3, 0, v16, s3
	s_delay_alu instid0(VALU_DEP_2) | instskip(NEXT) | instid1(VALU_DEP_1)
	v_add_co_u32 v13, s3, 0, v17
	v_add_co_ci_u32_e64 v14, s3, v18, v14, s3
	s_delay_alu instid0(VALU_DEP_1)
	v_dual_mov_b32 v16, v14 :: v_dual_mov_b32 v15, v13
; %bb.25:
	s_or_b32 exec_lo, exec_lo, s4
	v_mov_b32_dpp v13, v17 row_shr:4 row_mask:0xf bank_mask:0xf
	v_mov_b32_dpp v18, v14 row_shr:4 row_mask:0xf bank_mask:0xf
	v_cmp_lt_u32_e64 s3, 3, v41
	s_delay_alu instid0(VALU_DEP_1)
	s_and_saveexec_b32 s5, s3
; %bb.26:
	s_delay_alu instid0(VALU_DEP_3) | instskip(NEXT) | instid1(VALU_DEP_1)
	v_add_co_u32 v17, s4, v15, v13
	v_add_co_ci_u32_e64 v14, s4, 0, v16, s4
	s_delay_alu instid0(VALU_DEP_2) | instskip(NEXT) | instid1(VALU_DEP_1)
	v_add_co_u32 v13, s4, 0, v17
	v_add_co_ci_u32_e64 v14, s4, v18, v14, s4
	s_delay_alu instid0(VALU_DEP_1)
	v_dual_mov_b32 v16, v14 :: v_dual_mov_b32 v15, v13
; %bb.27:
	s_or_b32 exec_lo, exec_lo, s5
	v_mov_b32_dpp v18, v17 row_shr:8 row_mask:0xf bank_mask:0xf
	v_mov_b32_dpp v13, v14 row_shr:8 row_mask:0xf bank_mask:0xf
	v_cmp_lt_u32_e64 s4, 7, v41
	s_delay_alu instid0(VALU_DEP_1)
	s_and_saveexec_b32 s14, s4
; %bb.28:
	s_delay_alu instid0(VALU_DEP_3) | instskip(NEXT) | instid1(VALU_DEP_1)
	v_add_co_u32 v17, s5, v15, v18
	v_add_co_ci_u32_e64 v14, s5, 0, v16, s5
	s_delay_alu instid0(VALU_DEP_2) | instskip(NEXT) | instid1(VALU_DEP_1)
	v_add_co_u32 v15, s5, 0, v17
	v_add_co_ci_u32_e64 v16, s5, v13, v14, s5
	s_delay_alu instid0(VALU_DEP_1)
	v_mov_b32_e32 v14, v16
; %bb.29:
	s_or_b32 exec_lo, exec_lo, s14
	ds_swizzle_b32 v13, v17 offset:swizzle(BROADCAST,32,15)
	ds_swizzle_b32 v18, v14 offset:swizzle(BROADCAST,32,15)
	v_and_b32_e32 v19, 16, v40
	s_mov_b32 s14, exec_lo
	s_delay_alu instid0(VALU_DEP_1)
	v_cmpx_ne_u32_e32 0, v19
	s_cbranch_execz .LBB382_31
; %bb.30:
	s_waitcnt lgkmcnt(0)
	v_add_co_u32 v17, s5, v15, v13
	s_delay_alu instid0(VALU_DEP_1) | instskip(NEXT) | instid1(VALU_DEP_2)
	v_add_co_ci_u32_e64 v14, s5, 0, v16, s5
	v_add_co_u32 v13, s5, 0, v17
	s_delay_alu instid0(VALU_DEP_1) | instskip(NEXT) | instid1(VALU_DEP_1)
	v_add_co_ci_u32_e64 v14, s5, v18, v14, s5
	v_dual_mov_b32 v16, v14 :: v_dual_mov_b32 v15, v13
.LBB382_31:
	s_or_b32 exec_lo, exec_lo, s14
	s_waitcnt lgkmcnt(0)
	v_and_b32_e32 v13, 0x1e0, v0
	s_mov_b32 s14, exec_lo
	s_delay_alu instid0(VALU_DEP_1) | instskip(NEXT) | instid1(VALU_DEP_1)
	v_min_u32_e32 v13, 0x160, v13
	v_or_b32_e32 v18, 31, v13
	v_lshrrev_b32_e32 v13, 5, v0
	s_delay_alu instid0(VALU_DEP_2)
	v_cmpx_eq_u32_e64 v18, v0
	s_cbranch_execz .LBB382_33
; %bb.32:
	s_delay_alu instid0(VALU_DEP_2)
	v_lshlrev_b32_e32 v18, 3, v13
	ds_store_b64 v18, v[15:16]
.LBB382_33:
	s_or_b32 exec_lo, exec_lo, s14
	s_delay_alu instid0(SALU_CYCLE_1)
	s_mov_b32 s14, exec_lo
	s_waitcnt lgkmcnt(0)
	s_barrier
	buffer_gl0_inv
	v_cmpx_gt_u32_e32 12, v0
	s_cbranch_execz .LBB382_43
; %bb.34:
	v_lshlrev_b32_e32 v18, 3, v0
	ds_load_b64 v[15:16], v18
	s_waitcnt lgkmcnt(0)
	v_mov_b32_e32 v19, v15
	v_mov_b32_dpp v23, v15 row_shr:1 row_mask:0xf bank_mask:0xf
	v_mov_b32_dpp v20, v16 row_shr:1 row_mask:0xf bank_mask:0xf
	s_and_saveexec_b32 s16, s2
; %bb.35:
	s_delay_alu instid0(VALU_DEP_2) | instskip(NEXT) | instid1(VALU_DEP_1)
	v_add_co_u32 v19, s5, v15, v23
	v_add_co_ci_u32_e64 v16, s5, 0, v16, s5
	s_delay_alu instid0(VALU_DEP_2) | instskip(NEXT) | instid1(VALU_DEP_1)
	v_add_co_u32 v15, s5, 0, v19
	v_add_co_ci_u32_e64 v16, s5, v20, v16, s5
; %bb.36:
	s_or_b32 exec_lo, exec_lo, s16
	v_mov_b32_dpp v23, v19 row_shr:2 row_mask:0xf bank_mask:0xf
	s_delay_alu instid0(VALU_DEP_2)
	v_mov_b32_dpp v20, v16 row_shr:2 row_mask:0xf bank_mask:0xf
	s_and_saveexec_b32 s5, vcc_lo
; %bb.37:
	s_delay_alu instid0(VALU_DEP_2) | instskip(SKIP_1) | instid1(VALU_DEP_2)
	v_add_co_u32 v19, vcc_lo, v15, v23
	v_add_co_ci_u32_e32 v16, vcc_lo, 0, v16, vcc_lo
	v_add_co_u32 v15, vcc_lo, 0, v19
	s_delay_alu instid0(VALU_DEP_2)
	v_add_co_ci_u32_e32 v16, vcc_lo, v20, v16, vcc_lo
; %bb.38:
	s_or_b32 exec_lo, exec_lo, s5
	v_mov_b32_dpp v23, v19 row_shr:4 row_mask:0xf bank_mask:0xf
	s_delay_alu instid0(VALU_DEP_2)
	v_mov_b32_dpp v20, v16 row_shr:4 row_mask:0xf bank_mask:0xf
	s_and_saveexec_b32 s5, s3
; %bb.39:
	s_delay_alu instid0(VALU_DEP_2) | instskip(SKIP_1) | instid1(VALU_DEP_2)
	v_add_co_u32 v19, vcc_lo, v15, v23
	v_add_co_ci_u32_e32 v16, vcc_lo, 0, v16, vcc_lo
	v_add_co_u32 v15, vcc_lo, 0, v19
	s_delay_alu instid0(VALU_DEP_2)
	v_add_co_ci_u32_e32 v16, vcc_lo, v20, v16, vcc_lo
; %bb.40:
	s_or_b32 exec_lo, exec_lo, s5
	v_mov_b32_dpp v20, v19 row_shr:8 row_mask:0xf bank_mask:0xf
	s_delay_alu instid0(VALU_DEP_2)
	v_mov_b32_dpp v19, v16 row_shr:8 row_mask:0xf bank_mask:0xf
	s_and_saveexec_b32 s3, s4
; %bb.41:
	s_delay_alu instid0(VALU_DEP_2) | instskip(SKIP_1) | instid1(VALU_DEP_2)
	v_add_co_u32 v15, vcc_lo, v15, v20
	v_add_co_ci_u32_e32 v16, vcc_lo, 0, v16, vcc_lo
	v_add_co_u32 v15, vcc_lo, v15, 0
	s_delay_alu instid0(VALU_DEP_2)
	v_add_co_ci_u32_e32 v16, vcc_lo, v16, v19, vcc_lo
; %bb.42:
	s_or_b32 exec_lo, exec_lo, s3
	ds_store_b64 v18, v[15:16]
.LBB382_43:
	s_or_b32 exec_lo, exec_lo, s14
	v_cmp_gt_u32_e32 vcc_lo, 32, v0
	s_mov_b32 s4, exec_lo
	s_waitcnt lgkmcnt(0)
	s_barrier
	buffer_gl0_inv
                                        ; implicit-def: $vgpr23_vgpr24
	v_cmpx_lt_u32_e32 31, v0
	s_cbranch_execz .LBB382_45
; %bb.44:
	v_lshl_add_u32 v13, v13, 3, -8
	ds_load_b64 v[23:24], v13
	s_waitcnt lgkmcnt(0)
	v_add_co_u32 v17, s3, v17, v23
	s_delay_alu instid0(VALU_DEP_1)
	v_add_co_ci_u32_e64 v14, s3, v14, v24, s3
.LBB382_45:
	s_or_b32 exec_lo, exec_lo, s4
	v_add_nc_u32_e32 v13, -1, v40
	s_delay_alu instid0(VALU_DEP_1) | instskip(NEXT) | instid1(VALU_DEP_1)
	v_cmp_gt_i32_e64 s3, 0, v13
	v_cndmask_b32_e64 v13, v13, v40, s3
	v_cmp_eq_u32_e64 s3, 0, v40
	s_delay_alu instid0(VALU_DEP_2)
	v_lshlrev_b32_e32 v13, 2, v13
	ds_bpermute_b32 v29, v13, v17
	ds_bpermute_b32 v30, v13, v14
	s_and_saveexec_b32 s4, vcc_lo
	s_cbranch_execz .LBB382_88
; %bb.46:
	v_mov_b32_e32 v16, 0
	ds_load_b64 v[13:14], v16 offset:88
	s_and_saveexec_b32 s5, s3
	s_cbranch_execz .LBB382_48
; %bb.47:
	s_add_i32 s16, s15, 32
	s_mov_b32 s17, 0
	s_delay_alu instid0(SALU_CYCLE_1) | instskip(NEXT) | instid1(SALU_CYCLE_1)
	s_lshl_b64 s[16:17], s[16:17], 4
	s_add_u32 s16, s10, s16
	s_addc_u32 s17, s11, s17
	s_delay_alu instid0(SALU_CYCLE_1)
	v_dual_mov_b32 v15, 1 :: v_dual_mov_b32 v18, s17
	v_mov_b32_e32 v17, s16
	s_waitcnt lgkmcnt(0)
	;;#ASMSTART
	global_store_dwordx4 v[17:18], v[13:16] off	
s_waitcnt vmcnt(0)
	;;#ASMEND
.LBB382_48:
	s_or_b32 exec_lo, exec_lo, s5
	v_xad_u32 v25, v40, -1, s15
	s_mov_b32 s14, 0
	s_mov_b32 s5, exec_lo
	s_delay_alu instid0(VALU_DEP_1) | instskip(NEXT) | instid1(VALU_DEP_1)
	v_add_nc_u32_e32 v15, 32, v25
	v_lshlrev_b64 v[15:16], 4, v[15:16]
	s_delay_alu instid0(VALU_DEP_1) | instskip(NEXT) | instid1(VALU_DEP_2)
	v_add_co_u32 v15, vcc_lo, s10, v15
	v_add_co_ci_u32_e32 v16, vcc_lo, s11, v16, vcc_lo
	;;#ASMSTART
	global_load_dwordx4 v[17:20], v[15:16] off glc	
s_waitcnt vmcnt(0)
	;;#ASMEND
	v_and_b32_e32 v20, 0xff, v18
	v_and_b32_e32 v26, 0xff00, v18
	v_or3_b32 v17, v17, 0, 0
	v_and_b32_e32 v27, 0xff000000, v18
	v_and_b32_e32 v18, 0xff0000, v18
	s_delay_alu instid0(VALU_DEP_4) | instskip(SKIP_2) | instid1(VALU_DEP_3)
	v_or3_b32 v20, 0, v20, v26
	v_and_b32_e32 v26, 0xff, v19
	v_or3_b32 v17, v17, 0, 0
	v_or3_b32 v18, v20, v18, v27
	s_delay_alu instid0(VALU_DEP_3)
	v_cmpx_eq_u16_e32 0, v26
	s_cbranch_execz .LBB382_54
; %bb.49:
	s_mov_b32 s16, 1
	.p2align	6
.LBB382_50:                             ; =>This Loop Header: Depth=1
                                        ;     Child Loop BB382_51 Depth 2
	s_delay_alu instid0(SALU_CYCLE_1)
	s_max_u32 s17, s16, 1
.LBB382_51:                             ;   Parent Loop BB382_50 Depth=1
                                        ; =>  This Inner Loop Header: Depth=2
	s_delay_alu instid0(SALU_CYCLE_1)
	s_add_i32 s17, s17, -1
	s_sleep 1
	s_cmp_eq_u32 s17, 0
	s_cbranch_scc0 .LBB382_51
; %bb.52:                               ;   in Loop: Header=BB382_50 Depth=1
	;;#ASMSTART
	global_load_dwordx4 v[17:20], v[15:16] off glc	
s_waitcnt vmcnt(0)
	;;#ASMEND
	v_and_b32_e32 v20, 0xff, v19
	s_cmp_lt_u32 s16, 32
	s_cselect_b32 s17, -1, 0
	s_delay_alu instid0(SALU_CYCLE_1) | instskip(NEXT) | instid1(VALU_DEP_1)
	s_cmp_lg_u32 s17, 0
	v_cmp_ne_u16_e32 vcc_lo, 0, v20
	s_addc_u32 s16, s16, 0
	s_or_b32 s14, vcc_lo, s14
	s_delay_alu instid0(SALU_CYCLE_1)
	s_and_not1_b32 exec_lo, exec_lo, s14
	s_cbranch_execnz .LBB382_50
; %bb.53:
	s_or_b32 exec_lo, exec_lo, s14
.LBB382_54:
	s_delay_alu instid0(SALU_CYCLE_1)
	s_or_b32 exec_lo, exec_lo, s5
	v_cmp_ne_u32_e32 vcc_lo, 31, v40
	v_and_b32_e32 v16, 0xff, v19
	v_lshlrev_b32_e64 v43, v40, -1
	s_mov_b32 s5, exec_lo
	v_add_co_ci_u32_e32 v15, vcc_lo, 0, v40, vcc_lo
	s_delay_alu instid0(VALU_DEP_3) | instskip(SKIP_1) | instid1(VALU_DEP_3)
	v_cmp_eq_u16_e32 vcc_lo, 2, v16
	v_mov_b32_e32 v16, v17
	v_lshlrev_b32_e32 v42, 2, v15
	v_and_or_b32 v15, vcc_lo, v43, 0x80000000
	ds_bpermute_b32 v26, v42, v17
	ds_bpermute_b32 v20, v42, v18
	v_ctz_i32_b32_e32 v15, v15
	s_delay_alu instid0(VALU_DEP_1)
	v_cmpx_lt_u32_e64 v40, v15
	s_cbranch_execz .LBB382_56
; %bb.55:
	s_waitcnt lgkmcnt(1)
	v_add_co_u32 v16, vcc_lo, v17, v26
	v_add_co_ci_u32_e32 v18, vcc_lo, 0, v18, vcc_lo
	s_delay_alu instid0(VALU_DEP_2) | instskip(SKIP_1) | instid1(VALU_DEP_2)
	v_add_co_u32 v17, vcc_lo, 0, v16
	s_waitcnt lgkmcnt(0)
	v_add_co_ci_u32_e32 v18, vcc_lo, v20, v18, vcc_lo
.LBB382_56:
	s_or_b32 exec_lo, exec_lo, s5
	v_cmp_gt_u32_e32 vcc_lo, 30, v40
	v_add_nc_u32_e32 v45, 2, v40
	s_mov_b32 s5, exec_lo
	s_waitcnt lgkmcnt(0)
	v_cndmask_b32_e64 v20, 0, 1, vcc_lo
	s_delay_alu instid0(VALU_DEP_1) | instskip(NEXT) | instid1(VALU_DEP_1)
	v_lshlrev_b32_e32 v20, 1, v20
	v_add_lshl_u32 v44, v20, v40, 2
	ds_bpermute_b32 v26, v44, v16
	ds_bpermute_b32 v20, v44, v18
	v_cmpx_le_u32_e64 v45, v15
	s_cbranch_execz .LBB382_58
; %bb.57:
	s_waitcnt lgkmcnt(1)
	v_add_co_u32 v16, vcc_lo, v17, v26
	v_add_co_ci_u32_e32 v18, vcc_lo, 0, v18, vcc_lo
	s_delay_alu instid0(VALU_DEP_2) | instskip(SKIP_1) | instid1(VALU_DEP_2)
	v_add_co_u32 v17, vcc_lo, 0, v16
	s_waitcnt lgkmcnt(0)
	v_add_co_ci_u32_e32 v18, vcc_lo, v20, v18, vcc_lo
.LBB382_58:
	s_or_b32 exec_lo, exec_lo, s5
	v_cmp_gt_u32_e32 vcc_lo, 28, v40
	v_add_nc_u32_e32 v47, 4, v40
	s_mov_b32 s5, exec_lo
	s_waitcnt lgkmcnt(0)
	v_cndmask_b32_e64 v20, 0, 1, vcc_lo
	s_delay_alu instid0(VALU_DEP_1) | instskip(NEXT) | instid1(VALU_DEP_1)
	v_lshlrev_b32_e32 v20, 2, v20
	v_add_lshl_u32 v46, v20, v40, 2
	ds_bpermute_b32 v26, v46, v16
	ds_bpermute_b32 v20, v46, v18
	v_cmpx_le_u32_e64 v47, v15
	s_cbranch_execz .LBB382_60
; %bb.59:
	s_waitcnt lgkmcnt(1)
	v_add_co_u32 v16, vcc_lo, v17, v26
	v_add_co_ci_u32_e32 v18, vcc_lo, 0, v18, vcc_lo
	s_delay_alu instid0(VALU_DEP_2) | instskip(SKIP_1) | instid1(VALU_DEP_2)
	v_add_co_u32 v17, vcc_lo, 0, v16
	s_waitcnt lgkmcnt(0)
	v_add_co_ci_u32_e32 v18, vcc_lo, v20, v18, vcc_lo
.LBB382_60:
	s_or_b32 exec_lo, exec_lo, s5
	v_cmp_gt_u32_e32 vcc_lo, 24, v40
	v_add_nc_u32_e32 v49, 8, v40
	s_mov_b32 s5, exec_lo
	s_waitcnt lgkmcnt(0)
	v_cndmask_b32_e64 v20, 0, 1, vcc_lo
	s_delay_alu instid0(VALU_DEP_1) | instskip(NEXT) | instid1(VALU_DEP_1)
	v_lshlrev_b32_e32 v20, 3, v20
	v_add_lshl_u32 v48, v20, v40, 2
	ds_bpermute_b32 v26, v48, v16
	ds_bpermute_b32 v20, v48, v18
	v_cmpx_le_u32_e64 v49, v15
	s_cbranch_execz .LBB382_62
; %bb.61:
	s_waitcnt lgkmcnt(1)
	v_add_co_u32 v16, vcc_lo, v17, v26
	v_add_co_ci_u32_e32 v18, vcc_lo, 0, v18, vcc_lo
	s_delay_alu instid0(VALU_DEP_2) | instskip(SKIP_1) | instid1(VALU_DEP_2)
	v_add_co_u32 v17, vcc_lo, 0, v16
	s_waitcnt lgkmcnt(0)
	v_add_co_ci_u32_e32 v18, vcc_lo, v20, v18, vcc_lo
.LBB382_62:
	s_or_b32 exec_lo, exec_lo, s5
	v_cmp_gt_u32_e32 vcc_lo, 16, v40
	v_add_nc_u32_e32 v51, 16, v40
	s_mov_b32 s5, exec_lo
	s_waitcnt lgkmcnt(0)
	v_cndmask_b32_e64 v20, 0, 1, vcc_lo
	s_delay_alu instid0(VALU_DEP_1) | instskip(NEXT) | instid1(VALU_DEP_1)
	v_lshlrev_b32_e32 v20, 4, v20
	v_add_lshl_u32 v50, v20, v40, 2
	ds_bpermute_b32 v20, v50, v16
	ds_bpermute_b32 v16, v50, v18
	v_cmpx_le_u32_e64 v51, v15
	s_cbranch_execz .LBB382_64
; %bb.63:
	s_waitcnt lgkmcnt(1)
	v_add_co_u32 v15, vcc_lo, v17, v20
	v_add_co_ci_u32_e32 v18, vcc_lo, 0, v18, vcc_lo
	s_delay_alu instid0(VALU_DEP_2) | instskip(SKIP_1) | instid1(VALU_DEP_2)
	v_add_co_u32 v17, vcc_lo, v15, 0
	s_waitcnt lgkmcnt(0)
	v_add_co_ci_u32_e32 v18, vcc_lo, v18, v16, vcc_lo
.LBB382_64:
	s_or_b32 exec_lo, exec_lo, s5
	v_mov_b32_e32 v26, 0
	s_branch .LBB382_66
.LBB382_65:                             ;   in Loop: Header=BB382_66 Depth=1
	s_or_b32 exec_lo, exec_lo, s5
	v_add_co_u32 v17, vcc_lo, v17, v15
	v_subrev_nc_u32_e32 v25, 32, v25
	v_add_co_ci_u32_e32 v18, vcc_lo, v18, v16, vcc_lo
.LBB382_66:                             ; =>This Loop Header: Depth=1
                                        ;     Child Loop BB382_69 Depth 2
                                        ;       Child Loop BB382_70 Depth 3
	v_and_b32_e32 v15, 0xff, v19
	s_delay_alu instid0(VALU_DEP_1) | instskip(SKIP_2) | instid1(VALU_DEP_1)
	v_cmp_ne_u16_e32 vcc_lo, 2, v15
	v_cndmask_b32_e64 v15, 0, 1, vcc_lo
	;;#ASMSTART
	;;#ASMEND
	v_cmp_ne_u32_e32 vcc_lo, 0, v15
	s_waitcnt lgkmcnt(0)
	v_dual_mov_b32 v15, v17 :: v_dual_mov_b32 v16, v18
	s_cmp_lg_u32 vcc_lo, exec_lo
	s_cbranch_scc1 .LBB382_83
; %bb.67:                               ;   in Loop: Header=BB382_66 Depth=1
	v_lshlrev_b64 v[17:18], 4, v[25:26]
	s_mov_b32 s5, exec_lo
	s_delay_alu instid0(VALU_DEP_1) | instskip(NEXT) | instid1(VALU_DEP_2)
	v_add_co_u32 v27, vcc_lo, s10, v17
	v_add_co_ci_u32_e32 v28, vcc_lo, s11, v18, vcc_lo
	;;#ASMSTART
	global_load_dwordx4 v[17:20], v[27:28] off glc	
s_waitcnt vmcnt(0)
	;;#ASMEND
	v_and_b32_e32 v20, 0xff, v18
	v_and_b32_e32 v52, 0xff00, v18
	v_or3_b32 v17, v17, 0, 0
	v_and_b32_e32 v53, 0xff000000, v18
	v_and_b32_e32 v18, 0xff0000, v18
	s_delay_alu instid0(VALU_DEP_4) | instskip(SKIP_2) | instid1(VALU_DEP_3)
	v_or3_b32 v20, 0, v20, v52
	v_and_b32_e32 v52, 0xff, v19
	v_or3_b32 v17, v17, 0, 0
	v_or3_b32 v18, v20, v18, v53
	s_delay_alu instid0(VALU_DEP_3)
	v_cmpx_eq_u16_e32 0, v52
	s_cbranch_execz .LBB382_73
; %bb.68:                               ;   in Loop: Header=BB382_66 Depth=1
	s_mov_b32 s16, 1
	s_mov_b32 s14, 0
	.p2align	6
.LBB382_69:                             ;   Parent Loop BB382_66 Depth=1
                                        ; =>  This Loop Header: Depth=2
                                        ;       Child Loop BB382_70 Depth 3
	s_max_u32 s17, s16, 1
.LBB382_70:                             ;   Parent Loop BB382_66 Depth=1
                                        ;     Parent Loop BB382_69 Depth=2
                                        ; =>    This Inner Loop Header: Depth=3
	s_delay_alu instid0(SALU_CYCLE_1)
	s_add_i32 s17, s17, -1
	s_sleep 1
	s_cmp_eq_u32 s17, 0
	s_cbranch_scc0 .LBB382_70
; %bb.71:                               ;   in Loop: Header=BB382_69 Depth=2
	;;#ASMSTART
	global_load_dwordx4 v[17:20], v[27:28] off glc	
s_waitcnt vmcnt(0)
	;;#ASMEND
	v_and_b32_e32 v20, 0xff, v19
	s_cmp_lt_u32 s16, 32
	s_cselect_b32 s17, -1, 0
	s_delay_alu instid0(SALU_CYCLE_1) | instskip(NEXT) | instid1(VALU_DEP_1)
	s_cmp_lg_u32 s17, 0
	v_cmp_ne_u16_e32 vcc_lo, 0, v20
	s_addc_u32 s16, s16, 0
	s_or_b32 s14, vcc_lo, s14
	s_delay_alu instid0(SALU_CYCLE_1)
	s_and_not1_b32 exec_lo, exec_lo, s14
	s_cbranch_execnz .LBB382_69
; %bb.72:                               ;   in Loop: Header=BB382_66 Depth=1
	s_or_b32 exec_lo, exec_lo, s14
.LBB382_73:                             ;   in Loop: Header=BB382_66 Depth=1
	s_delay_alu instid0(SALU_CYCLE_1)
	s_or_b32 exec_lo, exec_lo, s5
	v_dual_mov_b32 v27, v17 :: v_dual_and_b32 v20, 0xff, v19
	ds_bpermute_b32 v52, v42, v17
	ds_bpermute_b32 v28, v42, v18
	s_mov_b32 s5, exec_lo
	v_cmp_eq_u16_e32 vcc_lo, 2, v20
	v_and_or_b32 v20, vcc_lo, v43, 0x80000000
	s_delay_alu instid0(VALU_DEP_1) | instskip(NEXT) | instid1(VALU_DEP_1)
	v_ctz_i32_b32_e32 v20, v20
	v_cmpx_lt_u32_e64 v40, v20
	s_cbranch_execz .LBB382_75
; %bb.74:                               ;   in Loop: Header=BB382_66 Depth=1
	s_waitcnt lgkmcnt(1)
	v_add_co_u32 v27, vcc_lo, v17, v52
	v_add_co_ci_u32_e32 v18, vcc_lo, 0, v18, vcc_lo
	s_delay_alu instid0(VALU_DEP_2) | instskip(SKIP_1) | instid1(VALU_DEP_2)
	v_add_co_u32 v17, vcc_lo, 0, v27
	s_waitcnt lgkmcnt(0)
	v_add_co_ci_u32_e32 v18, vcc_lo, v28, v18, vcc_lo
.LBB382_75:                             ;   in Loop: Header=BB382_66 Depth=1
	s_or_b32 exec_lo, exec_lo, s5
	s_waitcnt lgkmcnt(1)
	ds_bpermute_b32 v52, v44, v27
	s_waitcnt lgkmcnt(1)
	ds_bpermute_b32 v28, v44, v18
	s_mov_b32 s5, exec_lo
	v_cmpx_le_u32_e64 v45, v20
	s_cbranch_execz .LBB382_77
; %bb.76:                               ;   in Loop: Header=BB382_66 Depth=1
	s_waitcnt lgkmcnt(1)
	v_add_co_u32 v27, vcc_lo, v17, v52
	v_add_co_ci_u32_e32 v18, vcc_lo, 0, v18, vcc_lo
	s_delay_alu instid0(VALU_DEP_2) | instskip(SKIP_1) | instid1(VALU_DEP_2)
	v_add_co_u32 v17, vcc_lo, 0, v27
	s_waitcnt lgkmcnt(0)
	v_add_co_ci_u32_e32 v18, vcc_lo, v28, v18, vcc_lo
.LBB382_77:                             ;   in Loop: Header=BB382_66 Depth=1
	s_or_b32 exec_lo, exec_lo, s5
	s_waitcnt lgkmcnt(1)
	ds_bpermute_b32 v52, v46, v27
	s_waitcnt lgkmcnt(1)
	ds_bpermute_b32 v28, v46, v18
	s_mov_b32 s5, exec_lo
	v_cmpx_le_u32_e64 v47, v20
	;; [unrolled: 17-line block ×3, first 2 shown]
	s_cbranch_execz .LBB382_81
; %bb.80:                               ;   in Loop: Header=BB382_66 Depth=1
	s_waitcnt lgkmcnt(1)
	v_add_co_u32 v27, vcc_lo, v17, v52
	v_add_co_ci_u32_e32 v18, vcc_lo, 0, v18, vcc_lo
	s_delay_alu instid0(VALU_DEP_2) | instskip(SKIP_1) | instid1(VALU_DEP_2)
	v_add_co_u32 v17, vcc_lo, 0, v27
	s_waitcnt lgkmcnt(0)
	v_add_co_ci_u32_e32 v18, vcc_lo, v28, v18, vcc_lo
.LBB382_81:                             ;   in Loop: Header=BB382_66 Depth=1
	s_or_b32 exec_lo, exec_lo, s5
	s_waitcnt lgkmcnt(0)
	ds_bpermute_b32 v28, v50, v27
	ds_bpermute_b32 v27, v50, v18
	s_mov_b32 s5, exec_lo
	v_cmpx_le_u32_e64 v51, v20
	s_cbranch_execz .LBB382_65
; %bb.82:                               ;   in Loop: Header=BB382_66 Depth=1
	s_waitcnt lgkmcnt(1)
	v_add_co_u32 v17, vcc_lo, v17, v28
	v_add_co_ci_u32_e32 v18, vcc_lo, 0, v18, vcc_lo
	s_delay_alu instid0(VALU_DEP_2) | instskip(SKIP_1) | instid1(VALU_DEP_2)
	v_add_co_u32 v17, vcc_lo, v17, 0
	s_waitcnt lgkmcnt(0)
	v_add_co_ci_u32_e32 v18, vcc_lo, v18, v27, vcc_lo
	s_branch .LBB382_65
.LBB382_83:                             ;   in Loop: Header=BB382_66 Depth=1
                                        ; implicit-def: $vgpr17_vgpr18
	s_cbranch_execz .LBB382_66
; %bb.84:
	s_and_saveexec_b32 s5, s3
	s_cbranch_execz .LBB382_86
; %bb.85:
	s_add_i32 s14, s15, 32
	s_mov_b32 s15, 0
	v_add_co_u32 v17, vcc_lo, v15, v13
	s_lshl_b64 s[14:15], s[14:15], 4
	v_dual_mov_b32 v19, 2 :: v_dual_mov_b32 v20, 0
	s_add_u32 s14, s10, s14
	s_addc_u32 s15, s11, s15
	v_add_co_ci_u32_e32 v18, vcc_lo, v16, v14, vcc_lo
	v_dual_mov_b32 v26, s15 :: v_dual_mov_b32 v25, s14
	;;#ASMSTART
	global_store_dwordx4 v[25:26], v[17:20] off	
s_waitcnt vmcnt(0)
	;;#ASMEND
	ds_store_b128 v20, v[13:16] offset:18432
.LBB382_86:
	s_or_b32 exec_lo, exec_lo, s5
	v_cmp_eq_u32_e32 vcc_lo, 0, v0
	s_and_b32 exec_lo, exec_lo, vcc_lo
	s_cbranch_execz .LBB382_88
; %bb.87:
	v_mov_b32_e32 v13, 0
	ds_store_b64 v13, v[15:16] offset:88
.LBB382_88:
	s_or_b32 exec_lo, exec_lo, s4
	s_waitcnt lgkmcnt(1)
	v_cndmask_b32_e64 v16, v29, v23, s3
	v_cmp_ne_u32_e32 vcc_lo, 0, v0
	v_mov_b32_e32 v15, 0
	s_waitcnt lgkmcnt(0)
	s_barrier
	buffer_gl0_inv
	v_cndmask_b32_e32 v16, 0, v16, vcc_lo
	ds_load_b64 v[13:14], v15 offset:88
	v_cndmask_b32_e64 v17, v30, v24, s3
	s_waitcnt lgkmcnt(0)
	s_barrier
	buffer_gl0_inv
	v_cndmask_b32_e32 v17, 0, v17, vcc_lo
	v_add_co_u32 v29, vcc_lo, v13, v16
	s_delay_alu instid0(VALU_DEP_2) | instskip(SKIP_3) | instid1(VALU_DEP_2)
	v_add_co_ci_u32_e32 v30, vcc_lo, v14, v17, vcc_lo
	ds_load_b128 v[13:16], v15 offset:18432
	v_add_co_u32 v27, vcc_lo, v29, v39
	v_add_co_ci_u32_e32 v28, vcc_lo, 0, v30, vcc_lo
	v_add_co_u32 v25, vcc_lo, v27, v38
	s_delay_alu instid0(VALU_DEP_2) | instskip(NEXT) | instid1(VALU_DEP_2)
	v_add_co_ci_u32_e32 v26, vcc_lo, 0, v28, vcc_lo
	v_add_co_u32 v23, vcc_lo, v25, v37
	s_delay_alu instid0(VALU_DEP_2) | instskip(NEXT) | instid1(VALU_DEP_2)
	;; [unrolled: 3-line block ×3, first 2 shown]
	v_add_co_ci_u32_e32 v20, vcc_lo, 0, v24, vcc_lo
	v_add_co_u32 v17, vcc_lo, v19, v36
	s_delay_alu instid0(VALU_DEP_2)
	v_add_co_ci_u32_e32 v18, vcc_lo, 0, v20, vcc_lo
	s_load_b64 s[4:5], s[0:1], 0x28
	s_branch .LBB382_117
.LBB382_89:
                                        ; implicit-def: $vgpr17_vgpr18
                                        ; implicit-def: $vgpr19_vgpr20
                                        ; implicit-def: $vgpr23_vgpr24
                                        ; implicit-def: $vgpr25_vgpr26
                                        ; implicit-def: $vgpr27_vgpr28
                                        ; implicit-def: $vgpr29_vgpr30
                                        ; implicit-def: $vgpr15_vgpr16
	s_load_b64 s[4:5], s[0:1], 0x28
	s_and_b32 vcc_lo, exec_lo, s3
	s_cbranch_vccz .LBB382_117
; %bb.90:
	s_waitcnt lgkmcnt(0)
	v_dual_mov_b32 v14, 0 :: v_dual_mov_b32 v15, v21
	v_mov_b32_dpp v16, v21 row_shr:1 row_mask:0xf bank_mask:0xf
	s_delay_alu instid0(VALU_DEP_2)
	v_mov_b32_dpp v13, v14 row_shr:1 row_mask:0xf bank_mask:0xf
	s_and_saveexec_b32 s0, s2
; %bb.91:
	s_delay_alu instid0(VALU_DEP_2) | instskip(SKIP_1) | instid1(VALU_DEP_2)
	v_add_co_u32 v15, vcc_lo, v21, v16
	v_add_co_ci_u32_e32 v14, vcc_lo, 0, v22, vcc_lo
	v_add_co_u32 v21, vcc_lo, 0, v15
	s_delay_alu instid0(VALU_DEP_2) | instskip(NEXT) | instid1(VALU_DEP_1)
	v_add_co_ci_u32_e32 v22, vcc_lo, v13, v14, vcc_lo
	v_mov_b32_e32 v14, v22
; %bb.92:
	s_or_b32 exec_lo, exec_lo, s0
	v_mov_b32_dpp v13, v15 row_shr:2 row_mask:0xf bank_mask:0xf
	s_delay_alu instid0(VALU_DEP_2)
	v_mov_b32_dpp v16, v14 row_shr:2 row_mask:0xf bank_mask:0xf
	v_cmp_lt_u32_e32 vcc_lo, 1, v41
	s_and_saveexec_b32 s1, vcc_lo
; %bb.93:
	s_delay_alu instid0(VALU_DEP_3) | instskip(NEXT) | instid1(VALU_DEP_1)
	v_add_co_u32 v15, s0, v21, v13
	v_add_co_ci_u32_e64 v14, s0, 0, v22, s0
	s_delay_alu instid0(VALU_DEP_2) | instskip(NEXT) | instid1(VALU_DEP_1)
	v_add_co_u32 v13, s0, 0, v15
	v_add_co_ci_u32_e64 v14, s0, v16, v14, s0
	s_delay_alu instid0(VALU_DEP_1)
	v_dual_mov_b32 v22, v14 :: v_dual_mov_b32 v21, v13
; %bb.94:
	s_or_b32 exec_lo, exec_lo, s1
	v_mov_b32_dpp v13, v15 row_shr:4 row_mask:0xf bank_mask:0xf
	v_mov_b32_dpp v16, v14 row_shr:4 row_mask:0xf bank_mask:0xf
	v_cmp_lt_u32_e64 s0, 3, v41
	s_delay_alu instid0(VALU_DEP_1)
	s_and_saveexec_b32 s3, s0
; %bb.95:
	s_delay_alu instid0(VALU_DEP_3) | instskip(NEXT) | instid1(VALU_DEP_1)
	v_add_co_u32 v15, s1, v21, v13
	v_add_co_ci_u32_e64 v14, s1, 0, v22, s1
	s_delay_alu instid0(VALU_DEP_2) | instskip(NEXT) | instid1(VALU_DEP_1)
	v_add_co_u32 v13, s1, 0, v15
	v_add_co_ci_u32_e64 v14, s1, v16, v14, s1
	s_delay_alu instid0(VALU_DEP_1)
	v_dual_mov_b32 v22, v14 :: v_dual_mov_b32 v21, v13
; %bb.96:
	s_or_b32 exec_lo, exec_lo, s3
	v_mov_b32_dpp v16, v15 row_shr:8 row_mask:0xf bank_mask:0xf
	v_mov_b32_dpp v13, v14 row_shr:8 row_mask:0xf bank_mask:0xf
	v_cmp_lt_u32_e64 s1, 7, v41
	s_delay_alu instid0(VALU_DEP_1)
	s_and_saveexec_b32 s14, s1
; %bb.97:
	s_delay_alu instid0(VALU_DEP_3) | instskip(NEXT) | instid1(VALU_DEP_1)
	v_add_co_u32 v15, s3, v21, v16
	v_add_co_ci_u32_e64 v14, s3, 0, v22, s3
	s_delay_alu instid0(VALU_DEP_2) | instskip(NEXT) | instid1(VALU_DEP_1)
	v_add_co_u32 v21, s3, 0, v15
	v_add_co_ci_u32_e64 v22, s3, v13, v14, s3
	s_delay_alu instid0(VALU_DEP_1)
	v_mov_b32_e32 v14, v22
; %bb.98:
	s_or_b32 exec_lo, exec_lo, s14
	ds_swizzle_b32 v15, v15 offset:swizzle(BROADCAST,32,15)
	ds_swizzle_b32 v13, v14 offset:swizzle(BROADCAST,32,15)
	v_and_b32_e32 v14, 16, v40
	s_mov_b32 s14, exec_lo
	s_delay_alu instid0(VALU_DEP_1)
	v_cmpx_ne_u32_e32 0, v14
	s_cbranch_execz .LBB382_100
; %bb.99:
	s_waitcnt lgkmcnt(1)
	v_add_co_u32 v14, s3, v21, v15
	s_delay_alu instid0(VALU_DEP_1) | instskip(NEXT) | instid1(VALU_DEP_2)
	v_add_co_ci_u32_e64 v15, s3, 0, v22, s3
	v_add_co_u32 v21, s3, v14, 0
	s_waitcnt lgkmcnt(0)
	s_delay_alu instid0(VALU_DEP_2)
	v_add_co_ci_u32_e64 v22, s3, v15, v13, s3
.LBB382_100:
	s_or_b32 exec_lo, exec_lo, s14
	s_waitcnt lgkmcnt(0)
	v_and_b32_e32 v13, 0x1e0, v0
	v_lshrrev_b32_e32 v15, 5, v0
	s_mov_b32 s14, exec_lo
	s_delay_alu instid0(VALU_DEP_2) | instskip(NEXT) | instid1(VALU_DEP_1)
	v_min_u32_e32 v13, 0x160, v13
	v_or_b32_e32 v13, 31, v13
	s_delay_alu instid0(VALU_DEP_1)
	v_cmpx_eq_u32_e64 v13, v0
	s_cbranch_execz .LBB382_102
; %bb.101:
	v_lshlrev_b32_e32 v13, 3, v15
	ds_store_b64 v13, v[21:22]
.LBB382_102:
	s_or_b32 exec_lo, exec_lo, s14
	s_delay_alu instid0(SALU_CYCLE_1)
	s_mov_b32 s14, exec_lo
	s_waitcnt lgkmcnt(0)
	s_barrier
	buffer_gl0_inv
	v_cmpx_gt_u32_e32 12, v0
	s_cbranch_execz .LBB382_112
; %bb.103:
	v_mad_i32_i24 v13, 0xffffffd8, v0, v35
	ds_load_b64 v[13:14], v13
	s_waitcnt lgkmcnt(0)
	v_mov_b32_dpp v18, v13 row_shr:1 row_mask:0xf bank_mask:0xf
	v_mov_b32_dpp v17, v14 row_shr:1 row_mask:0xf bank_mask:0xf
	v_mov_b32_e32 v16, v13
	s_and_saveexec_b32 s3, s2
; %bb.104:
	s_delay_alu instid0(VALU_DEP_3) | instskip(NEXT) | instid1(VALU_DEP_1)
	v_add_co_u32 v16, s2, v13, v18
	v_add_co_ci_u32_e64 v14, s2, 0, v14, s2
	s_delay_alu instid0(VALU_DEP_2) | instskip(NEXT) | instid1(VALU_DEP_1)
	v_add_co_u32 v13, s2, 0, v16
	v_add_co_ci_u32_e64 v14, s2, v17, v14, s2
; %bb.105:
	s_or_b32 exec_lo, exec_lo, s3
	v_mov_b32_dpp v18, v16 row_shr:2 row_mask:0xf bank_mask:0xf
	s_delay_alu instid0(VALU_DEP_2)
	v_mov_b32_dpp v17, v14 row_shr:2 row_mask:0xf bank_mask:0xf
	s_and_saveexec_b32 s2, vcc_lo
; %bb.106:
	s_delay_alu instid0(VALU_DEP_2) | instskip(SKIP_1) | instid1(VALU_DEP_2)
	v_add_co_u32 v16, vcc_lo, v13, v18
	v_add_co_ci_u32_e32 v14, vcc_lo, 0, v14, vcc_lo
	v_add_co_u32 v13, vcc_lo, 0, v16
	s_delay_alu instid0(VALU_DEP_2)
	v_add_co_ci_u32_e32 v14, vcc_lo, v17, v14, vcc_lo
; %bb.107:
	s_or_b32 exec_lo, exec_lo, s2
	v_mov_b32_dpp v18, v16 row_shr:4 row_mask:0xf bank_mask:0xf
	s_delay_alu instid0(VALU_DEP_2)
	v_mov_b32_dpp v17, v14 row_shr:4 row_mask:0xf bank_mask:0xf
	s_and_saveexec_b32 s2, s0
; %bb.108:
	s_delay_alu instid0(VALU_DEP_2) | instskip(SKIP_1) | instid1(VALU_DEP_2)
	v_add_co_u32 v16, vcc_lo, v13, v18
	v_add_co_ci_u32_e32 v14, vcc_lo, 0, v14, vcc_lo
	v_add_co_u32 v13, vcc_lo, 0, v16
	s_delay_alu instid0(VALU_DEP_2)
	v_add_co_ci_u32_e32 v14, vcc_lo, v17, v14, vcc_lo
; %bb.109:
	s_or_b32 exec_lo, exec_lo, s2
	v_mul_i32_i24_e32 v17, 0xffffffd8, v0
	v_mov_b32_dpp v18, v16 row_shr:8 row_mask:0xf bank_mask:0xf
	s_delay_alu instid0(VALU_DEP_3)
	v_mov_b32_dpp v16, v14 row_shr:8 row_mask:0xf bank_mask:0xf
	s_and_saveexec_b32 s0, s1
; %bb.110:
	s_delay_alu instid0(VALU_DEP_2) | instskip(SKIP_1) | instid1(VALU_DEP_2)
	v_add_co_u32 v13, vcc_lo, v13, v18
	v_add_co_ci_u32_e32 v14, vcc_lo, 0, v14, vcc_lo
	v_add_co_u32 v13, vcc_lo, v13, 0
	s_delay_alu instid0(VALU_DEP_2)
	v_add_co_ci_u32_e32 v14, vcc_lo, v14, v16, vcc_lo
; %bb.111:
	s_or_b32 exec_lo, exec_lo, s0
	v_add_nc_u32_e32 v16, v35, v17
	ds_store_b64 v16, v[13:14]
.LBB382_112:
	s_or_b32 exec_lo, exec_lo, s14
	v_mov_b32_e32 v17, 0
	v_mov_b32_e32 v18, 0
	s_mov_b32 s0, exec_lo
	s_waitcnt lgkmcnt(0)
	s_barrier
	buffer_gl0_inv
	v_cmpx_lt_u32_e32 31, v0
	s_cbranch_execz .LBB382_114
; %bb.113:
	v_lshl_add_u32 v13, v15, 3, -8
	ds_load_b64 v[17:18], v13
.LBB382_114:
	s_or_b32 exec_lo, exec_lo, s0
	v_dual_mov_b32 v16, 0 :: v_dual_add_nc_u32 v13, -1, v40
	s_delay_alu instid0(VALU_DEP_1) | instskip(SKIP_4) | instid1(VALU_DEP_3)
	v_cmp_gt_i32_e32 vcc_lo, 0, v13
	v_cndmask_b32_e32 v13, v13, v40, vcc_lo
	s_waitcnt lgkmcnt(0)
	v_add_co_u32 v14, vcc_lo, v17, v21
	v_add_co_ci_u32_e32 v15, vcc_lo, v18, v22, vcc_lo
	v_lshlrev_b32_e32 v13, 2, v13
	v_cmp_eq_u32_e32 vcc_lo, 0, v0
	ds_bpermute_b32 v19, v13, v14
	ds_bpermute_b32 v20, v13, v15
	ds_load_b64 v[13:14], v16 offset:88
	s_and_saveexec_b32 s0, vcc_lo
	s_cbranch_execz .LBB382_116
; %bb.115:
	s_add_u32 s2, s10, 0x200
	s_addc_u32 s3, s11, 0
	s_delay_alu instid0(SALU_CYCLE_1)
	v_dual_mov_b32 v15, 2 :: v_dual_mov_b32 v22, s3
	v_mov_b32_e32 v21, s2
	s_waitcnt lgkmcnt(0)
	;;#ASMSTART
	global_store_dwordx4 v[21:22], v[13:16] off	
s_waitcnt vmcnt(0)
	;;#ASMEND
.LBB382_116:
	s_or_b32 exec_lo, exec_lo, s0
	v_cmp_eq_u32_e64 s0, 0, v40
	s_waitcnt lgkmcnt(0)
	s_barrier
	buffer_gl0_inv
	v_cndmask_b32_e64 v15, v19, v17, s0
	v_cndmask_b32_e64 v16, v20, v18, s0
	s_delay_alu instid0(VALU_DEP_2) | instskip(NEXT) | instid1(VALU_DEP_2)
	v_cndmask_b32_e64 v29, v15, 0, vcc_lo
	v_cndmask_b32_e64 v30, v16, 0, vcc_lo
	v_mov_b32_e32 v15, 0
	v_mov_b32_e32 v16, 0
	s_delay_alu instid0(VALU_DEP_4) | instskip(NEXT) | instid1(VALU_DEP_4)
	v_add_co_u32 v27, vcc_lo, v29, v39
	v_add_co_ci_u32_e32 v28, vcc_lo, 0, v30, vcc_lo
	s_delay_alu instid0(VALU_DEP_2) | instskip(NEXT) | instid1(VALU_DEP_2)
	v_add_co_u32 v25, vcc_lo, v27, v38
	v_add_co_ci_u32_e32 v26, vcc_lo, 0, v28, vcc_lo
	s_delay_alu instid0(VALU_DEP_2) | instskip(NEXT) | instid1(VALU_DEP_2)
	;; [unrolled: 3-line block ×4, first 2 shown]
	v_add_co_u32 v17, vcc_lo, v19, v36
	v_add_co_ci_u32_e32 v18, vcc_lo, 0, v20, vcc_lo
.LBB382_117:
	s_waitcnt lgkmcnt(0)
	v_cmp_gt_u64_e32 vcc_lo, 0x181, v[13:14]
	v_lshrrev_b32_e32 v36, 8, v34
	v_lshrrev_b32_e32 v35, 16, v34
	s_mov_b32 s0, -1
	s_cbranch_vccnz .LBB382_121
; %bb.118:
	s_and_b32 vcc_lo, exec_lo, s0
	s_cbranch_vccnz .LBB382_140
.LBB382_119:
	v_cmp_eq_u32_e32 vcc_lo, 0, v0
	s_and_b32 s0, vcc_lo, s12
	s_delay_alu instid0(SALU_CYCLE_1)
	s_and_saveexec_b32 s1, s0
	s_cbranch_execnz .LBB382_156
.LBB382_120:
	s_nop 0
	s_sendmsg sendmsg(MSG_DEALLOC_VGPRS)
	s_endpgm
.LBB382_121:
	v_add_co_u32 v21, vcc_lo, v15, v13
	v_add_co_ci_u32_e32 v22, vcc_lo, v16, v14, vcc_lo
	s_lshl_b64 s[0:1], s[6:7], 3
	s_delay_alu instid0(SALU_CYCLE_1) | instskip(NEXT) | instid1(VALU_DEP_1)
	s_add_u32 s0, s4, s0
	v_cmp_lt_u64_e32 vcc_lo, v[29:30], v[21:22]
	s_addc_u32 s1, s5, s1
	s_or_b32 s3, s13, vcc_lo
	s_delay_alu instid0(SALU_CYCLE_1)
	s_and_saveexec_b32 s2, s3
	s_cbranch_execz .LBB382_124
; %bb.122:
	v_and_b32_e32 v37, 1, v34
	s_delay_alu instid0(VALU_DEP_1)
	v_cmp_eq_u32_e32 vcc_lo, 1, v37
	s_and_b32 exec_lo, exec_lo, vcc_lo
	s_cbranch_execz .LBB382_124
; %bb.123:
	v_lshlrev_b64 v[37:38], 3, v[29:30]
	s_delay_alu instid0(VALU_DEP_1) | instskip(NEXT) | instid1(VALU_DEP_2)
	v_add_co_u32 v37, vcc_lo, s0, v37
	v_add_co_ci_u32_e32 v38, vcc_lo, s1, v38, vcc_lo
	global_store_b64 v[37:38], v[9:10], off
.LBB382_124:
	s_or_b32 exec_lo, exec_lo, s2
	v_cmp_lt_u64_e32 vcc_lo, v[27:28], v[21:22]
	s_or_b32 s3, s13, vcc_lo
	s_delay_alu instid0(SALU_CYCLE_1)
	s_and_saveexec_b32 s2, s3
	s_cbranch_execz .LBB382_127
; %bb.125:
	v_and_b32_e32 v30, 1, v36
	s_delay_alu instid0(VALU_DEP_1)
	v_cmp_eq_u32_e32 vcc_lo, 1, v30
	s_and_b32 exec_lo, exec_lo, vcc_lo
	s_cbranch_execz .LBB382_127
; %bb.126:
	v_lshlrev_b64 v[37:38], 3, v[27:28]
	s_delay_alu instid0(VALU_DEP_1) | instskip(NEXT) | instid1(VALU_DEP_2)
	v_add_co_u32 v37, vcc_lo, s0, v37
	v_add_co_ci_u32_e32 v38, vcc_lo, s1, v38, vcc_lo
	global_store_b64 v[37:38], v[11:12], off
.LBB382_127:
	s_or_b32 exec_lo, exec_lo, s2
	v_cmp_lt_u64_e32 vcc_lo, v[25:26], v[21:22]
	;; [unrolled: 19-line block ×5, first 2 shown]
	s_or_b32 s3, s13, vcc_lo
	s_delay_alu instid0(SALU_CYCLE_1)
	s_and_saveexec_b32 s2, s3
	s_cbranch_execz .LBB382_139
; %bb.137:
	v_and_b32_e32 v20, 1, v31
	s_delay_alu instid0(VALU_DEP_1)
	v_cmp_eq_u32_e32 vcc_lo, 1, v20
	s_and_b32 exec_lo, exec_lo, vcc_lo
	s_cbranch_execz .LBB382_139
; %bb.138:
	v_lshlrev_b64 v[20:21], 3, v[17:18]
	s_delay_alu instid0(VALU_DEP_1) | instskip(NEXT) | instid1(VALU_DEP_2)
	v_add_co_u32 v20, vcc_lo, s0, v20
	v_add_co_ci_u32_e32 v21, vcc_lo, s1, v21, vcc_lo
	global_store_b64 v[20:21], v[3:4], off
.LBB382_139:
	s_or_b32 exec_lo, exec_lo, s2
	s_branch .LBB382_119
.LBB382_140:
	v_and_b32_e32 v18, 1, v34
	s_mov_b32 s0, exec_lo
	s_delay_alu instid0(VALU_DEP_1)
	v_cmpx_eq_u32_e32 1, v18
	s_cbranch_execz .LBB382_142
; %bb.141:
	v_sub_nc_u32_e32 v18, v29, v15
	s_delay_alu instid0(VALU_DEP_1)
	v_lshlrev_b32_e32 v18, 3, v18
	ds_store_b64 v18, v[9:10]
.LBB382_142:
	s_or_b32 exec_lo, exec_lo, s0
	v_and_b32_e32 v9, 1, v36
	s_mov_b32 s0, exec_lo
	s_delay_alu instid0(VALU_DEP_1)
	v_cmpx_eq_u32_e32 1, v9
	s_cbranch_execz .LBB382_144
; %bb.143:
	v_sub_nc_u32_e32 v9, v27, v15
	s_delay_alu instid0(VALU_DEP_1)
	v_lshlrev_b32_e32 v9, 3, v9
	ds_store_b64 v9, v[11:12]
.LBB382_144:
	s_or_b32 exec_lo, exec_lo, s0
	;; [unrolled: 12-line block ×6, first 2 shown]
	v_mov_b32_e32 v3, 0
	s_mov_b32 s1, exec_lo
	s_waitcnt lgkmcnt(0)
	s_waitcnt_vscnt null, 0x0
	s_barrier
	buffer_gl0_inv
	v_mov_b32_e32 v1, v3
	s_delay_alu instid0(VALU_DEP_1)
	v_cmpx_gt_u64_e64 v[13:14], v[0:1]
	s_cbranch_execz .LBB382_155
; %bb.153:
	v_lshlrev_b64 v[4:5], 3, v[15:16]
	s_lshl_b64 s[2:3], s[6:7], 3
	v_add_nc_u32_e32 v2, 0x180, v0
	s_delay_alu instid0(VALU_DEP_2) | instskip(NEXT) | instid1(VALU_DEP_3)
	v_add_co_u32 v4, vcc_lo, s4, v4
	v_add_co_ci_u32_e32 v5, vcc_lo, s5, v5, vcc_lo
	s_delay_alu instid0(VALU_DEP_2) | instskip(NEXT) | instid1(VALU_DEP_2)
	v_add_co_u32 v6, vcc_lo, v4, s2
	v_add_co_ci_u32_e32 v7, vcc_lo, s3, v5, vcc_lo
	v_dual_mov_b32 v5, v1 :: v_dual_mov_b32 v4, v0
	s_mov_b32 s2, 0
	.p2align	6
.LBB382_154:                            ; =>This Inner Loop Header: Depth=1
	s_delay_alu instid0(VALU_DEP_1) | instskip(NEXT) | instid1(VALU_DEP_2)
	v_lshlrev_b32_e32 v1, 3, v4
	v_lshlrev_b64 v[10:11], 3, v[4:5]
	v_dual_mov_b32 v5, v3 :: v_dual_mov_b32 v4, v2
	v_cmp_le_u64_e32 vcc_lo, v[13:14], v[2:3]
	v_add_nc_u32_e32 v2, 0x180, v2
	ds_load_b64 v[8:9], v1
	v_add_co_u32 v10, s0, v6, v10
	s_delay_alu instid0(VALU_DEP_1)
	v_add_co_ci_u32_e64 v11, s0, v7, v11, s0
	s_or_b32 s2, vcc_lo, s2
	s_waitcnt lgkmcnt(0)
	global_store_b64 v[10:11], v[8:9], off
	s_and_not1_b32 exec_lo, exec_lo, s2
	s_cbranch_execnz .LBB382_154
.LBB382_155:
	s_or_b32 exec_lo, exec_lo, s1
	v_cmp_eq_u32_e32 vcc_lo, 0, v0
	s_and_b32 s0, vcc_lo, s12
	s_delay_alu instid0(SALU_CYCLE_1)
	s_and_saveexec_b32 s1, s0
	s_cbranch_execz .LBB382_120
.LBB382_156:
	v_add_co_u32 v0, vcc_lo, v15, v13
	v_add_co_ci_u32_e32 v1, vcc_lo, v16, v14, vcc_lo
	v_mov_b32_e32 v2, 0
	s_delay_alu instid0(VALU_DEP_3) | instskip(NEXT) | instid1(VALU_DEP_3)
	v_add_co_u32 v0, vcc_lo, v0, s6
	v_add_co_ci_u32_e32 v1, vcc_lo, s7, v1, vcc_lo
	global_store_b64 v2, v[0:1], s[8:9]
	s_nop 0
	s_sendmsg sendmsg(MSG_DEALLOC_VGPRS)
	s_endpgm
	.section	.rodata,"a",@progbits
	.p2align	6, 0x0
	.amdhsa_kernel _ZN7rocprim17ROCPRIM_400000_NS6detail17trampoline_kernelINS0_14default_configENS1_25partition_config_selectorILNS1_17partition_subalgoE6ExNS0_10empty_typeEbEEZZNS1_14partition_implILS5_6ELb0ES3_mN6thrust23THRUST_200600_302600_NS6detail15normal_iteratorINSA_10device_ptrIxEEEEPS6_SG_NS0_5tupleIJSF_S6_EEENSH_IJSG_SG_EEES6_PlJ7is_evenIxEEEE10hipError_tPvRmT3_T4_T5_T6_T7_T9_mT8_P12ihipStream_tbDpT10_ENKUlT_T0_E_clISt17integral_constantIbLb1EES15_IbLb0EEEEDaS11_S12_EUlS11_E_NS1_11comp_targetILNS1_3genE9ELNS1_11target_archE1100ELNS1_3gpuE3ELNS1_3repE0EEENS1_30default_config_static_selectorELNS0_4arch9wavefront6targetE0EEEvT1_
		.amdhsa_group_segment_fixed_size 18448
		.amdhsa_private_segment_fixed_size 0
		.amdhsa_kernarg_size 112
		.amdhsa_user_sgpr_count 15
		.amdhsa_user_sgpr_dispatch_ptr 0
		.amdhsa_user_sgpr_queue_ptr 0
		.amdhsa_user_sgpr_kernarg_segment_ptr 1
		.amdhsa_user_sgpr_dispatch_id 0
		.amdhsa_user_sgpr_private_segment_size 0
		.amdhsa_wavefront_size32 1
		.amdhsa_uses_dynamic_stack 0
		.amdhsa_enable_private_segment 0
		.amdhsa_system_sgpr_workgroup_id_x 1
		.amdhsa_system_sgpr_workgroup_id_y 0
		.amdhsa_system_sgpr_workgroup_id_z 0
		.amdhsa_system_sgpr_workgroup_info 0
		.amdhsa_system_vgpr_workitem_id 0
		.amdhsa_next_free_vgpr 54
		.amdhsa_next_free_sgpr 20
		.amdhsa_reserve_vcc 1
		.amdhsa_float_round_mode_32 0
		.amdhsa_float_round_mode_16_64 0
		.amdhsa_float_denorm_mode_32 3
		.amdhsa_float_denorm_mode_16_64 3
		.amdhsa_dx10_clamp 1
		.amdhsa_ieee_mode 1
		.amdhsa_fp16_overflow 0
		.amdhsa_workgroup_processor_mode 1
		.amdhsa_memory_ordered 1
		.amdhsa_forward_progress 0
		.amdhsa_shared_vgpr_count 0
		.amdhsa_exception_fp_ieee_invalid_op 0
		.amdhsa_exception_fp_denorm_src 0
		.amdhsa_exception_fp_ieee_div_zero 0
		.amdhsa_exception_fp_ieee_overflow 0
		.amdhsa_exception_fp_ieee_underflow 0
		.amdhsa_exception_fp_ieee_inexact 0
		.amdhsa_exception_int_div_zero 0
	.end_amdhsa_kernel
	.section	.text._ZN7rocprim17ROCPRIM_400000_NS6detail17trampoline_kernelINS0_14default_configENS1_25partition_config_selectorILNS1_17partition_subalgoE6ExNS0_10empty_typeEbEEZZNS1_14partition_implILS5_6ELb0ES3_mN6thrust23THRUST_200600_302600_NS6detail15normal_iteratorINSA_10device_ptrIxEEEEPS6_SG_NS0_5tupleIJSF_S6_EEENSH_IJSG_SG_EEES6_PlJ7is_evenIxEEEE10hipError_tPvRmT3_T4_T5_T6_T7_T9_mT8_P12ihipStream_tbDpT10_ENKUlT_T0_E_clISt17integral_constantIbLb1EES15_IbLb0EEEEDaS11_S12_EUlS11_E_NS1_11comp_targetILNS1_3genE9ELNS1_11target_archE1100ELNS1_3gpuE3ELNS1_3repE0EEENS1_30default_config_static_selectorELNS0_4arch9wavefront6targetE0EEEvT1_,"axG",@progbits,_ZN7rocprim17ROCPRIM_400000_NS6detail17trampoline_kernelINS0_14default_configENS1_25partition_config_selectorILNS1_17partition_subalgoE6ExNS0_10empty_typeEbEEZZNS1_14partition_implILS5_6ELb0ES3_mN6thrust23THRUST_200600_302600_NS6detail15normal_iteratorINSA_10device_ptrIxEEEEPS6_SG_NS0_5tupleIJSF_S6_EEENSH_IJSG_SG_EEES6_PlJ7is_evenIxEEEE10hipError_tPvRmT3_T4_T5_T6_T7_T9_mT8_P12ihipStream_tbDpT10_ENKUlT_T0_E_clISt17integral_constantIbLb1EES15_IbLb0EEEEDaS11_S12_EUlS11_E_NS1_11comp_targetILNS1_3genE9ELNS1_11target_archE1100ELNS1_3gpuE3ELNS1_3repE0EEENS1_30default_config_static_selectorELNS0_4arch9wavefront6targetE0EEEvT1_,comdat
.Lfunc_end382:
	.size	_ZN7rocprim17ROCPRIM_400000_NS6detail17trampoline_kernelINS0_14default_configENS1_25partition_config_selectorILNS1_17partition_subalgoE6ExNS0_10empty_typeEbEEZZNS1_14partition_implILS5_6ELb0ES3_mN6thrust23THRUST_200600_302600_NS6detail15normal_iteratorINSA_10device_ptrIxEEEEPS6_SG_NS0_5tupleIJSF_S6_EEENSH_IJSG_SG_EEES6_PlJ7is_evenIxEEEE10hipError_tPvRmT3_T4_T5_T6_T7_T9_mT8_P12ihipStream_tbDpT10_ENKUlT_T0_E_clISt17integral_constantIbLb1EES15_IbLb0EEEEDaS11_S12_EUlS11_E_NS1_11comp_targetILNS1_3genE9ELNS1_11target_archE1100ELNS1_3gpuE3ELNS1_3repE0EEENS1_30default_config_static_selectorELNS0_4arch9wavefront6targetE0EEEvT1_, .Lfunc_end382-_ZN7rocprim17ROCPRIM_400000_NS6detail17trampoline_kernelINS0_14default_configENS1_25partition_config_selectorILNS1_17partition_subalgoE6ExNS0_10empty_typeEbEEZZNS1_14partition_implILS5_6ELb0ES3_mN6thrust23THRUST_200600_302600_NS6detail15normal_iteratorINSA_10device_ptrIxEEEEPS6_SG_NS0_5tupleIJSF_S6_EEENSH_IJSG_SG_EEES6_PlJ7is_evenIxEEEE10hipError_tPvRmT3_T4_T5_T6_T7_T9_mT8_P12ihipStream_tbDpT10_ENKUlT_T0_E_clISt17integral_constantIbLb1EES15_IbLb0EEEEDaS11_S12_EUlS11_E_NS1_11comp_targetILNS1_3genE9ELNS1_11target_archE1100ELNS1_3gpuE3ELNS1_3repE0EEENS1_30default_config_static_selectorELNS0_4arch9wavefront6targetE0EEEvT1_
                                        ; -- End function
	.section	.AMDGPU.csdata,"",@progbits
; Kernel info:
; codeLenInByte = 6624
; NumSgprs: 22
; NumVgprs: 54
; ScratchSize: 0
; MemoryBound: 0
; FloatMode: 240
; IeeeMode: 1
; LDSByteSize: 18448 bytes/workgroup (compile time only)
; SGPRBlocks: 2
; VGPRBlocks: 6
; NumSGPRsForWavesPerEU: 22
; NumVGPRsForWavesPerEU: 54
; Occupancy: 15
; WaveLimiterHint : 1
; COMPUTE_PGM_RSRC2:SCRATCH_EN: 0
; COMPUTE_PGM_RSRC2:USER_SGPR: 15
; COMPUTE_PGM_RSRC2:TRAP_HANDLER: 0
; COMPUTE_PGM_RSRC2:TGID_X_EN: 1
; COMPUTE_PGM_RSRC2:TGID_Y_EN: 0
; COMPUTE_PGM_RSRC2:TGID_Z_EN: 0
; COMPUTE_PGM_RSRC2:TIDIG_COMP_CNT: 0
	.section	.text._ZN7rocprim17ROCPRIM_400000_NS6detail17trampoline_kernelINS0_14default_configENS1_25partition_config_selectorILNS1_17partition_subalgoE6ExNS0_10empty_typeEbEEZZNS1_14partition_implILS5_6ELb0ES3_mN6thrust23THRUST_200600_302600_NS6detail15normal_iteratorINSA_10device_ptrIxEEEEPS6_SG_NS0_5tupleIJSF_S6_EEENSH_IJSG_SG_EEES6_PlJ7is_evenIxEEEE10hipError_tPvRmT3_T4_T5_T6_T7_T9_mT8_P12ihipStream_tbDpT10_ENKUlT_T0_E_clISt17integral_constantIbLb1EES15_IbLb0EEEEDaS11_S12_EUlS11_E_NS1_11comp_targetILNS1_3genE8ELNS1_11target_archE1030ELNS1_3gpuE2ELNS1_3repE0EEENS1_30default_config_static_selectorELNS0_4arch9wavefront6targetE0EEEvT1_,"axG",@progbits,_ZN7rocprim17ROCPRIM_400000_NS6detail17trampoline_kernelINS0_14default_configENS1_25partition_config_selectorILNS1_17partition_subalgoE6ExNS0_10empty_typeEbEEZZNS1_14partition_implILS5_6ELb0ES3_mN6thrust23THRUST_200600_302600_NS6detail15normal_iteratorINSA_10device_ptrIxEEEEPS6_SG_NS0_5tupleIJSF_S6_EEENSH_IJSG_SG_EEES6_PlJ7is_evenIxEEEE10hipError_tPvRmT3_T4_T5_T6_T7_T9_mT8_P12ihipStream_tbDpT10_ENKUlT_T0_E_clISt17integral_constantIbLb1EES15_IbLb0EEEEDaS11_S12_EUlS11_E_NS1_11comp_targetILNS1_3genE8ELNS1_11target_archE1030ELNS1_3gpuE2ELNS1_3repE0EEENS1_30default_config_static_selectorELNS0_4arch9wavefront6targetE0EEEvT1_,comdat
	.protected	_ZN7rocprim17ROCPRIM_400000_NS6detail17trampoline_kernelINS0_14default_configENS1_25partition_config_selectorILNS1_17partition_subalgoE6ExNS0_10empty_typeEbEEZZNS1_14partition_implILS5_6ELb0ES3_mN6thrust23THRUST_200600_302600_NS6detail15normal_iteratorINSA_10device_ptrIxEEEEPS6_SG_NS0_5tupleIJSF_S6_EEENSH_IJSG_SG_EEES6_PlJ7is_evenIxEEEE10hipError_tPvRmT3_T4_T5_T6_T7_T9_mT8_P12ihipStream_tbDpT10_ENKUlT_T0_E_clISt17integral_constantIbLb1EES15_IbLb0EEEEDaS11_S12_EUlS11_E_NS1_11comp_targetILNS1_3genE8ELNS1_11target_archE1030ELNS1_3gpuE2ELNS1_3repE0EEENS1_30default_config_static_selectorELNS0_4arch9wavefront6targetE0EEEvT1_ ; -- Begin function _ZN7rocprim17ROCPRIM_400000_NS6detail17trampoline_kernelINS0_14default_configENS1_25partition_config_selectorILNS1_17partition_subalgoE6ExNS0_10empty_typeEbEEZZNS1_14partition_implILS5_6ELb0ES3_mN6thrust23THRUST_200600_302600_NS6detail15normal_iteratorINSA_10device_ptrIxEEEEPS6_SG_NS0_5tupleIJSF_S6_EEENSH_IJSG_SG_EEES6_PlJ7is_evenIxEEEE10hipError_tPvRmT3_T4_T5_T6_T7_T9_mT8_P12ihipStream_tbDpT10_ENKUlT_T0_E_clISt17integral_constantIbLb1EES15_IbLb0EEEEDaS11_S12_EUlS11_E_NS1_11comp_targetILNS1_3genE8ELNS1_11target_archE1030ELNS1_3gpuE2ELNS1_3repE0EEENS1_30default_config_static_selectorELNS0_4arch9wavefront6targetE0EEEvT1_
	.globl	_ZN7rocprim17ROCPRIM_400000_NS6detail17trampoline_kernelINS0_14default_configENS1_25partition_config_selectorILNS1_17partition_subalgoE6ExNS0_10empty_typeEbEEZZNS1_14partition_implILS5_6ELb0ES3_mN6thrust23THRUST_200600_302600_NS6detail15normal_iteratorINSA_10device_ptrIxEEEEPS6_SG_NS0_5tupleIJSF_S6_EEENSH_IJSG_SG_EEES6_PlJ7is_evenIxEEEE10hipError_tPvRmT3_T4_T5_T6_T7_T9_mT8_P12ihipStream_tbDpT10_ENKUlT_T0_E_clISt17integral_constantIbLb1EES15_IbLb0EEEEDaS11_S12_EUlS11_E_NS1_11comp_targetILNS1_3genE8ELNS1_11target_archE1030ELNS1_3gpuE2ELNS1_3repE0EEENS1_30default_config_static_selectorELNS0_4arch9wavefront6targetE0EEEvT1_
	.p2align	8
	.type	_ZN7rocprim17ROCPRIM_400000_NS6detail17trampoline_kernelINS0_14default_configENS1_25partition_config_selectorILNS1_17partition_subalgoE6ExNS0_10empty_typeEbEEZZNS1_14partition_implILS5_6ELb0ES3_mN6thrust23THRUST_200600_302600_NS6detail15normal_iteratorINSA_10device_ptrIxEEEEPS6_SG_NS0_5tupleIJSF_S6_EEENSH_IJSG_SG_EEES6_PlJ7is_evenIxEEEE10hipError_tPvRmT3_T4_T5_T6_T7_T9_mT8_P12ihipStream_tbDpT10_ENKUlT_T0_E_clISt17integral_constantIbLb1EES15_IbLb0EEEEDaS11_S12_EUlS11_E_NS1_11comp_targetILNS1_3genE8ELNS1_11target_archE1030ELNS1_3gpuE2ELNS1_3repE0EEENS1_30default_config_static_selectorELNS0_4arch9wavefront6targetE0EEEvT1_,@function
_ZN7rocprim17ROCPRIM_400000_NS6detail17trampoline_kernelINS0_14default_configENS1_25partition_config_selectorILNS1_17partition_subalgoE6ExNS0_10empty_typeEbEEZZNS1_14partition_implILS5_6ELb0ES3_mN6thrust23THRUST_200600_302600_NS6detail15normal_iteratorINSA_10device_ptrIxEEEEPS6_SG_NS0_5tupleIJSF_S6_EEENSH_IJSG_SG_EEES6_PlJ7is_evenIxEEEE10hipError_tPvRmT3_T4_T5_T6_T7_T9_mT8_P12ihipStream_tbDpT10_ENKUlT_T0_E_clISt17integral_constantIbLb1EES15_IbLb0EEEEDaS11_S12_EUlS11_E_NS1_11comp_targetILNS1_3genE8ELNS1_11target_archE1030ELNS1_3gpuE2ELNS1_3repE0EEENS1_30default_config_static_selectorELNS0_4arch9wavefront6targetE0EEEvT1_: ; @_ZN7rocprim17ROCPRIM_400000_NS6detail17trampoline_kernelINS0_14default_configENS1_25partition_config_selectorILNS1_17partition_subalgoE6ExNS0_10empty_typeEbEEZZNS1_14partition_implILS5_6ELb0ES3_mN6thrust23THRUST_200600_302600_NS6detail15normal_iteratorINSA_10device_ptrIxEEEEPS6_SG_NS0_5tupleIJSF_S6_EEENSH_IJSG_SG_EEES6_PlJ7is_evenIxEEEE10hipError_tPvRmT3_T4_T5_T6_T7_T9_mT8_P12ihipStream_tbDpT10_ENKUlT_T0_E_clISt17integral_constantIbLb1EES15_IbLb0EEEEDaS11_S12_EUlS11_E_NS1_11comp_targetILNS1_3genE8ELNS1_11target_archE1030ELNS1_3gpuE2ELNS1_3repE0EEENS1_30default_config_static_selectorELNS0_4arch9wavefront6targetE0EEEvT1_
; %bb.0:
	.section	.rodata,"a",@progbits
	.p2align	6, 0x0
	.amdhsa_kernel _ZN7rocprim17ROCPRIM_400000_NS6detail17trampoline_kernelINS0_14default_configENS1_25partition_config_selectorILNS1_17partition_subalgoE6ExNS0_10empty_typeEbEEZZNS1_14partition_implILS5_6ELb0ES3_mN6thrust23THRUST_200600_302600_NS6detail15normal_iteratorINSA_10device_ptrIxEEEEPS6_SG_NS0_5tupleIJSF_S6_EEENSH_IJSG_SG_EEES6_PlJ7is_evenIxEEEE10hipError_tPvRmT3_T4_T5_T6_T7_T9_mT8_P12ihipStream_tbDpT10_ENKUlT_T0_E_clISt17integral_constantIbLb1EES15_IbLb0EEEEDaS11_S12_EUlS11_E_NS1_11comp_targetILNS1_3genE8ELNS1_11target_archE1030ELNS1_3gpuE2ELNS1_3repE0EEENS1_30default_config_static_selectorELNS0_4arch9wavefront6targetE0EEEvT1_
		.amdhsa_group_segment_fixed_size 0
		.amdhsa_private_segment_fixed_size 0
		.amdhsa_kernarg_size 112
		.amdhsa_user_sgpr_count 15
		.amdhsa_user_sgpr_dispatch_ptr 0
		.amdhsa_user_sgpr_queue_ptr 0
		.amdhsa_user_sgpr_kernarg_segment_ptr 1
		.amdhsa_user_sgpr_dispatch_id 0
		.amdhsa_user_sgpr_private_segment_size 0
		.amdhsa_wavefront_size32 1
		.amdhsa_uses_dynamic_stack 0
		.amdhsa_enable_private_segment 0
		.amdhsa_system_sgpr_workgroup_id_x 1
		.amdhsa_system_sgpr_workgroup_id_y 0
		.amdhsa_system_sgpr_workgroup_id_z 0
		.amdhsa_system_sgpr_workgroup_info 0
		.amdhsa_system_vgpr_workitem_id 0
		.amdhsa_next_free_vgpr 1
		.amdhsa_next_free_sgpr 1
		.amdhsa_reserve_vcc 0
		.amdhsa_float_round_mode_32 0
		.amdhsa_float_round_mode_16_64 0
		.amdhsa_float_denorm_mode_32 3
		.amdhsa_float_denorm_mode_16_64 3
		.amdhsa_dx10_clamp 1
		.amdhsa_ieee_mode 1
		.amdhsa_fp16_overflow 0
		.amdhsa_workgroup_processor_mode 1
		.amdhsa_memory_ordered 1
		.amdhsa_forward_progress 0
		.amdhsa_shared_vgpr_count 0
		.amdhsa_exception_fp_ieee_invalid_op 0
		.amdhsa_exception_fp_denorm_src 0
		.amdhsa_exception_fp_ieee_div_zero 0
		.amdhsa_exception_fp_ieee_overflow 0
		.amdhsa_exception_fp_ieee_underflow 0
		.amdhsa_exception_fp_ieee_inexact 0
		.amdhsa_exception_int_div_zero 0
	.end_amdhsa_kernel
	.section	.text._ZN7rocprim17ROCPRIM_400000_NS6detail17trampoline_kernelINS0_14default_configENS1_25partition_config_selectorILNS1_17partition_subalgoE6ExNS0_10empty_typeEbEEZZNS1_14partition_implILS5_6ELb0ES3_mN6thrust23THRUST_200600_302600_NS6detail15normal_iteratorINSA_10device_ptrIxEEEEPS6_SG_NS0_5tupleIJSF_S6_EEENSH_IJSG_SG_EEES6_PlJ7is_evenIxEEEE10hipError_tPvRmT3_T4_T5_T6_T7_T9_mT8_P12ihipStream_tbDpT10_ENKUlT_T0_E_clISt17integral_constantIbLb1EES15_IbLb0EEEEDaS11_S12_EUlS11_E_NS1_11comp_targetILNS1_3genE8ELNS1_11target_archE1030ELNS1_3gpuE2ELNS1_3repE0EEENS1_30default_config_static_selectorELNS0_4arch9wavefront6targetE0EEEvT1_,"axG",@progbits,_ZN7rocprim17ROCPRIM_400000_NS6detail17trampoline_kernelINS0_14default_configENS1_25partition_config_selectorILNS1_17partition_subalgoE6ExNS0_10empty_typeEbEEZZNS1_14partition_implILS5_6ELb0ES3_mN6thrust23THRUST_200600_302600_NS6detail15normal_iteratorINSA_10device_ptrIxEEEEPS6_SG_NS0_5tupleIJSF_S6_EEENSH_IJSG_SG_EEES6_PlJ7is_evenIxEEEE10hipError_tPvRmT3_T4_T5_T6_T7_T9_mT8_P12ihipStream_tbDpT10_ENKUlT_T0_E_clISt17integral_constantIbLb1EES15_IbLb0EEEEDaS11_S12_EUlS11_E_NS1_11comp_targetILNS1_3genE8ELNS1_11target_archE1030ELNS1_3gpuE2ELNS1_3repE0EEENS1_30default_config_static_selectorELNS0_4arch9wavefront6targetE0EEEvT1_,comdat
.Lfunc_end383:
	.size	_ZN7rocprim17ROCPRIM_400000_NS6detail17trampoline_kernelINS0_14default_configENS1_25partition_config_selectorILNS1_17partition_subalgoE6ExNS0_10empty_typeEbEEZZNS1_14partition_implILS5_6ELb0ES3_mN6thrust23THRUST_200600_302600_NS6detail15normal_iteratorINSA_10device_ptrIxEEEEPS6_SG_NS0_5tupleIJSF_S6_EEENSH_IJSG_SG_EEES6_PlJ7is_evenIxEEEE10hipError_tPvRmT3_T4_T5_T6_T7_T9_mT8_P12ihipStream_tbDpT10_ENKUlT_T0_E_clISt17integral_constantIbLb1EES15_IbLb0EEEEDaS11_S12_EUlS11_E_NS1_11comp_targetILNS1_3genE8ELNS1_11target_archE1030ELNS1_3gpuE2ELNS1_3repE0EEENS1_30default_config_static_selectorELNS0_4arch9wavefront6targetE0EEEvT1_, .Lfunc_end383-_ZN7rocprim17ROCPRIM_400000_NS6detail17trampoline_kernelINS0_14default_configENS1_25partition_config_selectorILNS1_17partition_subalgoE6ExNS0_10empty_typeEbEEZZNS1_14partition_implILS5_6ELb0ES3_mN6thrust23THRUST_200600_302600_NS6detail15normal_iteratorINSA_10device_ptrIxEEEEPS6_SG_NS0_5tupleIJSF_S6_EEENSH_IJSG_SG_EEES6_PlJ7is_evenIxEEEE10hipError_tPvRmT3_T4_T5_T6_T7_T9_mT8_P12ihipStream_tbDpT10_ENKUlT_T0_E_clISt17integral_constantIbLb1EES15_IbLb0EEEEDaS11_S12_EUlS11_E_NS1_11comp_targetILNS1_3genE8ELNS1_11target_archE1030ELNS1_3gpuE2ELNS1_3repE0EEENS1_30default_config_static_selectorELNS0_4arch9wavefront6targetE0EEEvT1_
                                        ; -- End function
	.section	.AMDGPU.csdata,"",@progbits
; Kernel info:
; codeLenInByte = 0
; NumSgprs: 0
; NumVgprs: 0
; ScratchSize: 0
; MemoryBound: 0
; FloatMode: 240
; IeeeMode: 1
; LDSByteSize: 0 bytes/workgroup (compile time only)
; SGPRBlocks: 0
; VGPRBlocks: 0
; NumSGPRsForWavesPerEU: 1
; NumVGPRsForWavesPerEU: 1
; Occupancy: 16
; WaveLimiterHint : 0
; COMPUTE_PGM_RSRC2:SCRATCH_EN: 0
; COMPUTE_PGM_RSRC2:USER_SGPR: 15
; COMPUTE_PGM_RSRC2:TRAP_HANDLER: 0
; COMPUTE_PGM_RSRC2:TGID_X_EN: 1
; COMPUTE_PGM_RSRC2:TGID_Y_EN: 0
; COMPUTE_PGM_RSRC2:TGID_Z_EN: 0
; COMPUTE_PGM_RSRC2:TIDIG_COMP_CNT: 0
	.section	.text._ZN7rocprim17ROCPRIM_400000_NS6detail17trampoline_kernelINS0_14default_configENS1_25partition_config_selectorILNS1_17partition_subalgoE6ExNS0_10empty_typeEbEEZZNS1_14partition_implILS5_6ELb0ES3_mN6thrust23THRUST_200600_302600_NS6detail15normal_iteratorINSA_10device_ptrIxEEEEPS6_SG_NS0_5tupleIJSF_S6_EEENSH_IJSG_SG_EEES6_PlJ7is_evenIxEEEE10hipError_tPvRmT3_T4_T5_T6_T7_T9_mT8_P12ihipStream_tbDpT10_ENKUlT_T0_E_clISt17integral_constantIbLb0EES15_IbLb1EEEEDaS11_S12_EUlS11_E_NS1_11comp_targetILNS1_3genE0ELNS1_11target_archE4294967295ELNS1_3gpuE0ELNS1_3repE0EEENS1_30default_config_static_selectorELNS0_4arch9wavefront6targetE0EEEvT1_,"axG",@progbits,_ZN7rocprim17ROCPRIM_400000_NS6detail17trampoline_kernelINS0_14default_configENS1_25partition_config_selectorILNS1_17partition_subalgoE6ExNS0_10empty_typeEbEEZZNS1_14partition_implILS5_6ELb0ES3_mN6thrust23THRUST_200600_302600_NS6detail15normal_iteratorINSA_10device_ptrIxEEEEPS6_SG_NS0_5tupleIJSF_S6_EEENSH_IJSG_SG_EEES6_PlJ7is_evenIxEEEE10hipError_tPvRmT3_T4_T5_T6_T7_T9_mT8_P12ihipStream_tbDpT10_ENKUlT_T0_E_clISt17integral_constantIbLb0EES15_IbLb1EEEEDaS11_S12_EUlS11_E_NS1_11comp_targetILNS1_3genE0ELNS1_11target_archE4294967295ELNS1_3gpuE0ELNS1_3repE0EEENS1_30default_config_static_selectorELNS0_4arch9wavefront6targetE0EEEvT1_,comdat
	.protected	_ZN7rocprim17ROCPRIM_400000_NS6detail17trampoline_kernelINS0_14default_configENS1_25partition_config_selectorILNS1_17partition_subalgoE6ExNS0_10empty_typeEbEEZZNS1_14partition_implILS5_6ELb0ES3_mN6thrust23THRUST_200600_302600_NS6detail15normal_iteratorINSA_10device_ptrIxEEEEPS6_SG_NS0_5tupleIJSF_S6_EEENSH_IJSG_SG_EEES6_PlJ7is_evenIxEEEE10hipError_tPvRmT3_T4_T5_T6_T7_T9_mT8_P12ihipStream_tbDpT10_ENKUlT_T0_E_clISt17integral_constantIbLb0EES15_IbLb1EEEEDaS11_S12_EUlS11_E_NS1_11comp_targetILNS1_3genE0ELNS1_11target_archE4294967295ELNS1_3gpuE0ELNS1_3repE0EEENS1_30default_config_static_selectorELNS0_4arch9wavefront6targetE0EEEvT1_ ; -- Begin function _ZN7rocprim17ROCPRIM_400000_NS6detail17trampoline_kernelINS0_14default_configENS1_25partition_config_selectorILNS1_17partition_subalgoE6ExNS0_10empty_typeEbEEZZNS1_14partition_implILS5_6ELb0ES3_mN6thrust23THRUST_200600_302600_NS6detail15normal_iteratorINSA_10device_ptrIxEEEEPS6_SG_NS0_5tupleIJSF_S6_EEENSH_IJSG_SG_EEES6_PlJ7is_evenIxEEEE10hipError_tPvRmT3_T4_T5_T6_T7_T9_mT8_P12ihipStream_tbDpT10_ENKUlT_T0_E_clISt17integral_constantIbLb0EES15_IbLb1EEEEDaS11_S12_EUlS11_E_NS1_11comp_targetILNS1_3genE0ELNS1_11target_archE4294967295ELNS1_3gpuE0ELNS1_3repE0EEENS1_30default_config_static_selectorELNS0_4arch9wavefront6targetE0EEEvT1_
	.globl	_ZN7rocprim17ROCPRIM_400000_NS6detail17trampoline_kernelINS0_14default_configENS1_25partition_config_selectorILNS1_17partition_subalgoE6ExNS0_10empty_typeEbEEZZNS1_14partition_implILS5_6ELb0ES3_mN6thrust23THRUST_200600_302600_NS6detail15normal_iteratorINSA_10device_ptrIxEEEEPS6_SG_NS0_5tupleIJSF_S6_EEENSH_IJSG_SG_EEES6_PlJ7is_evenIxEEEE10hipError_tPvRmT3_T4_T5_T6_T7_T9_mT8_P12ihipStream_tbDpT10_ENKUlT_T0_E_clISt17integral_constantIbLb0EES15_IbLb1EEEEDaS11_S12_EUlS11_E_NS1_11comp_targetILNS1_3genE0ELNS1_11target_archE4294967295ELNS1_3gpuE0ELNS1_3repE0EEENS1_30default_config_static_selectorELNS0_4arch9wavefront6targetE0EEEvT1_
	.p2align	8
	.type	_ZN7rocprim17ROCPRIM_400000_NS6detail17trampoline_kernelINS0_14default_configENS1_25partition_config_selectorILNS1_17partition_subalgoE6ExNS0_10empty_typeEbEEZZNS1_14partition_implILS5_6ELb0ES3_mN6thrust23THRUST_200600_302600_NS6detail15normal_iteratorINSA_10device_ptrIxEEEEPS6_SG_NS0_5tupleIJSF_S6_EEENSH_IJSG_SG_EEES6_PlJ7is_evenIxEEEE10hipError_tPvRmT3_T4_T5_T6_T7_T9_mT8_P12ihipStream_tbDpT10_ENKUlT_T0_E_clISt17integral_constantIbLb0EES15_IbLb1EEEEDaS11_S12_EUlS11_E_NS1_11comp_targetILNS1_3genE0ELNS1_11target_archE4294967295ELNS1_3gpuE0ELNS1_3repE0EEENS1_30default_config_static_selectorELNS0_4arch9wavefront6targetE0EEEvT1_,@function
_ZN7rocprim17ROCPRIM_400000_NS6detail17trampoline_kernelINS0_14default_configENS1_25partition_config_selectorILNS1_17partition_subalgoE6ExNS0_10empty_typeEbEEZZNS1_14partition_implILS5_6ELb0ES3_mN6thrust23THRUST_200600_302600_NS6detail15normal_iteratorINSA_10device_ptrIxEEEEPS6_SG_NS0_5tupleIJSF_S6_EEENSH_IJSG_SG_EEES6_PlJ7is_evenIxEEEE10hipError_tPvRmT3_T4_T5_T6_T7_T9_mT8_P12ihipStream_tbDpT10_ENKUlT_T0_E_clISt17integral_constantIbLb0EES15_IbLb1EEEEDaS11_S12_EUlS11_E_NS1_11comp_targetILNS1_3genE0ELNS1_11target_archE4294967295ELNS1_3gpuE0ELNS1_3repE0EEENS1_30default_config_static_selectorELNS0_4arch9wavefront6targetE0EEEvT1_: ; @_ZN7rocprim17ROCPRIM_400000_NS6detail17trampoline_kernelINS0_14default_configENS1_25partition_config_selectorILNS1_17partition_subalgoE6ExNS0_10empty_typeEbEEZZNS1_14partition_implILS5_6ELb0ES3_mN6thrust23THRUST_200600_302600_NS6detail15normal_iteratorINSA_10device_ptrIxEEEEPS6_SG_NS0_5tupleIJSF_S6_EEENSH_IJSG_SG_EEES6_PlJ7is_evenIxEEEE10hipError_tPvRmT3_T4_T5_T6_T7_T9_mT8_P12ihipStream_tbDpT10_ENKUlT_T0_E_clISt17integral_constantIbLb0EES15_IbLb1EEEEDaS11_S12_EUlS11_E_NS1_11comp_targetILNS1_3genE0ELNS1_11target_archE4294967295ELNS1_3gpuE0ELNS1_3repE0EEENS1_30default_config_static_selectorELNS0_4arch9wavefront6targetE0EEEvT1_
; %bb.0:
	.section	.rodata,"a",@progbits
	.p2align	6, 0x0
	.amdhsa_kernel _ZN7rocprim17ROCPRIM_400000_NS6detail17trampoline_kernelINS0_14default_configENS1_25partition_config_selectorILNS1_17partition_subalgoE6ExNS0_10empty_typeEbEEZZNS1_14partition_implILS5_6ELb0ES3_mN6thrust23THRUST_200600_302600_NS6detail15normal_iteratorINSA_10device_ptrIxEEEEPS6_SG_NS0_5tupleIJSF_S6_EEENSH_IJSG_SG_EEES6_PlJ7is_evenIxEEEE10hipError_tPvRmT3_T4_T5_T6_T7_T9_mT8_P12ihipStream_tbDpT10_ENKUlT_T0_E_clISt17integral_constantIbLb0EES15_IbLb1EEEEDaS11_S12_EUlS11_E_NS1_11comp_targetILNS1_3genE0ELNS1_11target_archE4294967295ELNS1_3gpuE0ELNS1_3repE0EEENS1_30default_config_static_selectorELNS0_4arch9wavefront6targetE0EEEvT1_
		.amdhsa_group_segment_fixed_size 0
		.amdhsa_private_segment_fixed_size 0
		.amdhsa_kernarg_size 128
		.amdhsa_user_sgpr_count 15
		.amdhsa_user_sgpr_dispatch_ptr 0
		.amdhsa_user_sgpr_queue_ptr 0
		.amdhsa_user_sgpr_kernarg_segment_ptr 1
		.amdhsa_user_sgpr_dispatch_id 0
		.amdhsa_user_sgpr_private_segment_size 0
		.amdhsa_wavefront_size32 1
		.amdhsa_uses_dynamic_stack 0
		.amdhsa_enable_private_segment 0
		.amdhsa_system_sgpr_workgroup_id_x 1
		.amdhsa_system_sgpr_workgroup_id_y 0
		.amdhsa_system_sgpr_workgroup_id_z 0
		.amdhsa_system_sgpr_workgroup_info 0
		.amdhsa_system_vgpr_workitem_id 0
		.amdhsa_next_free_vgpr 1
		.amdhsa_next_free_sgpr 1
		.amdhsa_reserve_vcc 0
		.amdhsa_float_round_mode_32 0
		.amdhsa_float_round_mode_16_64 0
		.amdhsa_float_denorm_mode_32 3
		.amdhsa_float_denorm_mode_16_64 3
		.amdhsa_dx10_clamp 1
		.amdhsa_ieee_mode 1
		.amdhsa_fp16_overflow 0
		.amdhsa_workgroup_processor_mode 1
		.amdhsa_memory_ordered 1
		.amdhsa_forward_progress 0
		.amdhsa_shared_vgpr_count 0
		.amdhsa_exception_fp_ieee_invalid_op 0
		.amdhsa_exception_fp_denorm_src 0
		.amdhsa_exception_fp_ieee_div_zero 0
		.amdhsa_exception_fp_ieee_overflow 0
		.amdhsa_exception_fp_ieee_underflow 0
		.amdhsa_exception_fp_ieee_inexact 0
		.amdhsa_exception_int_div_zero 0
	.end_amdhsa_kernel
	.section	.text._ZN7rocprim17ROCPRIM_400000_NS6detail17trampoline_kernelINS0_14default_configENS1_25partition_config_selectorILNS1_17partition_subalgoE6ExNS0_10empty_typeEbEEZZNS1_14partition_implILS5_6ELb0ES3_mN6thrust23THRUST_200600_302600_NS6detail15normal_iteratorINSA_10device_ptrIxEEEEPS6_SG_NS0_5tupleIJSF_S6_EEENSH_IJSG_SG_EEES6_PlJ7is_evenIxEEEE10hipError_tPvRmT3_T4_T5_T6_T7_T9_mT8_P12ihipStream_tbDpT10_ENKUlT_T0_E_clISt17integral_constantIbLb0EES15_IbLb1EEEEDaS11_S12_EUlS11_E_NS1_11comp_targetILNS1_3genE0ELNS1_11target_archE4294967295ELNS1_3gpuE0ELNS1_3repE0EEENS1_30default_config_static_selectorELNS0_4arch9wavefront6targetE0EEEvT1_,"axG",@progbits,_ZN7rocprim17ROCPRIM_400000_NS6detail17trampoline_kernelINS0_14default_configENS1_25partition_config_selectorILNS1_17partition_subalgoE6ExNS0_10empty_typeEbEEZZNS1_14partition_implILS5_6ELb0ES3_mN6thrust23THRUST_200600_302600_NS6detail15normal_iteratorINSA_10device_ptrIxEEEEPS6_SG_NS0_5tupleIJSF_S6_EEENSH_IJSG_SG_EEES6_PlJ7is_evenIxEEEE10hipError_tPvRmT3_T4_T5_T6_T7_T9_mT8_P12ihipStream_tbDpT10_ENKUlT_T0_E_clISt17integral_constantIbLb0EES15_IbLb1EEEEDaS11_S12_EUlS11_E_NS1_11comp_targetILNS1_3genE0ELNS1_11target_archE4294967295ELNS1_3gpuE0ELNS1_3repE0EEENS1_30default_config_static_selectorELNS0_4arch9wavefront6targetE0EEEvT1_,comdat
.Lfunc_end384:
	.size	_ZN7rocprim17ROCPRIM_400000_NS6detail17trampoline_kernelINS0_14default_configENS1_25partition_config_selectorILNS1_17partition_subalgoE6ExNS0_10empty_typeEbEEZZNS1_14partition_implILS5_6ELb0ES3_mN6thrust23THRUST_200600_302600_NS6detail15normal_iteratorINSA_10device_ptrIxEEEEPS6_SG_NS0_5tupleIJSF_S6_EEENSH_IJSG_SG_EEES6_PlJ7is_evenIxEEEE10hipError_tPvRmT3_T4_T5_T6_T7_T9_mT8_P12ihipStream_tbDpT10_ENKUlT_T0_E_clISt17integral_constantIbLb0EES15_IbLb1EEEEDaS11_S12_EUlS11_E_NS1_11comp_targetILNS1_3genE0ELNS1_11target_archE4294967295ELNS1_3gpuE0ELNS1_3repE0EEENS1_30default_config_static_selectorELNS0_4arch9wavefront6targetE0EEEvT1_, .Lfunc_end384-_ZN7rocprim17ROCPRIM_400000_NS6detail17trampoline_kernelINS0_14default_configENS1_25partition_config_selectorILNS1_17partition_subalgoE6ExNS0_10empty_typeEbEEZZNS1_14partition_implILS5_6ELb0ES3_mN6thrust23THRUST_200600_302600_NS6detail15normal_iteratorINSA_10device_ptrIxEEEEPS6_SG_NS0_5tupleIJSF_S6_EEENSH_IJSG_SG_EEES6_PlJ7is_evenIxEEEE10hipError_tPvRmT3_T4_T5_T6_T7_T9_mT8_P12ihipStream_tbDpT10_ENKUlT_T0_E_clISt17integral_constantIbLb0EES15_IbLb1EEEEDaS11_S12_EUlS11_E_NS1_11comp_targetILNS1_3genE0ELNS1_11target_archE4294967295ELNS1_3gpuE0ELNS1_3repE0EEENS1_30default_config_static_selectorELNS0_4arch9wavefront6targetE0EEEvT1_
                                        ; -- End function
	.section	.AMDGPU.csdata,"",@progbits
; Kernel info:
; codeLenInByte = 0
; NumSgprs: 0
; NumVgprs: 0
; ScratchSize: 0
; MemoryBound: 0
; FloatMode: 240
; IeeeMode: 1
; LDSByteSize: 0 bytes/workgroup (compile time only)
; SGPRBlocks: 0
; VGPRBlocks: 0
; NumSGPRsForWavesPerEU: 1
; NumVGPRsForWavesPerEU: 1
; Occupancy: 16
; WaveLimiterHint : 0
; COMPUTE_PGM_RSRC2:SCRATCH_EN: 0
; COMPUTE_PGM_RSRC2:USER_SGPR: 15
; COMPUTE_PGM_RSRC2:TRAP_HANDLER: 0
; COMPUTE_PGM_RSRC2:TGID_X_EN: 1
; COMPUTE_PGM_RSRC2:TGID_Y_EN: 0
; COMPUTE_PGM_RSRC2:TGID_Z_EN: 0
; COMPUTE_PGM_RSRC2:TIDIG_COMP_CNT: 0
	.section	.text._ZN7rocprim17ROCPRIM_400000_NS6detail17trampoline_kernelINS0_14default_configENS1_25partition_config_selectorILNS1_17partition_subalgoE6ExNS0_10empty_typeEbEEZZNS1_14partition_implILS5_6ELb0ES3_mN6thrust23THRUST_200600_302600_NS6detail15normal_iteratorINSA_10device_ptrIxEEEEPS6_SG_NS0_5tupleIJSF_S6_EEENSH_IJSG_SG_EEES6_PlJ7is_evenIxEEEE10hipError_tPvRmT3_T4_T5_T6_T7_T9_mT8_P12ihipStream_tbDpT10_ENKUlT_T0_E_clISt17integral_constantIbLb0EES15_IbLb1EEEEDaS11_S12_EUlS11_E_NS1_11comp_targetILNS1_3genE5ELNS1_11target_archE942ELNS1_3gpuE9ELNS1_3repE0EEENS1_30default_config_static_selectorELNS0_4arch9wavefront6targetE0EEEvT1_,"axG",@progbits,_ZN7rocprim17ROCPRIM_400000_NS6detail17trampoline_kernelINS0_14default_configENS1_25partition_config_selectorILNS1_17partition_subalgoE6ExNS0_10empty_typeEbEEZZNS1_14partition_implILS5_6ELb0ES3_mN6thrust23THRUST_200600_302600_NS6detail15normal_iteratorINSA_10device_ptrIxEEEEPS6_SG_NS0_5tupleIJSF_S6_EEENSH_IJSG_SG_EEES6_PlJ7is_evenIxEEEE10hipError_tPvRmT3_T4_T5_T6_T7_T9_mT8_P12ihipStream_tbDpT10_ENKUlT_T0_E_clISt17integral_constantIbLb0EES15_IbLb1EEEEDaS11_S12_EUlS11_E_NS1_11comp_targetILNS1_3genE5ELNS1_11target_archE942ELNS1_3gpuE9ELNS1_3repE0EEENS1_30default_config_static_selectorELNS0_4arch9wavefront6targetE0EEEvT1_,comdat
	.protected	_ZN7rocprim17ROCPRIM_400000_NS6detail17trampoline_kernelINS0_14default_configENS1_25partition_config_selectorILNS1_17partition_subalgoE6ExNS0_10empty_typeEbEEZZNS1_14partition_implILS5_6ELb0ES3_mN6thrust23THRUST_200600_302600_NS6detail15normal_iteratorINSA_10device_ptrIxEEEEPS6_SG_NS0_5tupleIJSF_S6_EEENSH_IJSG_SG_EEES6_PlJ7is_evenIxEEEE10hipError_tPvRmT3_T4_T5_T6_T7_T9_mT8_P12ihipStream_tbDpT10_ENKUlT_T0_E_clISt17integral_constantIbLb0EES15_IbLb1EEEEDaS11_S12_EUlS11_E_NS1_11comp_targetILNS1_3genE5ELNS1_11target_archE942ELNS1_3gpuE9ELNS1_3repE0EEENS1_30default_config_static_selectorELNS0_4arch9wavefront6targetE0EEEvT1_ ; -- Begin function _ZN7rocprim17ROCPRIM_400000_NS6detail17trampoline_kernelINS0_14default_configENS1_25partition_config_selectorILNS1_17partition_subalgoE6ExNS0_10empty_typeEbEEZZNS1_14partition_implILS5_6ELb0ES3_mN6thrust23THRUST_200600_302600_NS6detail15normal_iteratorINSA_10device_ptrIxEEEEPS6_SG_NS0_5tupleIJSF_S6_EEENSH_IJSG_SG_EEES6_PlJ7is_evenIxEEEE10hipError_tPvRmT3_T4_T5_T6_T7_T9_mT8_P12ihipStream_tbDpT10_ENKUlT_T0_E_clISt17integral_constantIbLb0EES15_IbLb1EEEEDaS11_S12_EUlS11_E_NS1_11comp_targetILNS1_3genE5ELNS1_11target_archE942ELNS1_3gpuE9ELNS1_3repE0EEENS1_30default_config_static_selectorELNS0_4arch9wavefront6targetE0EEEvT1_
	.globl	_ZN7rocprim17ROCPRIM_400000_NS6detail17trampoline_kernelINS0_14default_configENS1_25partition_config_selectorILNS1_17partition_subalgoE6ExNS0_10empty_typeEbEEZZNS1_14partition_implILS5_6ELb0ES3_mN6thrust23THRUST_200600_302600_NS6detail15normal_iteratorINSA_10device_ptrIxEEEEPS6_SG_NS0_5tupleIJSF_S6_EEENSH_IJSG_SG_EEES6_PlJ7is_evenIxEEEE10hipError_tPvRmT3_T4_T5_T6_T7_T9_mT8_P12ihipStream_tbDpT10_ENKUlT_T0_E_clISt17integral_constantIbLb0EES15_IbLb1EEEEDaS11_S12_EUlS11_E_NS1_11comp_targetILNS1_3genE5ELNS1_11target_archE942ELNS1_3gpuE9ELNS1_3repE0EEENS1_30default_config_static_selectorELNS0_4arch9wavefront6targetE0EEEvT1_
	.p2align	8
	.type	_ZN7rocprim17ROCPRIM_400000_NS6detail17trampoline_kernelINS0_14default_configENS1_25partition_config_selectorILNS1_17partition_subalgoE6ExNS0_10empty_typeEbEEZZNS1_14partition_implILS5_6ELb0ES3_mN6thrust23THRUST_200600_302600_NS6detail15normal_iteratorINSA_10device_ptrIxEEEEPS6_SG_NS0_5tupleIJSF_S6_EEENSH_IJSG_SG_EEES6_PlJ7is_evenIxEEEE10hipError_tPvRmT3_T4_T5_T6_T7_T9_mT8_P12ihipStream_tbDpT10_ENKUlT_T0_E_clISt17integral_constantIbLb0EES15_IbLb1EEEEDaS11_S12_EUlS11_E_NS1_11comp_targetILNS1_3genE5ELNS1_11target_archE942ELNS1_3gpuE9ELNS1_3repE0EEENS1_30default_config_static_selectorELNS0_4arch9wavefront6targetE0EEEvT1_,@function
_ZN7rocprim17ROCPRIM_400000_NS6detail17trampoline_kernelINS0_14default_configENS1_25partition_config_selectorILNS1_17partition_subalgoE6ExNS0_10empty_typeEbEEZZNS1_14partition_implILS5_6ELb0ES3_mN6thrust23THRUST_200600_302600_NS6detail15normal_iteratorINSA_10device_ptrIxEEEEPS6_SG_NS0_5tupleIJSF_S6_EEENSH_IJSG_SG_EEES6_PlJ7is_evenIxEEEE10hipError_tPvRmT3_T4_T5_T6_T7_T9_mT8_P12ihipStream_tbDpT10_ENKUlT_T0_E_clISt17integral_constantIbLb0EES15_IbLb1EEEEDaS11_S12_EUlS11_E_NS1_11comp_targetILNS1_3genE5ELNS1_11target_archE942ELNS1_3gpuE9ELNS1_3repE0EEENS1_30default_config_static_selectorELNS0_4arch9wavefront6targetE0EEEvT1_: ; @_ZN7rocprim17ROCPRIM_400000_NS6detail17trampoline_kernelINS0_14default_configENS1_25partition_config_selectorILNS1_17partition_subalgoE6ExNS0_10empty_typeEbEEZZNS1_14partition_implILS5_6ELb0ES3_mN6thrust23THRUST_200600_302600_NS6detail15normal_iteratorINSA_10device_ptrIxEEEEPS6_SG_NS0_5tupleIJSF_S6_EEENSH_IJSG_SG_EEES6_PlJ7is_evenIxEEEE10hipError_tPvRmT3_T4_T5_T6_T7_T9_mT8_P12ihipStream_tbDpT10_ENKUlT_T0_E_clISt17integral_constantIbLb0EES15_IbLb1EEEEDaS11_S12_EUlS11_E_NS1_11comp_targetILNS1_3genE5ELNS1_11target_archE942ELNS1_3gpuE9ELNS1_3repE0EEENS1_30default_config_static_selectorELNS0_4arch9wavefront6targetE0EEEvT1_
; %bb.0:
	.section	.rodata,"a",@progbits
	.p2align	6, 0x0
	.amdhsa_kernel _ZN7rocprim17ROCPRIM_400000_NS6detail17trampoline_kernelINS0_14default_configENS1_25partition_config_selectorILNS1_17partition_subalgoE6ExNS0_10empty_typeEbEEZZNS1_14partition_implILS5_6ELb0ES3_mN6thrust23THRUST_200600_302600_NS6detail15normal_iteratorINSA_10device_ptrIxEEEEPS6_SG_NS0_5tupleIJSF_S6_EEENSH_IJSG_SG_EEES6_PlJ7is_evenIxEEEE10hipError_tPvRmT3_T4_T5_T6_T7_T9_mT8_P12ihipStream_tbDpT10_ENKUlT_T0_E_clISt17integral_constantIbLb0EES15_IbLb1EEEEDaS11_S12_EUlS11_E_NS1_11comp_targetILNS1_3genE5ELNS1_11target_archE942ELNS1_3gpuE9ELNS1_3repE0EEENS1_30default_config_static_selectorELNS0_4arch9wavefront6targetE0EEEvT1_
		.amdhsa_group_segment_fixed_size 0
		.amdhsa_private_segment_fixed_size 0
		.amdhsa_kernarg_size 128
		.amdhsa_user_sgpr_count 15
		.amdhsa_user_sgpr_dispatch_ptr 0
		.amdhsa_user_sgpr_queue_ptr 0
		.amdhsa_user_sgpr_kernarg_segment_ptr 1
		.amdhsa_user_sgpr_dispatch_id 0
		.amdhsa_user_sgpr_private_segment_size 0
		.amdhsa_wavefront_size32 1
		.amdhsa_uses_dynamic_stack 0
		.amdhsa_enable_private_segment 0
		.amdhsa_system_sgpr_workgroup_id_x 1
		.amdhsa_system_sgpr_workgroup_id_y 0
		.amdhsa_system_sgpr_workgroup_id_z 0
		.amdhsa_system_sgpr_workgroup_info 0
		.amdhsa_system_vgpr_workitem_id 0
		.amdhsa_next_free_vgpr 1
		.amdhsa_next_free_sgpr 1
		.amdhsa_reserve_vcc 0
		.amdhsa_float_round_mode_32 0
		.amdhsa_float_round_mode_16_64 0
		.amdhsa_float_denorm_mode_32 3
		.amdhsa_float_denorm_mode_16_64 3
		.amdhsa_dx10_clamp 1
		.amdhsa_ieee_mode 1
		.amdhsa_fp16_overflow 0
		.amdhsa_workgroup_processor_mode 1
		.amdhsa_memory_ordered 1
		.amdhsa_forward_progress 0
		.amdhsa_shared_vgpr_count 0
		.amdhsa_exception_fp_ieee_invalid_op 0
		.amdhsa_exception_fp_denorm_src 0
		.amdhsa_exception_fp_ieee_div_zero 0
		.amdhsa_exception_fp_ieee_overflow 0
		.amdhsa_exception_fp_ieee_underflow 0
		.amdhsa_exception_fp_ieee_inexact 0
		.amdhsa_exception_int_div_zero 0
	.end_amdhsa_kernel
	.section	.text._ZN7rocprim17ROCPRIM_400000_NS6detail17trampoline_kernelINS0_14default_configENS1_25partition_config_selectorILNS1_17partition_subalgoE6ExNS0_10empty_typeEbEEZZNS1_14partition_implILS5_6ELb0ES3_mN6thrust23THRUST_200600_302600_NS6detail15normal_iteratorINSA_10device_ptrIxEEEEPS6_SG_NS0_5tupleIJSF_S6_EEENSH_IJSG_SG_EEES6_PlJ7is_evenIxEEEE10hipError_tPvRmT3_T4_T5_T6_T7_T9_mT8_P12ihipStream_tbDpT10_ENKUlT_T0_E_clISt17integral_constantIbLb0EES15_IbLb1EEEEDaS11_S12_EUlS11_E_NS1_11comp_targetILNS1_3genE5ELNS1_11target_archE942ELNS1_3gpuE9ELNS1_3repE0EEENS1_30default_config_static_selectorELNS0_4arch9wavefront6targetE0EEEvT1_,"axG",@progbits,_ZN7rocprim17ROCPRIM_400000_NS6detail17trampoline_kernelINS0_14default_configENS1_25partition_config_selectorILNS1_17partition_subalgoE6ExNS0_10empty_typeEbEEZZNS1_14partition_implILS5_6ELb0ES3_mN6thrust23THRUST_200600_302600_NS6detail15normal_iteratorINSA_10device_ptrIxEEEEPS6_SG_NS0_5tupleIJSF_S6_EEENSH_IJSG_SG_EEES6_PlJ7is_evenIxEEEE10hipError_tPvRmT3_T4_T5_T6_T7_T9_mT8_P12ihipStream_tbDpT10_ENKUlT_T0_E_clISt17integral_constantIbLb0EES15_IbLb1EEEEDaS11_S12_EUlS11_E_NS1_11comp_targetILNS1_3genE5ELNS1_11target_archE942ELNS1_3gpuE9ELNS1_3repE0EEENS1_30default_config_static_selectorELNS0_4arch9wavefront6targetE0EEEvT1_,comdat
.Lfunc_end385:
	.size	_ZN7rocprim17ROCPRIM_400000_NS6detail17trampoline_kernelINS0_14default_configENS1_25partition_config_selectorILNS1_17partition_subalgoE6ExNS0_10empty_typeEbEEZZNS1_14partition_implILS5_6ELb0ES3_mN6thrust23THRUST_200600_302600_NS6detail15normal_iteratorINSA_10device_ptrIxEEEEPS6_SG_NS0_5tupleIJSF_S6_EEENSH_IJSG_SG_EEES6_PlJ7is_evenIxEEEE10hipError_tPvRmT3_T4_T5_T6_T7_T9_mT8_P12ihipStream_tbDpT10_ENKUlT_T0_E_clISt17integral_constantIbLb0EES15_IbLb1EEEEDaS11_S12_EUlS11_E_NS1_11comp_targetILNS1_3genE5ELNS1_11target_archE942ELNS1_3gpuE9ELNS1_3repE0EEENS1_30default_config_static_selectorELNS0_4arch9wavefront6targetE0EEEvT1_, .Lfunc_end385-_ZN7rocprim17ROCPRIM_400000_NS6detail17trampoline_kernelINS0_14default_configENS1_25partition_config_selectorILNS1_17partition_subalgoE6ExNS0_10empty_typeEbEEZZNS1_14partition_implILS5_6ELb0ES3_mN6thrust23THRUST_200600_302600_NS6detail15normal_iteratorINSA_10device_ptrIxEEEEPS6_SG_NS0_5tupleIJSF_S6_EEENSH_IJSG_SG_EEES6_PlJ7is_evenIxEEEE10hipError_tPvRmT3_T4_T5_T6_T7_T9_mT8_P12ihipStream_tbDpT10_ENKUlT_T0_E_clISt17integral_constantIbLb0EES15_IbLb1EEEEDaS11_S12_EUlS11_E_NS1_11comp_targetILNS1_3genE5ELNS1_11target_archE942ELNS1_3gpuE9ELNS1_3repE0EEENS1_30default_config_static_selectorELNS0_4arch9wavefront6targetE0EEEvT1_
                                        ; -- End function
	.section	.AMDGPU.csdata,"",@progbits
; Kernel info:
; codeLenInByte = 0
; NumSgprs: 0
; NumVgprs: 0
; ScratchSize: 0
; MemoryBound: 0
; FloatMode: 240
; IeeeMode: 1
; LDSByteSize: 0 bytes/workgroup (compile time only)
; SGPRBlocks: 0
; VGPRBlocks: 0
; NumSGPRsForWavesPerEU: 1
; NumVGPRsForWavesPerEU: 1
; Occupancy: 16
; WaveLimiterHint : 0
; COMPUTE_PGM_RSRC2:SCRATCH_EN: 0
; COMPUTE_PGM_RSRC2:USER_SGPR: 15
; COMPUTE_PGM_RSRC2:TRAP_HANDLER: 0
; COMPUTE_PGM_RSRC2:TGID_X_EN: 1
; COMPUTE_PGM_RSRC2:TGID_Y_EN: 0
; COMPUTE_PGM_RSRC2:TGID_Z_EN: 0
; COMPUTE_PGM_RSRC2:TIDIG_COMP_CNT: 0
	.section	.text._ZN7rocprim17ROCPRIM_400000_NS6detail17trampoline_kernelINS0_14default_configENS1_25partition_config_selectorILNS1_17partition_subalgoE6ExNS0_10empty_typeEbEEZZNS1_14partition_implILS5_6ELb0ES3_mN6thrust23THRUST_200600_302600_NS6detail15normal_iteratorINSA_10device_ptrIxEEEEPS6_SG_NS0_5tupleIJSF_S6_EEENSH_IJSG_SG_EEES6_PlJ7is_evenIxEEEE10hipError_tPvRmT3_T4_T5_T6_T7_T9_mT8_P12ihipStream_tbDpT10_ENKUlT_T0_E_clISt17integral_constantIbLb0EES15_IbLb1EEEEDaS11_S12_EUlS11_E_NS1_11comp_targetILNS1_3genE4ELNS1_11target_archE910ELNS1_3gpuE8ELNS1_3repE0EEENS1_30default_config_static_selectorELNS0_4arch9wavefront6targetE0EEEvT1_,"axG",@progbits,_ZN7rocprim17ROCPRIM_400000_NS6detail17trampoline_kernelINS0_14default_configENS1_25partition_config_selectorILNS1_17partition_subalgoE6ExNS0_10empty_typeEbEEZZNS1_14partition_implILS5_6ELb0ES3_mN6thrust23THRUST_200600_302600_NS6detail15normal_iteratorINSA_10device_ptrIxEEEEPS6_SG_NS0_5tupleIJSF_S6_EEENSH_IJSG_SG_EEES6_PlJ7is_evenIxEEEE10hipError_tPvRmT3_T4_T5_T6_T7_T9_mT8_P12ihipStream_tbDpT10_ENKUlT_T0_E_clISt17integral_constantIbLb0EES15_IbLb1EEEEDaS11_S12_EUlS11_E_NS1_11comp_targetILNS1_3genE4ELNS1_11target_archE910ELNS1_3gpuE8ELNS1_3repE0EEENS1_30default_config_static_selectorELNS0_4arch9wavefront6targetE0EEEvT1_,comdat
	.protected	_ZN7rocprim17ROCPRIM_400000_NS6detail17trampoline_kernelINS0_14default_configENS1_25partition_config_selectorILNS1_17partition_subalgoE6ExNS0_10empty_typeEbEEZZNS1_14partition_implILS5_6ELb0ES3_mN6thrust23THRUST_200600_302600_NS6detail15normal_iteratorINSA_10device_ptrIxEEEEPS6_SG_NS0_5tupleIJSF_S6_EEENSH_IJSG_SG_EEES6_PlJ7is_evenIxEEEE10hipError_tPvRmT3_T4_T5_T6_T7_T9_mT8_P12ihipStream_tbDpT10_ENKUlT_T0_E_clISt17integral_constantIbLb0EES15_IbLb1EEEEDaS11_S12_EUlS11_E_NS1_11comp_targetILNS1_3genE4ELNS1_11target_archE910ELNS1_3gpuE8ELNS1_3repE0EEENS1_30default_config_static_selectorELNS0_4arch9wavefront6targetE0EEEvT1_ ; -- Begin function _ZN7rocprim17ROCPRIM_400000_NS6detail17trampoline_kernelINS0_14default_configENS1_25partition_config_selectorILNS1_17partition_subalgoE6ExNS0_10empty_typeEbEEZZNS1_14partition_implILS5_6ELb0ES3_mN6thrust23THRUST_200600_302600_NS6detail15normal_iteratorINSA_10device_ptrIxEEEEPS6_SG_NS0_5tupleIJSF_S6_EEENSH_IJSG_SG_EEES6_PlJ7is_evenIxEEEE10hipError_tPvRmT3_T4_T5_T6_T7_T9_mT8_P12ihipStream_tbDpT10_ENKUlT_T0_E_clISt17integral_constantIbLb0EES15_IbLb1EEEEDaS11_S12_EUlS11_E_NS1_11comp_targetILNS1_3genE4ELNS1_11target_archE910ELNS1_3gpuE8ELNS1_3repE0EEENS1_30default_config_static_selectorELNS0_4arch9wavefront6targetE0EEEvT1_
	.globl	_ZN7rocprim17ROCPRIM_400000_NS6detail17trampoline_kernelINS0_14default_configENS1_25partition_config_selectorILNS1_17partition_subalgoE6ExNS0_10empty_typeEbEEZZNS1_14partition_implILS5_6ELb0ES3_mN6thrust23THRUST_200600_302600_NS6detail15normal_iteratorINSA_10device_ptrIxEEEEPS6_SG_NS0_5tupleIJSF_S6_EEENSH_IJSG_SG_EEES6_PlJ7is_evenIxEEEE10hipError_tPvRmT3_T4_T5_T6_T7_T9_mT8_P12ihipStream_tbDpT10_ENKUlT_T0_E_clISt17integral_constantIbLb0EES15_IbLb1EEEEDaS11_S12_EUlS11_E_NS1_11comp_targetILNS1_3genE4ELNS1_11target_archE910ELNS1_3gpuE8ELNS1_3repE0EEENS1_30default_config_static_selectorELNS0_4arch9wavefront6targetE0EEEvT1_
	.p2align	8
	.type	_ZN7rocprim17ROCPRIM_400000_NS6detail17trampoline_kernelINS0_14default_configENS1_25partition_config_selectorILNS1_17partition_subalgoE6ExNS0_10empty_typeEbEEZZNS1_14partition_implILS5_6ELb0ES3_mN6thrust23THRUST_200600_302600_NS6detail15normal_iteratorINSA_10device_ptrIxEEEEPS6_SG_NS0_5tupleIJSF_S6_EEENSH_IJSG_SG_EEES6_PlJ7is_evenIxEEEE10hipError_tPvRmT3_T4_T5_T6_T7_T9_mT8_P12ihipStream_tbDpT10_ENKUlT_T0_E_clISt17integral_constantIbLb0EES15_IbLb1EEEEDaS11_S12_EUlS11_E_NS1_11comp_targetILNS1_3genE4ELNS1_11target_archE910ELNS1_3gpuE8ELNS1_3repE0EEENS1_30default_config_static_selectorELNS0_4arch9wavefront6targetE0EEEvT1_,@function
_ZN7rocprim17ROCPRIM_400000_NS6detail17trampoline_kernelINS0_14default_configENS1_25partition_config_selectorILNS1_17partition_subalgoE6ExNS0_10empty_typeEbEEZZNS1_14partition_implILS5_6ELb0ES3_mN6thrust23THRUST_200600_302600_NS6detail15normal_iteratorINSA_10device_ptrIxEEEEPS6_SG_NS0_5tupleIJSF_S6_EEENSH_IJSG_SG_EEES6_PlJ7is_evenIxEEEE10hipError_tPvRmT3_T4_T5_T6_T7_T9_mT8_P12ihipStream_tbDpT10_ENKUlT_T0_E_clISt17integral_constantIbLb0EES15_IbLb1EEEEDaS11_S12_EUlS11_E_NS1_11comp_targetILNS1_3genE4ELNS1_11target_archE910ELNS1_3gpuE8ELNS1_3repE0EEENS1_30default_config_static_selectorELNS0_4arch9wavefront6targetE0EEEvT1_: ; @_ZN7rocprim17ROCPRIM_400000_NS6detail17trampoline_kernelINS0_14default_configENS1_25partition_config_selectorILNS1_17partition_subalgoE6ExNS0_10empty_typeEbEEZZNS1_14partition_implILS5_6ELb0ES3_mN6thrust23THRUST_200600_302600_NS6detail15normal_iteratorINSA_10device_ptrIxEEEEPS6_SG_NS0_5tupleIJSF_S6_EEENSH_IJSG_SG_EEES6_PlJ7is_evenIxEEEE10hipError_tPvRmT3_T4_T5_T6_T7_T9_mT8_P12ihipStream_tbDpT10_ENKUlT_T0_E_clISt17integral_constantIbLb0EES15_IbLb1EEEEDaS11_S12_EUlS11_E_NS1_11comp_targetILNS1_3genE4ELNS1_11target_archE910ELNS1_3gpuE8ELNS1_3repE0EEENS1_30default_config_static_selectorELNS0_4arch9wavefront6targetE0EEEvT1_
; %bb.0:
	.section	.rodata,"a",@progbits
	.p2align	6, 0x0
	.amdhsa_kernel _ZN7rocprim17ROCPRIM_400000_NS6detail17trampoline_kernelINS0_14default_configENS1_25partition_config_selectorILNS1_17partition_subalgoE6ExNS0_10empty_typeEbEEZZNS1_14partition_implILS5_6ELb0ES3_mN6thrust23THRUST_200600_302600_NS6detail15normal_iteratorINSA_10device_ptrIxEEEEPS6_SG_NS0_5tupleIJSF_S6_EEENSH_IJSG_SG_EEES6_PlJ7is_evenIxEEEE10hipError_tPvRmT3_T4_T5_T6_T7_T9_mT8_P12ihipStream_tbDpT10_ENKUlT_T0_E_clISt17integral_constantIbLb0EES15_IbLb1EEEEDaS11_S12_EUlS11_E_NS1_11comp_targetILNS1_3genE4ELNS1_11target_archE910ELNS1_3gpuE8ELNS1_3repE0EEENS1_30default_config_static_selectorELNS0_4arch9wavefront6targetE0EEEvT1_
		.amdhsa_group_segment_fixed_size 0
		.amdhsa_private_segment_fixed_size 0
		.amdhsa_kernarg_size 128
		.amdhsa_user_sgpr_count 15
		.amdhsa_user_sgpr_dispatch_ptr 0
		.amdhsa_user_sgpr_queue_ptr 0
		.amdhsa_user_sgpr_kernarg_segment_ptr 1
		.amdhsa_user_sgpr_dispatch_id 0
		.amdhsa_user_sgpr_private_segment_size 0
		.amdhsa_wavefront_size32 1
		.amdhsa_uses_dynamic_stack 0
		.amdhsa_enable_private_segment 0
		.amdhsa_system_sgpr_workgroup_id_x 1
		.amdhsa_system_sgpr_workgroup_id_y 0
		.amdhsa_system_sgpr_workgroup_id_z 0
		.amdhsa_system_sgpr_workgroup_info 0
		.amdhsa_system_vgpr_workitem_id 0
		.amdhsa_next_free_vgpr 1
		.amdhsa_next_free_sgpr 1
		.amdhsa_reserve_vcc 0
		.amdhsa_float_round_mode_32 0
		.amdhsa_float_round_mode_16_64 0
		.amdhsa_float_denorm_mode_32 3
		.amdhsa_float_denorm_mode_16_64 3
		.amdhsa_dx10_clamp 1
		.amdhsa_ieee_mode 1
		.amdhsa_fp16_overflow 0
		.amdhsa_workgroup_processor_mode 1
		.amdhsa_memory_ordered 1
		.amdhsa_forward_progress 0
		.amdhsa_shared_vgpr_count 0
		.amdhsa_exception_fp_ieee_invalid_op 0
		.amdhsa_exception_fp_denorm_src 0
		.amdhsa_exception_fp_ieee_div_zero 0
		.amdhsa_exception_fp_ieee_overflow 0
		.amdhsa_exception_fp_ieee_underflow 0
		.amdhsa_exception_fp_ieee_inexact 0
		.amdhsa_exception_int_div_zero 0
	.end_amdhsa_kernel
	.section	.text._ZN7rocprim17ROCPRIM_400000_NS6detail17trampoline_kernelINS0_14default_configENS1_25partition_config_selectorILNS1_17partition_subalgoE6ExNS0_10empty_typeEbEEZZNS1_14partition_implILS5_6ELb0ES3_mN6thrust23THRUST_200600_302600_NS6detail15normal_iteratorINSA_10device_ptrIxEEEEPS6_SG_NS0_5tupleIJSF_S6_EEENSH_IJSG_SG_EEES6_PlJ7is_evenIxEEEE10hipError_tPvRmT3_T4_T5_T6_T7_T9_mT8_P12ihipStream_tbDpT10_ENKUlT_T0_E_clISt17integral_constantIbLb0EES15_IbLb1EEEEDaS11_S12_EUlS11_E_NS1_11comp_targetILNS1_3genE4ELNS1_11target_archE910ELNS1_3gpuE8ELNS1_3repE0EEENS1_30default_config_static_selectorELNS0_4arch9wavefront6targetE0EEEvT1_,"axG",@progbits,_ZN7rocprim17ROCPRIM_400000_NS6detail17trampoline_kernelINS0_14default_configENS1_25partition_config_selectorILNS1_17partition_subalgoE6ExNS0_10empty_typeEbEEZZNS1_14partition_implILS5_6ELb0ES3_mN6thrust23THRUST_200600_302600_NS6detail15normal_iteratorINSA_10device_ptrIxEEEEPS6_SG_NS0_5tupleIJSF_S6_EEENSH_IJSG_SG_EEES6_PlJ7is_evenIxEEEE10hipError_tPvRmT3_T4_T5_T6_T7_T9_mT8_P12ihipStream_tbDpT10_ENKUlT_T0_E_clISt17integral_constantIbLb0EES15_IbLb1EEEEDaS11_S12_EUlS11_E_NS1_11comp_targetILNS1_3genE4ELNS1_11target_archE910ELNS1_3gpuE8ELNS1_3repE0EEENS1_30default_config_static_selectorELNS0_4arch9wavefront6targetE0EEEvT1_,comdat
.Lfunc_end386:
	.size	_ZN7rocprim17ROCPRIM_400000_NS6detail17trampoline_kernelINS0_14default_configENS1_25partition_config_selectorILNS1_17partition_subalgoE6ExNS0_10empty_typeEbEEZZNS1_14partition_implILS5_6ELb0ES3_mN6thrust23THRUST_200600_302600_NS6detail15normal_iteratorINSA_10device_ptrIxEEEEPS6_SG_NS0_5tupleIJSF_S6_EEENSH_IJSG_SG_EEES6_PlJ7is_evenIxEEEE10hipError_tPvRmT3_T4_T5_T6_T7_T9_mT8_P12ihipStream_tbDpT10_ENKUlT_T0_E_clISt17integral_constantIbLb0EES15_IbLb1EEEEDaS11_S12_EUlS11_E_NS1_11comp_targetILNS1_3genE4ELNS1_11target_archE910ELNS1_3gpuE8ELNS1_3repE0EEENS1_30default_config_static_selectorELNS0_4arch9wavefront6targetE0EEEvT1_, .Lfunc_end386-_ZN7rocprim17ROCPRIM_400000_NS6detail17trampoline_kernelINS0_14default_configENS1_25partition_config_selectorILNS1_17partition_subalgoE6ExNS0_10empty_typeEbEEZZNS1_14partition_implILS5_6ELb0ES3_mN6thrust23THRUST_200600_302600_NS6detail15normal_iteratorINSA_10device_ptrIxEEEEPS6_SG_NS0_5tupleIJSF_S6_EEENSH_IJSG_SG_EEES6_PlJ7is_evenIxEEEE10hipError_tPvRmT3_T4_T5_T6_T7_T9_mT8_P12ihipStream_tbDpT10_ENKUlT_T0_E_clISt17integral_constantIbLb0EES15_IbLb1EEEEDaS11_S12_EUlS11_E_NS1_11comp_targetILNS1_3genE4ELNS1_11target_archE910ELNS1_3gpuE8ELNS1_3repE0EEENS1_30default_config_static_selectorELNS0_4arch9wavefront6targetE0EEEvT1_
                                        ; -- End function
	.section	.AMDGPU.csdata,"",@progbits
; Kernel info:
; codeLenInByte = 0
; NumSgprs: 0
; NumVgprs: 0
; ScratchSize: 0
; MemoryBound: 0
; FloatMode: 240
; IeeeMode: 1
; LDSByteSize: 0 bytes/workgroup (compile time only)
; SGPRBlocks: 0
; VGPRBlocks: 0
; NumSGPRsForWavesPerEU: 1
; NumVGPRsForWavesPerEU: 1
; Occupancy: 16
; WaveLimiterHint : 0
; COMPUTE_PGM_RSRC2:SCRATCH_EN: 0
; COMPUTE_PGM_RSRC2:USER_SGPR: 15
; COMPUTE_PGM_RSRC2:TRAP_HANDLER: 0
; COMPUTE_PGM_RSRC2:TGID_X_EN: 1
; COMPUTE_PGM_RSRC2:TGID_Y_EN: 0
; COMPUTE_PGM_RSRC2:TGID_Z_EN: 0
; COMPUTE_PGM_RSRC2:TIDIG_COMP_CNT: 0
	.section	.text._ZN7rocprim17ROCPRIM_400000_NS6detail17trampoline_kernelINS0_14default_configENS1_25partition_config_selectorILNS1_17partition_subalgoE6ExNS0_10empty_typeEbEEZZNS1_14partition_implILS5_6ELb0ES3_mN6thrust23THRUST_200600_302600_NS6detail15normal_iteratorINSA_10device_ptrIxEEEEPS6_SG_NS0_5tupleIJSF_S6_EEENSH_IJSG_SG_EEES6_PlJ7is_evenIxEEEE10hipError_tPvRmT3_T4_T5_T6_T7_T9_mT8_P12ihipStream_tbDpT10_ENKUlT_T0_E_clISt17integral_constantIbLb0EES15_IbLb1EEEEDaS11_S12_EUlS11_E_NS1_11comp_targetILNS1_3genE3ELNS1_11target_archE908ELNS1_3gpuE7ELNS1_3repE0EEENS1_30default_config_static_selectorELNS0_4arch9wavefront6targetE0EEEvT1_,"axG",@progbits,_ZN7rocprim17ROCPRIM_400000_NS6detail17trampoline_kernelINS0_14default_configENS1_25partition_config_selectorILNS1_17partition_subalgoE6ExNS0_10empty_typeEbEEZZNS1_14partition_implILS5_6ELb0ES3_mN6thrust23THRUST_200600_302600_NS6detail15normal_iteratorINSA_10device_ptrIxEEEEPS6_SG_NS0_5tupleIJSF_S6_EEENSH_IJSG_SG_EEES6_PlJ7is_evenIxEEEE10hipError_tPvRmT3_T4_T5_T6_T7_T9_mT8_P12ihipStream_tbDpT10_ENKUlT_T0_E_clISt17integral_constantIbLb0EES15_IbLb1EEEEDaS11_S12_EUlS11_E_NS1_11comp_targetILNS1_3genE3ELNS1_11target_archE908ELNS1_3gpuE7ELNS1_3repE0EEENS1_30default_config_static_selectorELNS0_4arch9wavefront6targetE0EEEvT1_,comdat
	.protected	_ZN7rocprim17ROCPRIM_400000_NS6detail17trampoline_kernelINS0_14default_configENS1_25partition_config_selectorILNS1_17partition_subalgoE6ExNS0_10empty_typeEbEEZZNS1_14partition_implILS5_6ELb0ES3_mN6thrust23THRUST_200600_302600_NS6detail15normal_iteratorINSA_10device_ptrIxEEEEPS6_SG_NS0_5tupleIJSF_S6_EEENSH_IJSG_SG_EEES6_PlJ7is_evenIxEEEE10hipError_tPvRmT3_T4_T5_T6_T7_T9_mT8_P12ihipStream_tbDpT10_ENKUlT_T0_E_clISt17integral_constantIbLb0EES15_IbLb1EEEEDaS11_S12_EUlS11_E_NS1_11comp_targetILNS1_3genE3ELNS1_11target_archE908ELNS1_3gpuE7ELNS1_3repE0EEENS1_30default_config_static_selectorELNS0_4arch9wavefront6targetE0EEEvT1_ ; -- Begin function _ZN7rocprim17ROCPRIM_400000_NS6detail17trampoline_kernelINS0_14default_configENS1_25partition_config_selectorILNS1_17partition_subalgoE6ExNS0_10empty_typeEbEEZZNS1_14partition_implILS5_6ELb0ES3_mN6thrust23THRUST_200600_302600_NS6detail15normal_iteratorINSA_10device_ptrIxEEEEPS6_SG_NS0_5tupleIJSF_S6_EEENSH_IJSG_SG_EEES6_PlJ7is_evenIxEEEE10hipError_tPvRmT3_T4_T5_T6_T7_T9_mT8_P12ihipStream_tbDpT10_ENKUlT_T0_E_clISt17integral_constantIbLb0EES15_IbLb1EEEEDaS11_S12_EUlS11_E_NS1_11comp_targetILNS1_3genE3ELNS1_11target_archE908ELNS1_3gpuE7ELNS1_3repE0EEENS1_30default_config_static_selectorELNS0_4arch9wavefront6targetE0EEEvT1_
	.globl	_ZN7rocprim17ROCPRIM_400000_NS6detail17trampoline_kernelINS0_14default_configENS1_25partition_config_selectorILNS1_17partition_subalgoE6ExNS0_10empty_typeEbEEZZNS1_14partition_implILS5_6ELb0ES3_mN6thrust23THRUST_200600_302600_NS6detail15normal_iteratorINSA_10device_ptrIxEEEEPS6_SG_NS0_5tupleIJSF_S6_EEENSH_IJSG_SG_EEES6_PlJ7is_evenIxEEEE10hipError_tPvRmT3_T4_T5_T6_T7_T9_mT8_P12ihipStream_tbDpT10_ENKUlT_T0_E_clISt17integral_constantIbLb0EES15_IbLb1EEEEDaS11_S12_EUlS11_E_NS1_11comp_targetILNS1_3genE3ELNS1_11target_archE908ELNS1_3gpuE7ELNS1_3repE0EEENS1_30default_config_static_selectorELNS0_4arch9wavefront6targetE0EEEvT1_
	.p2align	8
	.type	_ZN7rocprim17ROCPRIM_400000_NS6detail17trampoline_kernelINS0_14default_configENS1_25partition_config_selectorILNS1_17partition_subalgoE6ExNS0_10empty_typeEbEEZZNS1_14partition_implILS5_6ELb0ES3_mN6thrust23THRUST_200600_302600_NS6detail15normal_iteratorINSA_10device_ptrIxEEEEPS6_SG_NS0_5tupleIJSF_S6_EEENSH_IJSG_SG_EEES6_PlJ7is_evenIxEEEE10hipError_tPvRmT3_T4_T5_T6_T7_T9_mT8_P12ihipStream_tbDpT10_ENKUlT_T0_E_clISt17integral_constantIbLb0EES15_IbLb1EEEEDaS11_S12_EUlS11_E_NS1_11comp_targetILNS1_3genE3ELNS1_11target_archE908ELNS1_3gpuE7ELNS1_3repE0EEENS1_30default_config_static_selectorELNS0_4arch9wavefront6targetE0EEEvT1_,@function
_ZN7rocprim17ROCPRIM_400000_NS6detail17trampoline_kernelINS0_14default_configENS1_25partition_config_selectorILNS1_17partition_subalgoE6ExNS0_10empty_typeEbEEZZNS1_14partition_implILS5_6ELb0ES3_mN6thrust23THRUST_200600_302600_NS6detail15normal_iteratorINSA_10device_ptrIxEEEEPS6_SG_NS0_5tupleIJSF_S6_EEENSH_IJSG_SG_EEES6_PlJ7is_evenIxEEEE10hipError_tPvRmT3_T4_T5_T6_T7_T9_mT8_P12ihipStream_tbDpT10_ENKUlT_T0_E_clISt17integral_constantIbLb0EES15_IbLb1EEEEDaS11_S12_EUlS11_E_NS1_11comp_targetILNS1_3genE3ELNS1_11target_archE908ELNS1_3gpuE7ELNS1_3repE0EEENS1_30default_config_static_selectorELNS0_4arch9wavefront6targetE0EEEvT1_: ; @_ZN7rocprim17ROCPRIM_400000_NS6detail17trampoline_kernelINS0_14default_configENS1_25partition_config_selectorILNS1_17partition_subalgoE6ExNS0_10empty_typeEbEEZZNS1_14partition_implILS5_6ELb0ES3_mN6thrust23THRUST_200600_302600_NS6detail15normal_iteratorINSA_10device_ptrIxEEEEPS6_SG_NS0_5tupleIJSF_S6_EEENSH_IJSG_SG_EEES6_PlJ7is_evenIxEEEE10hipError_tPvRmT3_T4_T5_T6_T7_T9_mT8_P12ihipStream_tbDpT10_ENKUlT_T0_E_clISt17integral_constantIbLb0EES15_IbLb1EEEEDaS11_S12_EUlS11_E_NS1_11comp_targetILNS1_3genE3ELNS1_11target_archE908ELNS1_3gpuE7ELNS1_3repE0EEENS1_30default_config_static_selectorELNS0_4arch9wavefront6targetE0EEEvT1_
; %bb.0:
	.section	.rodata,"a",@progbits
	.p2align	6, 0x0
	.amdhsa_kernel _ZN7rocprim17ROCPRIM_400000_NS6detail17trampoline_kernelINS0_14default_configENS1_25partition_config_selectorILNS1_17partition_subalgoE6ExNS0_10empty_typeEbEEZZNS1_14partition_implILS5_6ELb0ES3_mN6thrust23THRUST_200600_302600_NS6detail15normal_iteratorINSA_10device_ptrIxEEEEPS6_SG_NS0_5tupleIJSF_S6_EEENSH_IJSG_SG_EEES6_PlJ7is_evenIxEEEE10hipError_tPvRmT3_T4_T5_T6_T7_T9_mT8_P12ihipStream_tbDpT10_ENKUlT_T0_E_clISt17integral_constantIbLb0EES15_IbLb1EEEEDaS11_S12_EUlS11_E_NS1_11comp_targetILNS1_3genE3ELNS1_11target_archE908ELNS1_3gpuE7ELNS1_3repE0EEENS1_30default_config_static_selectorELNS0_4arch9wavefront6targetE0EEEvT1_
		.amdhsa_group_segment_fixed_size 0
		.amdhsa_private_segment_fixed_size 0
		.amdhsa_kernarg_size 128
		.amdhsa_user_sgpr_count 15
		.amdhsa_user_sgpr_dispatch_ptr 0
		.amdhsa_user_sgpr_queue_ptr 0
		.amdhsa_user_sgpr_kernarg_segment_ptr 1
		.amdhsa_user_sgpr_dispatch_id 0
		.amdhsa_user_sgpr_private_segment_size 0
		.amdhsa_wavefront_size32 1
		.amdhsa_uses_dynamic_stack 0
		.amdhsa_enable_private_segment 0
		.amdhsa_system_sgpr_workgroup_id_x 1
		.amdhsa_system_sgpr_workgroup_id_y 0
		.amdhsa_system_sgpr_workgroup_id_z 0
		.amdhsa_system_sgpr_workgroup_info 0
		.amdhsa_system_vgpr_workitem_id 0
		.amdhsa_next_free_vgpr 1
		.amdhsa_next_free_sgpr 1
		.amdhsa_reserve_vcc 0
		.amdhsa_float_round_mode_32 0
		.amdhsa_float_round_mode_16_64 0
		.amdhsa_float_denorm_mode_32 3
		.amdhsa_float_denorm_mode_16_64 3
		.amdhsa_dx10_clamp 1
		.amdhsa_ieee_mode 1
		.amdhsa_fp16_overflow 0
		.amdhsa_workgroup_processor_mode 1
		.amdhsa_memory_ordered 1
		.amdhsa_forward_progress 0
		.amdhsa_shared_vgpr_count 0
		.amdhsa_exception_fp_ieee_invalid_op 0
		.amdhsa_exception_fp_denorm_src 0
		.amdhsa_exception_fp_ieee_div_zero 0
		.amdhsa_exception_fp_ieee_overflow 0
		.amdhsa_exception_fp_ieee_underflow 0
		.amdhsa_exception_fp_ieee_inexact 0
		.amdhsa_exception_int_div_zero 0
	.end_amdhsa_kernel
	.section	.text._ZN7rocprim17ROCPRIM_400000_NS6detail17trampoline_kernelINS0_14default_configENS1_25partition_config_selectorILNS1_17partition_subalgoE6ExNS0_10empty_typeEbEEZZNS1_14partition_implILS5_6ELb0ES3_mN6thrust23THRUST_200600_302600_NS6detail15normal_iteratorINSA_10device_ptrIxEEEEPS6_SG_NS0_5tupleIJSF_S6_EEENSH_IJSG_SG_EEES6_PlJ7is_evenIxEEEE10hipError_tPvRmT3_T4_T5_T6_T7_T9_mT8_P12ihipStream_tbDpT10_ENKUlT_T0_E_clISt17integral_constantIbLb0EES15_IbLb1EEEEDaS11_S12_EUlS11_E_NS1_11comp_targetILNS1_3genE3ELNS1_11target_archE908ELNS1_3gpuE7ELNS1_3repE0EEENS1_30default_config_static_selectorELNS0_4arch9wavefront6targetE0EEEvT1_,"axG",@progbits,_ZN7rocprim17ROCPRIM_400000_NS6detail17trampoline_kernelINS0_14default_configENS1_25partition_config_selectorILNS1_17partition_subalgoE6ExNS0_10empty_typeEbEEZZNS1_14partition_implILS5_6ELb0ES3_mN6thrust23THRUST_200600_302600_NS6detail15normal_iteratorINSA_10device_ptrIxEEEEPS6_SG_NS0_5tupleIJSF_S6_EEENSH_IJSG_SG_EEES6_PlJ7is_evenIxEEEE10hipError_tPvRmT3_T4_T5_T6_T7_T9_mT8_P12ihipStream_tbDpT10_ENKUlT_T0_E_clISt17integral_constantIbLb0EES15_IbLb1EEEEDaS11_S12_EUlS11_E_NS1_11comp_targetILNS1_3genE3ELNS1_11target_archE908ELNS1_3gpuE7ELNS1_3repE0EEENS1_30default_config_static_selectorELNS0_4arch9wavefront6targetE0EEEvT1_,comdat
.Lfunc_end387:
	.size	_ZN7rocprim17ROCPRIM_400000_NS6detail17trampoline_kernelINS0_14default_configENS1_25partition_config_selectorILNS1_17partition_subalgoE6ExNS0_10empty_typeEbEEZZNS1_14partition_implILS5_6ELb0ES3_mN6thrust23THRUST_200600_302600_NS6detail15normal_iteratorINSA_10device_ptrIxEEEEPS6_SG_NS0_5tupleIJSF_S6_EEENSH_IJSG_SG_EEES6_PlJ7is_evenIxEEEE10hipError_tPvRmT3_T4_T5_T6_T7_T9_mT8_P12ihipStream_tbDpT10_ENKUlT_T0_E_clISt17integral_constantIbLb0EES15_IbLb1EEEEDaS11_S12_EUlS11_E_NS1_11comp_targetILNS1_3genE3ELNS1_11target_archE908ELNS1_3gpuE7ELNS1_3repE0EEENS1_30default_config_static_selectorELNS0_4arch9wavefront6targetE0EEEvT1_, .Lfunc_end387-_ZN7rocprim17ROCPRIM_400000_NS6detail17trampoline_kernelINS0_14default_configENS1_25partition_config_selectorILNS1_17partition_subalgoE6ExNS0_10empty_typeEbEEZZNS1_14partition_implILS5_6ELb0ES3_mN6thrust23THRUST_200600_302600_NS6detail15normal_iteratorINSA_10device_ptrIxEEEEPS6_SG_NS0_5tupleIJSF_S6_EEENSH_IJSG_SG_EEES6_PlJ7is_evenIxEEEE10hipError_tPvRmT3_T4_T5_T6_T7_T9_mT8_P12ihipStream_tbDpT10_ENKUlT_T0_E_clISt17integral_constantIbLb0EES15_IbLb1EEEEDaS11_S12_EUlS11_E_NS1_11comp_targetILNS1_3genE3ELNS1_11target_archE908ELNS1_3gpuE7ELNS1_3repE0EEENS1_30default_config_static_selectorELNS0_4arch9wavefront6targetE0EEEvT1_
                                        ; -- End function
	.section	.AMDGPU.csdata,"",@progbits
; Kernel info:
; codeLenInByte = 0
; NumSgprs: 0
; NumVgprs: 0
; ScratchSize: 0
; MemoryBound: 0
; FloatMode: 240
; IeeeMode: 1
; LDSByteSize: 0 bytes/workgroup (compile time only)
; SGPRBlocks: 0
; VGPRBlocks: 0
; NumSGPRsForWavesPerEU: 1
; NumVGPRsForWavesPerEU: 1
; Occupancy: 16
; WaveLimiterHint : 0
; COMPUTE_PGM_RSRC2:SCRATCH_EN: 0
; COMPUTE_PGM_RSRC2:USER_SGPR: 15
; COMPUTE_PGM_RSRC2:TRAP_HANDLER: 0
; COMPUTE_PGM_RSRC2:TGID_X_EN: 1
; COMPUTE_PGM_RSRC2:TGID_Y_EN: 0
; COMPUTE_PGM_RSRC2:TGID_Z_EN: 0
; COMPUTE_PGM_RSRC2:TIDIG_COMP_CNT: 0
	.section	.text._ZN7rocprim17ROCPRIM_400000_NS6detail17trampoline_kernelINS0_14default_configENS1_25partition_config_selectorILNS1_17partition_subalgoE6ExNS0_10empty_typeEbEEZZNS1_14partition_implILS5_6ELb0ES3_mN6thrust23THRUST_200600_302600_NS6detail15normal_iteratorINSA_10device_ptrIxEEEEPS6_SG_NS0_5tupleIJSF_S6_EEENSH_IJSG_SG_EEES6_PlJ7is_evenIxEEEE10hipError_tPvRmT3_T4_T5_T6_T7_T9_mT8_P12ihipStream_tbDpT10_ENKUlT_T0_E_clISt17integral_constantIbLb0EES15_IbLb1EEEEDaS11_S12_EUlS11_E_NS1_11comp_targetILNS1_3genE2ELNS1_11target_archE906ELNS1_3gpuE6ELNS1_3repE0EEENS1_30default_config_static_selectorELNS0_4arch9wavefront6targetE0EEEvT1_,"axG",@progbits,_ZN7rocprim17ROCPRIM_400000_NS6detail17trampoline_kernelINS0_14default_configENS1_25partition_config_selectorILNS1_17partition_subalgoE6ExNS0_10empty_typeEbEEZZNS1_14partition_implILS5_6ELb0ES3_mN6thrust23THRUST_200600_302600_NS6detail15normal_iteratorINSA_10device_ptrIxEEEEPS6_SG_NS0_5tupleIJSF_S6_EEENSH_IJSG_SG_EEES6_PlJ7is_evenIxEEEE10hipError_tPvRmT3_T4_T5_T6_T7_T9_mT8_P12ihipStream_tbDpT10_ENKUlT_T0_E_clISt17integral_constantIbLb0EES15_IbLb1EEEEDaS11_S12_EUlS11_E_NS1_11comp_targetILNS1_3genE2ELNS1_11target_archE906ELNS1_3gpuE6ELNS1_3repE0EEENS1_30default_config_static_selectorELNS0_4arch9wavefront6targetE0EEEvT1_,comdat
	.protected	_ZN7rocprim17ROCPRIM_400000_NS6detail17trampoline_kernelINS0_14default_configENS1_25partition_config_selectorILNS1_17partition_subalgoE6ExNS0_10empty_typeEbEEZZNS1_14partition_implILS5_6ELb0ES3_mN6thrust23THRUST_200600_302600_NS6detail15normal_iteratorINSA_10device_ptrIxEEEEPS6_SG_NS0_5tupleIJSF_S6_EEENSH_IJSG_SG_EEES6_PlJ7is_evenIxEEEE10hipError_tPvRmT3_T4_T5_T6_T7_T9_mT8_P12ihipStream_tbDpT10_ENKUlT_T0_E_clISt17integral_constantIbLb0EES15_IbLb1EEEEDaS11_S12_EUlS11_E_NS1_11comp_targetILNS1_3genE2ELNS1_11target_archE906ELNS1_3gpuE6ELNS1_3repE0EEENS1_30default_config_static_selectorELNS0_4arch9wavefront6targetE0EEEvT1_ ; -- Begin function _ZN7rocprim17ROCPRIM_400000_NS6detail17trampoline_kernelINS0_14default_configENS1_25partition_config_selectorILNS1_17partition_subalgoE6ExNS0_10empty_typeEbEEZZNS1_14partition_implILS5_6ELb0ES3_mN6thrust23THRUST_200600_302600_NS6detail15normal_iteratorINSA_10device_ptrIxEEEEPS6_SG_NS0_5tupleIJSF_S6_EEENSH_IJSG_SG_EEES6_PlJ7is_evenIxEEEE10hipError_tPvRmT3_T4_T5_T6_T7_T9_mT8_P12ihipStream_tbDpT10_ENKUlT_T0_E_clISt17integral_constantIbLb0EES15_IbLb1EEEEDaS11_S12_EUlS11_E_NS1_11comp_targetILNS1_3genE2ELNS1_11target_archE906ELNS1_3gpuE6ELNS1_3repE0EEENS1_30default_config_static_selectorELNS0_4arch9wavefront6targetE0EEEvT1_
	.globl	_ZN7rocprim17ROCPRIM_400000_NS6detail17trampoline_kernelINS0_14default_configENS1_25partition_config_selectorILNS1_17partition_subalgoE6ExNS0_10empty_typeEbEEZZNS1_14partition_implILS5_6ELb0ES3_mN6thrust23THRUST_200600_302600_NS6detail15normal_iteratorINSA_10device_ptrIxEEEEPS6_SG_NS0_5tupleIJSF_S6_EEENSH_IJSG_SG_EEES6_PlJ7is_evenIxEEEE10hipError_tPvRmT3_T4_T5_T6_T7_T9_mT8_P12ihipStream_tbDpT10_ENKUlT_T0_E_clISt17integral_constantIbLb0EES15_IbLb1EEEEDaS11_S12_EUlS11_E_NS1_11comp_targetILNS1_3genE2ELNS1_11target_archE906ELNS1_3gpuE6ELNS1_3repE0EEENS1_30default_config_static_selectorELNS0_4arch9wavefront6targetE0EEEvT1_
	.p2align	8
	.type	_ZN7rocprim17ROCPRIM_400000_NS6detail17trampoline_kernelINS0_14default_configENS1_25partition_config_selectorILNS1_17partition_subalgoE6ExNS0_10empty_typeEbEEZZNS1_14partition_implILS5_6ELb0ES3_mN6thrust23THRUST_200600_302600_NS6detail15normal_iteratorINSA_10device_ptrIxEEEEPS6_SG_NS0_5tupleIJSF_S6_EEENSH_IJSG_SG_EEES6_PlJ7is_evenIxEEEE10hipError_tPvRmT3_T4_T5_T6_T7_T9_mT8_P12ihipStream_tbDpT10_ENKUlT_T0_E_clISt17integral_constantIbLb0EES15_IbLb1EEEEDaS11_S12_EUlS11_E_NS1_11comp_targetILNS1_3genE2ELNS1_11target_archE906ELNS1_3gpuE6ELNS1_3repE0EEENS1_30default_config_static_selectorELNS0_4arch9wavefront6targetE0EEEvT1_,@function
_ZN7rocprim17ROCPRIM_400000_NS6detail17trampoline_kernelINS0_14default_configENS1_25partition_config_selectorILNS1_17partition_subalgoE6ExNS0_10empty_typeEbEEZZNS1_14partition_implILS5_6ELb0ES3_mN6thrust23THRUST_200600_302600_NS6detail15normal_iteratorINSA_10device_ptrIxEEEEPS6_SG_NS0_5tupleIJSF_S6_EEENSH_IJSG_SG_EEES6_PlJ7is_evenIxEEEE10hipError_tPvRmT3_T4_T5_T6_T7_T9_mT8_P12ihipStream_tbDpT10_ENKUlT_T0_E_clISt17integral_constantIbLb0EES15_IbLb1EEEEDaS11_S12_EUlS11_E_NS1_11comp_targetILNS1_3genE2ELNS1_11target_archE906ELNS1_3gpuE6ELNS1_3repE0EEENS1_30default_config_static_selectorELNS0_4arch9wavefront6targetE0EEEvT1_: ; @_ZN7rocprim17ROCPRIM_400000_NS6detail17trampoline_kernelINS0_14default_configENS1_25partition_config_selectorILNS1_17partition_subalgoE6ExNS0_10empty_typeEbEEZZNS1_14partition_implILS5_6ELb0ES3_mN6thrust23THRUST_200600_302600_NS6detail15normal_iteratorINSA_10device_ptrIxEEEEPS6_SG_NS0_5tupleIJSF_S6_EEENSH_IJSG_SG_EEES6_PlJ7is_evenIxEEEE10hipError_tPvRmT3_T4_T5_T6_T7_T9_mT8_P12ihipStream_tbDpT10_ENKUlT_T0_E_clISt17integral_constantIbLb0EES15_IbLb1EEEEDaS11_S12_EUlS11_E_NS1_11comp_targetILNS1_3genE2ELNS1_11target_archE906ELNS1_3gpuE6ELNS1_3repE0EEENS1_30default_config_static_selectorELNS0_4arch9wavefront6targetE0EEEvT1_
; %bb.0:
	.section	.rodata,"a",@progbits
	.p2align	6, 0x0
	.amdhsa_kernel _ZN7rocprim17ROCPRIM_400000_NS6detail17trampoline_kernelINS0_14default_configENS1_25partition_config_selectorILNS1_17partition_subalgoE6ExNS0_10empty_typeEbEEZZNS1_14partition_implILS5_6ELb0ES3_mN6thrust23THRUST_200600_302600_NS6detail15normal_iteratorINSA_10device_ptrIxEEEEPS6_SG_NS0_5tupleIJSF_S6_EEENSH_IJSG_SG_EEES6_PlJ7is_evenIxEEEE10hipError_tPvRmT3_T4_T5_T6_T7_T9_mT8_P12ihipStream_tbDpT10_ENKUlT_T0_E_clISt17integral_constantIbLb0EES15_IbLb1EEEEDaS11_S12_EUlS11_E_NS1_11comp_targetILNS1_3genE2ELNS1_11target_archE906ELNS1_3gpuE6ELNS1_3repE0EEENS1_30default_config_static_selectorELNS0_4arch9wavefront6targetE0EEEvT1_
		.amdhsa_group_segment_fixed_size 0
		.amdhsa_private_segment_fixed_size 0
		.amdhsa_kernarg_size 128
		.amdhsa_user_sgpr_count 15
		.amdhsa_user_sgpr_dispatch_ptr 0
		.amdhsa_user_sgpr_queue_ptr 0
		.amdhsa_user_sgpr_kernarg_segment_ptr 1
		.amdhsa_user_sgpr_dispatch_id 0
		.amdhsa_user_sgpr_private_segment_size 0
		.amdhsa_wavefront_size32 1
		.amdhsa_uses_dynamic_stack 0
		.amdhsa_enable_private_segment 0
		.amdhsa_system_sgpr_workgroup_id_x 1
		.amdhsa_system_sgpr_workgroup_id_y 0
		.amdhsa_system_sgpr_workgroup_id_z 0
		.amdhsa_system_sgpr_workgroup_info 0
		.amdhsa_system_vgpr_workitem_id 0
		.amdhsa_next_free_vgpr 1
		.amdhsa_next_free_sgpr 1
		.amdhsa_reserve_vcc 0
		.amdhsa_float_round_mode_32 0
		.amdhsa_float_round_mode_16_64 0
		.amdhsa_float_denorm_mode_32 3
		.amdhsa_float_denorm_mode_16_64 3
		.amdhsa_dx10_clamp 1
		.amdhsa_ieee_mode 1
		.amdhsa_fp16_overflow 0
		.amdhsa_workgroup_processor_mode 1
		.amdhsa_memory_ordered 1
		.amdhsa_forward_progress 0
		.amdhsa_shared_vgpr_count 0
		.amdhsa_exception_fp_ieee_invalid_op 0
		.amdhsa_exception_fp_denorm_src 0
		.amdhsa_exception_fp_ieee_div_zero 0
		.amdhsa_exception_fp_ieee_overflow 0
		.amdhsa_exception_fp_ieee_underflow 0
		.amdhsa_exception_fp_ieee_inexact 0
		.amdhsa_exception_int_div_zero 0
	.end_amdhsa_kernel
	.section	.text._ZN7rocprim17ROCPRIM_400000_NS6detail17trampoline_kernelINS0_14default_configENS1_25partition_config_selectorILNS1_17partition_subalgoE6ExNS0_10empty_typeEbEEZZNS1_14partition_implILS5_6ELb0ES3_mN6thrust23THRUST_200600_302600_NS6detail15normal_iteratorINSA_10device_ptrIxEEEEPS6_SG_NS0_5tupleIJSF_S6_EEENSH_IJSG_SG_EEES6_PlJ7is_evenIxEEEE10hipError_tPvRmT3_T4_T5_T6_T7_T9_mT8_P12ihipStream_tbDpT10_ENKUlT_T0_E_clISt17integral_constantIbLb0EES15_IbLb1EEEEDaS11_S12_EUlS11_E_NS1_11comp_targetILNS1_3genE2ELNS1_11target_archE906ELNS1_3gpuE6ELNS1_3repE0EEENS1_30default_config_static_selectorELNS0_4arch9wavefront6targetE0EEEvT1_,"axG",@progbits,_ZN7rocprim17ROCPRIM_400000_NS6detail17trampoline_kernelINS0_14default_configENS1_25partition_config_selectorILNS1_17partition_subalgoE6ExNS0_10empty_typeEbEEZZNS1_14partition_implILS5_6ELb0ES3_mN6thrust23THRUST_200600_302600_NS6detail15normal_iteratorINSA_10device_ptrIxEEEEPS6_SG_NS0_5tupleIJSF_S6_EEENSH_IJSG_SG_EEES6_PlJ7is_evenIxEEEE10hipError_tPvRmT3_T4_T5_T6_T7_T9_mT8_P12ihipStream_tbDpT10_ENKUlT_T0_E_clISt17integral_constantIbLb0EES15_IbLb1EEEEDaS11_S12_EUlS11_E_NS1_11comp_targetILNS1_3genE2ELNS1_11target_archE906ELNS1_3gpuE6ELNS1_3repE0EEENS1_30default_config_static_selectorELNS0_4arch9wavefront6targetE0EEEvT1_,comdat
.Lfunc_end388:
	.size	_ZN7rocprim17ROCPRIM_400000_NS6detail17trampoline_kernelINS0_14default_configENS1_25partition_config_selectorILNS1_17partition_subalgoE6ExNS0_10empty_typeEbEEZZNS1_14partition_implILS5_6ELb0ES3_mN6thrust23THRUST_200600_302600_NS6detail15normal_iteratorINSA_10device_ptrIxEEEEPS6_SG_NS0_5tupleIJSF_S6_EEENSH_IJSG_SG_EEES6_PlJ7is_evenIxEEEE10hipError_tPvRmT3_T4_T5_T6_T7_T9_mT8_P12ihipStream_tbDpT10_ENKUlT_T0_E_clISt17integral_constantIbLb0EES15_IbLb1EEEEDaS11_S12_EUlS11_E_NS1_11comp_targetILNS1_3genE2ELNS1_11target_archE906ELNS1_3gpuE6ELNS1_3repE0EEENS1_30default_config_static_selectorELNS0_4arch9wavefront6targetE0EEEvT1_, .Lfunc_end388-_ZN7rocprim17ROCPRIM_400000_NS6detail17trampoline_kernelINS0_14default_configENS1_25partition_config_selectorILNS1_17partition_subalgoE6ExNS0_10empty_typeEbEEZZNS1_14partition_implILS5_6ELb0ES3_mN6thrust23THRUST_200600_302600_NS6detail15normal_iteratorINSA_10device_ptrIxEEEEPS6_SG_NS0_5tupleIJSF_S6_EEENSH_IJSG_SG_EEES6_PlJ7is_evenIxEEEE10hipError_tPvRmT3_T4_T5_T6_T7_T9_mT8_P12ihipStream_tbDpT10_ENKUlT_T0_E_clISt17integral_constantIbLb0EES15_IbLb1EEEEDaS11_S12_EUlS11_E_NS1_11comp_targetILNS1_3genE2ELNS1_11target_archE906ELNS1_3gpuE6ELNS1_3repE0EEENS1_30default_config_static_selectorELNS0_4arch9wavefront6targetE0EEEvT1_
                                        ; -- End function
	.section	.AMDGPU.csdata,"",@progbits
; Kernel info:
; codeLenInByte = 0
; NumSgprs: 0
; NumVgprs: 0
; ScratchSize: 0
; MemoryBound: 0
; FloatMode: 240
; IeeeMode: 1
; LDSByteSize: 0 bytes/workgroup (compile time only)
; SGPRBlocks: 0
; VGPRBlocks: 0
; NumSGPRsForWavesPerEU: 1
; NumVGPRsForWavesPerEU: 1
; Occupancy: 16
; WaveLimiterHint : 0
; COMPUTE_PGM_RSRC2:SCRATCH_EN: 0
; COMPUTE_PGM_RSRC2:USER_SGPR: 15
; COMPUTE_PGM_RSRC2:TRAP_HANDLER: 0
; COMPUTE_PGM_RSRC2:TGID_X_EN: 1
; COMPUTE_PGM_RSRC2:TGID_Y_EN: 0
; COMPUTE_PGM_RSRC2:TGID_Z_EN: 0
; COMPUTE_PGM_RSRC2:TIDIG_COMP_CNT: 0
	.section	.text._ZN7rocprim17ROCPRIM_400000_NS6detail17trampoline_kernelINS0_14default_configENS1_25partition_config_selectorILNS1_17partition_subalgoE6ExNS0_10empty_typeEbEEZZNS1_14partition_implILS5_6ELb0ES3_mN6thrust23THRUST_200600_302600_NS6detail15normal_iteratorINSA_10device_ptrIxEEEEPS6_SG_NS0_5tupleIJSF_S6_EEENSH_IJSG_SG_EEES6_PlJ7is_evenIxEEEE10hipError_tPvRmT3_T4_T5_T6_T7_T9_mT8_P12ihipStream_tbDpT10_ENKUlT_T0_E_clISt17integral_constantIbLb0EES15_IbLb1EEEEDaS11_S12_EUlS11_E_NS1_11comp_targetILNS1_3genE10ELNS1_11target_archE1200ELNS1_3gpuE4ELNS1_3repE0EEENS1_30default_config_static_selectorELNS0_4arch9wavefront6targetE0EEEvT1_,"axG",@progbits,_ZN7rocprim17ROCPRIM_400000_NS6detail17trampoline_kernelINS0_14default_configENS1_25partition_config_selectorILNS1_17partition_subalgoE6ExNS0_10empty_typeEbEEZZNS1_14partition_implILS5_6ELb0ES3_mN6thrust23THRUST_200600_302600_NS6detail15normal_iteratorINSA_10device_ptrIxEEEEPS6_SG_NS0_5tupleIJSF_S6_EEENSH_IJSG_SG_EEES6_PlJ7is_evenIxEEEE10hipError_tPvRmT3_T4_T5_T6_T7_T9_mT8_P12ihipStream_tbDpT10_ENKUlT_T0_E_clISt17integral_constantIbLb0EES15_IbLb1EEEEDaS11_S12_EUlS11_E_NS1_11comp_targetILNS1_3genE10ELNS1_11target_archE1200ELNS1_3gpuE4ELNS1_3repE0EEENS1_30default_config_static_selectorELNS0_4arch9wavefront6targetE0EEEvT1_,comdat
	.protected	_ZN7rocprim17ROCPRIM_400000_NS6detail17trampoline_kernelINS0_14default_configENS1_25partition_config_selectorILNS1_17partition_subalgoE6ExNS0_10empty_typeEbEEZZNS1_14partition_implILS5_6ELb0ES3_mN6thrust23THRUST_200600_302600_NS6detail15normal_iteratorINSA_10device_ptrIxEEEEPS6_SG_NS0_5tupleIJSF_S6_EEENSH_IJSG_SG_EEES6_PlJ7is_evenIxEEEE10hipError_tPvRmT3_T4_T5_T6_T7_T9_mT8_P12ihipStream_tbDpT10_ENKUlT_T0_E_clISt17integral_constantIbLb0EES15_IbLb1EEEEDaS11_S12_EUlS11_E_NS1_11comp_targetILNS1_3genE10ELNS1_11target_archE1200ELNS1_3gpuE4ELNS1_3repE0EEENS1_30default_config_static_selectorELNS0_4arch9wavefront6targetE0EEEvT1_ ; -- Begin function _ZN7rocprim17ROCPRIM_400000_NS6detail17trampoline_kernelINS0_14default_configENS1_25partition_config_selectorILNS1_17partition_subalgoE6ExNS0_10empty_typeEbEEZZNS1_14partition_implILS5_6ELb0ES3_mN6thrust23THRUST_200600_302600_NS6detail15normal_iteratorINSA_10device_ptrIxEEEEPS6_SG_NS0_5tupleIJSF_S6_EEENSH_IJSG_SG_EEES6_PlJ7is_evenIxEEEE10hipError_tPvRmT3_T4_T5_T6_T7_T9_mT8_P12ihipStream_tbDpT10_ENKUlT_T0_E_clISt17integral_constantIbLb0EES15_IbLb1EEEEDaS11_S12_EUlS11_E_NS1_11comp_targetILNS1_3genE10ELNS1_11target_archE1200ELNS1_3gpuE4ELNS1_3repE0EEENS1_30default_config_static_selectorELNS0_4arch9wavefront6targetE0EEEvT1_
	.globl	_ZN7rocprim17ROCPRIM_400000_NS6detail17trampoline_kernelINS0_14default_configENS1_25partition_config_selectorILNS1_17partition_subalgoE6ExNS0_10empty_typeEbEEZZNS1_14partition_implILS5_6ELb0ES3_mN6thrust23THRUST_200600_302600_NS6detail15normal_iteratorINSA_10device_ptrIxEEEEPS6_SG_NS0_5tupleIJSF_S6_EEENSH_IJSG_SG_EEES6_PlJ7is_evenIxEEEE10hipError_tPvRmT3_T4_T5_T6_T7_T9_mT8_P12ihipStream_tbDpT10_ENKUlT_T0_E_clISt17integral_constantIbLb0EES15_IbLb1EEEEDaS11_S12_EUlS11_E_NS1_11comp_targetILNS1_3genE10ELNS1_11target_archE1200ELNS1_3gpuE4ELNS1_3repE0EEENS1_30default_config_static_selectorELNS0_4arch9wavefront6targetE0EEEvT1_
	.p2align	8
	.type	_ZN7rocprim17ROCPRIM_400000_NS6detail17trampoline_kernelINS0_14default_configENS1_25partition_config_selectorILNS1_17partition_subalgoE6ExNS0_10empty_typeEbEEZZNS1_14partition_implILS5_6ELb0ES3_mN6thrust23THRUST_200600_302600_NS6detail15normal_iteratorINSA_10device_ptrIxEEEEPS6_SG_NS0_5tupleIJSF_S6_EEENSH_IJSG_SG_EEES6_PlJ7is_evenIxEEEE10hipError_tPvRmT3_T4_T5_T6_T7_T9_mT8_P12ihipStream_tbDpT10_ENKUlT_T0_E_clISt17integral_constantIbLb0EES15_IbLb1EEEEDaS11_S12_EUlS11_E_NS1_11comp_targetILNS1_3genE10ELNS1_11target_archE1200ELNS1_3gpuE4ELNS1_3repE0EEENS1_30default_config_static_selectorELNS0_4arch9wavefront6targetE0EEEvT1_,@function
_ZN7rocprim17ROCPRIM_400000_NS6detail17trampoline_kernelINS0_14default_configENS1_25partition_config_selectorILNS1_17partition_subalgoE6ExNS0_10empty_typeEbEEZZNS1_14partition_implILS5_6ELb0ES3_mN6thrust23THRUST_200600_302600_NS6detail15normal_iteratorINSA_10device_ptrIxEEEEPS6_SG_NS0_5tupleIJSF_S6_EEENSH_IJSG_SG_EEES6_PlJ7is_evenIxEEEE10hipError_tPvRmT3_T4_T5_T6_T7_T9_mT8_P12ihipStream_tbDpT10_ENKUlT_T0_E_clISt17integral_constantIbLb0EES15_IbLb1EEEEDaS11_S12_EUlS11_E_NS1_11comp_targetILNS1_3genE10ELNS1_11target_archE1200ELNS1_3gpuE4ELNS1_3repE0EEENS1_30default_config_static_selectorELNS0_4arch9wavefront6targetE0EEEvT1_: ; @_ZN7rocprim17ROCPRIM_400000_NS6detail17trampoline_kernelINS0_14default_configENS1_25partition_config_selectorILNS1_17partition_subalgoE6ExNS0_10empty_typeEbEEZZNS1_14partition_implILS5_6ELb0ES3_mN6thrust23THRUST_200600_302600_NS6detail15normal_iteratorINSA_10device_ptrIxEEEEPS6_SG_NS0_5tupleIJSF_S6_EEENSH_IJSG_SG_EEES6_PlJ7is_evenIxEEEE10hipError_tPvRmT3_T4_T5_T6_T7_T9_mT8_P12ihipStream_tbDpT10_ENKUlT_T0_E_clISt17integral_constantIbLb0EES15_IbLb1EEEEDaS11_S12_EUlS11_E_NS1_11comp_targetILNS1_3genE10ELNS1_11target_archE1200ELNS1_3gpuE4ELNS1_3repE0EEENS1_30default_config_static_selectorELNS0_4arch9wavefront6targetE0EEEvT1_
; %bb.0:
	.section	.rodata,"a",@progbits
	.p2align	6, 0x0
	.amdhsa_kernel _ZN7rocprim17ROCPRIM_400000_NS6detail17trampoline_kernelINS0_14default_configENS1_25partition_config_selectorILNS1_17partition_subalgoE6ExNS0_10empty_typeEbEEZZNS1_14partition_implILS5_6ELb0ES3_mN6thrust23THRUST_200600_302600_NS6detail15normal_iteratorINSA_10device_ptrIxEEEEPS6_SG_NS0_5tupleIJSF_S6_EEENSH_IJSG_SG_EEES6_PlJ7is_evenIxEEEE10hipError_tPvRmT3_T4_T5_T6_T7_T9_mT8_P12ihipStream_tbDpT10_ENKUlT_T0_E_clISt17integral_constantIbLb0EES15_IbLb1EEEEDaS11_S12_EUlS11_E_NS1_11comp_targetILNS1_3genE10ELNS1_11target_archE1200ELNS1_3gpuE4ELNS1_3repE0EEENS1_30default_config_static_selectorELNS0_4arch9wavefront6targetE0EEEvT1_
		.amdhsa_group_segment_fixed_size 0
		.amdhsa_private_segment_fixed_size 0
		.amdhsa_kernarg_size 128
		.amdhsa_user_sgpr_count 15
		.amdhsa_user_sgpr_dispatch_ptr 0
		.amdhsa_user_sgpr_queue_ptr 0
		.amdhsa_user_sgpr_kernarg_segment_ptr 1
		.amdhsa_user_sgpr_dispatch_id 0
		.amdhsa_user_sgpr_private_segment_size 0
		.amdhsa_wavefront_size32 1
		.amdhsa_uses_dynamic_stack 0
		.amdhsa_enable_private_segment 0
		.amdhsa_system_sgpr_workgroup_id_x 1
		.amdhsa_system_sgpr_workgroup_id_y 0
		.amdhsa_system_sgpr_workgroup_id_z 0
		.amdhsa_system_sgpr_workgroup_info 0
		.amdhsa_system_vgpr_workitem_id 0
		.amdhsa_next_free_vgpr 1
		.amdhsa_next_free_sgpr 1
		.amdhsa_reserve_vcc 0
		.amdhsa_float_round_mode_32 0
		.amdhsa_float_round_mode_16_64 0
		.amdhsa_float_denorm_mode_32 3
		.amdhsa_float_denorm_mode_16_64 3
		.amdhsa_dx10_clamp 1
		.amdhsa_ieee_mode 1
		.amdhsa_fp16_overflow 0
		.amdhsa_workgroup_processor_mode 1
		.amdhsa_memory_ordered 1
		.amdhsa_forward_progress 0
		.amdhsa_shared_vgpr_count 0
		.amdhsa_exception_fp_ieee_invalid_op 0
		.amdhsa_exception_fp_denorm_src 0
		.amdhsa_exception_fp_ieee_div_zero 0
		.amdhsa_exception_fp_ieee_overflow 0
		.amdhsa_exception_fp_ieee_underflow 0
		.amdhsa_exception_fp_ieee_inexact 0
		.amdhsa_exception_int_div_zero 0
	.end_amdhsa_kernel
	.section	.text._ZN7rocprim17ROCPRIM_400000_NS6detail17trampoline_kernelINS0_14default_configENS1_25partition_config_selectorILNS1_17partition_subalgoE6ExNS0_10empty_typeEbEEZZNS1_14partition_implILS5_6ELb0ES3_mN6thrust23THRUST_200600_302600_NS6detail15normal_iteratorINSA_10device_ptrIxEEEEPS6_SG_NS0_5tupleIJSF_S6_EEENSH_IJSG_SG_EEES6_PlJ7is_evenIxEEEE10hipError_tPvRmT3_T4_T5_T6_T7_T9_mT8_P12ihipStream_tbDpT10_ENKUlT_T0_E_clISt17integral_constantIbLb0EES15_IbLb1EEEEDaS11_S12_EUlS11_E_NS1_11comp_targetILNS1_3genE10ELNS1_11target_archE1200ELNS1_3gpuE4ELNS1_3repE0EEENS1_30default_config_static_selectorELNS0_4arch9wavefront6targetE0EEEvT1_,"axG",@progbits,_ZN7rocprim17ROCPRIM_400000_NS6detail17trampoline_kernelINS0_14default_configENS1_25partition_config_selectorILNS1_17partition_subalgoE6ExNS0_10empty_typeEbEEZZNS1_14partition_implILS5_6ELb0ES3_mN6thrust23THRUST_200600_302600_NS6detail15normal_iteratorINSA_10device_ptrIxEEEEPS6_SG_NS0_5tupleIJSF_S6_EEENSH_IJSG_SG_EEES6_PlJ7is_evenIxEEEE10hipError_tPvRmT3_T4_T5_T6_T7_T9_mT8_P12ihipStream_tbDpT10_ENKUlT_T0_E_clISt17integral_constantIbLb0EES15_IbLb1EEEEDaS11_S12_EUlS11_E_NS1_11comp_targetILNS1_3genE10ELNS1_11target_archE1200ELNS1_3gpuE4ELNS1_3repE0EEENS1_30default_config_static_selectorELNS0_4arch9wavefront6targetE0EEEvT1_,comdat
.Lfunc_end389:
	.size	_ZN7rocprim17ROCPRIM_400000_NS6detail17trampoline_kernelINS0_14default_configENS1_25partition_config_selectorILNS1_17partition_subalgoE6ExNS0_10empty_typeEbEEZZNS1_14partition_implILS5_6ELb0ES3_mN6thrust23THRUST_200600_302600_NS6detail15normal_iteratorINSA_10device_ptrIxEEEEPS6_SG_NS0_5tupleIJSF_S6_EEENSH_IJSG_SG_EEES6_PlJ7is_evenIxEEEE10hipError_tPvRmT3_T4_T5_T6_T7_T9_mT8_P12ihipStream_tbDpT10_ENKUlT_T0_E_clISt17integral_constantIbLb0EES15_IbLb1EEEEDaS11_S12_EUlS11_E_NS1_11comp_targetILNS1_3genE10ELNS1_11target_archE1200ELNS1_3gpuE4ELNS1_3repE0EEENS1_30default_config_static_selectorELNS0_4arch9wavefront6targetE0EEEvT1_, .Lfunc_end389-_ZN7rocprim17ROCPRIM_400000_NS6detail17trampoline_kernelINS0_14default_configENS1_25partition_config_selectorILNS1_17partition_subalgoE6ExNS0_10empty_typeEbEEZZNS1_14partition_implILS5_6ELb0ES3_mN6thrust23THRUST_200600_302600_NS6detail15normal_iteratorINSA_10device_ptrIxEEEEPS6_SG_NS0_5tupleIJSF_S6_EEENSH_IJSG_SG_EEES6_PlJ7is_evenIxEEEE10hipError_tPvRmT3_T4_T5_T6_T7_T9_mT8_P12ihipStream_tbDpT10_ENKUlT_T0_E_clISt17integral_constantIbLb0EES15_IbLb1EEEEDaS11_S12_EUlS11_E_NS1_11comp_targetILNS1_3genE10ELNS1_11target_archE1200ELNS1_3gpuE4ELNS1_3repE0EEENS1_30default_config_static_selectorELNS0_4arch9wavefront6targetE0EEEvT1_
                                        ; -- End function
	.section	.AMDGPU.csdata,"",@progbits
; Kernel info:
; codeLenInByte = 0
; NumSgprs: 0
; NumVgprs: 0
; ScratchSize: 0
; MemoryBound: 0
; FloatMode: 240
; IeeeMode: 1
; LDSByteSize: 0 bytes/workgroup (compile time only)
; SGPRBlocks: 0
; VGPRBlocks: 0
; NumSGPRsForWavesPerEU: 1
; NumVGPRsForWavesPerEU: 1
; Occupancy: 16
; WaveLimiterHint : 0
; COMPUTE_PGM_RSRC2:SCRATCH_EN: 0
; COMPUTE_PGM_RSRC2:USER_SGPR: 15
; COMPUTE_PGM_RSRC2:TRAP_HANDLER: 0
; COMPUTE_PGM_RSRC2:TGID_X_EN: 1
; COMPUTE_PGM_RSRC2:TGID_Y_EN: 0
; COMPUTE_PGM_RSRC2:TGID_Z_EN: 0
; COMPUTE_PGM_RSRC2:TIDIG_COMP_CNT: 0
	.section	.text._ZN7rocprim17ROCPRIM_400000_NS6detail17trampoline_kernelINS0_14default_configENS1_25partition_config_selectorILNS1_17partition_subalgoE6ExNS0_10empty_typeEbEEZZNS1_14partition_implILS5_6ELb0ES3_mN6thrust23THRUST_200600_302600_NS6detail15normal_iteratorINSA_10device_ptrIxEEEEPS6_SG_NS0_5tupleIJSF_S6_EEENSH_IJSG_SG_EEES6_PlJ7is_evenIxEEEE10hipError_tPvRmT3_T4_T5_T6_T7_T9_mT8_P12ihipStream_tbDpT10_ENKUlT_T0_E_clISt17integral_constantIbLb0EES15_IbLb1EEEEDaS11_S12_EUlS11_E_NS1_11comp_targetILNS1_3genE9ELNS1_11target_archE1100ELNS1_3gpuE3ELNS1_3repE0EEENS1_30default_config_static_selectorELNS0_4arch9wavefront6targetE0EEEvT1_,"axG",@progbits,_ZN7rocprim17ROCPRIM_400000_NS6detail17trampoline_kernelINS0_14default_configENS1_25partition_config_selectorILNS1_17partition_subalgoE6ExNS0_10empty_typeEbEEZZNS1_14partition_implILS5_6ELb0ES3_mN6thrust23THRUST_200600_302600_NS6detail15normal_iteratorINSA_10device_ptrIxEEEEPS6_SG_NS0_5tupleIJSF_S6_EEENSH_IJSG_SG_EEES6_PlJ7is_evenIxEEEE10hipError_tPvRmT3_T4_T5_T6_T7_T9_mT8_P12ihipStream_tbDpT10_ENKUlT_T0_E_clISt17integral_constantIbLb0EES15_IbLb1EEEEDaS11_S12_EUlS11_E_NS1_11comp_targetILNS1_3genE9ELNS1_11target_archE1100ELNS1_3gpuE3ELNS1_3repE0EEENS1_30default_config_static_selectorELNS0_4arch9wavefront6targetE0EEEvT1_,comdat
	.protected	_ZN7rocprim17ROCPRIM_400000_NS6detail17trampoline_kernelINS0_14default_configENS1_25partition_config_selectorILNS1_17partition_subalgoE6ExNS0_10empty_typeEbEEZZNS1_14partition_implILS5_6ELb0ES3_mN6thrust23THRUST_200600_302600_NS6detail15normal_iteratorINSA_10device_ptrIxEEEEPS6_SG_NS0_5tupleIJSF_S6_EEENSH_IJSG_SG_EEES6_PlJ7is_evenIxEEEE10hipError_tPvRmT3_T4_T5_T6_T7_T9_mT8_P12ihipStream_tbDpT10_ENKUlT_T0_E_clISt17integral_constantIbLb0EES15_IbLb1EEEEDaS11_S12_EUlS11_E_NS1_11comp_targetILNS1_3genE9ELNS1_11target_archE1100ELNS1_3gpuE3ELNS1_3repE0EEENS1_30default_config_static_selectorELNS0_4arch9wavefront6targetE0EEEvT1_ ; -- Begin function _ZN7rocprim17ROCPRIM_400000_NS6detail17trampoline_kernelINS0_14default_configENS1_25partition_config_selectorILNS1_17partition_subalgoE6ExNS0_10empty_typeEbEEZZNS1_14partition_implILS5_6ELb0ES3_mN6thrust23THRUST_200600_302600_NS6detail15normal_iteratorINSA_10device_ptrIxEEEEPS6_SG_NS0_5tupleIJSF_S6_EEENSH_IJSG_SG_EEES6_PlJ7is_evenIxEEEE10hipError_tPvRmT3_T4_T5_T6_T7_T9_mT8_P12ihipStream_tbDpT10_ENKUlT_T0_E_clISt17integral_constantIbLb0EES15_IbLb1EEEEDaS11_S12_EUlS11_E_NS1_11comp_targetILNS1_3genE9ELNS1_11target_archE1100ELNS1_3gpuE3ELNS1_3repE0EEENS1_30default_config_static_selectorELNS0_4arch9wavefront6targetE0EEEvT1_
	.globl	_ZN7rocprim17ROCPRIM_400000_NS6detail17trampoline_kernelINS0_14default_configENS1_25partition_config_selectorILNS1_17partition_subalgoE6ExNS0_10empty_typeEbEEZZNS1_14partition_implILS5_6ELb0ES3_mN6thrust23THRUST_200600_302600_NS6detail15normal_iteratorINSA_10device_ptrIxEEEEPS6_SG_NS0_5tupleIJSF_S6_EEENSH_IJSG_SG_EEES6_PlJ7is_evenIxEEEE10hipError_tPvRmT3_T4_T5_T6_T7_T9_mT8_P12ihipStream_tbDpT10_ENKUlT_T0_E_clISt17integral_constantIbLb0EES15_IbLb1EEEEDaS11_S12_EUlS11_E_NS1_11comp_targetILNS1_3genE9ELNS1_11target_archE1100ELNS1_3gpuE3ELNS1_3repE0EEENS1_30default_config_static_selectorELNS0_4arch9wavefront6targetE0EEEvT1_
	.p2align	8
	.type	_ZN7rocprim17ROCPRIM_400000_NS6detail17trampoline_kernelINS0_14default_configENS1_25partition_config_selectorILNS1_17partition_subalgoE6ExNS0_10empty_typeEbEEZZNS1_14partition_implILS5_6ELb0ES3_mN6thrust23THRUST_200600_302600_NS6detail15normal_iteratorINSA_10device_ptrIxEEEEPS6_SG_NS0_5tupleIJSF_S6_EEENSH_IJSG_SG_EEES6_PlJ7is_evenIxEEEE10hipError_tPvRmT3_T4_T5_T6_T7_T9_mT8_P12ihipStream_tbDpT10_ENKUlT_T0_E_clISt17integral_constantIbLb0EES15_IbLb1EEEEDaS11_S12_EUlS11_E_NS1_11comp_targetILNS1_3genE9ELNS1_11target_archE1100ELNS1_3gpuE3ELNS1_3repE0EEENS1_30default_config_static_selectorELNS0_4arch9wavefront6targetE0EEEvT1_,@function
_ZN7rocprim17ROCPRIM_400000_NS6detail17trampoline_kernelINS0_14default_configENS1_25partition_config_selectorILNS1_17partition_subalgoE6ExNS0_10empty_typeEbEEZZNS1_14partition_implILS5_6ELb0ES3_mN6thrust23THRUST_200600_302600_NS6detail15normal_iteratorINSA_10device_ptrIxEEEEPS6_SG_NS0_5tupleIJSF_S6_EEENSH_IJSG_SG_EEES6_PlJ7is_evenIxEEEE10hipError_tPvRmT3_T4_T5_T6_T7_T9_mT8_P12ihipStream_tbDpT10_ENKUlT_T0_E_clISt17integral_constantIbLb0EES15_IbLb1EEEEDaS11_S12_EUlS11_E_NS1_11comp_targetILNS1_3genE9ELNS1_11target_archE1100ELNS1_3gpuE3ELNS1_3repE0EEENS1_30default_config_static_selectorELNS0_4arch9wavefront6targetE0EEEvT1_: ; @_ZN7rocprim17ROCPRIM_400000_NS6detail17trampoline_kernelINS0_14default_configENS1_25partition_config_selectorILNS1_17partition_subalgoE6ExNS0_10empty_typeEbEEZZNS1_14partition_implILS5_6ELb0ES3_mN6thrust23THRUST_200600_302600_NS6detail15normal_iteratorINSA_10device_ptrIxEEEEPS6_SG_NS0_5tupleIJSF_S6_EEENSH_IJSG_SG_EEES6_PlJ7is_evenIxEEEE10hipError_tPvRmT3_T4_T5_T6_T7_T9_mT8_P12ihipStream_tbDpT10_ENKUlT_T0_E_clISt17integral_constantIbLb0EES15_IbLb1EEEEDaS11_S12_EUlS11_E_NS1_11comp_targetILNS1_3genE9ELNS1_11target_archE1100ELNS1_3gpuE3ELNS1_3repE0EEENS1_30default_config_static_selectorELNS0_4arch9wavefront6targetE0EEEvT1_
; %bb.0:
	s_clause 0x3
	s_load_b64 s[12:13], s[0:1], 0x28
	s_load_b128 s[8:11], s[0:1], 0x40
	s_load_b64 s[16:17], s[0:1], 0x50
	s_load_b64 s[14:15], s[0:1], 0x60
	v_cmp_eq_u32_e64 s2, 0, v0
	s_delay_alu instid0(VALU_DEP_1)
	s_and_saveexec_b32 s3, s2
	s_cbranch_execz .LBB390_4
; %bb.1:
	s_mov_b32 s5, exec_lo
	s_mov_b32 s4, exec_lo
	v_mbcnt_lo_u32_b32 v1, s5, 0
                                        ; implicit-def: $vgpr2
	s_delay_alu instid0(VALU_DEP_1)
	v_cmpx_eq_u32_e32 0, v1
	s_cbranch_execz .LBB390_3
; %bb.2:
	s_load_b64 s[6:7], s[0:1], 0x70
	s_bcnt1_i32_b32 s5, s5
	s_delay_alu instid0(SALU_CYCLE_1)
	v_dual_mov_b32 v2, 0 :: v_dual_mov_b32 v3, s5
	s_waitcnt lgkmcnt(0)
	global_atomic_add_u32 v2, v2, v3, s[6:7] glc
.LBB390_3:
	s_or_b32 exec_lo, exec_lo, s4
	s_waitcnt vmcnt(0)
	v_readfirstlane_b32 s4, v2
	s_delay_alu instid0(VALU_DEP_1)
	v_dual_mov_b32 v2, 0 :: v_dual_add_nc_u32 v1, s4, v1
	ds_store_b32 v2, v1
.LBB390_4:
	s_or_b32 exec_lo, exec_lo, s3
	v_mov_b32_e32 v2, 0
	s_clause 0x1
	s_load_b128 s[4:7], s[0:1], 0x8
	s_load_b32 s0, s[0:1], 0x68
	s_waitcnt lgkmcnt(0)
	s_barrier
	buffer_gl0_inv
	ds_load_b32 v1, v2
	s_waitcnt lgkmcnt(0)
	s_barrier
	buffer_gl0_inv
	global_load_b64 v[21:22], v2, s[10:11]
	s_lshl_b64 s[10:11], s[6:7], 3
	s_delay_alu instid0(SALU_CYCLE_1)
	s_add_u32 s1, s4, s10
	s_mul_i32 s4, s0, 0x900
	s_addc_u32 s3, s5, s11
	v_readfirstlane_b32 s10, v1
	v_mul_lo_u32 v1, 0x900, v1
	s_add_i32 s5, s4, s6
	s_add_i32 s11, s0, -1
	s_sub_i32 s0, s16, s5
	s_add_u32 s4, s6, s4
	s_addc_u32 s5, s7, 0
	s_cmp_eq_u32 s10, s11
	v_cmp_ge_u64_e64 s4, s[4:5], s[16:17]
	v_lshlrev_b64 v[1:2], 3, v[1:2]
	s_cselect_b32 s5, -1, 0
	s_delay_alu instid0(VALU_DEP_2) | instid1(SALU_CYCLE_1)
	s_and_b32 s4, s4, s5
	s_delay_alu instid0(VALU_DEP_1) | instskip(NEXT) | instid1(VALU_DEP_2)
	v_add_co_u32 v17, vcc_lo, s1, v1
	v_add_co_ci_u32_e32 v18, vcc_lo, s3, v2, vcc_lo
	s_xor_b32 s6, s4, -1
	s_mov_b32 s1, -1
	s_and_b32 vcc_lo, exec_lo, s6
	s_cbranch_vccz .LBB390_6
; %bb.5:
	v_lshlrev_b32_e32 v13, 3, v0
	s_mov_b32 s1, 0
	s_delay_alu instid0(VALU_DEP_1) | instskip(SKIP_1) | instid1(VALU_DEP_2)
	v_add_co_u32 v1, vcc_lo, v17, v13
	v_add_co_ci_u32_e32 v2, vcc_lo, 0, v18, vcc_lo
	v_add_co_u32 v3, vcc_lo, 0x1000, v1
	s_delay_alu instid0(VALU_DEP_2)
	v_add_co_ci_u32_e32 v4, vcc_lo, 0, v2, vcc_lo
	v_add_co_u32 v5, vcc_lo, 0x2000, v1
	v_add_co_ci_u32_e32 v6, vcc_lo, 0, v2, vcc_lo
	v_add_co_u32 v7, vcc_lo, 0x3000, v1
	v_add_co_ci_u32_e32 v8, vcc_lo, 0, v2, vcc_lo
	s_clause 0x5
	flat_load_b64 v[9:10], v[1:2]
	flat_load_b64 v[1:2], v[1:2] offset:3072
	flat_load_b64 v[3:4], v[3:4] offset:2048
	;; [unrolled: 1-line block ×3, first 2 shown]
	flat_load_b64 v[11:12], v[7:8]
	flat_load_b64 v[7:8], v[7:8] offset:3072
	s_waitcnt vmcnt(4) lgkmcnt(4)
	ds_store_2addr_stride64_b64 v13, v[9:10], v[1:2] offset1:6
	s_waitcnt vmcnt(2) lgkmcnt(3)
	ds_store_2addr_stride64_b64 v13, v[3:4], v[5:6] offset0:12 offset1:18
	s_waitcnt vmcnt(0) lgkmcnt(2)
	ds_store_2addr_stride64_b64 v13, v[11:12], v[7:8] offset0:24 offset1:30
	s_waitcnt lgkmcnt(0)
	s_barrier
.LBB390_6:
	s_and_not1_b32 vcc_lo, exec_lo, s1
	s_addk_i32 s0, 0x900
	s_cbranch_vccnz .LBB390_20
; %bb.7:
	s_mov_b32 s1, exec_lo
                                        ; implicit-def: $vgpr1_vgpr2_vgpr3_vgpr4_vgpr5_vgpr6_vgpr7_vgpr8_vgpr9_vgpr10_vgpr11_vgpr12_vgpr13_vgpr14_vgpr15_vgpr16
	v_cmpx_gt_u32_e64 s0, v0
	s_cbranch_execz .LBB390_9
; %bb.8:
	v_lshlrev_b32_e32 v1, 3, v0
	s_delay_alu instid0(VALU_DEP_1)
	v_add_co_u32 v1, vcc_lo, v17, v1
	v_add_co_ci_u32_e32 v2, vcc_lo, 0, v18, vcc_lo
	flat_load_b64 v[1:2], v[1:2]
.LBB390_9:
	s_or_b32 exec_lo, exec_lo, s1
	v_add_nc_u32_e32 v13, 0x180, v0
	s_mov_b32 s1, exec_lo
	s_delay_alu instid0(VALU_DEP_1)
	v_cmpx_gt_u32_e64 s0, v13
	s_cbranch_execz .LBB390_11
; %bb.10:
	v_lshlrev_b32_e32 v3, 3, v0
	s_delay_alu instid0(VALU_DEP_1)
	v_add_co_u32 v3, vcc_lo, v17, v3
	v_add_co_ci_u32_e32 v4, vcc_lo, 0, v18, vcc_lo
	flat_load_b64 v[3:4], v[3:4] offset:3072
.LBB390_11:
	s_or_b32 exec_lo, exec_lo, s1
	v_add_nc_u32_e32 v13, 0x300, v0
	s_mov_b32 s1, exec_lo
	s_delay_alu instid0(VALU_DEP_1)
	v_cmpx_gt_u32_e64 s0, v13
	s_cbranch_execz .LBB390_13
; %bb.12:
	v_lshlrev_b32_e32 v5, 3, v13
	s_delay_alu instid0(VALU_DEP_1)
	v_add_co_u32 v5, vcc_lo, v17, v5
	v_add_co_ci_u32_e32 v6, vcc_lo, 0, v18, vcc_lo
	flat_load_b64 v[5:6], v[5:6]
.LBB390_13:
	s_or_b32 exec_lo, exec_lo, s1
	v_add_nc_u32_e32 v13, 0x480, v0
	s_mov_b32 s1, exec_lo
	s_delay_alu instid0(VALU_DEP_1)
	v_cmpx_gt_u32_e64 s0, v13
	s_cbranch_execz .LBB390_15
; %bb.14:
	v_lshlrev_b32_e32 v7, 3, v13
	s_delay_alu instid0(VALU_DEP_1)
	v_add_co_u32 v7, vcc_lo, v17, v7
	v_add_co_ci_u32_e32 v8, vcc_lo, 0, v18, vcc_lo
	flat_load_b64 v[7:8], v[7:8]
.LBB390_15:
	s_or_b32 exec_lo, exec_lo, s1
	v_or_b32_e32 v13, 0x600, v0
	s_mov_b32 s1, exec_lo
	s_delay_alu instid0(VALU_DEP_1)
	v_cmpx_gt_u32_e64 s0, v13
	s_cbranch_execz .LBB390_17
; %bb.16:
	v_lshlrev_b32_e32 v9, 3, v13
	s_delay_alu instid0(VALU_DEP_1)
	v_add_co_u32 v9, vcc_lo, v17, v9
	v_add_co_ci_u32_e32 v10, vcc_lo, 0, v18, vcc_lo
	flat_load_b64 v[9:10], v[9:10]
.LBB390_17:
	s_or_b32 exec_lo, exec_lo, s1
	v_add_nc_u32_e32 v13, 0x780, v0
	s_mov_b32 s1, exec_lo
	s_delay_alu instid0(VALU_DEP_1)
	v_cmpx_gt_u32_e64 s0, v13
	s_cbranch_execz .LBB390_19
; %bb.18:
	v_lshlrev_b32_e32 v11, 3, v13
	s_delay_alu instid0(VALU_DEP_1)
	v_add_co_u32 v11, vcc_lo, v17, v11
	v_add_co_ci_u32_e32 v12, vcc_lo, 0, v18, vcc_lo
	flat_load_b64 v[11:12], v[11:12]
.LBB390_19:
	s_or_b32 exec_lo, exec_lo, s1
	v_lshlrev_b32_e32 v13, 3, v0
	s_waitcnt vmcnt(0) lgkmcnt(0)
	ds_store_2addr_stride64_b64 v13, v[1:2], v[3:4] offset1:6
	ds_store_2addr_stride64_b64 v13, v[5:6], v[7:8] offset0:12 offset1:18
	ds_store_2addr_stride64_b64 v13, v[9:10], v[11:12] offset0:24 offset1:30
	s_waitcnt lgkmcnt(0)
	s_barrier
.LBB390_20:
	v_mul_u32_u24_e32 v13, 6, v0
	s_waitcnt vmcnt(0)
	buffer_gl0_inv
	s_and_not1_b32 vcc_lo, exec_lo, s6
	v_lshlrev_b32_e32 v37, 3, v13
	ds_load_b128 v[9:12], v37
	ds_load_b128 v[5:8], v37 offset:16
	ds_load_b128 v[1:4], v37 offset:32
	s_waitcnt lgkmcnt(0)
	s_barrier
	buffer_gl0_inv
	v_xor_b32_e32 v16, -1, v9
	v_xor_b32_e32 v18, -1, v11
	;; [unrolled: 1-line block ×6, first 2 shown]
	s_cbranch_vccnz .LBB390_22
; %bb.21:
	v_and_b32_e32 v20, 1, v18
	v_and_b32_e32 v23, 1, v19
	;; [unrolled: 1-line block ×5, first 2 shown]
	v_lshlrev_b16 v20, 8, v20
	v_lshlrev_b16 v23, 8, v23
	v_and_b32_e32 v33, 1, v15
	s_delay_alu instid0(VALU_DEP_3) | instskip(NEXT) | instid1(VALU_DEP_3)
	v_or_b32_e32 v20, v24, v20
	v_or_b32_e32 v23, v25, v23
	s_delay_alu instid0(VALU_DEP_2) | instskip(NEXT) | instid1(VALU_DEP_2)
	v_and_b32_e32 v20, 0xffff, v20
	v_lshlrev_b32_e32 v23, 16, v23
	s_delay_alu instid0(VALU_DEP_1)
	v_or_b32_e32 v36, v20, v23
	s_cbranch_execz .LBB390_23
	s_branch .LBB390_24
.LBB390_22:
                                        ; implicit-def: $vgpr33
                                        ; implicit-def: $vgpr34
                                        ; implicit-def: $vgpr36
.LBB390_23:
	v_or_b32_e32 v20, 1, v13
	v_add_nc_u32_e32 v23, 3, v13
	v_add_nc_u32_e32 v24, 2, v13
	s_delay_alu instid0(VALU_DEP_3) | instskip(SKIP_1) | instid1(VALU_DEP_4)
	v_cmp_gt_u32_e32 vcc_lo, s0, v20
	v_cndmask_b32_e64 v20, 0, 1, vcc_lo
	v_cmp_gt_u32_e32 vcc_lo, s0, v23
	s_delay_alu instid0(VALU_DEP_2)
	v_and_b32_e32 v18, v20, v18
	v_cndmask_b32_e64 v23, 0, 1, vcc_lo
	v_cmp_gt_u32_e32 vcc_lo, s0, v13
	v_add_nc_u32_e32 v20, 4, v13
	v_add_nc_u32_e32 v13, 5, v13
	v_lshlrev_b16 v18, 8, v18
	v_and_b32_e32 v19, v23, v19
	v_cndmask_b32_e64 v25, 0, 1, vcc_lo
	v_cmp_gt_u32_e32 vcc_lo, s0, v24
	s_delay_alu instid0(VALU_DEP_3) | instskip(NEXT) | instid1(VALU_DEP_3)
	v_lshlrev_b16 v19, 8, v19
	v_and_b32_e32 v16, v25, v16
	v_cndmask_b32_e64 v24, 0, 1, vcc_lo
	v_cmp_gt_u32_e32 vcc_lo, s0, v20
	s_delay_alu instid0(VALU_DEP_3) | instskip(NEXT) | instid1(VALU_DEP_3)
	v_or_b32_e32 v16, v16, v18
	v_and_b32_e32 v17, v24, v17
	v_cndmask_b32_e64 v18, 0, 1, vcc_lo
	v_cmp_gt_u32_e32 vcc_lo, s0, v13
	s_delay_alu instid0(VALU_DEP_4) | instskip(NEXT) | instid1(VALU_DEP_4)
	v_and_b32_e32 v16, 0xffff, v16
	v_or_b32_e32 v17, v17, v19
	s_delay_alu instid0(VALU_DEP_4) | instskip(SKIP_1) | instid1(VALU_DEP_3)
	v_and_b32_e32 v34, v18, v14
	v_cndmask_b32_e64 v13, 0, 1, vcc_lo
	v_lshlrev_b32_e32 v17, 16, v17
	s_delay_alu instid0(VALU_DEP_2) | instskip(NEXT) | instid1(VALU_DEP_2)
	v_and_b32_e32 v33, v13, v15
	v_or_b32_e32 v36, v16, v17
.LBB390_24:
	s_delay_alu instid0(VALU_DEP_1)
	v_dual_mov_b32 v14, 0 :: v_dual_and_b32 v41, 0xff, v36
	v_bfe_u32 v40, v36, 8, 8
	v_bfe_u32 v39, v36, 16, 8
	v_lshrrev_b32_e32 v35, 24, v36
	v_and_b32_e32 v38, 0xff, v34
	v_mbcnt_lo_u32_b32 v42, -1, 0
	v_add_co_u32 v13, s0, v40, v41
	s_delay_alu instid0(VALU_DEP_1) | instskip(SKIP_1) | instid1(VALU_DEP_3)
	v_add_co_ci_u32_e64 v15, null, 0, 0, s0
	v_and_b32_e32 v16, 0xff, v33
	v_add_co_u32 v13, vcc_lo, v13, v39
	s_delay_alu instid0(VALU_DEP_3) | instskip(SKIP_1) | instid1(VALU_DEP_3)
	v_add_co_ci_u32_e32 v15, vcc_lo, 0, v15, vcc_lo
	v_and_b32_e32 v43, 15, v42
	v_add_co_u32 v13, vcc_lo, v13, v35
	s_delay_alu instid0(VALU_DEP_3) | instskip(NEXT) | instid1(VALU_DEP_3)
	v_add_co_ci_u32_e32 v15, vcc_lo, 0, v15, vcc_lo
	v_cmp_ne_u32_e64 s0, 0, v43
	s_delay_alu instid0(VALU_DEP_3) | instskip(NEXT) | instid1(VALU_DEP_3)
	v_add_co_u32 v13, vcc_lo, v13, v38
	v_add_co_ci_u32_e32 v15, vcc_lo, 0, v15, vcc_lo
	s_cmp_lg_u32 s10, 0
	s_delay_alu instid0(VALU_DEP_2) | instskip(NEXT) | instid1(VALU_DEP_2)
	v_add_co_u32 v23, vcc_lo, v13, v16
	v_add_co_ci_u32_e32 v24, vcc_lo, 0, v15, vcc_lo
	s_mov_b32 s1, -1
	s_cbranch_scc0 .LBB390_88
; %bb.25:
	s_delay_alu instid0(VALU_DEP_2)
	v_mov_b32_e32 v15, v23
	v_mov_b32_dpp v13, v23 row_shr:1 row_mask:0xf bank_mask:0xf
	v_mov_b32_dpp v18, v14 row_shr:1 row_mask:0xf bank_mask:0xf
	v_dual_mov_b32 v17, v23 :: v_dual_mov_b32 v16, v24
	s_and_saveexec_b32 s1, s0
; %bb.26:
	s_delay_alu instid0(VALU_DEP_3) | instskip(SKIP_1) | instid1(VALU_DEP_2)
	v_add_co_u32 v17, vcc_lo, v23, v13
	v_add_co_ci_u32_e32 v14, vcc_lo, 0, v24, vcc_lo
	v_add_co_u32 v13, vcc_lo, 0, v17
	s_delay_alu instid0(VALU_DEP_2) | instskip(NEXT) | instid1(VALU_DEP_1)
	v_add_co_ci_u32_e32 v14, vcc_lo, v18, v14, vcc_lo
	v_dual_mov_b32 v16, v14 :: v_dual_mov_b32 v15, v13
; %bb.27:
	s_or_b32 exec_lo, exec_lo, s1
	v_mov_b32_dpp v13, v17 row_shr:2 row_mask:0xf bank_mask:0xf
	v_mov_b32_dpp v18, v14 row_shr:2 row_mask:0xf bank_mask:0xf
	v_cmp_lt_u32_e32 vcc_lo, 1, v43
	s_and_saveexec_b32 s3, vcc_lo
; %bb.28:
	s_delay_alu instid0(VALU_DEP_3) | instskip(NEXT) | instid1(VALU_DEP_1)
	v_add_co_u32 v17, s1, v15, v13
	v_add_co_ci_u32_e64 v14, s1, 0, v16, s1
	s_delay_alu instid0(VALU_DEP_2) | instskip(NEXT) | instid1(VALU_DEP_1)
	v_add_co_u32 v13, s1, 0, v17
	v_add_co_ci_u32_e64 v14, s1, v18, v14, s1
	s_delay_alu instid0(VALU_DEP_1)
	v_dual_mov_b32 v16, v14 :: v_dual_mov_b32 v15, v13
; %bb.29:
	s_or_b32 exec_lo, exec_lo, s3
	v_mov_b32_dpp v13, v17 row_shr:4 row_mask:0xf bank_mask:0xf
	v_mov_b32_dpp v18, v14 row_shr:4 row_mask:0xf bank_mask:0xf
	v_cmp_lt_u32_e64 s1, 3, v43
	s_delay_alu instid0(VALU_DEP_1)
	s_and_saveexec_b32 s4, s1
; %bb.30:
	s_delay_alu instid0(VALU_DEP_3) | instskip(NEXT) | instid1(VALU_DEP_1)
	v_add_co_u32 v17, s3, v15, v13
	v_add_co_ci_u32_e64 v14, s3, 0, v16, s3
	s_delay_alu instid0(VALU_DEP_2) | instskip(NEXT) | instid1(VALU_DEP_1)
	v_add_co_u32 v13, s3, 0, v17
	v_add_co_ci_u32_e64 v14, s3, v18, v14, s3
	s_delay_alu instid0(VALU_DEP_1)
	v_dual_mov_b32 v16, v14 :: v_dual_mov_b32 v15, v13
; %bb.31:
	s_or_b32 exec_lo, exec_lo, s4
	v_mov_b32_dpp v18, v17 row_shr:8 row_mask:0xf bank_mask:0xf
	v_mov_b32_dpp v13, v14 row_shr:8 row_mask:0xf bank_mask:0xf
	v_cmp_lt_u32_e64 s3, 7, v43
	s_delay_alu instid0(VALU_DEP_1)
	s_and_saveexec_b32 s7, s3
; %bb.32:
	s_delay_alu instid0(VALU_DEP_3) | instskip(NEXT) | instid1(VALU_DEP_1)
	v_add_co_u32 v17, s4, v15, v18
	v_add_co_ci_u32_e64 v14, s4, 0, v16, s4
	s_delay_alu instid0(VALU_DEP_2) | instskip(NEXT) | instid1(VALU_DEP_1)
	v_add_co_u32 v15, s4, 0, v17
	v_add_co_ci_u32_e64 v16, s4, v13, v14, s4
	s_delay_alu instid0(VALU_DEP_1)
	v_mov_b32_e32 v14, v16
; %bb.33:
	s_or_b32 exec_lo, exec_lo, s7
	ds_swizzle_b32 v13, v17 offset:swizzle(BROADCAST,32,15)
	ds_swizzle_b32 v18, v14 offset:swizzle(BROADCAST,32,15)
	v_and_b32_e32 v19, 16, v42
	s_mov_b32 s7, exec_lo
	s_delay_alu instid0(VALU_DEP_1)
	v_cmpx_ne_u32_e32 0, v19
	s_cbranch_execz .LBB390_35
; %bb.34:
	s_waitcnt lgkmcnt(1)
	v_add_co_u32 v17, s4, v15, v13
	s_delay_alu instid0(VALU_DEP_1) | instskip(NEXT) | instid1(VALU_DEP_2)
	v_add_co_ci_u32_e64 v14, s4, 0, v16, s4
	v_add_co_u32 v13, s4, 0, v17
	s_waitcnt lgkmcnt(0)
	s_delay_alu instid0(VALU_DEP_2) | instskip(NEXT) | instid1(VALU_DEP_1)
	v_add_co_ci_u32_e64 v14, s4, v18, v14, s4
	v_dual_mov_b32 v16, v14 :: v_dual_mov_b32 v15, v13
.LBB390_35:
	s_or_b32 exec_lo, exec_lo, s7
	s_waitcnt lgkmcnt(1)
	v_and_b32_e32 v13, 0x1e0, v0
	s_mov_b32 s7, exec_lo
	s_delay_alu instid0(VALU_DEP_1) | instskip(SKIP_1) | instid1(VALU_DEP_1)
	v_min_u32_e32 v13, 0x160, v13
	s_waitcnt lgkmcnt(0)
	v_or_b32_e32 v18, 31, v13
	v_lshrrev_b32_e32 v13, 5, v0
	s_delay_alu instid0(VALU_DEP_2)
	v_cmpx_eq_u32_e64 v18, v0
	s_cbranch_execz .LBB390_37
; %bb.36:
	s_delay_alu instid0(VALU_DEP_2)
	v_lshlrev_b32_e32 v18, 3, v13
	ds_store_b64 v18, v[15:16]
.LBB390_37:
	s_or_b32 exec_lo, exec_lo, s7
	s_delay_alu instid0(SALU_CYCLE_1)
	s_mov_b32 s7, exec_lo
	s_waitcnt lgkmcnt(0)
	s_barrier
	buffer_gl0_inv
	v_cmpx_gt_u32_e32 12, v0
	s_cbranch_execz .LBB390_47
; %bb.38:
	v_lshlrev_b32_e32 v18, 3, v0
	ds_load_b64 v[15:16], v18
	s_waitcnt lgkmcnt(0)
	v_mov_b32_e32 v19, v15
	v_mov_b32_dpp v25, v15 row_shr:1 row_mask:0xf bank_mask:0xf
	v_mov_b32_dpp v20, v16 row_shr:1 row_mask:0xf bank_mask:0xf
	s_and_saveexec_b32 s11, s0
; %bb.39:
	s_delay_alu instid0(VALU_DEP_2) | instskip(NEXT) | instid1(VALU_DEP_1)
	v_add_co_u32 v19, s4, v15, v25
	v_add_co_ci_u32_e64 v16, s4, 0, v16, s4
	s_delay_alu instid0(VALU_DEP_2) | instskip(NEXT) | instid1(VALU_DEP_1)
	v_add_co_u32 v15, s4, 0, v19
	v_add_co_ci_u32_e64 v16, s4, v20, v16, s4
; %bb.40:
	s_or_b32 exec_lo, exec_lo, s11
	v_mov_b32_dpp v25, v19 row_shr:2 row_mask:0xf bank_mask:0xf
	s_delay_alu instid0(VALU_DEP_2)
	v_mov_b32_dpp v20, v16 row_shr:2 row_mask:0xf bank_mask:0xf
	s_and_saveexec_b32 s4, vcc_lo
; %bb.41:
	s_delay_alu instid0(VALU_DEP_2) | instskip(SKIP_1) | instid1(VALU_DEP_2)
	v_add_co_u32 v19, vcc_lo, v15, v25
	v_add_co_ci_u32_e32 v16, vcc_lo, 0, v16, vcc_lo
	v_add_co_u32 v15, vcc_lo, 0, v19
	s_delay_alu instid0(VALU_DEP_2)
	v_add_co_ci_u32_e32 v16, vcc_lo, v20, v16, vcc_lo
; %bb.42:
	s_or_b32 exec_lo, exec_lo, s4
	v_mov_b32_dpp v25, v19 row_shr:4 row_mask:0xf bank_mask:0xf
	s_delay_alu instid0(VALU_DEP_2)
	v_mov_b32_dpp v20, v16 row_shr:4 row_mask:0xf bank_mask:0xf
	s_and_saveexec_b32 s4, s1
; %bb.43:
	s_delay_alu instid0(VALU_DEP_2) | instskip(SKIP_1) | instid1(VALU_DEP_2)
	v_add_co_u32 v19, vcc_lo, v15, v25
	v_add_co_ci_u32_e32 v16, vcc_lo, 0, v16, vcc_lo
	v_add_co_u32 v15, vcc_lo, 0, v19
	s_delay_alu instid0(VALU_DEP_2)
	v_add_co_ci_u32_e32 v16, vcc_lo, v20, v16, vcc_lo
; %bb.44:
	s_or_b32 exec_lo, exec_lo, s4
	v_mov_b32_dpp v20, v19 row_shr:8 row_mask:0xf bank_mask:0xf
	s_delay_alu instid0(VALU_DEP_2)
	v_mov_b32_dpp v19, v16 row_shr:8 row_mask:0xf bank_mask:0xf
	s_and_saveexec_b32 s1, s3
; %bb.45:
	s_delay_alu instid0(VALU_DEP_2) | instskip(SKIP_1) | instid1(VALU_DEP_2)
	v_add_co_u32 v15, vcc_lo, v15, v20
	v_add_co_ci_u32_e32 v16, vcc_lo, 0, v16, vcc_lo
	v_add_co_u32 v15, vcc_lo, v15, 0
	s_delay_alu instid0(VALU_DEP_2)
	v_add_co_ci_u32_e32 v16, vcc_lo, v16, v19, vcc_lo
; %bb.46:
	s_or_b32 exec_lo, exec_lo, s1
	ds_store_b64 v18, v[15:16]
.LBB390_47:
	s_or_b32 exec_lo, exec_lo, s7
	v_cmp_gt_u32_e32 vcc_lo, 32, v0
	s_mov_b32 s3, exec_lo
	s_waitcnt lgkmcnt(0)
	s_barrier
	buffer_gl0_inv
                                        ; implicit-def: $vgpr25_vgpr26
	v_cmpx_lt_u32_e32 31, v0
	s_cbranch_execz .LBB390_49
; %bb.48:
	v_lshl_add_u32 v13, v13, 3, -8
	ds_load_b64 v[25:26], v13
	s_waitcnt lgkmcnt(0)
	v_add_co_u32 v17, s1, v17, v25
	s_delay_alu instid0(VALU_DEP_1)
	v_add_co_ci_u32_e64 v14, s1, v14, v26, s1
.LBB390_49:
	s_or_b32 exec_lo, exec_lo, s3
	v_add_nc_u32_e32 v13, -1, v42
	s_delay_alu instid0(VALU_DEP_1) | instskip(NEXT) | instid1(VALU_DEP_1)
	v_cmp_gt_i32_e64 s1, 0, v13
	v_cndmask_b32_e64 v13, v13, v42, s1
	v_cmp_eq_u32_e64 s1, 0, v42
	s_delay_alu instid0(VALU_DEP_2)
	v_lshlrev_b32_e32 v13, 2, v13
	ds_bpermute_b32 v31, v13, v17
	ds_bpermute_b32 v32, v13, v14
	s_and_saveexec_b32 s3, vcc_lo
	s_cbranch_execz .LBB390_87
; %bb.50:
	v_mov_b32_e32 v16, 0
	ds_load_b64 v[13:14], v16 offset:88
	s_and_saveexec_b32 s4, s1
	s_cbranch_execz .LBB390_52
; %bb.51:
	s_add_i32 s16, s10, 32
	s_mov_b32 s17, 0
	s_delay_alu instid0(SALU_CYCLE_1) | instskip(NEXT) | instid1(SALU_CYCLE_1)
	s_lshl_b64 s[16:17], s[16:17], 4
	s_add_u32 s16, s14, s16
	s_addc_u32 s17, s15, s17
	s_delay_alu instid0(SALU_CYCLE_1)
	v_dual_mov_b32 v15, 1 :: v_dual_mov_b32 v18, s17
	v_mov_b32_e32 v17, s16
	s_waitcnt lgkmcnt(0)
	;;#ASMSTART
	global_store_dwordx4 v[17:18], v[13:16] off	
s_waitcnt vmcnt(0)
	;;#ASMEND
.LBB390_52:
	s_or_b32 exec_lo, exec_lo, s4
	v_xad_u32 v27, v42, -1, s10
	s_mov_b32 s7, 0
	s_mov_b32 s4, exec_lo
	s_delay_alu instid0(VALU_DEP_1) | instskip(NEXT) | instid1(VALU_DEP_1)
	v_add_nc_u32_e32 v15, 32, v27
	v_lshlrev_b64 v[15:16], 4, v[15:16]
	s_delay_alu instid0(VALU_DEP_1) | instskip(NEXT) | instid1(VALU_DEP_2)
	v_add_co_u32 v15, vcc_lo, s14, v15
	v_add_co_ci_u32_e32 v16, vcc_lo, s15, v16, vcc_lo
	;;#ASMSTART
	global_load_dwordx4 v[17:20], v[15:16] off glc	
s_waitcnt vmcnt(0)
	;;#ASMEND
	v_and_b32_e32 v20, 0xff, v18
	v_and_b32_e32 v28, 0xff00, v18
	v_or3_b32 v17, v17, 0, 0
	v_and_b32_e32 v29, 0xff000000, v18
	v_and_b32_e32 v18, 0xff0000, v18
	s_delay_alu instid0(VALU_DEP_4) | instskip(SKIP_2) | instid1(VALU_DEP_3)
	v_or3_b32 v20, 0, v20, v28
	v_and_b32_e32 v28, 0xff, v19
	v_or3_b32 v17, v17, 0, 0
	v_or3_b32 v18, v20, v18, v29
	s_delay_alu instid0(VALU_DEP_3)
	v_cmpx_eq_u16_e32 0, v28
	s_cbranch_execz .LBB390_55
.LBB390_53:                             ; =>This Inner Loop Header: Depth=1
	;;#ASMSTART
	global_load_dwordx4 v[17:20], v[15:16] off glc	
s_waitcnt vmcnt(0)
	;;#ASMEND
	v_and_b32_e32 v20, 0xff, v19
	s_delay_alu instid0(VALU_DEP_1) | instskip(SKIP_1) | instid1(SALU_CYCLE_1)
	v_cmp_ne_u16_e32 vcc_lo, 0, v20
	s_or_b32 s7, vcc_lo, s7
	s_and_not1_b32 exec_lo, exec_lo, s7
	s_cbranch_execnz .LBB390_53
; %bb.54:
	s_or_b32 exec_lo, exec_lo, s7
.LBB390_55:
	s_delay_alu instid0(SALU_CYCLE_1)
	s_or_b32 exec_lo, exec_lo, s4
	v_cmp_ne_u32_e32 vcc_lo, 31, v42
	v_and_b32_e32 v16, 0xff, v19
	v_lshlrev_b32_e64 v45, v42, -1
	s_mov_b32 s4, exec_lo
	v_add_co_ci_u32_e32 v15, vcc_lo, 0, v42, vcc_lo
	s_delay_alu instid0(VALU_DEP_3) | instskip(SKIP_1) | instid1(VALU_DEP_3)
	v_cmp_eq_u16_e32 vcc_lo, 2, v16
	v_mov_b32_e32 v16, v17
	v_lshlrev_b32_e32 v44, 2, v15
	v_and_or_b32 v15, vcc_lo, v45, 0x80000000
	ds_bpermute_b32 v28, v44, v17
	ds_bpermute_b32 v20, v44, v18
	v_ctz_i32_b32_e32 v15, v15
	s_delay_alu instid0(VALU_DEP_1)
	v_cmpx_lt_u32_e64 v42, v15
	s_cbranch_execz .LBB390_57
; %bb.56:
	s_waitcnt lgkmcnt(1)
	v_add_co_u32 v16, vcc_lo, v17, v28
	v_add_co_ci_u32_e32 v18, vcc_lo, 0, v18, vcc_lo
	s_delay_alu instid0(VALU_DEP_2) | instskip(SKIP_1) | instid1(VALU_DEP_2)
	v_add_co_u32 v17, vcc_lo, 0, v16
	s_waitcnt lgkmcnt(0)
	v_add_co_ci_u32_e32 v18, vcc_lo, v20, v18, vcc_lo
.LBB390_57:
	s_or_b32 exec_lo, exec_lo, s4
	v_cmp_gt_u32_e32 vcc_lo, 30, v42
	v_add_nc_u32_e32 v47, 2, v42
	s_mov_b32 s4, exec_lo
	s_waitcnt lgkmcnt(0)
	v_cndmask_b32_e64 v20, 0, 1, vcc_lo
	s_delay_alu instid0(VALU_DEP_1) | instskip(NEXT) | instid1(VALU_DEP_1)
	v_lshlrev_b32_e32 v20, 1, v20
	v_add_lshl_u32 v46, v20, v42, 2
	ds_bpermute_b32 v28, v46, v16
	ds_bpermute_b32 v20, v46, v18
	v_cmpx_le_u32_e64 v47, v15
	s_cbranch_execz .LBB390_59
; %bb.58:
	s_waitcnt lgkmcnt(1)
	v_add_co_u32 v16, vcc_lo, v17, v28
	v_add_co_ci_u32_e32 v18, vcc_lo, 0, v18, vcc_lo
	s_delay_alu instid0(VALU_DEP_2) | instskip(SKIP_1) | instid1(VALU_DEP_2)
	v_add_co_u32 v17, vcc_lo, 0, v16
	s_waitcnt lgkmcnt(0)
	v_add_co_ci_u32_e32 v18, vcc_lo, v20, v18, vcc_lo
.LBB390_59:
	s_or_b32 exec_lo, exec_lo, s4
	v_cmp_gt_u32_e32 vcc_lo, 28, v42
	v_add_nc_u32_e32 v49, 4, v42
	s_mov_b32 s4, exec_lo
	s_waitcnt lgkmcnt(0)
	v_cndmask_b32_e64 v20, 0, 1, vcc_lo
	s_delay_alu instid0(VALU_DEP_1) | instskip(NEXT) | instid1(VALU_DEP_1)
	v_lshlrev_b32_e32 v20, 2, v20
	v_add_lshl_u32 v48, v20, v42, 2
	ds_bpermute_b32 v28, v48, v16
	ds_bpermute_b32 v20, v48, v18
	v_cmpx_le_u32_e64 v49, v15
	;; [unrolled: 22-line block ×4, first 2 shown]
	s_cbranch_execz .LBB390_65
; %bb.64:
	s_waitcnt lgkmcnt(1)
	v_add_co_u32 v15, vcc_lo, v17, v20
	v_add_co_ci_u32_e32 v18, vcc_lo, 0, v18, vcc_lo
	s_delay_alu instid0(VALU_DEP_2) | instskip(SKIP_1) | instid1(VALU_DEP_2)
	v_add_co_u32 v17, vcc_lo, v15, 0
	s_waitcnt lgkmcnt(0)
	v_add_co_ci_u32_e32 v18, vcc_lo, v18, v16, vcc_lo
.LBB390_65:
	s_or_b32 exec_lo, exec_lo, s4
	v_mov_b32_e32 v28, 0
	s_branch .LBB390_67
.LBB390_66:                             ;   in Loop: Header=BB390_67 Depth=1
	s_or_b32 exec_lo, exec_lo, s4
	v_add_co_u32 v17, vcc_lo, v17, v15
	v_subrev_nc_u32_e32 v27, 32, v27
	v_add_co_ci_u32_e32 v18, vcc_lo, v18, v16, vcc_lo
.LBB390_67:                             ; =>This Loop Header: Depth=1
                                        ;     Child Loop BB390_70 Depth 2
	v_and_b32_e32 v15, 0xff, v19
	s_delay_alu instid0(VALU_DEP_1) | instskip(SKIP_2) | instid1(VALU_DEP_1)
	v_cmp_ne_u16_e32 vcc_lo, 2, v15
	v_cndmask_b32_e64 v15, 0, 1, vcc_lo
	;;#ASMSTART
	;;#ASMEND
	v_cmp_ne_u32_e32 vcc_lo, 0, v15
	s_waitcnt lgkmcnt(0)
	v_dual_mov_b32 v15, v17 :: v_dual_mov_b32 v16, v18
	s_cmp_lg_u32 vcc_lo, exec_lo
	s_cbranch_scc1 .LBB390_82
; %bb.68:                               ;   in Loop: Header=BB390_67 Depth=1
	v_lshlrev_b64 v[17:18], 4, v[27:28]
	s_mov_b32 s4, exec_lo
	s_delay_alu instid0(VALU_DEP_1) | instskip(NEXT) | instid1(VALU_DEP_2)
	v_add_co_u32 v29, vcc_lo, s14, v17
	v_add_co_ci_u32_e32 v30, vcc_lo, s15, v18, vcc_lo
	;;#ASMSTART
	global_load_dwordx4 v[17:20], v[29:30] off glc	
s_waitcnt vmcnt(0)
	;;#ASMEND
	v_and_b32_e32 v20, 0xff, v18
	v_and_b32_e32 v54, 0xff00, v18
	v_or3_b32 v17, v17, 0, 0
	v_and_b32_e32 v55, 0xff000000, v18
	v_and_b32_e32 v18, 0xff0000, v18
	s_delay_alu instid0(VALU_DEP_4) | instskip(SKIP_2) | instid1(VALU_DEP_3)
	v_or3_b32 v20, 0, v20, v54
	v_and_b32_e32 v54, 0xff, v19
	v_or3_b32 v17, v17, 0, 0
	v_or3_b32 v18, v20, v18, v55
	s_delay_alu instid0(VALU_DEP_3)
	v_cmpx_eq_u16_e32 0, v54
	s_cbranch_execz .LBB390_72
; %bb.69:                               ;   in Loop: Header=BB390_67 Depth=1
	s_mov_b32 s7, 0
.LBB390_70:                             ;   Parent Loop BB390_67 Depth=1
                                        ; =>  This Inner Loop Header: Depth=2
	;;#ASMSTART
	global_load_dwordx4 v[17:20], v[29:30] off glc	
s_waitcnt vmcnt(0)
	;;#ASMEND
	v_and_b32_e32 v20, 0xff, v19
	s_delay_alu instid0(VALU_DEP_1) | instskip(SKIP_1) | instid1(SALU_CYCLE_1)
	v_cmp_ne_u16_e32 vcc_lo, 0, v20
	s_or_b32 s7, vcc_lo, s7
	s_and_not1_b32 exec_lo, exec_lo, s7
	s_cbranch_execnz .LBB390_70
; %bb.71:                               ;   in Loop: Header=BB390_67 Depth=1
	s_or_b32 exec_lo, exec_lo, s7
.LBB390_72:                             ;   in Loop: Header=BB390_67 Depth=1
	s_delay_alu instid0(SALU_CYCLE_1)
	s_or_b32 exec_lo, exec_lo, s4
	v_dual_mov_b32 v29, v17 :: v_dual_and_b32 v20, 0xff, v19
	ds_bpermute_b32 v54, v44, v17
	ds_bpermute_b32 v30, v44, v18
	s_mov_b32 s4, exec_lo
	v_cmp_eq_u16_e32 vcc_lo, 2, v20
	v_and_or_b32 v20, vcc_lo, v45, 0x80000000
	s_delay_alu instid0(VALU_DEP_1) | instskip(NEXT) | instid1(VALU_DEP_1)
	v_ctz_i32_b32_e32 v20, v20
	v_cmpx_lt_u32_e64 v42, v20
	s_cbranch_execz .LBB390_74
; %bb.73:                               ;   in Loop: Header=BB390_67 Depth=1
	s_waitcnt lgkmcnt(1)
	v_add_co_u32 v29, vcc_lo, v17, v54
	v_add_co_ci_u32_e32 v18, vcc_lo, 0, v18, vcc_lo
	s_delay_alu instid0(VALU_DEP_2) | instskip(SKIP_1) | instid1(VALU_DEP_2)
	v_add_co_u32 v17, vcc_lo, 0, v29
	s_waitcnt lgkmcnt(0)
	v_add_co_ci_u32_e32 v18, vcc_lo, v30, v18, vcc_lo
.LBB390_74:                             ;   in Loop: Header=BB390_67 Depth=1
	s_or_b32 exec_lo, exec_lo, s4
	s_waitcnt lgkmcnt(1)
	ds_bpermute_b32 v54, v46, v29
	s_waitcnt lgkmcnt(1)
	ds_bpermute_b32 v30, v46, v18
	s_mov_b32 s4, exec_lo
	v_cmpx_le_u32_e64 v47, v20
	s_cbranch_execz .LBB390_76
; %bb.75:                               ;   in Loop: Header=BB390_67 Depth=1
	s_waitcnt lgkmcnt(1)
	v_add_co_u32 v29, vcc_lo, v17, v54
	v_add_co_ci_u32_e32 v18, vcc_lo, 0, v18, vcc_lo
	s_delay_alu instid0(VALU_DEP_2) | instskip(SKIP_1) | instid1(VALU_DEP_2)
	v_add_co_u32 v17, vcc_lo, 0, v29
	s_waitcnt lgkmcnt(0)
	v_add_co_ci_u32_e32 v18, vcc_lo, v30, v18, vcc_lo
.LBB390_76:                             ;   in Loop: Header=BB390_67 Depth=1
	s_or_b32 exec_lo, exec_lo, s4
	s_waitcnt lgkmcnt(1)
	ds_bpermute_b32 v54, v48, v29
	s_waitcnt lgkmcnt(1)
	ds_bpermute_b32 v30, v48, v18
	s_mov_b32 s4, exec_lo
	v_cmpx_le_u32_e64 v49, v20
	;; [unrolled: 17-line block ×3, first 2 shown]
	s_cbranch_execz .LBB390_80
; %bb.79:                               ;   in Loop: Header=BB390_67 Depth=1
	s_waitcnt lgkmcnt(1)
	v_add_co_u32 v29, vcc_lo, v17, v54
	v_add_co_ci_u32_e32 v18, vcc_lo, 0, v18, vcc_lo
	s_delay_alu instid0(VALU_DEP_2) | instskip(SKIP_1) | instid1(VALU_DEP_2)
	v_add_co_u32 v17, vcc_lo, 0, v29
	s_waitcnt lgkmcnt(0)
	v_add_co_ci_u32_e32 v18, vcc_lo, v30, v18, vcc_lo
.LBB390_80:                             ;   in Loop: Header=BB390_67 Depth=1
	s_or_b32 exec_lo, exec_lo, s4
	s_waitcnt lgkmcnt(0)
	ds_bpermute_b32 v30, v52, v29
	ds_bpermute_b32 v29, v52, v18
	s_mov_b32 s4, exec_lo
	v_cmpx_le_u32_e64 v53, v20
	s_cbranch_execz .LBB390_66
; %bb.81:                               ;   in Loop: Header=BB390_67 Depth=1
	s_waitcnt lgkmcnt(1)
	v_add_co_u32 v17, vcc_lo, v17, v30
	v_add_co_ci_u32_e32 v18, vcc_lo, 0, v18, vcc_lo
	s_delay_alu instid0(VALU_DEP_2) | instskip(SKIP_1) | instid1(VALU_DEP_2)
	v_add_co_u32 v17, vcc_lo, v17, 0
	s_waitcnt lgkmcnt(0)
	v_add_co_ci_u32_e32 v18, vcc_lo, v18, v29, vcc_lo
	s_branch .LBB390_66
.LBB390_82:                             ;   in Loop: Header=BB390_67 Depth=1
                                        ; implicit-def: $vgpr17_vgpr18
	s_cbranch_execz .LBB390_67
; %bb.83:
	s_and_saveexec_b32 s4, s1
	s_cbranch_execz .LBB390_85
; %bb.84:
	s_add_i32 s10, s10, 32
	s_mov_b32 s11, 0
	v_add_co_u32 v17, vcc_lo, v15, v13
	s_lshl_b64 s[10:11], s[10:11], 4
	v_dual_mov_b32 v19, 2 :: v_dual_mov_b32 v20, 0
	s_add_u32 s10, s14, s10
	s_addc_u32 s11, s15, s11
	v_add_co_ci_u32_e32 v18, vcc_lo, v16, v14, vcc_lo
	v_dual_mov_b32 v28, s11 :: v_dual_mov_b32 v27, s10
	;;#ASMSTART
	global_store_dwordx4 v[27:28], v[17:20] off	
s_waitcnt vmcnt(0)
	;;#ASMEND
	ds_store_b128 v20, v[13:16] offset:18432
.LBB390_85:
	s_or_b32 exec_lo, exec_lo, s4
	s_delay_alu instid0(SALU_CYCLE_1)
	s_and_b32 exec_lo, exec_lo, s2
	s_cbranch_execz .LBB390_87
; %bb.86:
	v_mov_b32_e32 v13, 0
	ds_store_b64 v13, v[15:16] offset:88
.LBB390_87:
	s_or_b32 exec_lo, exec_lo, s3
	v_mov_b32_e32 v15, 0
	s_waitcnt lgkmcnt(0)
	s_barrier
	buffer_gl0_inv
	v_cndmask_b32_e64 v16, v31, v25, s1
	ds_load_b64 v[13:14], v15 offset:88
	v_cndmask_b32_e64 v17, v32, v26, s1
	s_waitcnt lgkmcnt(0)
	s_barrier
	v_cndmask_b32_e64 v16, v16, 0, s2
	buffer_gl0_inv
	v_cndmask_b32_e64 v17, v17, 0, s2
	v_add_co_u32 v31, vcc_lo, v13, v16
	s_delay_alu instid0(VALU_DEP_2) | instskip(SKIP_3) | instid1(VALU_DEP_2)
	v_add_co_ci_u32_e32 v32, vcc_lo, v14, v17, vcc_lo
	ds_load_b128 v[13:16], v15 offset:18432
	v_add_co_u32 v29, vcc_lo, v31, v41
	v_add_co_ci_u32_e32 v30, vcc_lo, 0, v32, vcc_lo
	v_add_co_u32 v27, vcc_lo, v29, v40
	s_delay_alu instid0(VALU_DEP_2) | instskip(NEXT) | instid1(VALU_DEP_2)
	v_add_co_ci_u32_e32 v28, vcc_lo, 0, v30, vcc_lo
	v_add_co_u32 v25, vcc_lo, v27, v39
	s_delay_alu instid0(VALU_DEP_2) | instskip(NEXT) | instid1(VALU_DEP_2)
	;; [unrolled: 3-line block ×3, first 2 shown]
	v_add_co_ci_u32_e32 v20, vcc_lo, 0, v26, vcc_lo
	v_add_co_u32 v17, vcc_lo, v19, v38
	s_delay_alu instid0(VALU_DEP_2)
	v_add_co_ci_u32_e32 v18, vcc_lo, 0, v20, vcc_lo
	s_branch .LBB390_116
.LBB390_88:
                                        ; implicit-def: $vgpr17_vgpr18
                                        ; implicit-def: $vgpr19_vgpr20
                                        ; implicit-def: $vgpr25_vgpr26
                                        ; implicit-def: $vgpr27_vgpr28
                                        ; implicit-def: $vgpr29_vgpr30
                                        ; implicit-def: $vgpr31_vgpr32
                                        ; implicit-def: $vgpr15_vgpr16
	s_and_b32 vcc_lo, exec_lo, s1
	s_cbranch_vccz .LBB390_116
; %bb.89:
	s_waitcnt lgkmcnt(0)
	v_dual_mov_b32 v14, 0 :: v_dual_mov_b32 v15, v23
	v_mov_b32_dpp v16, v23 row_shr:1 row_mask:0xf bank_mask:0xf
	s_delay_alu instid0(VALU_DEP_2)
	v_mov_b32_dpp v13, v14 row_shr:1 row_mask:0xf bank_mask:0xf
	s_and_saveexec_b32 s1, s0
; %bb.90:
	s_delay_alu instid0(VALU_DEP_2) | instskip(SKIP_1) | instid1(VALU_DEP_2)
	v_add_co_u32 v15, vcc_lo, v23, v16
	v_add_co_ci_u32_e32 v14, vcc_lo, 0, v24, vcc_lo
	v_add_co_u32 v23, vcc_lo, 0, v15
	s_delay_alu instid0(VALU_DEP_2) | instskip(NEXT) | instid1(VALU_DEP_1)
	v_add_co_ci_u32_e32 v24, vcc_lo, v13, v14, vcc_lo
	v_mov_b32_e32 v14, v24
; %bb.91:
	s_or_b32 exec_lo, exec_lo, s1
	v_mov_b32_dpp v13, v15 row_shr:2 row_mask:0xf bank_mask:0xf
	s_delay_alu instid0(VALU_DEP_2)
	v_mov_b32_dpp v16, v14 row_shr:2 row_mask:0xf bank_mask:0xf
	v_cmp_lt_u32_e32 vcc_lo, 1, v43
	s_and_saveexec_b32 s3, vcc_lo
; %bb.92:
	s_delay_alu instid0(VALU_DEP_3) | instskip(NEXT) | instid1(VALU_DEP_1)
	v_add_co_u32 v15, s1, v23, v13
	v_add_co_ci_u32_e64 v14, s1, 0, v24, s1
	s_delay_alu instid0(VALU_DEP_2) | instskip(NEXT) | instid1(VALU_DEP_1)
	v_add_co_u32 v13, s1, 0, v15
	v_add_co_ci_u32_e64 v14, s1, v16, v14, s1
	s_delay_alu instid0(VALU_DEP_1)
	v_dual_mov_b32 v24, v14 :: v_dual_mov_b32 v23, v13
; %bb.93:
	s_or_b32 exec_lo, exec_lo, s3
	v_mov_b32_dpp v13, v15 row_shr:4 row_mask:0xf bank_mask:0xf
	v_mov_b32_dpp v16, v14 row_shr:4 row_mask:0xf bank_mask:0xf
	v_cmp_lt_u32_e64 s1, 3, v43
	s_delay_alu instid0(VALU_DEP_1)
	s_and_saveexec_b32 s4, s1
; %bb.94:
	s_delay_alu instid0(VALU_DEP_3) | instskip(NEXT) | instid1(VALU_DEP_1)
	v_add_co_u32 v15, s3, v23, v13
	v_add_co_ci_u32_e64 v14, s3, 0, v24, s3
	s_delay_alu instid0(VALU_DEP_2) | instskip(NEXT) | instid1(VALU_DEP_1)
	v_add_co_u32 v13, s3, 0, v15
	v_add_co_ci_u32_e64 v14, s3, v16, v14, s3
	s_delay_alu instid0(VALU_DEP_1)
	v_dual_mov_b32 v24, v14 :: v_dual_mov_b32 v23, v13
; %bb.95:
	s_or_b32 exec_lo, exec_lo, s4
	v_mov_b32_dpp v16, v15 row_shr:8 row_mask:0xf bank_mask:0xf
	v_mov_b32_dpp v13, v14 row_shr:8 row_mask:0xf bank_mask:0xf
	v_cmp_lt_u32_e64 s3, 7, v43
	s_delay_alu instid0(VALU_DEP_1)
	s_and_saveexec_b32 s7, s3
; %bb.96:
	s_delay_alu instid0(VALU_DEP_3) | instskip(NEXT) | instid1(VALU_DEP_1)
	v_add_co_u32 v15, s4, v23, v16
	v_add_co_ci_u32_e64 v14, s4, 0, v24, s4
	s_delay_alu instid0(VALU_DEP_2) | instskip(NEXT) | instid1(VALU_DEP_1)
	v_add_co_u32 v23, s4, 0, v15
	v_add_co_ci_u32_e64 v24, s4, v13, v14, s4
	s_delay_alu instid0(VALU_DEP_1)
	v_mov_b32_e32 v14, v24
; %bb.97:
	s_or_b32 exec_lo, exec_lo, s7
	ds_swizzle_b32 v15, v15 offset:swizzle(BROADCAST,32,15)
	ds_swizzle_b32 v13, v14 offset:swizzle(BROADCAST,32,15)
	v_and_b32_e32 v14, 16, v42
	s_mov_b32 s7, exec_lo
	s_delay_alu instid0(VALU_DEP_1)
	v_cmpx_ne_u32_e32 0, v14
	s_cbranch_execz .LBB390_99
; %bb.98:
	s_waitcnt lgkmcnt(1)
	v_add_co_u32 v14, s4, v23, v15
	s_delay_alu instid0(VALU_DEP_1) | instskip(NEXT) | instid1(VALU_DEP_2)
	v_add_co_ci_u32_e64 v15, s4, 0, v24, s4
	v_add_co_u32 v23, s4, v14, 0
	s_waitcnt lgkmcnt(0)
	s_delay_alu instid0(VALU_DEP_2)
	v_add_co_ci_u32_e64 v24, s4, v15, v13, s4
.LBB390_99:
	s_or_b32 exec_lo, exec_lo, s7
	s_waitcnt lgkmcnt(0)
	v_and_b32_e32 v13, 0x1e0, v0
	v_lshrrev_b32_e32 v15, 5, v0
	s_mov_b32 s7, exec_lo
	s_delay_alu instid0(VALU_DEP_2) | instskip(NEXT) | instid1(VALU_DEP_1)
	v_min_u32_e32 v13, 0x160, v13
	v_or_b32_e32 v13, 31, v13
	s_delay_alu instid0(VALU_DEP_1)
	v_cmpx_eq_u32_e64 v13, v0
	s_cbranch_execz .LBB390_101
; %bb.100:
	v_lshlrev_b32_e32 v13, 3, v15
	ds_store_b64 v13, v[23:24]
.LBB390_101:
	s_or_b32 exec_lo, exec_lo, s7
	s_delay_alu instid0(SALU_CYCLE_1)
	s_mov_b32 s7, exec_lo
	s_waitcnt lgkmcnt(0)
	s_barrier
	buffer_gl0_inv
	v_cmpx_gt_u32_e32 12, v0
	s_cbranch_execz .LBB390_111
; %bb.102:
	v_mad_i32_i24 v13, 0xffffffd8, v0, v37
	ds_load_b64 v[13:14], v13
	s_waitcnt lgkmcnt(0)
	v_mov_b32_dpp v18, v13 row_shr:1 row_mask:0xf bank_mask:0xf
	v_mov_b32_dpp v17, v14 row_shr:1 row_mask:0xf bank_mask:0xf
	v_mov_b32_e32 v16, v13
	s_and_saveexec_b32 s4, s0
; %bb.103:
	s_delay_alu instid0(VALU_DEP_3) | instskip(NEXT) | instid1(VALU_DEP_1)
	v_add_co_u32 v16, s0, v13, v18
	v_add_co_ci_u32_e64 v14, s0, 0, v14, s0
	s_delay_alu instid0(VALU_DEP_2) | instskip(NEXT) | instid1(VALU_DEP_1)
	v_add_co_u32 v13, s0, 0, v16
	v_add_co_ci_u32_e64 v14, s0, v17, v14, s0
; %bb.104:
	s_or_b32 exec_lo, exec_lo, s4
	v_mov_b32_dpp v18, v16 row_shr:2 row_mask:0xf bank_mask:0xf
	s_delay_alu instid0(VALU_DEP_2)
	v_mov_b32_dpp v17, v14 row_shr:2 row_mask:0xf bank_mask:0xf
	s_and_saveexec_b32 s0, vcc_lo
; %bb.105:
	s_delay_alu instid0(VALU_DEP_2) | instskip(SKIP_1) | instid1(VALU_DEP_2)
	v_add_co_u32 v16, vcc_lo, v13, v18
	v_add_co_ci_u32_e32 v14, vcc_lo, 0, v14, vcc_lo
	v_add_co_u32 v13, vcc_lo, 0, v16
	s_delay_alu instid0(VALU_DEP_2)
	v_add_co_ci_u32_e32 v14, vcc_lo, v17, v14, vcc_lo
; %bb.106:
	s_or_b32 exec_lo, exec_lo, s0
	v_mov_b32_dpp v18, v16 row_shr:4 row_mask:0xf bank_mask:0xf
	s_delay_alu instid0(VALU_DEP_2)
	v_mov_b32_dpp v17, v14 row_shr:4 row_mask:0xf bank_mask:0xf
	s_and_saveexec_b32 s0, s1
; %bb.107:
	s_delay_alu instid0(VALU_DEP_2) | instskip(SKIP_1) | instid1(VALU_DEP_2)
	v_add_co_u32 v16, vcc_lo, v13, v18
	v_add_co_ci_u32_e32 v14, vcc_lo, 0, v14, vcc_lo
	v_add_co_u32 v13, vcc_lo, 0, v16
	s_delay_alu instid0(VALU_DEP_2)
	v_add_co_ci_u32_e32 v14, vcc_lo, v17, v14, vcc_lo
; %bb.108:
	s_or_b32 exec_lo, exec_lo, s0
	v_mul_i32_i24_e32 v17, 0xffffffd8, v0
	v_mov_b32_dpp v18, v16 row_shr:8 row_mask:0xf bank_mask:0xf
	s_delay_alu instid0(VALU_DEP_3)
	v_mov_b32_dpp v16, v14 row_shr:8 row_mask:0xf bank_mask:0xf
	s_and_saveexec_b32 s0, s3
; %bb.109:
	s_delay_alu instid0(VALU_DEP_2) | instskip(SKIP_1) | instid1(VALU_DEP_2)
	v_add_co_u32 v13, vcc_lo, v13, v18
	v_add_co_ci_u32_e32 v14, vcc_lo, 0, v14, vcc_lo
	v_add_co_u32 v13, vcc_lo, v13, 0
	s_delay_alu instid0(VALU_DEP_2)
	v_add_co_ci_u32_e32 v14, vcc_lo, v14, v16, vcc_lo
; %bb.110:
	s_or_b32 exec_lo, exec_lo, s0
	v_add_nc_u32_e32 v16, v37, v17
	ds_store_b64 v16, v[13:14]
.LBB390_111:
	s_or_b32 exec_lo, exec_lo, s7
	v_mov_b32_e32 v17, 0
	v_mov_b32_e32 v18, 0
	s_mov_b32 s0, exec_lo
	s_waitcnt lgkmcnt(0)
	s_barrier
	buffer_gl0_inv
	v_cmpx_lt_u32_e32 31, v0
	s_cbranch_execz .LBB390_113
; %bb.112:
	v_lshl_add_u32 v13, v15, 3, -8
	ds_load_b64 v[17:18], v13
.LBB390_113:
	s_or_b32 exec_lo, exec_lo, s0
	v_dual_mov_b32 v16, 0 :: v_dual_add_nc_u32 v13, -1, v42
	s_delay_alu instid0(VALU_DEP_1) | instskip(SKIP_4) | instid1(VALU_DEP_3)
	v_cmp_gt_i32_e32 vcc_lo, 0, v13
	v_cndmask_b32_e32 v13, v13, v42, vcc_lo
	s_waitcnt lgkmcnt(0)
	v_add_co_u32 v14, vcc_lo, v17, v23
	v_add_co_ci_u32_e32 v15, vcc_lo, v18, v24, vcc_lo
	v_lshlrev_b32_e32 v13, 2, v13
	ds_bpermute_b32 v19, v13, v14
	ds_bpermute_b32 v20, v13, v15
	ds_load_b64 v[13:14], v16 offset:88
	s_and_saveexec_b32 s0, s2
	s_cbranch_execz .LBB390_115
; %bb.114:
	s_add_u32 s10, s14, 0x200
	s_addc_u32 s11, s15, 0
	s_delay_alu instid0(SALU_CYCLE_1)
	v_dual_mov_b32 v15, 2 :: v_dual_mov_b32 v24, s11
	v_mov_b32_e32 v23, s10
	s_waitcnt lgkmcnt(0)
	;;#ASMSTART
	global_store_dwordx4 v[23:24], v[13:16] off	
s_waitcnt vmcnt(0)
	;;#ASMEND
.LBB390_115:
	s_or_b32 exec_lo, exec_lo, s0
	v_cmp_eq_u32_e32 vcc_lo, 0, v42
	s_waitcnt lgkmcnt(0)
	s_barrier
	buffer_gl0_inv
	v_dual_cndmask_b32 v15, v19, v17 :: v_dual_cndmask_b32 v16, v20, v18
	s_delay_alu instid0(VALU_DEP_1) | instskip(NEXT) | instid1(VALU_DEP_2)
	v_cndmask_b32_e64 v31, v15, 0, s2
	v_cndmask_b32_e64 v32, v16, 0, s2
	v_mov_b32_e32 v15, 0
	v_mov_b32_e32 v16, 0
	s_delay_alu instid0(VALU_DEP_4) | instskip(NEXT) | instid1(VALU_DEP_4)
	v_add_co_u32 v29, vcc_lo, v31, v41
	v_add_co_ci_u32_e32 v30, vcc_lo, 0, v32, vcc_lo
	s_delay_alu instid0(VALU_DEP_2) | instskip(NEXT) | instid1(VALU_DEP_2)
	v_add_co_u32 v27, vcc_lo, v29, v40
	v_add_co_ci_u32_e32 v28, vcc_lo, 0, v30, vcc_lo
	s_delay_alu instid0(VALU_DEP_2) | instskip(NEXT) | instid1(VALU_DEP_2)
	;; [unrolled: 3-line block ×4, first 2 shown]
	v_add_co_u32 v17, vcc_lo, v19, v38
	v_add_co_ci_u32_e32 v18, vcc_lo, 0, v20, vcc_lo
.LBB390_116:
	s_waitcnt lgkmcnt(0)
	v_cmp_gt_u64_e32 vcc_lo, 0x181, v[13:14]
	v_lshrrev_b32_e32 v38, 8, v36
	v_lshrrev_b32_e32 v37, 16, v36
	s_mov_b32 s0, -1
	s_cbranch_vccnz .LBB390_120
; %bb.117:
	s_and_b32 vcc_lo, exec_lo, s0
	s_cbranch_vccnz .LBB390_139
.LBB390_118:
	s_and_b32 s0, s2, s5
	s_delay_alu instid0(SALU_CYCLE_1)
	s_and_saveexec_b32 s1, s0
	s_cbranch_execnz .LBB390_155
.LBB390_119:
	s_nop 0
	s_sendmsg sendmsg(MSG_DEALLOC_VGPRS)
	s_endpgm
.LBB390_120:
	v_add_co_u32 v23, vcc_lo, v15, v13
	v_add_co_ci_u32_e32 v24, vcc_lo, v16, v14, vcc_lo
	v_lshlrev_b64 v[39:40], 3, v[21:22]
	s_delay_alu instid0(VALU_DEP_2) | instskip(NEXT) | instid1(VALU_DEP_2)
	v_cmp_lt_u64_e32 vcc_lo, v[31:32], v[23:24]
	v_add_co_u32 v39, s0, s12, v39
	s_delay_alu instid0(VALU_DEP_1) | instskip(SKIP_1) | instid1(SALU_CYCLE_1)
	v_add_co_ci_u32_e64 v40, s0, s13, v40, s0
	s_or_b32 s1, s6, vcc_lo
	s_and_saveexec_b32 s0, s1
	s_cbranch_execz .LBB390_123
; %bb.121:
	v_and_b32_e32 v41, 1, v36
	s_delay_alu instid0(VALU_DEP_1)
	v_cmp_eq_u32_e32 vcc_lo, 1, v41
	s_and_b32 exec_lo, exec_lo, vcc_lo
	s_cbranch_execz .LBB390_123
; %bb.122:
	v_lshlrev_b64 v[41:42], 3, v[31:32]
	s_delay_alu instid0(VALU_DEP_1) | instskip(NEXT) | instid1(VALU_DEP_2)
	v_add_co_u32 v41, vcc_lo, v39, v41
	v_add_co_ci_u32_e32 v42, vcc_lo, v40, v42, vcc_lo
	global_store_b64 v[41:42], v[9:10], off
.LBB390_123:
	s_or_b32 exec_lo, exec_lo, s0
	v_cmp_lt_u64_e32 vcc_lo, v[29:30], v[23:24]
	s_or_b32 s1, s6, vcc_lo
	s_delay_alu instid0(SALU_CYCLE_1)
	s_and_saveexec_b32 s0, s1
	s_cbranch_execz .LBB390_126
; %bb.124:
	v_and_b32_e32 v32, 1, v38
	s_delay_alu instid0(VALU_DEP_1)
	v_cmp_eq_u32_e32 vcc_lo, 1, v32
	s_and_b32 exec_lo, exec_lo, vcc_lo
	s_cbranch_execz .LBB390_126
; %bb.125:
	v_lshlrev_b64 v[41:42], 3, v[29:30]
	s_delay_alu instid0(VALU_DEP_1) | instskip(NEXT) | instid1(VALU_DEP_2)
	v_add_co_u32 v41, vcc_lo, v39, v41
	v_add_co_ci_u32_e32 v42, vcc_lo, v40, v42, vcc_lo
	global_store_b64 v[41:42], v[11:12], off
.LBB390_126:
	s_or_b32 exec_lo, exec_lo, s0
	v_cmp_lt_u64_e32 vcc_lo, v[27:28], v[23:24]
	s_or_b32 s1, s6, vcc_lo
	s_delay_alu instid0(SALU_CYCLE_1)
	;; [unrolled: 19-line block ×5, first 2 shown]
	s_and_saveexec_b32 s0, s1
	s_cbranch_execz .LBB390_138
; %bb.136:
	v_and_b32_e32 v20, 1, v33
	s_delay_alu instid0(VALU_DEP_1)
	v_cmp_eq_u32_e32 vcc_lo, 1, v20
	s_and_b32 exec_lo, exec_lo, vcc_lo
	s_cbranch_execz .LBB390_138
; %bb.137:
	v_lshlrev_b64 v[23:24], 3, v[17:18]
	s_delay_alu instid0(VALU_DEP_1) | instskip(NEXT) | instid1(VALU_DEP_2)
	v_add_co_u32 v23, vcc_lo, v39, v23
	v_add_co_ci_u32_e32 v24, vcc_lo, v40, v24, vcc_lo
	global_store_b64 v[23:24], v[3:4], off
.LBB390_138:
	s_or_b32 exec_lo, exec_lo, s0
	s_branch .LBB390_118
.LBB390_139:
	v_and_b32_e32 v18, 1, v36
	s_mov_b32 s0, exec_lo
	s_delay_alu instid0(VALU_DEP_1)
	v_cmpx_eq_u32_e32 1, v18
	s_cbranch_execz .LBB390_141
; %bb.140:
	v_sub_nc_u32_e32 v18, v31, v15
	s_delay_alu instid0(VALU_DEP_1)
	v_lshlrev_b32_e32 v18, 3, v18
	ds_store_b64 v18, v[9:10]
.LBB390_141:
	s_or_b32 exec_lo, exec_lo, s0
	v_and_b32_e32 v9, 1, v38
	s_mov_b32 s0, exec_lo
	s_delay_alu instid0(VALU_DEP_1)
	v_cmpx_eq_u32_e32 1, v9
	s_cbranch_execz .LBB390_143
; %bb.142:
	v_sub_nc_u32_e32 v9, v29, v15
	s_delay_alu instid0(VALU_DEP_1)
	v_lshlrev_b32_e32 v9, 3, v9
	ds_store_b64 v9, v[11:12]
.LBB390_143:
	s_or_b32 exec_lo, exec_lo, s0
	;; [unrolled: 12-line block ×6, first 2 shown]
	v_mov_b32_e32 v1, 0
	s_mov_b32 s1, exec_lo
	s_waitcnt lgkmcnt(0)
	s_waitcnt_vscnt null, 0x0
	s_barrier
	buffer_gl0_inv
	v_cmpx_gt_u64_e64 v[13:14], v[0:1]
	s_cbranch_execz .LBB390_154
; %bb.152:
	v_lshlrev_b64 v[2:3], 3, v[15:16]
	v_lshlrev_b64 v[4:5], 3, v[21:22]
	s_mov_b32 s3, 0
	s_delay_alu instid0(VALU_DEP_2) | instskip(NEXT) | instid1(VALU_DEP_3)
	v_add_co_u32 v6, vcc_lo, s12, v2
	v_add_co_ci_u32_e32 v7, vcc_lo, s13, v3, vcc_lo
	v_dual_mov_b32 v3, v1 :: v_dual_mov_b32 v2, v0
	s_delay_alu instid0(VALU_DEP_3) | instskip(NEXT) | instid1(VALU_DEP_3)
	v_add_co_u32 v4, vcc_lo, v6, v4
	v_add_co_ci_u32_e32 v5, vcc_lo, v7, v5, vcc_lo
	v_add_nc_u32_e32 v0, 0x180, v0
	.p2align	6
.LBB390_153:                            ; =>This Inner Loop Header: Depth=1
	s_delay_alu instid0(VALU_DEP_4) | instskip(SKIP_2) | instid1(VALU_DEP_4)
	v_lshlrev_b32_e32 v6, 3, v2
	v_lshlrev_b64 v[8:9], 3, v[2:3]
	v_mov_b32_e32 v3, v1
	v_cmp_le_u64_e32 vcc_lo, v[13:14], v[0:1]
	v_mov_b32_e32 v2, v0
	ds_load_b64 v[6:7], v6
	v_add_nc_u32_e32 v0, 0x180, v0
	v_add_co_u32 v8, s0, v4, v8
	s_delay_alu instid0(VALU_DEP_1)
	v_add_co_ci_u32_e64 v9, s0, v5, v9, s0
	s_or_b32 s3, vcc_lo, s3
	s_waitcnt lgkmcnt(0)
	global_store_b64 v[8:9], v[6:7], off
	s_and_not1_b32 exec_lo, exec_lo, s3
	s_cbranch_execnz .LBB390_153
.LBB390_154:
	s_or_b32 exec_lo, exec_lo, s1
	s_and_b32 s0, s2, s5
	s_delay_alu instid0(SALU_CYCLE_1)
	s_and_saveexec_b32 s1, s0
	s_cbranch_execz .LBB390_119
.LBB390_155:
	v_add_co_u32 v0, vcc_lo, v15, v13
	v_add_co_ci_u32_e32 v1, vcc_lo, v16, v14, vcc_lo
	v_mov_b32_e32 v2, 0
	s_delay_alu instid0(VALU_DEP_3) | instskip(NEXT) | instid1(VALU_DEP_3)
	v_add_co_u32 v0, vcc_lo, v0, v21
	v_add_co_ci_u32_e32 v1, vcc_lo, v1, v22, vcc_lo
	global_store_b64 v2, v[0:1], s[8:9]
	s_nop 0
	s_sendmsg sendmsg(MSG_DEALLOC_VGPRS)
	s_endpgm
	.section	.rodata,"a",@progbits
	.p2align	6, 0x0
	.amdhsa_kernel _ZN7rocprim17ROCPRIM_400000_NS6detail17trampoline_kernelINS0_14default_configENS1_25partition_config_selectorILNS1_17partition_subalgoE6ExNS0_10empty_typeEbEEZZNS1_14partition_implILS5_6ELb0ES3_mN6thrust23THRUST_200600_302600_NS6detail15normal_iteratorINSA_10device_ptrIxEEEEPS6_SG_NS0_5tupleIJSF_S6_EEENSH_IJSG_SG_EEES6_PlJ7is_evenIxEEEE10hipError_tPvRmT3_T4_T5_T6_T7_T9_mT8_P12ihipStream_tbDpT10_ENKUlT_T0_E_clISt17integral_constantIbLb0EES15_IbLb1EEEEDaS11_S12_EUlS11_E_NS1_11comp_targetILNS1_3genE9ELNS1_11target_archE1100ELNS1_3gpuE3ELNS1_3repE0EEENS1_30default_config_static_selectorELNS0_4arch9wavefront6targetE0EEEvT1_
		.amdhsa_group_segment_fixed_size 18448
		.amdhsa_private_segment_fixed_size 0
		.amdhsa_kernarg_size 128
		.amdhsa_user_sgpr_count 15
		.amdhsa_user_sgpr_dispatch_ptr 0
		.amdhsa_user_sgpr_queue_ptr 0
		.amdhsa_user_sgpr_kernarg_segment_ptr 1
		.amdhsa_user_sgpr_dispatch_id 0
		.amdhsa_user_sgpr_private_segment_size 0
		.amdhsa_wavefront_size32 1
		.amdhsa_uses_dynamic_stack 0
		.amdhsa_enable_private_segment 0
		.amdhsa_system_sgpr_workgroup_id_x 1
		.amdhsa_system_sgpr_workgroup_id_y 0
		.amdhsa_system_sgpr_workgroup_id_z 0
		.amdhsa_system_sgpr_workgroup_info 0
		.amdhsa_system_vgpr_workitem_id 0
		.amdhsa_next_free_vgpr 56
		.amdhsa_next_free_sgpr 18
		.amdhsa_reserve_vcc 1
		.amdhsa_float_round_mode_32 0
		.amdhsa_float_round_mode_16_64 0
		.amdhsa_float_denorm_mode_32 3
		.amdhsa_float_denorm_mode_16_64 3
		.amdhsa_dx10_clamp 1
		.amdhsa_ieee_mode 1
		.amdhsa_fp16_overflow 0
		.amdhsa_workgroup_processor_mode 1
		.amdhsa_memory_ordered 1
		.amdhsa_forward_progress 0
		.amdhsa_shared_vgpr_count 0
		.amdhsa_exception_fp_ieee_invalid_op 0
		.amdhsa_exception_fp_denorm_src 0
		.amdhsa_exception_fp_ieee_div_zero 0
		.amdhsa_exception_fp_ieee_overflow 0
		.amdhsa_exception_fp_ieee_underflow 0
		.amdhsa_exception_fp_ieee_inexact 0
		.amdhsa_exception_int_div_zero 0
	.end_amdhsa_kernel
	.section	.text._ZN7rocprim17ROCPRIM_400000_NS6detail17trampoline_kernelINS0_14default_configENS1_25partition_config_selectorILNS1_17partition_subalgoE6ExNS0_10empty_typeEbEEZZNS1_14partition_implILS5_6ELb0ES3_mN6thrust23THRUST_200600_302600_NS6detail15normal_iteratorINSA_10device_ptrIxEEEEPS6_SG_NS0_5tupleIJSF_S6_EEENSH_IJSG_SG_EEES6_PlJ7is_evenIxEEEE10hipError_tPvRmT3_T4_T5_T6_T7_T9_mT8_P12ihipStream_tbDpT10_ENKUlT_T0_E_clISt17integral_constantIbLb0EES15_IbLb1EEEEDaS11_S12_EUlS11_E_NS1_11comp_targetILNS1_3genE9ELNS1_11target_archE1100ELNS1_3gpuE3ELNS1_3repE0EEENS1_30default_config_static_selectorELNS0_4arch9wavefront6targetE0EEEvT1_,"axG",@progbits,_ZN7rocprim17ROCPRIM_400000_NS6detail17trampoline_kernelINS0_14default_configENS1_25partition_config_selectorILNS1_17partition_subalgoE6ExNS0_10empty_typeEbEEZZNS1_14partition_implILS5_6ELb0ES3_mN6thrust23THRUST_200600_302600_NS6detail15normal_iteratorINSA_10device_ptrIxEEEEPS6_SG_NS0_5tupleIJSF_S6_EEENSH_IJSG_SG_EEES6_PlJ7is_evenIxEEEE10hipError_tPvRmT3_T4_T5_T6_T7_T9_mT8_P12ihipStream_tbDpT10_ENKUlT_T0_E_clISt17integral_constantIbLb0EES15_IbLb1EEEEDaS11_S12_EUlS11_E_NS1_11comp_targetILNS1_3genE9ELNS1_11target_archE1100ELNS1_3gpuE3ELNS1_3repE0EEENS1_30default_config_static_selectorELNS0_4arch9wavefront6targetE0EEEvT1_,comdat
.Lfunc_end390:
	.size	_ZN7rocprim17ROCPRIM_400000_NS6detail17trampoline_kernelINS0_14default_configENS1_25partition_config_selectorILNS1_17partition_subalgoE6ExNS0_10empty_typeEbEEZZNS1_14partition_implILS5_6ELb0ES3_mN6thrust23THRUST_200600_302600_NS6detail15normal_iteratorINSA_10device_ptrIxEEEEPS6_SG_NS0_5tupleIJSF_S6_EEENSH_IJSG_SG_EEES6_PlJ7is_evenIxEEEE10hipError_tPvRmT3_T4_T5_T6_T7_T9_mT8_P12ihipStream_tbDpT10_ENKUlT_T0_E_clISt17integral_constantIbLb0EES15_IbLb1EEEEDaS11_S12_EUlS11_E_NS1_11comp_targetILNS1_3genE9ELNS1_11target_archE1100ELNS1_3gpuE3ELNS1_3repE0EEENS1_30default_config_static_selectorELNS0_4arch9wavefront6targetE0EEEvT1_, .Lfunc_end390-_ZN7rocprim17ROCPRIM_400000_NS6detail17trampoline_kernelINS0_14default_configENS1_25partition_config_selectorILNS1_17partition_subalgoE6ExNS0_10empty_typeEbEEZZNS1_14partition_implILS5_6ELb0ES3_mN6thrust23THRUST_200600_302600_NS6detail15normal_iteratorINSA_10device_ptrIxEEEEPS6_SG_NS0_5tupleIJSF_S6_EEENSH_IJSG_SG_EEES6_PlJ7is_evenIxEEEE10hipError_tPvRmT3_T4_T5_T6_T7_T9_mT8_P12ihipStream_tbDpT10_ENKUlT_T0_E_clISt17integral_constantIbLb0EES15_IbLb1EEEEDaS11_S12_EUlS11_E_NS1_11comp_targetILNS1_3genE9ELNS1_11target_archE1100ELNS1_3gpuE3ELNS1_3repE0EEENS1_30default_config_static_selectorELNS0_4arch9wavefront6targetE0EEEvT1_
                                        ; -- End function
	.section	.AMDGPU.csdata,"",@progbits
; Kernel info:
; codeLenInByte = 6652
; NumSgprs: 20
; NumVgprs: 56
; ScratchSize: 0
; MemoryBound: 0
; FloatMode: 240
; IeeeMode: 1
; LDSByteSize: 18448 bytes/workgroup (compile time only)
; SGPRBlocks: 2
; VGPRBlocks: 6
; NumSGPRsForWavesPerEU: 20
; NumVGPRsForWavesPerEU: 56
; Occupancy: 15
; WaveLimiterHint : 1
; COMPUTE_PGM_RSRC2:SCRATCH_EN: 0
; COMPUTE_PGM_RSRC2:USER_SGPR: 15
; COMPUTE_PGM_RSRC2:TRAP_HANDLER: 0
; COMPUTE_PGM_RSRC2:TGID_X_EN: 1
; COMPUTE_PGM_RSRC2:TGID_Y_EN: 0
; COMPUTE_PGM_RSRC2:TGID_Z_EN: 0
; COMPUTE_PGM_RSRC2:TIDIG_COMP_CNT: 0
	.section	.text._ZN7rocprim17ROCPRIM_400000_NS6detail17trampoline_kernelINS0_14default_configENS1_25partition_config_selectorILNS1_17partition_subalgoE6ExNS0_10empty_typeEbEEZZNS1_14partition_implILS5_6ELb0ES3_mN6thrust23THRUST_200600_302600_NS6detail15normal_iteratorINSA_10device_ptrIxEEEEPS6_SG_NS0_5tupleIJSF_S6_EEENSH_IJSG_SG_EEES6_PlJ7is_evenIxEEEE10hipError_tPvRmT3_T4_T5_T6_T7_T9_mT8_P12ihipStream_tbDpT10_ENKUlT_T0_E_clISt17integral_constantIbLb0EES15_IbLb1EEEEDaS11_S12_EUlS11_E_NS1_11comp_targetILNS1_3genE8ELNS1_11target_archE1030ELNS1_3gpuE2ELNS1_3repE0EEENS1_30default_config_static_selectorELNS0_4arch9wavefront6targetE0EEEvT1_,"axG",@progbits,_ZN7rocprim17ROCPRIM_400000_NS6detail17trampoline_kernelINS0_14default_configENS1_25partition_config_selectorILNS1_17partition_subalgoE6ExNS0_10empty_typeEbEEZZNS1_14partition_implILS5_6ELb0ES3_mN6thrust23THRUST_200600_302600_NS6detail15normal_iteratorINSA_10device_ptrIxEEEEPS6_SG_NS0_5tupleIJSF_S6_EEENSH_IJSG_SG_EEES6_PlJ7is_evenIxEEEE10hipError_tPvRmT3_T4_T5_T6_T7_T9_mT8_P12ihipStream_tbDpT10_ENKUlT_T0_E_clISt17integral_constantIbLb0EES15_IbLb1EEEEDaS11_S12_EUlS11_E_NS1_11comp_targetILNS1_3genE8ELNS1_11target_archE1030ELNS1_3gpuE2ELNS1_3repE0EEENS1_30default_config_static_selectorELNS0_4arch9wavefront6targetE0EEEvT1_,comdat
	.protected	_ZN7rocprim17ROCPRIM_400000_NS6detail17trampoline_kernelINS0_14default_configENS1_25partition_config_selectorILNS1_17partition_subalgoE6ExNS0_10empty_typeEbEEZZNS1_14partition_implILS5_6ELb0ES3_mN6thrust23THRUST_200600_302600_NS6detail15normal_iteratorINSA_10device_ptrIxEEEEPS6_SG_NS0_5tupleIJSF_S6_EEENSH_IJSG_SG_EEES6_PlJ7is_evenIxEEEE10hipError_tPvRmT3_T4_T5_T6_T7_T9_mT8_P12ihipStream_tbDpT10_ENKUlT_T0_E_clISt17integral_constantIbLb0EES15_IbLb1EEEEDaS11_S12_EUlS11_E_NS1_11comp_targetILNS1_3genE8ELNS1_11target_archE1030ELNS1_3gpuE2ELNS1_3repE0EEENS1_30default_config_static_selectorELNS0_4arch9wavefront6targetE0EEEvT1_ ; -- Begin function _ZN7rocprim17ROCPRIM_400000_NS6detail17trampoline_kernelINS0_14default_configENS1_25partition_config_selectorILNS1_17partition_subalgoE6ExNS0_10empty_typeEbEEZZNS1_14partition_implILS5_6ELb0ES3_mN6thrust23THRUST_200600_302600_NS6detail15normal_iteratorINSA_10device_ptrIxEEEEPS6_SG_NS0_5tupleIJSF_S6_EEENSH_IJSG_SG_EEES6_PlJ7is_evenIxEEEE10hipError_tPvRmT3_T4_T5_T6_T7_T9_mT8_P12ihipStream_tbDpT10_ENKUlT_T0_E_clISt17integral_constantIbLb0EES15_IbLb1EEEEDaS11_S12_EUlS11_E_NS1_11comp_targetILNS1_3genE8ELNS1_11target_archE1030ELNS1_3gpuE2ELNS1_3repE0EEENS1_30default_config_static_selectorELNS0_4arch9wavefront6targetE0EEEvT1_
	.globl	_ZN7rocprim17ROCPRIM_400000_NS6detail17trampoline_kernelINS0_14default_configENS1_25partition_config_selectorILNS1_17partition_subalgoE6ExNS0_10empty_typeEbEEZZNS1_14partition_implILS5_6ELb0ES3_mN6thrust23THRUST_200600_302600_NS6detail15normal_iteratorINSA_10device_ptrIxEEEEPS6_SG_NS0_5tupleIJSF_S6_EEENSH_IJSG_SG_EEES6_PlJ7is_evenIxEEEE10hipError_tPvRmT3_T4_T5_T6_T7_T9_mT8_P12ihipStream_tbDpT10_ENKUlT_T0_E_clISt17integral_constantIbLb0EES15_IbLb1EEEEDaS11_S12_EUlS11_E_NS1_11comp_targetILNS1_3genE8ELNS1_11target_archE1030ELNS1_3gpuE2ELNS1_3repE0EEENS1_30default_config_static_selectorELNS0_4arch9wavefront6targetE0EEEvT1_
	.p2align	8
	.type	_ZN7rocprim17ROCPRIM_400000_NS6detail17trampoline_kernelINS0_14default_configENS1_25partition_config_selectorILNS1_17partition_subalgoE6ExNS0_10empty_typeEbEEZZNS1_14partition_implILS5_6ELb0ES3_mN6thrust23THRUST_200600_302600_NS6detail15normal_iteratorINSA_10device_ptrIxEEEEPS6_SG_NS0_5tupleIJSF_S6_EEENSH_IJSG_SG_EEES6_PlJ7is_evenIxEEEE10hipError_tPvRmT3_T4_T5_T6_T7_T9_mT8_P12ihipStream_tbDpT10_ENKUlT_T0_E_clISt17integral_constantIbLb0EES15_IbLb1EEEEDaS11_S12_EUlS11_E_NS1_11comp_targetILNS1_3genE8ELNS1_11target_archE1030ELNS1_3gpuE2ELNS1_3repE0EEENS1_30default_config_static_selectorELNS0_4arch9wavefront6targetE0EEEvT1_,@function
_ZN7rocprim17ROCPRIM_400000_NS6detail17trampoline_kernelINS0_14default_configENS1_25partition_config_selectorILNS1_17partition_subalgoE6ExNS0_10empty_typeEbEEZZNS1_14partition_implILS5_6ELb0ES3_mN6thrust23THRUST_200600_302600_NS6detail15normal_iteratorINSA_10device_ptrIxEEEEPS6_SG_NS0_5tupleIJSF_S6_EEENSH_IJSG_SG_EEES6_PlJ7is_evenIxEEEE10hipError_tPvRmT3_T4_T5_T6_T7_T9_mT8_P12ihipStream_tbDpT10_ENKUlT_T0_E_clISt17integral_constantIbLb0EES15_IbLb1EEEEDaS11_S12_EUlS11_E_NS1_11comp_targetILNS1_3genE8ELNS1_11target_archE1030ELNS1_3gpuE2ELNS1_3repE0EEENS1_30default_config_static_selectorELNS0_4arch9wavefront6targetE0EEEvT1_: ; @_ZN7rocprim17ROCPRIM_400000_NS6detail17trampoline_kernelINS0_14default_configENS1_25partition_config_selectorILNS1_17partition_subalgoE6ExNS0_10empty_typeEbEEZZNS1_14partition_implILS5_6ELb0ES3_mN6thrust23THRUST_200600_302600_NS6detail15normal_iteratorINSA_10device_ptrIxEEEEPS6_SG_NS0_5tupleIJSF_S6_EEENSH_IJSG_SG_EEES6_PlJ7is_evenIxEEEE10hipError_tPvRmT3_T4_T5_T6_T7_T9_mT8_P12ihipStream_tbDpT10_ENKUlT_T0_E_clISt17integral_constantIbLb0EES15_IbLb1EEEEDaS11_S12_EUlS11_E_NS1_11comp_targetILNS1_3genE8ELNS1_11target_archE1030ELNS1_3gpuE2ELNS1_3repE0EEENS1_30default_config_static_selectorELNS0_4arch9wavefront6targetE0EEEvT1_
; %bb.0:
	.section	.rodata,"a",@progbits
	.p2align	6, 0x0
	.amdhsa_kernel _ZN7rocprim17ROCPRIM_400000_NS6detail17trampoline_kernelINS0_14default_configENS1_25partition_config_selectorILNS1_17partition_subalgoE6ExNS0_10empty_typeEbEEZZNS1_14partition_implILS5_6ELb0ES3_mN6thrust23THRUST_200600_302600_NS6detail15normal_iteratorINSA_10device_ptrIxEEEEPS6_SG_NS0_5tupleIJSF_S6_EEENSH_IJSG_SG_EEES6_PlJ7is_evenIxEEEE10hipError_tPvRmT3_T4_T5_T6_T7_T9_mT8_P12ihipStream_tbDpT10_ENKUlT_T0_E_clISt17integral_constantIbLb0EES15_IbLb1EEEEDaS11_S12_EUlS11_E_NS1_11comp_targetILNS1_3genE8ELNS1_11target_archE1030ELNS1_3gpuE2ELNS1_3repE0EEENS1_30default_config_static_selectorELNS0_4arch9wavefront6targetE0EEEvT1_
		.amdhsa_group_segment_fixed_size 0
		.amdhsa_private_segment_fixed_size 0
		.amdhsa_kernarg_size 128
		.amdhsa_user_sgpr_count 15
		.amdhsa_user_sgpr_dispatch_ptr 0
		.amdhsa_user_sgpr_queue_ptr 0
		.amdhsa_user_sgpr_kernarg_segment_ptr 1
		.amdhsa_user_sgpr_dispatch_id 0
		.amdhsa_user_sgpr_private_segment_size 0
		.amdhsa_wavefront_size32 1
		.amdhsa_uses_dynamic_stack 0
		.amdhsa_enable_private_segment 0
		.amdhsa_system_sgpr_workgroup_id_x 1
		.amdhsa_system_sgpr_workgroup_id_y 0
		.amdhsa_system_sgpr_workgroup_id_z 0
		.amdhsa_system_sgpr_workgroup_info 0
		.amdhsa_system_vgpr_workitem_id 0
		.amdhsa_next_free_vgpr 1
		.amdhsa_next_free_sgpr 1
		.amdhsa_reserve_vcc 0
		.amdhsa_float_round_mode_32 0
		.amdhsa_float_round_mode_16_64 0
		.amdhsa_float_denorm_mode_32 3
		.amdhsa_float_denorm_mode_16_64 3
		.amdhsa_dx10_clamp 1
		.amdhsa_ieee_mode 1
		.amdhsa_fp16_overflow 0
		.amdhsa_workgroup_processor_mode 1
		.amdhsa_memory_ordered 1
		.amdhsa_forward_progress 0
		.amdhsa_shared_vgpr_count 0
		.amdhsa_exception_fp_ieee_invalid_op 0
		.amdhsa_exception_fp_denorm_src 0
		.amdhsa_exception_fp_ieee_div_zero 0
		.amdhsa_exception_fp_ieee_overflow 0
		.amdhsa_exception_fp_ieee_underflow 0
		.amdhsa_exception_fp_ieee_inexact 0
		.amdhsa_exception_int_div_zero 0
	.end_amdhsa_kernel
	.section	.text._ZN7rocprim17ROCPRIM_400000_NS6detail17trampoline_kernelINS0_14default_configENS1_25partition_config_selectorILNS1_17partition_subalgoE6ExNS0_10empty_typeEbEEZZNS1_14partition_implILS5_6ELb0ES3_mN6thrust23THRUST_200600_302600_NS6detail15normal_iteratorINSA_10device_ptrIxEEEEPS6_SG_NS0_5tupleIJSF_S6_EEENSH_IJSG_SG_EEES6_PlJ7is_evenIxEEEE10hipError_tPvRmT3_T4_T5_T6_T7_T9_mT8_P12ihipStream_tbDpT10_ENKUlT_T0_E_clISt17integral_constantIbLb0EES15_IbLb1EEEEDaS11_S12_EUlS11_E_NS1_11comp_targetILNS1_3genE8ELNS1_11target_archE1030ELNS1_3gpuE2ELNS1_3repE0EEENS1_30default_config_static_selectorELNS0_4arch9wavefront6targetE0EEEvT1_,"axG",@progbits,_ZN7rocprim17ROCPRIM_400000_NS6detail17trampoline_kernelINS0_14default_configENS1_25partition_config_selectorILNS1_17partition_subalgoE6ExNS0_10empty_typeEbEEZZNS1_14partition_implILS5_6ELb0ES3_mN6thrust23THRUST_200600_302600_NS6detail15normal_iteratorINSA_10device_ptrIxEEEEPS6_SG_NS0_5tupleIJSF_S6_EEENSH_IJSG_SG_EEES6_PlJ7is_evenIxEEEE10hipError_tPvRmT3_T4_T5_T6_T7_T9_mT8_P12ihipStream_tbDpT10_ENKUlT_T0_E_clISt17integral_constantIbLb0EES15_IbLb1EEEEDaS11_S12_EUlS11_E_NS1_11comp_targetILNS1_3genE8ELNS1_11target_archE1030ELNS1_3gpuE2ELNS1_3repE0EEENS1_30default_config_static_selectorELNS0_4arch9wavefront6targetE0EEEvT1_,comdat
.Lfunc_end391:
	.size	_ZN7rocprim17ROCPRIM_400000_NS6detail17trampoline_kernelINS0_14default_configENS1_25partition_config_selectorILNS1_17partition_subalgoE6ExNS0_10empty_typeEbEEZZNS1_14partition_implILS5_6ELb0ES3_mN6thrust23THRUST_200600_302600_NS6detail15normal_iteratorINSA_10device_ptrIxEEEEPS6_SG_NS0_5tupleIJSF_S6_EEENSH_IJSG_SG_EEES6_PlJ7is_evenIxEEEE10hipError_tPvRmT3_T4_T5_T6_T7_T9_mT8_P12ihipStream_tbDpT10_ENKUlT_T0_E_clISt17integral_constantIbLb0EES15_IbLb1EEEEDaS11_S12_EUlS11_E_NS1_11comp_targetILNS1_3genE8ELNS1_11target_archE1030ELNS1_3gpuE2ELNS1_3repE0EEENS1_30default_config_static_selectorELNS0_4arch9wavefront6targetE0EEEvT1_, .Lfunc_end391-_ZN7rocprim17ROCPRIM_400000_NS6detail17trampoline_kernelINS0_14default_configENS1_25partition_config_selectorILNS1_17partition_subalgoE6ExNS0_10empty_typeEbEEZZNS1_14partition_implILS5_6ELb0ES3_mN6thrust23THRUST_200600_302600_NS6detail15normal_iteratorINSA_10device_ptrIxEEEEPS6_SG_NS0_5tupleIJSF_S6_EEENSH_IJSG_SG_EEES6_PlJ7is_evenIxEEEE10hipError_tPvRmT3_T4_T5_T6_T7_T9_mT8_P12ihipStream_tbDpT10_ENKUlT_T0_E_clISt17integral_constantIbLb0EES15_IbLb1EEEEDaS11_S12_EUlS11_E_NS1_11comp_targetILNS1_3genE8ELNS1_11target_archE1030ELNS1_3gpuE2ELNS1_3repE0EEENS1_30default_config_static_selectorELNS0_4arch9wavefront6targetE0EEEvT1_
                                        ; -- End function
	.section	.AMDGPU.csdata,"",@progbits
; Kernel info:
; codeLenInByte = 0
; NumSgprs: 0
; NumVgprs: 0
; ScratchSize: 0
; MemoryBound: 0
; FloatMode: 240
; IeeeMode: 1
; LDSByteSize: 0 bytes/workgroup (compile time only)
; SGPRBlocks: 0
; VGPRBlocks: 0
; NumSGPRsForWavesPerEU: 1
; NumVGPRsForWavesPerEU: 1
; Occupancy: 16
; WaveLimiterHint : 0
; COMPUTE_PGM_RSRC2:SCRATCH_EN: 0
; COMPUTE_PGM_RSRC2:USER_SGPR: 15
; COMPUTE_PGM_RSRC2:TRAP_HANDLER: 0
; COMPUTE_PGM_RSRC2:TGID_X_EN: 1
; COMPUTE_PGM_RSRC2:TGID_Y_EN: 0
; COMPUTE_PGM_RSRC2:TGID_Z_EN: 0
; COMPUTE_PGM_RSRC2:TIDIG_COMP_CNT: 0
	.section	.text._ZN7rocprim17ROCPRIM_400000_NS6detail17trampoline_kernelINS0_14default_configENS1_25partition_config_selectorILNS1_17partition_subalgoE6EiNS0_10empty_typeEbEEZZNS1_14partition_implILS5_6ELb0ES3_mN6thrust23THRUST_200600_302600_NS6detail15normal_iteratorINSA_10device_ptrIiEEEEPS6_SG_NS0_5tupleIJSF_S6_EEENSH_IJSG_SG_EEES6_PlJ7is_evenIiEEEE10hipError_tPvRmT3_T4_T5_T6_T7_T9_mT8_P12ihipStream_tbDpT10_ENKUlT_T0_E_clISt17integral_constantIbLb0EES16_EEDaS11_S12_EUlS11_E_NS1_11comp_targetILNS1_3genE0ELNS1_11target_archE4294967295ELNS1_3gpuE0ELNS1_3repE0EEENS1_30default_config_static_selectorELNS0_4arch9wavefront6targetE0EEEvT1_,"axG",@progbits,_ZN7rocprim17ROCPRIM_400000_NS6detail17trampoline_kernelINS0_14default_configENS1_25partition_config_selectorILNS1_17partition_subalgoE6EiNS0_10empty_typeEbEEZZNS1_14partition_implILS5_6ELb0ES3_mN6thrust23THRUST_200600_302600_NS6detail15normal_iteratorINSA_10device_ptrIiEEEEPS6_SG_NS0_5tupleIJSF_S6_EEENSH_IJSG_SG_EEES6_PlJ7is_evenIiEEEE10hipError_tPvRmT3_T4_T5_T6_T7_T9_mT8_P12ihipStream_tbDpT10_ENKUlT_T0_E_clISt17integral_constantIbLb0EES16_EEDaS11_S12_EUlS11_E_NS1_11comp_targetILNS1_3genE0ELNS1_11target_archE4294967295ELNS1_3gpuE0ELNS1_3repE0EEENS1_30default_config_static_selectorELNS0_4arch9wavefront6targetE0EEEvT1_,comdat
	.protected	_ZN7rocprim17ROCPRIM_400000_NS6detail17trampoline_kernelINS0_14default_configENS1_25partition_config_selectorILNS1_17partition_subalgoE6EiNS0_10empty_typeEbEEZZNS1_14partition_implILS5_6ELb0ES3_mN6thrust23THRUST_200600_302600_NS6detail15normal_iteratorINSA_10device_ptrIiEEEEPS6_SG_NS0_5tupleIJSF_S6_EEENSH_IJSG_SG_EEES6_PlJ7is_evenIiEEEE10hipError_tPvRmT3_T4_T5_T6_T7_T9_mT8_P12ihipStream_tbDpT10_ENKUlT_T0_E_clISt17integral_constantIbLb0EES16_EEDaS11_S12_EUlS11_E_NS1_11comp_targetILNS1_3genE0ELNS1_11target_archE4294967295ELNS1_3gpuE0ELNS1_3repE0EEENS1_30default_config_static_selectorELNS0_4arch9wavefront6targetE0EEEvT1_ ; -- Begin function _ZN7rocprim17ROCPRIM_400000_NS6detail17trampoline_kernelINS0_14default_configENS1_25partition_config_selectorILNS1_17partition_subalgoE6EiNS0_10empty_typeEbEEZZNS1_14partition_implILS5_6ELb0ES3_mN6thrust23THRUST_200600_302600_NS6detail15normal_iteratorINSA_10device_ptrIiEEEEPS6_SG_NS0_5tupleIJSF_S6_EEENSH_IJSG_SG_EEES6_PlJ7is_evenIiEEEE10hipError_tPvRmT3_T4_T5_T6_T7_T9_mT8_P12ihipStream_tbDpT10_ENKUlT_T0_E_clISt17integral_constantIbLb0EES16_EEDaS11_S12_EUlS11_E_NS1_11comp_targetILNS1_3genE0ELNS1_11target_archE4294967295ELNS1_3gpuE0ELNS1_3repE0EEENS1_30default_config_static_selectorELNS0_4arch9wavefront6targetE0EEEvT1_
	.globl	_ZN7rocprim17ROCPRIM_400000_NS6detail17trampoline_kernelINS0_14default_configENS1_25partition_config_selectorILNS1_17partition_subalgoE6EiNS0_10empty_typeEbEEZZNS1_14partition_implILS5_6ELb0ES3_mN6thrust23THRUST_200600_302600_NS6detail15normal_iteratorINSA_10device_ptrIiEEEEPS6_SG_NS0_5tupleIJSF_S6_EEENSH_IJSG_SG_EEES6_PlJ7is_evenIiEEEE10hipError_tPvRmT3_T4_T5_T6_T7_T9_mT8_P12ihipStream_tbDpT10_ENKUlT_T0_E_clISt17integral_constantIbLb0EES16_EEDaS11_S12_EUlS11_E_NS1_11comp_targetILNS1_3genE0ELNS1_11target_archE4294967295ELNS1_3gpuE0ELNS1_3repE0EEENS1_30default_config_static_selectorELNS0_4arch9wavefront6targetE0EEEvT1_
	.p2align	8
	.type	_ZN7rocprim17ROCPRIM_400000_NS6detail17trampoline_kernelINS0_14default_configENS1_25partition_config_selectorILNS1_17partition_subalgoE6EiNS0_10empty_typeEbEEZZNS1_14partition_implILS5_6ELb0ES3_mN6thrust23THRUST_200600_302600_NS6detail15normal_iteratorINSA_10device_ptrIiEEEEPS6_SG_NS0_5tupleIJSF_S6_EEENSH_IJSG_SG_EEES6_PlJ7is_evenIiEEEE10hipError_tPvRmT3_T4_T5_T6_T7_T9_mT8_P12ihipStream_tbDpT10_ENKUlT_T0_E_clISt17integral_constantIbLb0EES16_EEDaS11_S12_EUlS11_E_NS1_11comp_targetILNS1_3genE0ELNS1_11target_archE4294967295ELNS1_3gpuE0ELNS1_3repE0EEENS1_30default_config_static_selectorELNS0_4arch9wavefront6targetE0EEEvT1_,@function
_ZN7rocprim17ROCPRIM_400000_NS6detail17trampoline_kernelINS0_14default_configENS1_25partition_config_selectorILNS1_17partition_subalgoE6EiNS0_10empty_typeEbEEZZNS1_14partition_implILS5_6ELb0ES3_mN6thrust23THRUST_200600_302600_NS6detail15normal_iteratorINSA_10device_ptrIiEEEEPS6_SG_NS0_5tupleIJSF_S6_EEENSH_IJSG_SG_EEES6_PlJ7is_evenIiEEEE10hipError_tPvRmT3_T4_T5_T6_T7_T9_mT8_P12ihipStream_tbDpT10_ENKUlT_T0_E_clISt17integral_constantIbLb0EES16_EEDaS11_S12_EUlS11_E_NS1_11comp_targetILNS1_3genE0ELNS1_11target_archE4294967295ELNS1_3gpuE0ELNS1_3repE0EEENS1_30default_config_static_selectorELNS0_4arch9wavefront6targetE0EEEvT1_: ; @_ZN7rocprim17ROCPRIM_400000_NS6detail17trampoline_kernelINS0_14default_configENS1_25partition_config_selectorILNS1_17partition_subalgoE6EiNS0_10empty_typeEbEEZZNS1_14partition_implILS5_6ELb0ES3_mN6thrust23THRUST_200600_302600_NS6detail15normal_iteratorINSA_10device_ptrIiEEEEPS6_SG_NS0_5tupleIJSF_S6_EEENSH_IJSG_SG_EEES6_PlJ7is_evenIiEEEE10hipError_tPvRmT3_T4_T5_T6_T7_T9_mT8_P12ihipStream_tbDpT10_ENKUlT_T0_E_clISt17integral_constantIbLb0EES16_EEDaS11_S12_EUlS11_E_NS1_11comp_targetILNS1_3genE0ELNS1_11target_archE4294967295ELNS1_3gpuE0ELNS1_3repE0EEENS1_30default_config_static_selectorELNS0_4arch9wavefront6targetE0EEEvT1_
; %bb.0:
	.section	.rodata,"a",@progbits
	.p2align	6, 0x0
	.amdhsa_kernel _ZN7rocprim17ROCPRIM_400000_NS6detail17trampoline_kernelINS0_14default_configENS1_25partition_config_selectorILNS1_17partition_subalgoE6EiNS0_10empty_typeEbEEZZNS1_14partition_implILS5_6ELb0ES3_mN6thrust23THRUST_200600_302600_NS6detail15normal_iteratorINSA_10device_ptrIiEEEEPS6_SG_NS0_5tupleIJSF_S6_EEENSH_IJSG_SG_EEES6_PlJ7is_evenIiEEEE10hipError_tPvRmT3_T4_T5_T6_T7_T9_mT8_P12ihipStream_tbDpT10_ENKUlT_T0_E_clISt17integral_constantIbLb0EES16_EEDaS11_S12_EUlS11_E_NS1_11comp_targetILNS1_3genE0ELNS1_11target_archE4294967295ELNS1_3gpuE0ELNS1_3repE0EEENS1_30default_config_static_selectorELNS0_4arch9wavefront6targetE0EEEvT1_
		.amdhsa_group_segment_fixed_size 0
		.amdhsa_private_segment_fixed_size 0
		.amdhsa_kernarg_size 112
		.amdhsa_user_sgpr_count 15
		.amdhsa_user_sgpr_dispatch_ptr 0
		.amdhsa_user_sgpr_queue_ptr 0
		.amdhsa_user_sgpr_kernarg_segment_ptr 1
		.amdhsa_user_sgpr_dispatch_id 0
		.amdhsa_user_sgpr_private_segment_size 0
		.amdhsa_wavefront_size32 1
		.amdhsa_uses_dynamic_stack 0
		.amdhsa_enable_private_segment 0
		.amdhsa_system_sgpr_workgroup_id_x 1
		.amdhsa_system_sgpr_workgroup_id_y 0
		.amdhsa_system_sgpr_workgroup_id_z 0
		.amdhsa_system_sgpr_workgroup_info 0
		.amdhsa_system_vgpr_workitem_id 0
		.amdhsa_next_free_vgpr 1
		.amdhsa_next_free_sgpr 1
		.amdhsa_reserve_vcc 0
		.amdhsa_float_round_mode_32 0
		.amdhsa_float_round_mode_16_64 0
		.amdhsa_float_denorm_mode_32 3
		.amdhsa_float_denorm_mode_16_64 3
		.amdhsa_dx10_clamp 1
		.amdhsa_ieee_mode 1
		.amdhsa_fp16_overflow 0
		.amdhsa_workgroup_processor_mode 1
		.amdhsa_memory_ordered 1
		.amdhsa_forward_progress 0
		.amdhsa_shared_vgpr_count 0
		.amdhsa_exception_fp_ieee_invalid_op 0
		.amdhsa_exception_fp_denorm_src 0
		.amdhsa_exception_fp_ieee_div_zero 0
		.amdhsa_exception_fp_ieee_overflow 0
		.amdhsa_exception_fp_ieee_underflow 0
		.amdhsa_exception_fp_ieee_inexact 0
		.amdhsa_exception_int_div_zero 0
	.end_amdhsa_kernel
	.section	.text._ZN7rocprim17ROCPRIM_400000_NS6detail17trampoline_kernelINS0_14default_configENS1_25partition_config_selectorILNS1_17partition_subalgoE6EiNS0_10empty_typeEbEEZZNS1_14partition_implILS5_6ELb0ES3_mN6thrust23THRUST_200600_302600_NS6detail15normal_iteratorINSA_10device_ptrIiEEEEPS6_SG_NS0_5tupleIJSF_S6_EEENSH_IJSG_SG_EEES6_PlJ7is_evenIiEEEE10hipError_tPvRmT3_T4_T5_T6_T7_T9_mT8_P12ihipStream_tbDpT10_ENKUlT_T0_E_clISt17integral_constantIbLb0EES16_EEDaS11_S12_EUlS11_E_NS1_11comp_targetILNS1_3genE0ELNS1_11target_archE4294967295ELNS1_3gpuE0ELNS1_3repE0EEENS1_30default_config_static_selectorELNS0_4arch9wavefront6targetE0EEEvT1_,"axG",@progbits,_ZN7rocprim17ROCPRIM_400000_NS6detail17trampoline_kernelINS0_14default_configENS1_25partition_config_selectorILNS1_17partition_subalgoE6EiNS0_10empty_typeEbEEZZNS1_14partition_implILS5_6ELb0ES3_mN6thrust23THRUST_200600_302600_NS6detail15normal_iteratorINSA_10device_ptrIiEEEEPS6_SG_NS0_5tupleIJSF_S6_EEENSH_IJSG_SG_EEES6_PlJ7is_evenIiEEEE10hipError_tPvRmT3_T4_T5_T6_T7_T9_mT8_P12ihipStream_tbDpT10_ENKUlT_T0_E_clISt17integral_constantIbLb0EES16_EEDaS11_S12_EUlS11_E_NS1_11comp_targetILNS1_3genE0ELNS1_11target_archE4294967295ELNS1_3gpuE0ELNS1_3repE0EEENS1_30default_config_static_selectorELNS0_4arch9wavefront6targetE0EEEvT1_,comdat
.Lfunc_end392:
	.size	_ZN7rocprim17ROCPRIM_400000_NS6detail17trampoline_kernelINS0_14default_configENS1_25partition_config_selectorILNS1_17partition_subalgoE6EiNS0_10empty_typeEbEEZZNS1_14partition_implILS5_6ELb0ES3_mN6thrust23THRUST_200600_302600_NS6detail15normal_iteratorINSA_10device_ptrIiEEEEPS6_SG_NS0_5tupleIJSF_S6_EEENSH_IJSG_SG_EEES6_PlJ7is_evenIiEEEE10hipError_tPvRmT3_T4_T5_T6_T7_T9_mT8_P12ihipStream_tbDpT10_ENKUlT_T0_E_clISt17integral_constantIbLb0EES16_EEDaS11_S12_EUlS11_E_NS1_11comp_targetILNS1_3genE0ELNS1_11target_archE4294967295ELNS1_3gpuE0ELNS1_3repE0EEENS1_30default_config_static_selectorELNS0_4arch9wavefront6targetE0EEEvT1_, .Lfunc_end392-_ZN7rocprim17ROCPRIM_400000_NS6detail17trampoline_kernelINS0_14default_configENS1_25partition_config_selectorILNS1_17partition_subalgoE6EiNS0_10empty_typeEbEEZZNS1_14partition_implILS5_6ELb0ES3_mN6thrust23THRUST_200600_302600_NS6detail15normal_iteratorINSA_10device_ptrIiEEEEPS6_SG_NS0_5tupleIJSF_S6_EEENSH_IJSG_SG_EEES6_PlJ7is_evenIiEEEE10hipError_tPvRmT3_T4_T5_T6_T7_T9_mT8_P12ihipStream_tbDpT10_ENKUlT_T0_E_clISt17integral_constantIbLb0EES16_EEDaS11_S12_EUlS11_E_NS1_11comp_targetILNS1_3genE0ELNS1_11target_archE4294967295ELNS1_3gpuE0ELNS1_3repE0EEENS1_30default_config_static_selectorELNS0_4arch9wavefront6targetE0EEEvT1_
                                        ; -- End function
	.section	.AMDGPU.csdata,"",@progbits
; Kernel info:
; codeLenInByte = 0
; NumSgprs: 0
; NumVgprs: 0
; ScratchSize: 0
; MemoryBound: 0
; FloatMode: 240
; IeeeMode: 1
; LDSByteSize: 0 bytes/workgroup (compile time only)
; SGPRBlocks: 0
; VGPRBlocks: 0
; NumSGPRsForWavesPerEU: 1
; NumVGPRsForWavesPerEU: 1
; Occupancy: 16
; WaveLimiterHint : 0
; COMPUTE_PGM_RSRC2:SCRATCH_EN: 0
; COMPUTE_PGM_RSRC2:USER_SGPR: 15
; COMPUTE_PGM_RSRC2:TRAP_HANDLER: 0
; COMPUTE_PGM_RSRC2:TGID_X_EN: 1
; COMPUTE_PGM_RSRC2:TGID_Y_EN: 0
; COMPUTE_PGM_RSRC2:TGID_Z_EN: 0
; COMPUTE_PGM_RSRC2:TIDIG_COMP_CNT: 0
	.section	.text._ZN7rocprim17ROCPRIM_400000_NS6detail17trampoline_kernelINS0_14default_configENS1_25partition_config_selectorILNS1_17partition_subalgoE6EiNS0_10empty_typeEbEEZZNS1_14partition_implILS5_6ELb0ES3_mN6thrust23THRUST_200600_302600_NS6detail15normal_iteratorINSA_10device_ptrIiEEEEPS6_SG_NS0_5tupleIJSF_S6_EEENSH_IJSG_SG_EEES6_PlJ7is_evenIiEEEE10hipError_tPvRmT3_T4_T5_T6_T7_T9_mT8_P12ihipStream_tbDpT10_ENKUlT_T0_E_clISt17integral_constantIbLb0EES16_EEDaS11_S12_EUlS11_E_NS1_11comp_targetILNS1_3genE5ELNS1_11target_archE942ELNS1_3gpuE9ELNS1_3repE0EEENS1_30default_config_static_selectorELNS0_4arch9wavefront6targetE0EEEvT1_,"axG",@progbits,_ZN7rocprim17ROCPRIM_400000_NS6detail17trampoline_kernelINS0_14default_configENS1_25partition_config_selectorILNS1_17partition_subalgoE6EiNS0_10empty_typeEbEEZZNS1_14partition_implILS5_6ELb0ES3_mN6thrust23THRUST_200600_302600_NS6detail15normal_iteratorINSA_10device_ptrIiEEEEPS6_SG_NS0_5tupleIJSF_S6_EEENSH_IJSG_SG_EEES6_PlJ7is_evenIiEEEE10hipError_tPvRmT3_T4_T5_T6_T7_T9_mT8_P12ihipStream_tbDpT10_ENKUlT_T0_E_clISt17integral_constantIbLb0EES16_EEDaS11_S12_EUlS11_E_NS1_11comp_targetILNS1_3genE5ELNS1_11target_archE942ELNS1_3gpuE9ELNS1_3repE0EEENS1_30default_config_static_selectorELNS0_4arch9wavefront6targetE0EEEvT1_,comdat
	.protected	_ZN7rocprim17ROCPRIM_400000_NS6detail17trampoline_kernelINS0_14default_configENS1_25partition_config_selectorILNS1_17partition_subalgoE6EiNS0_10empty_typeEbEEZZNS1_14partition_implILS5_6ELb0ES3_mN6thrust23THRUST_200600_302600_NS6detail15normal_iteratorINSA_10device_ptrIiEEEEPS6_SG_NS0_5tupleIJSF_S6_EEENSH_IJSG_SG_EEES6_PlJ7is_evenIiEEEE10hipError_tPvRmT3_T4_T5_T6_T7_T9_mT8_P12ihipStream_tbDpT10_ENKUlT_T0_E_clISt17integral_constantIbLb0EES16_EEDaS11_S12_EUlS11_E_NS1_11comp_targetILNS1_3genE5ELNS1_11target_archE942ELNS1_3gpuE9ELNS1_3repE0EEENS1_30default_config_static_selectorELNS0_4arch9wavefront6targetE0EEEvT1_ ; -- Begin function _ZN7rocprim17ROCPRIM_400000_NS6detail17trampoline_kernelINS0_14default_configENS1_25partition_config_selectorILNS1_17partition_subalgoE6EiNS0_10empty_typeEbEEZZNS1_14partition_implILS5_6ELb0ES3_mN6thrust23THRUST_200600_302600_NS6detail15normal_iteratorINSA_10device_ptrIiEEEEPS6_SG_NS0_5tupleIJSF_S6_EEENSH_IJSG_SG_EEES6_PlJ7is_evenIiEEEE10hipError_tPvRmT3_T4_T5_T6_T7_T9_mT8_P12ihipStream_tbDpT10_ENKUlT_T0_E_clISt17integral_constantIbLb0EES16_EEDaS11_S12_EUlS11_E_NS1_11comp_targetILNS1_3genE5ELNS1_11target_archE942ELNS1_3gpuE9ELNS1_3repE0EEENS1_30default_config_static_selectorELNS0_4arch9wavefront6targetE0EEEvT1_
	.globl	_ZN7rocprim17ROCPRIM_400000_NS6detail17trampoline_kernelINS0_14default_configENS1_25partition_config_selectorILNS1_17partition_subalgoE6EiNS0_10empty_typeEbEEZZNS1_14partition_implILS5_6ELb0ES3_mN6thrust23THRUST_200600_302600_NS6detail15normal_iteratorINSA_10device_ptrIiEEEEPS6_SG_NS0_5tupleIJSF_S6_EEENSH_IJSG_SG_EEES6_PlJ7is_evenIiEEEE10hipError_tPvRmT3_T4_T5_T6_T7_T9_mT8_P12ihipStream_tbDpT10_ENKUlT_T0_E_clISt17integral_constantIbLb0EES16_EEDaS11_S12_EUlS11_E_NS1_11comp_targetILNS1_3genE5ELNS1_11target_archE942ELNS1_3gpuE9ELNS1_3repE0EEENS1_30default_config_static_selectorELNS0_4arch9wavefront6targetE0EEEvT1_
	.p2align	8
	.type	_ZN7rocprim17ROCPRIM_400000_NS6detail17trampoline_kernelINS0_14default_configENS1_25partition_config_selectorILNS1_17partition_subalgoE6EiNS0_10empty_typeEbEEZZNS1_14partition_implILS5_6ELb0ES3_mN6thrust23THRUST_200600_302600_NS6detail15normal_iteratorINSA_10device_ptrIiEEEEPS6_SG_NS0_5tupleIJSF_S6_EEENSH_IJSG_SG_EEES6_PlJ7is_evenIiEEEE10hipError_tPvRmT3_T4_T5_T6_T7_T9_mT8_P12ihipStream_tbDpT10_ENKUlT_T0_E_clISt17integral_constantIbLb0EES16_EEDaS11_S12_EUlS11_E_NS1_11comp_targetILNS1_3genE5ELNS1_11target_archE942ELNS1_3gpuE9ELNS1_3repE0EEENS1_30default_config_static_selectorELNS0_4arch9wavefront6targetE0EEEvT1_,@function
_ZN7rocprim17ROCPRIM_400000_NS6detail17trampoline_kernelINS0_14default_configENS1_25partition_config_selectorILNS1_17partition_subalgoE6EiNS0_10empty_typeEbEEZZNS1_14partition_implILS5_6ELb0ES3_mN6thrust23THRUST_200600_302600_NS6detail15normal_iteratorINSA_10device_ptrIiEEEEPS6_SG_NS0_5tupleIJSF_S6_EEENSH_IJSG_SG_EEES6_PlJ7is_evenIiEEEE10hipError_tPvRmT3_T4_T5_T6_T7_T9_mT8_P12ihipStream_tbDpT10_ENKUlT_T0_E_clISt17integral_constantIbLb0EES16_EEDaS11_S12_EUlS11_E_NS1_11comp_targetILNS1_3genE5ELNS1_11target_archE942ELNS1_3gpuE9ELNS1_3repE0EEENS1_30default_config_static_selectorELNS0_4arch9wavefront6targetE0EEEvT1_: ; @_ZN7rocprim17ROCPRIM_400000_NS6detail17trampoline_kernelINS0_14default_configENS1_25partition_config_selectorILNS1_17partition_subalgoE6EiNS0_10empty_typeEbEEZZNS1_14partition_implILS5_6ELb0ES3_mN6thrust23THRUST_200600_302600_NS6detail15normal_iteratorINSA_10device_ptrIiEEEEPS6_SG_NS0_5tupleIJSF_S6_EEENSH_IJSG_SG_EEES6_PlJ7is_evenIiEEEE10hipError_tPvRmT3_T4_T5_T6_T7_T9_mT8_P12ihipStream_tbDpT10_ENKUlT_T0_E_clISt17integral_constantIbLb0EES16_EEDaS11_S12_EUlS11_E_NS1_11comp_targetILNS1_3genE5ELNS1_11target_archE942ELNS1_3gpuE9ELNS1_3repE0EEENS1_30default_config_static_selectorELNS0_4arch9wavefront6targetE0EEEvT1_
; %bb.0:
	.section	.rodata,"a",@progbits
	.p2align	6, 0x0
	.amdhsa_kernel _ZN7rocprim17ROCPRIM_400000_NS6detail17trampoline_kernelINS0_14default_configENS1_25partition_config_selectorILNS1_17partition_subalgoE6EiNS0_10empty_typeEbEEZZNS1_14partition_implILS5_6ELb0ES3_mN6thrust23THRUST_200600_302600_NS6detail15normal_iteratorINSA_10device_ptrIiEEEEPS6_SG_NS0_5tupleIJSF_S6_EEENSH_IJSG_SG_EEES6_PlJ7is_evenIiEEEE10hipError_tPvRmT3_T4_T5_T6_T7_T9_mT8_P12ihipStream_tbDpT10_ENKUlT_T0_E_clISt17integral_constantIbLb0EES16_EEDaS11_S12_EUlS11_E_NS1_11comp_targetILNS1_3genE5ELNS1_11target_archE942ELNS1_3gpuE9ELNS1_3repE0EEENS1_30default_config_static_selectorELNS0_4arch9wavefront6targetE0EEEvT1_
		.amdhsa_group_segment_fixed_size 0
		.amdhsa_private_segment_fixed_size 0
		.amdhsa_kernarg_size 112
		.amdhsa_user_sgpr_count 15
		.amdhsa_user_sgpr_dispatch_ptr 0
		.amdhsa_user_sgpr_queue_ptr 0
		.amdhsa_user_sgpr_kernarg_segment_ptr 1
		.amdhsa_user_sgpr_dispatch_id 0
		.amdhsa_user_sgpr_private_segment_size 0
		.amdhsa_wavefront_size32 1
		.amdhsa_uses_dynamic_stack 0
		.amdhsa_enable_private_segment 0
		.amdhsa_system_sgpr_workgroup_id_x 1
		.amdhsa_system_sgpr_workgroup_id_y 0
		.amdhsa_system_sgpr_workgroup_id_z 0
		.amdhsa_system_sgpr_workgroup_info 0
		.amdhsa_system_vgpr_workitem_id 0
		.amdhsa_next_free_vgpr 1
		.amdhsa_next_free_sgpr 1
		.amdhsa_reserve_vcc 0
		.amdhsa_float_round_mode_32 0
		.amdhsa_float_round_mode_16_64 0
		.amdhsa_float_denorm_mode_32 3
		.amdhsa_float_denorm_mode_16_64 3
		.amdhsa_dx10_clamp 1
		.amdhsa_ieee_mode 1
		.amdhsa_fp16_overflow 0
		.amdhsa_workgroup_processor_mode 1
		.amdhsa_memory_ordered 1
		.amdhsa_forward_progress 0
		.amdhsa_shared_vgpr_count 0
		.amdhsa_exception_fp_ieee_invalid_op 0
		.amdhsa_exception_fp_denorm_src 0
		.amdhsa_exception_fp_ieee_div_zero 0
		.amdhsa_exception_fp_ieee_overflow 0
		.amdhsa_exception_fp_ieee_underflow 0
		.amdhsa_exception_fp_ieee_inexact 0
		.amdhsa_exception_int_div_zero 0
	.end_amdhsa_kernel
	.section	.text._ZN7rocprim17ROCPRIM_400000_NS6detail17trampoline_kernelINS0_14default_configENS1_25partition_config_selectorILNS1_17partition_subalgoE6EiNS0_10empty_typeEbEEZZNS1_14partition_implILS5_6ELb0ES3_mN6thrust23THRUST_200600_302600_NS6detail15normal_iteratorINSA_10device_ptrIiEEEEPS6_SG_NS0_5tupleIJSF_S6_EEENSH_IJSG_SG_EEES6_PlJ7is_evenIiEEEE10hipError_tPvRmT3_T4_T5_T6_T7_T9_mT8_P12ihipStream_tbDpT10_ENKUlT_T0_E_clISt17integral_constantIbLb0EES16_EEDaS11_S12_EUlS11_E_NS1_11comp_targetILNS1_3genE5ELNS1_11target_archE942ELNS1_3gpuE9ELNS1_3repE0EEENS1_30default_config_static_selectorELNS0_4arch9wavefront6targetE0EEEvT1_,"axG",@progbits,_ZN7rocprim17ROCPRIM_400000_NS6detail17trampoline_kernelINS0_14default_configENS1_25partition_config_selectorILNS1_17partition_subalgoE6EiNS0_10empty_typeEbEEZZNS1_14partition_implILS5_6ELb0ES3_mN6thrust23THRUST_200600_302600_NS6detail15normal_iteratorINSA_10device_ptrIiEEEEPS6_SG_NS0_5tupleIJSF_S6_EEENSH_IJSG_SG_EEES6_PlJ7is_evenIiEEEE10hipError_tPvRmT3_T4_T5_T6_T7_T9_mT8_P12ihipStream_tbDpT10_ENKUlT_T0_E_clISt17integral_constantIbLb0EES16_EEDaS11_S12_EUlS11_E_NS1_11comp_targetILNS1_3genE5ELNS1_11target_archE942ELNS1_3gpuE9ELNS1_3repE0EEENS1_30default_config_static_selectorELNS0_4arch9wavefront6targetE0EEEvT1_,comdat
.Lfunc_end393:
	.size	_ZN7rocprim17ROCPRIM_400000_NS6detail17trampoline_kernelINS0_14default_configENS1_25partition_config_selectorILNS1_17partition_subalgoE6EiNS0_10empty_typeEbEEZZNS1_14partition_implILS5_6ELb0ES3_mN6thrust23THRUST_200600_302600_NS6detail15normal_iteratorINSA_10device_ptrIiEEEEPS6_SG_NS0_5tupleIJSF_S6_EEENSH_IJSG_SG_EEES6_PlJ7is_evenIiEEEE10hipError_tPvRmT3_T4_T5_T6_T7_T9_mT8_P12ihipStream_tbDpT10_ENKUlT_T0_E_clISt17integral_constantIbLb0EES16_EEDaS11_S12_EUlS11_E_NS1_11comp_targetILNS1_3genE5ELNS1_11target_archE942ELNS1_3gpuE9ELNS1_3repE0EEENS1_30default_config_static_selectorELNS0_4arch9wavefront6targetE0EEEvT1_, .Lfunc_end393-_ZN7rocprim17ROCPRIM_400000_NS6detail17trampoline_kernelINS0_14default_configENS1_25partition_config_selectorILNS1_17partition_subalgoE6EiNS0_10empty_typeEbEEZZNS1_14partition_implILS5_6ELb0ES3_mN6thrust23THRUST_200600_302600_NS6detail15normal_iteratorINSA_10device_ptrIiEEEEPS6_SG_NS0_5tupleIJSF_S6_EEENSH_IJSG_SG_EEES6_PlJ7is_evenIiEEEE10hipError_tPvRmT3_T4_T5_T6_T7_T9_mT8_P12ihipStream_tbDpT10_ENKUlT_T0_E_clISt17integral_constantIbLb0EES16_EEDaS11_S12_EUlS11_E_NS1_11comp_targetILNS1_3genE5ELNS1_11target_archE942ELNS1_3gpuE9ELNS1_3repE0EEENS1_30default_config_static_selectorELNS0_4arch9wavefront6targetE0EEEvT1_
                                        ; -- End function
	.section	.AMDGPU.csdata,"",@progbits
; Kernel info:
; codeLenInByte = 0
; NumSgprs: 0
; NumVgprs: 0
; ScratchSize: 0
; MemoryBound: 0
; FloatMode: 240
; IeeeMode: 1
; LDSByteSize: 0 bytes/workgroup (compile time only)
; SGPRBlocks: 0
; VGPRBlocks: 0
; NumSGPRsForWavesPerEU: 1
; NumVGPRsForWavesPerEU: 1
; Occupancy: 16
; WaveLimiterHint : 0
; COMPUTE_PGM_RSRC2:SCRATCH_EN: 0
; COMPUTE_PGM_RSRC2:USER_SGPR: 15
; COMPUTE_PGM_RSRC2:TRAP_HANDLER: 0
; COMPUTE_PGM_RSRC2:TGID_X_EN: 1
; COMPUTE_PGM_RSRC2:TGID_Y_EN: 0
; COMPUTE_PGM_RSRC2:TGID_Z_EN: 0
; COMPUTE_PGM_RSRC2:TIDIG_COMP_CNT: 0
	.section	.text._ZN7rocprim17ROCPRIM_400000_NS6detail17trampoline_kernelINS0_14default_configENS1_25partition_config_selectorILNS1_17partition_subalgoE6EiNS0_10empty_typeEbEEZZNS1_14partition_implILS5_6ELb0ES3_mN6thrust23THRUST_200600_302600_NS6detail15normal_iteratorINSA_10device_ptrIiEEEEPS6_SG_NS0_5tupleIJSF_S6_EEENSH_IJSG_SG_EEES6_PlJ7is_evenIiEEEE10hipError_tPvRmT3_T4_T5_T6_T7_T9_mT8_P12ihipStream_tbDpT10_ENKUlT_T0_E_clISt17integral_constantIbLb0EES16_EEDaS11_S12_EUlS11_E_NS1_11comp_targetILNS1_3genE4ELNS1_11target_archE910ELNS1_3gpuE8ELNS1_3repE0EEENS1_30default_config_static_selectorELNS0_4arch9wavefront6targetE0EEEvT1_,"axG",@progbits,_ZN7rocprim17ROCPRIM_400000_NS6detail17trampoline_kernelINS0_14default_configENS1_25partition_config_selectorILNS1_17partition_subalgoE6EiNS0_10empty_typeEbEEZZNS1_14partition_implILS5_6ELb0ES3_mN6thrust23THRUST_200600_302600_NS6detail15normal_iteratorINSA_10device_ptrIiEEEEPS6_SG_NS0_5tupleIJSF_S6_EEENSH_IJSG_SG_EEES6_PlJ7is_evenIiEEEE10hipError_tPvRmT3_T4_T5_T6_T7_T9_mT8_P12ihipStream_tbDpT10_ENKUlT_T0_E_clISt17integral_constantIbLb0EES16_EEDaS11_S12_EUlS11_E_NS1_11comp_targetILNS1_3genE4ELNS1_11target_archE910ELNS1_3gpuE8ELNS1_3repE0EEENS1_30default_config_static_selectorELNS0_4arch9wavefront6targetE0EEEvT1_,comdat
	.protected	_ZN7rocprim17ROCPRIM_400000_NS6detail17trampoline_kernelINS0_14default_configENS1_25partition_config_selectorILNS1_17partition_subalgoE6EiNS0_10empty_typeEbEEZZNS1_14partition_implILS5_6ELb0ES3_mN6thrust23THRUST_200600_302600_NS6detail15normal_iteratorINSA_10device_ptrIiEEEEPS6_SG_NS0_5tupleIJSF_S6_EEENSH_IJSG_SG_EEES6_PlJ7is_evenIiEEEE10hipError_tPvRmT3_T4_T5_T6_T7_T9_mT8_P12ihipStream_tbDpT10_ENKUlT_T0_E_clISt17integral_constantIbLb0EES16_EEDaS11_S12_EUlS11_E_NS1_11comp_targetILNS1_3genE4ELNS1_11target_archE910ELNS1_3gpuE8ELNS1_3repE0EEENS1_30default_config_static_selectorELNS0_4arch9wavefront6targetE0EEEvT1_ ; -- Begin function _ZN7rocprim17ROCPRIM_400000_NS6detail17trampoline_kernelINS0_14default_configENS1_25partition_config_selectorILNS1_17partition_subalgoE6EiNS0_10empty_typeEbEEZZNS1_14partition_implILS5_6ELb0ES3_mN6thrust23THRUST_200600_302600_NS6detail15normal_iteratorINSA_10device_ptrIiEEEEPS6_SG_NS0_5tupleIJSF_S6_EEENSH_IJSG_SG_EEES6_PlJ7is_evenIiEEEE10hipError_tPvRmT3_T4_T5_T6_T7_T9_mT8_P12ihipStream_tbDpT10_ENKUlT_T0_E_clISt17integral_constantIbLb0EES16_EEDaS11_S12_EUlS11_E_NS1_11comp_targetILNS1_3genE4ELNS1_11target_archE910ELNS1_3gpuE8ELNS1_3repE0EEENS1_30default_config_static_selectorELNS0_4arch9wavefront6targetE0EEEvT1_
	.globl	_ZN7rocprim17ROCPRIM_400000_NS6detail17trampoline_kernelINS0_14default_configENS1_25partition_config_selectorILNS1_17partition_subalgoE6EiNS0_10empty_typeEbEEZZNS1_14partition_implILS5_6ELb0ES3_mN6thrust23THRUST_200600_302600_NS6detail15normal_iteratorINSA_10device_ptrIiEEEEPS6_SG_NS0_5tupleIJSF_S6_EEENSH_IJSG_SG_EEES6_PlJ7is_evenIiEEEE10hipError_tPvRmT3_T4_T5_T6_T7_T9_mT8_P12ihipStream_tbDpT10_ENKUlT_T0_E_clISt17integral_constantIbLb0EES16_EEDaS11_S12_EUlS11_E_NS1_11comp_targetILNS1_3genE4ELNS1_11target_archE910ELNS1_3gpuE8ELNS1_3repE0EEENS1_30default_config_static_selectorELNS0_4arch9wavefront6targetE0EEEvT1_
	.p2align	8
	.type	_ZN7rocprim17ROCPRIM_400000_NS6detail17trampoline_kernelINS0_14default_configENS1_25partition_config_selectorILNS1_17partition_subalgoE6EiNS0_10empty_typeEbEEZZNS1_14partition_implILS5_6ELb0ES3_mN6thrust23THRUST_200600_302600_NS6detail15normal_iteratorINSA_10device_ptrIiEEEEPS6_SG_NS0_5tupleIJSF_S6_EEENSH_IJSG_SG_EEES6_PlJ7is_evenIiEEEE10hipError_tPvRmT3_T4_T5_T6_T7_T9_mT8_P12ihipStream_tbDpT10_ENKUlT_T0_E_clISt17integral_constantIbLb0EES16_EEDaS11_S12_EUlS11_E_NS1_11comp_targetILNS1_3genE4ELNS1_11target_archE910ELNS1_3gpuE8ELNS1_3repE0EEENS1_30default_config_static_selectorELNS0_4arch9wavefront6targetE0EEEvT1_,@function
_ZN7rocprim17ROCPRIM_400000_NS6detail17trampoline_kernelINS0_14default_configENS1_25partition_config_selectorILNS1_17partition_subalgoE6EiNS0_10empty_typeEbEEZZNS1_14partition_implILS5_6ELb0ES3_mN6thrust23THRUST_200600_302600_NS6detail15normal_iteratorINSA_10device_ptrIiEEEEPS6_SG_NS0_5tupleIJSF_S6_EEENSH_IJSG_SG_EEES6_PlJ7is_evenIiEEEE10hipError_tPvRmT3_T4_T5_T6_T7_T9_mT8_P12ihipStream_tbDpT10_ENKUlT_T0_E_clISt17integral_constantIbLb0EES16_EEDaS11_S12_EUlS11_E_NS1_11comp_targetILNS1_3genE4ELNS1_11target_archE910ELNS1_3gpuE8ELNS1_3repE0EEENS1_30default_config_static_selectorELNS0_4arch9wavefront6targetE0EEEvT1_: ; @_ZN7rocprim17ROCPRIM_400000_NS6detail17trampoline_kernelINS0_14default_configENS1_25partition_config_selectorILNS1_17partition_subalgoE6EiNS0_10empty_typeEbEEZZNS1_14partition_implILS5_6ELb0ES3_mN6thrust23THRUST_200600_302600_NS6detail15normal_iteratorINSA_10device_ptrIiEEEEPS6_SG_NS0_5tupleIJSF_S6_EEENSH_IJSG_SG_EEES6_PlJ7is_evenIiEEEE10hipError_tPvRmT3_T4_T5_T6_T7_T9_mT8_P12ihipStream_tbDpT10_ENKUlT_T0_E_clISt17integral_constantIbLb0EES16_EEDaS11_S12_EUlS11_E_NS1_11comp_targetILNS1_3genE4ELNS1_11target_archE910ELNS1_3gpuE8ELNS1_3repE0EEENS1_30default_config_static_selectorELNS0_4arch9wavefront6targetE0EEEvT1_
; %bb.0:
	.section	.rodata,"a",@progbits
	.p2align	6, 0x0
	.amdhsa_kernel _ZN7rocprim17ROCPRIM_400000_NS6detail17trampoline_kernelINS0_14default_configENS1_25partition_config_selectorILNS1_17partition_subalgoE6EiNS0_10empty_typeEbEEZZNS1_14partition_implILS5_6ELb0ES3_mN6thrust23THRUST_200600_302600_NS6detail15normal_iteratorINSA_10device_ptrIiEEEEPS6_SG_NS0_5tupleIJSF_S6_EEENSH_IJSG_SG_EEES6_PlJ7is_evenIiEEEE10hipError_tPvRmT3_T4_T5_T6_T7_T9_mT8_P12ihipStream_tbDpT10_ENKUlT_T0_E_clISt17integral_constantIbLb0EES16_EEDaS11_S12_EUlS11_E_NS1_11comp_targetILNS1_3genE4ELNS1_11target_archE910ELNS1_3gpuE8ELNS1_3repE0EEENS1_30default_config_static_selectorELNS0_4arch9wavefront6targetE0EEEvT1_
		.amdhsa_group_segment_fixed_size 0
		.amdhsa_private_segment_fixed_size 0
		.amdhsa_kernarg_size 112
		.amdhsa_user_sgpr_count 15
		.amdhsa_user_sgpr_dispatch_ptr 0
		.amdhsa_user_sgpr_queue_ptr 0
		.amdhsa_user_sgpr_kernarg_segment_ptr 1
		.amdhsa_user_sgpr_dispatch_id 0
		.amdhsa_user_sgpr_private_segment_size 0
		.amdhsa_wavefront_size32 1
		.amdhsa_uses_dynamic_stack 0
		.amdhsa_enable_private_segment 0
		.amdhsa_system_sgpr_workgroup_id_x 1
		.amdhsa_system_sgpr_workgroup_id_y 0
		.amdhsa_system_sgpr_workgroup_id_z 0
		.amdhsa_system_sgpr_workgroup_info 0
		.amdhsa_system_vgpr_workitem_id 0
		.amdhsa_next_free_vgpr 1
		.amdhsa_next_free_sgpr 1
		.amdhsa_reserve_vcc 0
		.amdhsa_float_round_mode_32 0
		.amdhsa_float_round_mode_16_64 0
		.amdhsa_float_denorm_mode_32 3
		.amdhsa_float_denorm_mode_16_64 3
		.amdhsa_dx10_clamp 1
		.amdhsa_ieee_mode 1
		.amdhsa_fp16_overflow 0
		.amdhsa_workgroup_processor_mode 1
		.amdhsa_memory_ordered 1
		.amdhsa_forward_progress 0
		.amdhsa_shared_vgpr_count 0
		.amdhsa_exception_fp_ieee_invalid_op 0
		.amdhsa_exception_fp_denorm_src 0
		.amdhsa_exception_fp_ieee_div_zero 0
		.amdhsa_exception_fp_ieee_overflow 0
		.amdhsa_exception_fp_ieee_underflow 0
		.amdhsa_exception_fp_ieee_inexact 0
		.amdhsa_exception_int_div_zero 0
	.end_amdhsa_kernel
	.section	.text._ZN7rocprim17ROCPRIM_400000_NS6detail17trampoline_kernelINS0_14default_configENS1_25partition_config_selectorILNS1_17partition_subalgoE6EiNS0_10empty_typeEbEEZZNS1_14partition_implILS5_6ELb0ES3_mN6thrust23THRUST_200600_302600_NS6detail15normal_iteratorINSA_10device_ptrIiEEEEPS6_SG_NS0_5tupleIJSF_S6_EEENSH_IJSG_SG_EEES6_PlJ7is_evenIiEEEE10hipError_tPvRmT3_T4_T5_T6_T7_T9_mT8_P12ihipStream_tbDpT10_ENKUlT_T0_E_clISt17integral_constantIbLb0EES16_EEDaS11_S12_EUlS11_E_NS1_11comp_targetILNS1_3genE4ELNS1_11target_archE910ELNS1_3gpuE8ELNS1_3repE0EEENS1_30default_config_static_selectorELNS0_4arch9wavefront6targetE0EEEvT1_,"axG",@progbits,_ZN7rocprim17ROCPRIM_400000_NS6detail17trampoline_kernelINS0_14default_configENS1_25partition_config_selectorILNS1_17partition_subalgoE6EiNS0_10empty_typeEbEEZZNS1_14partition_implILS5_6ELb0ES3_mN6thrust23THRUST_200600_302600_NS6detail15normal_iteratorINSA_10device_ptrIiEEEEPS6_SG_NS0_5tupleIJSF_S6_EEENSH_IJSG_SG_EEES6_PlJ7is_evenIiEEEE10hipError_tPvRmT3_T4_T5_T6_T7_T9_mT8_P12ihipStream_tbDpT10_ENKUlT_T0_E_clISt17integral_constantIbLb0EES16_EEDaS11_S12_EUlS11_E_NS1_11comp_targetILNS1_3genE4ELNS1_11target_archE910ELNS1_3gpuE8ELNS1_3repE0EEENS1_30default_config_static_selectorELNS0_4arch9wavefront6targetE0EEEvT1_,comdat
.Lfunc_end394:
	.size	_ZN7rocprim17ROCPRIM_400000_NS6detail17trampoline_kernelINS0_14default_configENS1_25partition_config_selectorILNS1_17partition_subalgoE6EiNS0_10empty_typeEbEEZZNS1_14partition_implILS5_6ELb0ES3_mN6thrust23THRUST_200600_302600_NS6detail15normal_iteratorINSA_10device_ptrIiEEEEPS6_SG_NS0_5tupleIJSF_S6_EEENSH_IJSG_SG_EEES6_PlJ7is_evenIiEEEE10hipError_tPvRmT3_T4_T5_T6_T7_T9_mT8_P12ihipStream_tbDpT10_ENKUlT_T0_E_clISt17integral_constantIbLb0EES16_EEDaS11_S12_EUlS11_E_NS1_11comp_targetILNS1_3genE4ELNS1_11target_archE910ELNS1_3gpuE8ELNS1_3repE0EEENS1_30default_config_static_selectorELNS0_4arch9wavefront6targetE0EEEvT1_, .Lfunc_end394-_ZN7rocprim17ROCPRIM_400000_NS6detail17trampoline_kernelINS0_14default_configENS1_25partition_config_selectorILNS1_17partition_subalgoE6EiNS0_10empty_typeEbEEZZNS1_14partition_implILS5_6ELb0ES3_mN6thrust23THRUST_200600_302600_NS6detail15normal_iteratorINSA_10device_ptrIiEEEEPS6_SG_NS0_5tupleIJSF_S6_EEENSH_IJSG_SG_EEES6_PlJ7is_evenIiEEEE10hipError_tPvRmT3_T4_T5_T6_T7_T9_mT8_P12ihipStream_tbDpT10_ENKUlT_T0_E_clISt17integral_constantIbLb0EES16_EEDaS11_S12_EUlS11_E_NS1_11comp_targetILNS1_3genE4ELNS1_11target_archE910ELNS1_3gpuE8ELNS1_3repE0EEENS1_30default_config_static_selectorELNS0_4arch9wavefront6targetE0EEEvT1_
                                        ; -- End function
	.section	.AMDGPU.csdata,"",@progbits
; Kernel info:
; codeLenInByte = 0
; NumSgprs: 0
; NumVgprs: 0
; ScratchSize: 0
; MemoryBound: 0
; FloatMode: 240
; IeeeMode: 1
; LDSByteSize: 0 bytes/workgroup (compile time only)
; SGPRBlocks: 0
; VGPRBlocks: 0
; NumSGPRsForWavesPerEU: 1
; NumVGPRsForWavesPerEU: 1
; Occupancy: 16
; WaveLimiterHint : 0
; COMPUTE_PGM_RSRC2:SCRATCH_EN: 0
; COMPUTE_PGM_RSRC2:USER_SGPR: 15
; COMPUTE_PGM_RSRC2:TRAP_HANDLER: 0
; COMPUTE_PGM_RSRC2:TGID_X_EN: 1
; COMPUTE_PGM_RSRC2:TGID_Y_EN: 0
; COMPUTE_PGM_RSRC2:TGID_Z_EN: 0
; COMPUTE_PGM_RSRC2:TIDIG_COMP_CNT: 0
	.section	.text._ZN7rocprim17ROCPRIM_400000_NS6detail17trampoline_kernelINS0_14default_configENS1_25partition_config_selectorILNS1_17partition_subalgoE6EiNS0_10empty_typeEbEEZZNS1_14partition_implILS5_6ELb0ES3_mN6thrust23THRUST_200600_302600_NS6detail15normal_iteratorINSA_10device_ptrIiEEEEPS6_SG_NS0_5tupleIJSF_S6_EEENSH_IJSG_SG_EEES6_PlJ7is_evenIiEEEE10hipError_tPvRmT3_T4_T5_T6_T7_T9_mT8_P12ihipStream_tbDpT10_ENKUlT_T0_E_clISt17integral_constantIbLb0EES16_EEDaS11_S12_EUlS11_E_NS1_11comp_targetILNS1_3genE3ELNS1_11target_archE908ELNS1_3gpuE7ELNS1_3repE0EEENS1_30default_config_static_selectorELNS0_4arch9wavefront6targetE0EEEvT1_,"axG",@progbits,_ZN7rocprim17ROCPRIM_400000_NS6detail17trampoline_kernelINS0_14default_configENS1_25partition_config_selectorILNS1_17partition_subalgoE6EiNS0_10empty_typeEbEEZZNS1_14partition_implILS5_6ELb0ES3_mN6thrust23THRUST_200600_302600_NS6detail15normal_iteratorINSA_10device_ptrIiEEEEPS6_SG_NS0_5tupleIJSF_S6_EEENSH_IJSG_SG_EEES6_PlJ7is_evenIiEEEE10hipError_tPvRmT3_T4_T5_T6_T7_T9_mT8_P12ihipStream_tbDpT10_ENKUlT_T0_E_clISt17integral_constantIbLb0EES16_EEDaS11_S12_EUlS11_E_NS1_11comp_targetILNS1_3genE3ELNS1_11target_archE908ELNS1_3gpuE7ELNS1_3repE0EEENS1_30default_config_static_selectorELNS0_4arch9wavefront6targetE0EEEvT1_,comdat
	.protected	_ZN7rocprim17ROCPRIM_400000_NS6detail17trampoline_kernelINS0_14default_configENS1_25partition_config_selectorILNS1_17partition_subalgoE6EiNS0_10empty_typeEbEEZZNS1_14partition_implILS5_6ELb0ES3_mN6thrust23THRUST_200600_302600_NS6detail15normal_iteratorINSA_10device_ptrIiEEEEPS6_SG_NS0_5tupleIJSF_S6_EEENSH_IJSG_SG_EEES6_PlJ7is_evenIiEEEE10hipError_tPvRmT3_T4_T5_T6_T7_T9_mT8_P12ihipStream_tbDpT10_ENKUlT_T0_E_clISt17integral_constantIbLb0EES16_EEDaS11_S12_EUlS11_E_NS1_11comp_targetILNS1_3genE3ELNS1_11target_archE908ELNS1_3gpuE7ELNS1_3repE0EEENS1_30default_config_static_selectorELNS0_4arch9wavefront6targetE0EEEvT1_ ; -- Begin function _ZN7rocprim17ROCPRIM_400000_NS6detail17trampoline_kernelINS0_14default_configENS1_25partition_config_selectorILNS1_17partition_subalgoE6EiNS0_10empty_typeEbEEZZNS1_14partition_implILS5_6ELb0ES3_mN6thrust23THRUST_200600_302600_NS6detail15normal_iteratorINSA_10device_ptrIiEEEEPS6_SG_NS0_5tupleIJSF_S6_EEENSH_IJSG_SG_EEES6_PlJ7is_evenIiEEEE10hipError_tPvRmT3_T4_T5_T6_T7_T9_mT8_P12ihipStream_tbDpT10_ENKUlT_T0_E_clISt17integral_constantIbLb0EES16_EEDaS11_S12_EUlS11_E_NS1_11comp_targetILNS1_3genE3ELNS1_11target_archE908ELNS1_3gpuE7ELNS1_3repE0EEENS1_30default_config_static_selectorELNS0_4arch9wavefront6targetE0EEEvT1_
	.globl	_ZN7rocprim17ROCPRIM_400000_NS6detail17trampoline_kernelINS0_14default_configENS1_25partition_config_selectorILNS1_17partition_subalgoE6EiNS0_10empty_typeEbEEZZNS1_14partition_implILS5_6ELb0ES3_mN6thrust23THRUST_200600_302600_NS6detail15normal_iteratorINSA_10device_ptrIiEEEEPS6_SG_NS0_5tupleIJSF_S6_EEENSH_IJSG_SG_EEES6_PlJ7is_evenIiEEEE10hipError_tPvRmT3_T4_T5_T6_T7_T9_mT8_P12ihipStream_tbDpT10_ENKUlT_T0_E_clISt17integral_constantIbLb0EES16_EEDaS11_S12_EUlS11_E_NS1_11comp_targetILNS1_3genE3ELNS1_11target_archE908ELNS1_3gpuE7ELNS1_3repE0EEENS1_30default_config_static_selectorELNS0_4arch9wavefront6targetE0EEEvT1_
	.p2align	8
	.type	_ZN7rocprim17ROCPRIM_400000_NS6detail17trampoline_kernelINS0_14default_configENS1_25partition_config_selectorILNS1_17partition_subalgoE6EiNS0_10empty_typeEbEEZZNS1_14partition_implILS5_6ELb0ES3_mN6thrust23THRUST_200600_302600_NS6detail15normal_iteratorINSA_10device_ptrIiEEEEPS6_SG_NS0_5tupleIJSF_S6_EEENSH_IJSG_SG_EEES6_PlJ7is_evenIiEEEE10hipError_tPvRmT3_T4_T5_T6_T7_T9_mT8_P12ihipStream_tbDpT10_ENKUlT_T0_E_clISt17integral_constantIbLb0EES16_EEDaS11_S12_EUlS11_E_NS1_11comp_targetILNS1_3genE3ELNS1_11target_archE908ELNS1_3gpuE7ELNS1_3repE0EEENS1_30default_config_static_selectorELNS0_4arch9wavefront6targetE0EEEvT1_,@function
_ZN7rocprim17ROCPRIM_400000_NS6detail17trampoline_kernelINS0_14default_configENS1_25partition_config_selectorILNS1_17partition_subalgoE6EiNS0_10empty_typeEbEEZZNS1_14partition_implILS5_6ELb0ES3_mN6thrust23THRUST_200600_302600_NS6detail15normal_iteratorINSA_10device_ptrIiEEEEPS6_SG_NS0_5tupleIJSF_S6_EEENSH_IJSG_SG_EEES6_PlJ7is_evenIiEEEE10hipError_tPvRmT3_T4_T5_T6_T7_T9_mT8_P12ihipStream_tbDpT10_ENKUlT_T0_E_clISt17integral_constantIbLb0EES16_EEDaS11_S12_EUlS11_E_NS1_11comp_targetILNS1_3genE3ELNS1_11target_archE908ELNS1_3gpuE7ELNS1_3repE0EEENS1_30default_config_static_selectorELNS0_4arch9wavefront6targetE0EEEvT1_: ; @_ZN7rocprim17ROCPRIM_400000_NS6detail17trampoline_kernelINS0_14default_configENS1_25partition_config_selectorILNS1_17partition_subalgoE6EiNS0_10empty_typeEbEEZZNS1_14partition_implILS5_6ELb0ES3_mN6thrust23THRUST_200600_302600_NS6detail15normal_iteratorINSA_10device_ptrIiEEEEPS6_SG_NS0_5tupleIJSF_S6_EEENSH_IJSG_SG_EEES6_PlJ7is_evenIiEEEE10hipError_tPvRmT3_T4_T5_T6_T7_T9_mT8_P12ihipStream_tbDpT10_ENKUlT_T0_E_clISt17integral_constantIbLb0EES16_EEDaS11_S12_EUlS11_E_NS1_11comp_targetILNS1_3genE3ELNS1_11target_archE908ELNS1_3gpuE7ELNS1_3repE0EEENS1_30default_config_static_selectorELNS0_4arch9wavefront6targetE0EEEvT1_
; %bb.0:
	.section	.rodata,"a",@progbits
	.p2align	6, 0x0
	.amdhsa_kernel _ZN7rocprim17ROCPRIM_400000_NS6detail17trampoline_kernelINS0_14default_configENS1_25partition_config_selectorILNS1_17partition_subalgoE6EiNS0_10empty_typeEbEEZZNS1_14partition_implILS5_6ELb0ES3_mN6thrust23THRUST_200600_302600_NS6detail15normal_iteratorINSA_10device_ptrIiEEEEPS6_SG_NS0_5tupleIJSF_S6_EEENSH_IJSG_SG_EEES6_PlJ7is_evenIiEEEE10hipError_tPvRmT3_T4_T5_T6_T7_T9_mT8_P12ihipStream_tbDpT10_ENKUlT_T0_E_clISt17integral_constantIbLb0EES16_EEDaS11_S12_EUlS11_E_NS1_11comp_targetILNS1_3genE3ELNS1_11target_archE908ELNS1_3gpuE7ELNS1_3repE0EEENS1_30default_config_static_selectorELNS0_4arch9wavefront6targetE0EEEvT1_
		.amdhsa_group_segment_fixed_size 0
		.amdhsa_private_segment_fixed_size 0
		.amdhsa_kernarg_size 112
		.amdhsa_user_sgpr_count 15
		.amdhsa_user_sgpr_dispatch_ptr 0
		.amdhsa_user_sgpr_queue_ptr 0
		.amdhsa_user_sgpr_kernarg_segment_ptr 1
		.amdhsa_user_sgpr_dispatch_id 0
		.amdhsa_user_sgpr_private_segment_size 0
		.amdhsa_wavefront_size32 1
		.amdhsa_uses_dynamic_stack 0
		.amdhsa_enable_private_segment 0
		.amdhsa_system_sgpr_workgroup_id_x 1
		.amdhsa_system_sgpr_workgroup_id_y 0
		.amdhsa_system_sgpr_workgroup_id_z 0
		.amdhsa_system_sgpr_workgroup_info 0
		.amdhsa_system_vgpr_workitem_id 0
		.amdhsa_next_free_vgpr 1
		.amdhsa_next_free_sgpr 1
		.amdhsa_reserve_vcc 0
		.amdhsa_float_round_mode_32 0
		.amdhsa_float_round_mode_16_64 0
		.amdhsa_float_denorm_mode_32 3
		.amdhsa_float_denorm_mode_16_64 3
		.amdhsa_dx10_clamp 1
		.amdhsa_ieee_mode 1
		.amdhsa_fp16_overflow 0
		.amdhsa_workgroup_processor_mode 1
		.amdhsa_memory_ordered 1
		.amdhsa_forward_progress 0
		.amdhsa_shared_vgpr_count 0
		.amdhsa_exception_fp_ieee_invalid_op 0
		.amdhsa_exception_fp_denorm_src 0
		.amdhsa_exception_fp_ieee_div_zero 0
		.amdhsa_exception_fp_ieee_overflow 0
		.amdhsa_exception_fp_ieee_underflow 0
		.amdhsa_exception_fp_ieee_inexact 0
		.amdhsa_exception_int_div_zero 0
	.end_amdhsa_kernel
	.section	.text._ZN7rocprim17ROCPRIM_400000_NS6detail17trampoline_kernelINS0_14default_configENS1_25partition_config_selectorILNS1_17partition_subalgoE6EiNS0_10empty_typeEbEEZZNS1_14partition_implILS5_6ELb0ES3_mN6thrust23THRUST_200600_302600_NS6detail15normal_iteratorINSA_10device_ptrIiEEEEPS6_SG_NS0_5tupleIJSF_S6_EEENSH_IJSG_SG_EEES6_PlJ7is_evenIiEEEE10hipError_tPvRmT3_T4_T5_T6_T7_T9_mT8_P12ihipStream_tbDpT10_ENKUlT_T0_E_clISt17integral_constantIbLb0EES16_EEDaS11_S12_EUlS11_E_NS1_11comp_targetILNS1_3genE3ELNS1_11target_archE908ELNS1_3gpuE7ELNS1_3repE0EEENS1_30default_config_static_selectorELNS0_4arch9wavefront6targetE0EEEvT1_,"axG",@progbits,_ZN7rocprim17ROCPRIM_400000_NS6detail17trampoline_kernelINS0_14default_configENS1_25partition_config_selectorILNS1_17partition_subalgoE6EiNS0_10empty_typeEbEEZZNS1_14partition_implILS5_6ELb0ES3_mN6thrust23THRUST_200600_302600_NS6detail15normal_iteratorINSA_10device_ptrIiEEEEPS6_SG_NS0_5tupleIJSF_S6_EEENSH_IJSG_SG_EEES6_PlJ7is_evenIiEEEE10hipError_tPvRmT3_T4_T5_T6_T7_T9_mT8_P12ihipStream_tbDpT10_ENKUlT_T0_E_clISt17integral_constantIbLb0EES16_EEDaS11_S12_EUlS11_E_NS1_11comp_targetILNS1_3genE3ELNS1_11target_archE908ELNS1_3gpuE7ELNS1_3repE0EEENS1_30default_config_static_selectorELNS0_4arch9wavefront6targetE0EEEvT1_,comdat
.Lfunc_end395:
	.size	_ZN7rocprim17ROCPRIM_400000_NS6detail17trampoline_kernelINS0_14default_configENS1_25partition_config_selectorILNS1_17partition_subalgoE6EiNS0_10empty_typeEbEEZZNS1_14partition_implILS5_6ELb0ES3_mN6thrust23THRUST_200600_302600_NS6detail15normal_iteratorINSA_10device_ptrIiEEEEPS6_SG_NS0_5tupleIJSF_S6_EEENSH_IJSG_SG_EEES6_PlJ7is_evenIiEEEE10hipError_tPvRmT3_T4_T5_T6_T7_T9_mT8_P12ihipStream_tbDpT10_ENKUlT_T0_E_clISt17integral_constantIbLb0EES16_EEDaS11_S12_EUlS11_E_NS1_11comp_targetILNS1_3genE3ELNS1_11target_archE908ELNS1_3gpuE7ELNS1_3repE0EEENS1_30default_config_static_selectorELNS0_4arch9wavefront6targetE0EEEvT1_, .Lfunc_end395-_ZN7rocprim17ROCPRIM_400000_NS6detail17trampoline_kernelINS0_14default_configENS1_25partition_config_selectorILNS1_17partition_subalgoE6EiNS0_10empty_typeEbEEZZNS1_14partition_implILS5_6ELb0ES3_mN6thrust23THRUST_200600_302600_NS6detail15normal_iteratorINSA_10device_ptrIiEEEEPS6_SG_NS0_5tupleIJSF_S6_EEENSH_IJSG_SG_EEES6_PlJ7is_evenIiEEEE10hipError_tPvRmT3_T4_T5_T6_T7_T9_mT8_P12ihipStream_tbDpT10_ENKUlT_T0_E_clISt17integral_constantIbLb0EES16_EEDaS11_S12_EUlS11_E_NS1_11comp_targetILNS1_3genE3ELNS1_11target_archE908ELNS1_3gpuE7ELNS1_3repE0EEENS1_30default_config_static_selectorELNS0_4arch9wavefront6targetE0EEEvT1_
                                        ; -- End function
	.section	.AMDGPU.csdata,"",@progbits
; Kernel info:
; codeLenInByte = 0
; NumSgprs: 0
; NumVgprs: 0
; ScratchSize: 0
; MemoryBound: 0
; FloatMode: 240
; IeeeMode: 1
; LDSByteSize: 0 bytes/workgroup (compile time only)
; SGPRBlocks: 0
; VGPRBlocks: 0
; NumSGPRsForWavesPerEU: 1
; NumVGPRsForWavesPerEU: 1
; Occupancy: 16
; WaveLimiterHint : 0
; COMPUTE_PGM_RSRC2:SCRATCH_EN: 0
; COMPUTE_PGM_RSRC2:USER_SGPR: 15
; COMPUTE_PGM_RSRC2:TRAP_HANDLER: 0
; COMPUTE_PGM_RSRC2:TGID_X_EN: 1
; COMPUTE_PGM_RSRC2:TGID_Y_EN: 0
; COMPUTE_PGM_RSRC2:TGID_Z_EN: 0
; COMPUTE_PGM_RSRC2:TIDIG_COMP_CNT: 0
	.section	.text._ZN7rocprim17ROCPRIM_400000_NS6detail17trampoline_kernelINS0_14default_configENS1_25partition_config_selectorILNS1_17partition_subalgoE6EiNS0_10empty_typeEbEEZZNS1_14partition_implILS5_6ELb0ES3_mN6thrust23THRUST_200600_302600_NS6detail15normal_iteratorINSA_10device_ptrIiEEEEPS6_SG_NS0_5tupleIJSF_S6_EEENSH_IJSG_SG_EEES6_PlJ7is_evenIiEEEE10hipError_tPvRmT3_T4_T5_T6_T7_T9_mT8_P12ihipStream_tbDpT10_ENKUlT_T0_E_clISt17integral_constantIbLb0EES16_EEDaS11_S12_EUlS11_E_NS1_11comp_targetILNS1_3genE2ELNS1_11target_archE906ELNS1_3gpuE6ELNS1_3repE0EEENS1_30default_config_static_selectorELNS0_4arch9wavefront6targetE0EEEvT1_,"axG",@progbits,_ZN7rocprim17ROCPRIM_400000_NS6detail17trampoline_kernelINS0_14default_configENS1_25partition_config_selectorILNS1_17partition_subalgoE6EiNS0_10empty_typeEbEEZZNS1_14partition_implILS5_6ELb0ES3_mN6thrust23THRUST_200600_302600_NS6detail15normal_iteratorINSA_10device_ptrIiEEEEPS6_SG_NS0_5tupleIJSF_S6_EEENSH_IJSG_SG_EEES6_PlJ7is_evenIiEEEE10hipError_tPvRmT3_T4_T5_T6_T7_T9_mT8_P12ihipStream_tbDpT10_ENKUlT_T0_E_clISt17integral_constantIbLb0EES16_EEDaS11_S12_EUlS11_E_NS1_11comp_targetILNS1_3genE2ELNS1_11target_archE906ELNS1_3gpuE6ELNS1_3repE0EEENS1_30default_config_static_selectorELNS0_4arch9wavefront6targetE0EEEvT1_,comdat
	.protected	_ZN7rocprim17ROCPRIM_400000_NS6detail17trampoline_kernelINS0_14default_configENS1_25partition_config_selectorILNS1_17partition_subalgoE6EiNS0_10empty_typeEbEEZZNS1_14partition_implILS5_6ELb0ES3_mN6thrust23THRUST_200600_302600_NS6detail15normal_iteratorINSA_10device_ptrIiEEEEPS6_SG_NS0_5tupleIJSF_S6_EEENSH_IJSG_SG_EEES6_PlJ7is_evenIiEEEE10hipError_tPvRmT3_T4_T5_T6_T7_T9_mT8_P12ihipStream_tbDpT10_ENKUlT_T0_E_clISt17integral_constantIbLb0EES16_EEDaS11_S12_EUlS11_E_NS1_11comp_targetILNS1_3genE2ELNS1_11target_archE906ELNS1_3gpuE6ELNS1_3repE0EEENS1_30default_config_static_selectorELNS0_4arch9wavefront6targetE0EEEvT1_ ; -- Begin function _ZN7rocprim17ROCPRIM_400000_NS6detail17trampoline_kernelINS0_14default_configENS1_25partition_config_selectorILNS1_17partition_subalgoE6EiNS0_10empty_typeEbEEZZNS1_14partition_implILS5_6ELb0ES3_mN6thrust23THRUST_200600_302600_NS6detail15normal_iteratorINSA_10device_ptrIiEEEEPS6_SG_NS0_5tupleIJSF_S6_EEENSH_IJSG_SG_EEES6_PlJ7is_evenIiEEEE10hipError_tPvRmT3_T4_T5_T6_T7_T9_mT8_P12ihipStream_tbDpT10_ENKUlT_T0_E_clISt17integral_constantIbLb0EES16_EEDaS11_S12_EUlS11_E_NS1_11comp_targetILNS1_3genE2ELNS1_11target_archE906ELNS1_3gpuE6ELNS1_3repE0EEENS1_30default_config_static_selectorELNS0_4arch9wavefront6targetE0EEEvT1_
	.globl	_ZN7rocprim17ROCPRIM_400000_NS6detail17trampoline_kernelINS0_14default_configENS1_25partition_config_selectorILNS1_17partition_subalgoE6EiNS0_10empty_typeEbEEZZNS1_14partition_implILS5_6ELb0ES3_mN6thrust23THRUST_200600_302600_NS6detail15normal_iteratorINSA_10device_ptrIiEEEEPS6_SG_NS0_5tupleIJSF_S6_EEENSH_IJSG_SG_EEES6_PlJ7is_evenIiEEEE10hipError_tPvRmT3_T4_T5_T6_T7_T9_mT8_P12ihipStream_tbDpT10_ENKUlT_T0_E_clISt17integral_constantIbLb0EES16_EEDaS11_S12_EUlS11_E_NS1_11comp_targetILNS1_3genE2ELNS1_11target_archE906ELNS1_3gpuE6ELNS1_3repE0EEENS1_30default_config_static_selectorELNS0_4arch9wavefront6targetE0EEEvT1_
	.p2align	8
	.type	_ZN7rocprim17ROCPRIM_400000_NS6detail17trampoline_kernelINS0_14default_configENS1_25partition_config_selectorILNS1_17partition_subalgoE6EiNS0_10empty_typeEbEEZZNS1_14partition_implILS5_6ELb0ES3_mN6thrust23THRUST_200600_302600_NS6detail15normal_iteratorINSA_10device_ptrIiEEEEPS6_SG_NS0_5tupleIJSF_S6_EEENSH_IJSG_SG_EEES6_PlJ7is_evenIiEEEE10hipError_tPvRmT3_T4_T5_T6_T7_T9_mT8_P12ihipStream_tbDpT10_ENKUlT_T0_E_clISt17integral_constantIbLb0EES16_EEDaS11_S12_EUlS11_E_NS1_11comp_targetILNS1_3genE2ELNS1_11target_archE906ELNS1_3gpuE6ELNS1_3repE0EEENS1_30default_config_static_selectorELNS0_4arch9wavefront6targetE0EEEvT1_,@function
_ZN7rocprim17ROCPRIM_400000_NS6detail17trampoline_kernelINS0_14default_configENS1_25partition_config_selectorILNS1_17partition_subalgoE6EiNS0_10empty_typeEbEEZZNS1_14partition_implILS5_6ELb0ES3_mN6thrust23THRUST_200600_302600_NS6detail15normal_iteratorINSA_10device_ptrIiEEEEPS6_SG_NS0_5tupleIJSF_S6_EEENSH_IJSG_SG_EEES6_PlJ7is_evenIiEEEE10hipError_tPvRmT3_T4_T5_T6_T7_T9_mT8_P12ihipStream_tbDpT10_ENKUlT_T0_E_clISt17integral_constantIbLb0EES16_EEDaS11_S12_EUlS11_E_NS1_11comp_targetILNS1_3genE2ELNS1_11target_archE906ELNS1_3gpuE6ELNS1_3repE0EEENS1_30default_config_static_selectorELNS0_4arch9wavefront6targetE0EEEvT1_: ; @_ZN7rocprim17ROCPRIM_400000_NS6detail17trampoline_kernelINS0_14default_configENS1_25partition_config_selectorILNS1_17partition_subalgoE6EiNS0_10empty_typeEbEEZZNS1_14partition_implILS5_6ELb0ES3_mN6thrust23THRUST_200600_302600_NS6detail15normal_iteratorINSA_10device_ptrIiEEEEPS6_SG_NS0_5tupleIJSF_S6_EEENSH_IJSG_SG_EEES6_PlJ7is_evenIiEEEE10hipError_tPvRmT3_T4_T5_T6_T7_T9_mT8_P12ihipStream_tbDpT10_ENKUlT_T0_E_clISt17integral_constantIbLb0EES16_EEDaS11_S12_EUlS11_E_NS1_11comp_targetILNS1_3genE2ELNS1_11target_archE906ELNS1_3gpuE6ELNS1_3repE0EEENS1_30default_config_static_selectorELNS0_4arch9wavefront6targetE0EEEvT1_
; %bb.0:
	.section	.rodata,"a",@progbits
	.p2align	6, 0x0
	.amdhsa_kernel _ZN7rocprim17ROCPRIM_400000_NS6detail17trampoline_kernelINS0_14default_configENS1_25partition_config_selectorILNS1_17partition_subalgoE6EiNS0_10empty_typeEbEEZZNS1_14partition_implILS5_6ELb0ES3_mN6thrust23THRUST_200600_302600_NS6detail15normal_iteratorINSA_10device_ptrIiEEEEPS6_SG_NS0_5tupleIJSF_S6_EEENSH_IJSG_SG_EEES6_PlJ7is_evenIiEEEE10hipError_tPvRmT3_T4_T5_T6_T7_T9_mT8_P12ihipStream_tbDpT10_ENKUlT_T0_E_clISt17integral_constantIbLb0EES16_EEDaS11_S12_EUlS11_E_NS1_11comp_targetILNS1_3genE2ELNS1_11target_archE906ELNS1_3gpuE6ELNS1_3repE0EEENS1_30default_config_static_selectorELNS0_4arch9wavefront6targetE0EEEvT1_
		.amdhsa_group_segment_fixed_size 0
		.amdhsa_private_segment_fixed_size 0
		.amdhsa_kernarg_size 112
		.amdhsa_user_sgpr_count 15
		.amdhsa_user_sgpr_dispatch_ptr 0
		.amdhsa_user_sgpr_queue_ptr 0
		.amdhsa_user_sgpr_kernarg_segment_ptr 1
		.amdhsa_user_sgpr_dispatch_id 0
		.amdhsa_user_sgpr_private_segment_size 0
		.amdhsa_wavefront_size32 1
		.amdhsa_uses_dynamic_stack 0
		.amdhsa_enable_private_segment 0
		.amdhsa_system_sgpr_workgroup_id_x 1
		.amdhsa_system_sgpr_workgroup_id_y 0
		.amdhsa_system_sgpr_workgroup_id_z 0
		.amdhsa_system_sgpr_workgroup_info 0
		.amdhsa_system_vgpr_workitem_id 0
		.amdhsa_next_free_vgpr 1
		.amdhsa_next_free_sgpr 1
		.amdhsa_reserve_vcc 0
		.amdhsa_float_round_mode_32 0
		.amdhsa_float_round_mode_16_64 0
		.amdhsa_float_denorm_mode_32 3
		.amdhsa_float_denorm_mode_16_64 3
		.amdhsa_dx10_clamp 1
		.amdhsa_ieee_mode 1
		.amdhsa_fp16_overflow 0
		.amdhsa_workgroup_processor_mode 1
		.amdhsa_memory_ordered 1
		.amdhsa_forward_progress 0
		.amdhsa_shared_vgpr_count 0
		.amdhsa_exception_fp_ieee_invalid_op 0
		.amdhsa_exception_fp_denorm_src 0
		.amdhsa_exception_fp_ieee_div_zero 0
		.amdhsa_exception_fp_ieee_overflow 0
		.amdhsa_exception_fp_ieee_underflow 0
		.amdhsa_exception_fp_ieee_inexact 0
		.amdhsa_exception_int_div_zero 0
	.end_amdhsa_kernel
	.section	.text._ZN7rocprim17ROCPRIM_400000_NS6detail17trampoline_kernelINS0_14default_configENS1_25partition_config_selectorILNS1_17partition_subalgoE6EiNS0_10empty_typeEbEEZZNS1_14partition_implILS5_6ELb0ES3_mN6thrust23THRUST_200600_302600_NS6detail15normal_iteratorINSA_10device_ptrIiEEEEPS6_SG_NS0_5tupleIJSF_S6_EEENSH_IJSG_SG_EEES6_PlJ7is_evenIiEEEE10hipError_tPvRmT3_T4_T5_T6_T7_T9_mT8_P12ihipStream_tbDpT10_ENKUlT_T0_E_clISt17integral_constantIbLb0EES16_EEDaS11_S12_EUlS11_E_NS1_11comp_targetILNS1_3genE2ELNS1_11target_archE906ELNS1_3gpuE6ELNS1_3repE0EEENS1_30default_config_static_selectorELNS0_4arch9wavefront6targetE0EEEvT1_,"axG",@progbits,_ZN7rocprim17ROCPRIM_400000_NS6detail17trampoline_kernelINS0_14default_configENS1_25partition_config_selectorILNS1_17partition_subalgoE6EiNS0_10empty_typeEbEEZZNS1_14partition_implILS5_6ELb0ES3_mN6thrust23THRUST_200600_302600_NS6detail15normal_iteratorINSA_10device_ptrIiEEEEPS6_SG_NS0_5tupleIJSF_S6_EEENSH_IJSG_SG_EEES6_PlJ7is_evenIiEEEE10hipError_tPvRmT3_T4_T5_T6_T7_T9_mT8_P12ihipStream_tbDpT10_ENKUlT_T0_E_clISt17integral_constantIbLb0EES16_EEDaS11_S12_EUlS11_E_NS1_11comp_targetILNS1_3genE2ELNS1_11target_archE906ELNS1_3gpuE6ELNS1_3repE0EEENS1_30default_config_static_selectorELNS0_4arch9wavefront6targetE0EEEvT1_,comdat
.Lfunc_end396:
	.size	_ZN7rocprim17ROCPRIM_400000_NS6detail17trampoline_kernelINS0_14default_configENS1_25partition_config_selectorILNS1_17partition_subalgoE6EiNS0_10empty_typeEbEEZZNS1_14partition_implILS5_6ELb0ES3_mN6thrust23THRUST_200600_302600_NS6detail15normal_iteratorINSA_10device_ptrIiEEEEPS6_SG_NS0_5tupleIJSF_S6_EEENSH_IJSG_SG_EEES6_PlJ7is_evenIiEEEE10hipError_tPvRmT3_T4_T5_T6_T7_T9_mT8_P12ihipStream_tbDpT10_ENKUlT_T0_E_clISt17integral_constantIbLb0EES16_EEDaS11_S12_EUlS11_E_NS1_11comp_targetILNS1_3genE2ELNS1_11target_archE906ELNS1_3gpuE6ELNS1_3repE0EEENS1_30default_config_static_selectorELNS0_4arch9wavefront6targetE0EEEvT1_, .Lfunc_end396-_ZN7rocprim17ROCPRIM_400000_NS6detail17trampoline_kernelINS0_14default_configENS1_25partition_config_selectorILNS1_17partition_subalgoE6EiNS0_10empty_typeEbEEZZNS1_14partition_implILS5_6ELb0ES3_mN6thrust23THRUST_200600_302600_NS6detail15normal_iteratorINSA_10device_ptrIiEEEEPS6_SG_NS0_5tupleIJSF_S6_EEENSH_IJSG_SG_EEES6_PlJ7is_evenIiEEEE10hipError_tPvRmT3_T4_T5_T6_T7_T9_mT8_P12ihipStream_tbDpT10_ENKUlT_T0_E_clISt17integral_constantIbLb0EES16_EEDaS11_S12_EUlS11_E_NS1_11comp_targetILNS1_3genE2ELNS1_11target_archE906ELNS1_3gpuE6ELNS1_3repE0EEENS1_30default_config_static_selectorELNS0_4arch9wavefront6targetE0EEEvT1_
                                        ; -- End function
	.section	.AMDGPU.csdata,"",@progbits
; Kernel info:
; codeLenInByte = 0
; NumSgprs: 0
; NumVgprs: 0
; ScratchSize: 0
; MemoryBound: 0
; FloatMode: 240
; IeeeMode: 1
; LDSByteSize: 0 bytes/workgroup (compile time only)
; SGPRBlocks: 0
; VGPRBlocks: 0
; NumSGPRsForWavesPerEU: 1
; NumVGPRsForWavesPerEU: 1
; Occupancy: 15
; WaveLimiterHint : 0
; COMPUTE_PGM_RSRC2:SCRATCH_EN: 0
; COMPUTE_PGM_RSRC2:USER_SGPR: 15
; COMPUTE_PGM_RSRC2:TRAP_HANDLER: 0
; COMPUTE_PGM_RSRC2:TGID_X_EN: 1
; COMPUTE_PGM_RSRC2:TGID_Y_EN: 0
; COMPUTE_PGM_RSRC2:TGID_Z_EN: 0
; COMPUTE_PGM_RSRC2:TIDIG_COMP_CNT: 0
	.section	.text._ZN7rocprim17ROCPRIM_400000_NS6detail17trampoline_kernelINS0_14default_configENS1_25partition_config_selectorILNS1_17partition_subalgoE6EiNS0_10empty_typeEbEEZZNS1_14partition_implILS5_6ELb0ES3_mN6thrust23THRUST_200600_302600_NS6detail15normal_iteratorINSA_10device_ptrIiEEEEPS6_SG_NS0_5tupleIJSF_S6_EEENSH_IJSG_SG_EEES6_PlJ7is_evenIiEEEE10hipError_tPvRmT3_T4_T5_T6_T7_T9_mT8_P12ihipStream_tbDpT10_ENKUlT_T0_E_clISt17integral_constantIbLb0EES16_EEDaS11_S12_EUlS11_E_NS1_11comp_targetILNS1_3genE10ELNS1_11target_archE1200ELNS1_3gpuE4ELNS1_3repE0EEENS1_30default_config_static_selectorELNS0_4arch9wavefront6targetE0EEEvT1_,"axG",@progbits,_ZN7rocprim17ROCPRIM_400000_NS6detail17trampoline_kernelINS0_14default_configENS1_25partition_config_selectorILNS1_17partition_subalgoE6EiNS0_10empty_typeEbEEZZNS1_14partition_implILS5_6ELb0ES3_mN6thrust23THRUST_200600_302600_NS6detail15normal_iteratorINSA_10device_ptrIiEEEEPS6_SG_NS0_5tupleIJSF_S6_EEENSH_IJSG_SG_EEES6_PlJ7is_evenIiEEEE10hipError_tPvRmT3_T4_T5_T6_T7_T9_mT8_P12ihipStream_tbDpT10_ENKUlT_T0_E_clISt17integral_constantIbLb0EES16_EEDaS11_S12_EUlS11_E_NS1_11comp_targetILNS1_3genE10ELNS1_11target_archE1200ELNS1_3gpuE4ELNS1_3repE0EEENS1_30default_config_static_selectorELNS0_4arch9wavefront6targetE0EEEvT1_,comdat
	.protected	_ZN7rocprim17ROCPRIM_400000_NS6detail17trampoline_kernelINS0_14default_configENS1_25partition_config_selectorILNS1_17partition_subalgoE6EiNS0_10empty_typeEbEEZZNS1_14partition_implILS5_6ELb0ES3_mN6thrust23THRUST_200600_302600_NS6detail15normal_iteratorINSA_10device_ptrIiEEEEPS6_SG_NS0_5tupleIJSF_S6_EEENSH_IJSG_SG_EEES6_PlJ7is_evenIiEEEE10hipError_tPvRmT3_T4_T5_T6_T7_T9_mT8_P12ihipStream_tbDpT10_ENKUlT_T0_E_clISt17integral_constantIbLb0EES16_EEDaS11_S12_EUlS11_E_NS1_11comp_targetILNS1_3genE10ELNS1_11target_archE1200ELNS1_3gpuE4ELNS1_3repE0EEENS1_30default_config_static_selectorELNS0_4arch9wavefront6targetE0EEEvT1_ ; -- Begin function _ZN7rocprim17ROCPRIM_400000_NS6detail17trampoline_kernelINS0_14default_configENS1_25partition_config_selectorILNS1_17partition_subalgoE6EiNS0_10empty_typeEbEEZZNS1_14partition_implILS5_6ELb0ES3_mN6thrust23THRUST_200600_302600_NS6detail15normal_iteratorINSA_10device_ptrIiEEEEPS6_SG_NS0_5tupleIJSF_S6_EEENSH_IJSG_SG_EEES6_PlJ7is_evenIiEEEE10hipError_tPvRmT3_T4_T5_T6_T7_T9_mT8_P12ihipStream_tbDpT10_ENKUlT_T0_E_clISt17integral_constantIbLb0EES16_EEDaS11_S12_EUlS11_E_NS1_11comp_targetILNS1_3genE10ELNS1_11target_archE1200ELNS1_3gpuE4ELNS1_3repE0EEENS1_30default_config_static_selectorELNS0_4arch9wavefront6targetE0EEEvT1_
	.globl	_ZN7rocprim17ROCPRIM_400000_NS6detail17trampoline_kernelINS0_14default_configENS1_25partition_config_selectorILNS1_17partition_subalgoE6EiNS0_10empty_typeEbEEZZNS1_14partition_implILS5_6ELb0ES3_mN6thrust23THRUST_200600_302600_NS6detail15normal_iteratorINSA_10device_ptrIiEEEEPS6_SG_NS0_5tupleIJSF_S6_EEENSH_IJSG_SG_EEES6_PlJ7is_evenIiEEEE10hipError_tPvRmT3_T4_T5_T6_T7_T9_mT8_P12ihipStream_tbDpT10_ENKUlT_T0_E_clISt17integral_constantIbLb0EES16_EEDaS11_S12_EUlS11_E_NS1_11comp_targetILNS1_3genE10ELNS1_11target_archE1200ELNS1_3gpuE4ELNS1_3repE0EEENS1_30default_config_static_selectorELNS0_4arch9wavefront6targetE0EEEvT1_
	.p2align	8
	.type	_ZN7rocprim17ROCPRIM_400000_NS6detail17trampoline_kernelINS0_14default_configENS1_25partition_config_selectorILNS1_17partition_subalgoE6EiNS0_10empty_typeEbEEZZNS1_14partition_implILS5_6ELb0ES3_mN6thrust23THRUST_200600_302600_NS6detail15normal_iteratorINSA_10device_ptrIiEEEEPS6_SG_NS0_5tupleIJSF_S6_EEENSH_IJSG_SG_EEES6_PlJ7is_evenIiEEEE10hipError_tPvRmT3_T4_T5_T6_T7_T9_mT8_P12ihipStream_tbDpT10_ENKUlT_T0_E_clISt17integral_constantIbLb0EES16_EEDaS11_S12_EUlS11_E_NS1_11comp_targetILNS1_3genE10ELNS1_11target_archE1200ELNS1_3gpuE4ELNS1_3repE0EEENS1_30default_config_static_selectorELNS0_4arch9wavefront6targetE0EEEvT1_,@function
_ZN7rocprim17ROCPRIM_400000_NS6detail17trampoline_kernelINS0_14default_configENS1_25partition_config_selectorILNS1_17partition_subalgoE6EiNS0_10empty_typeEbEEZZNS1_14partition_implILS5_6ELb0ES3_mN6thrust23THRUST_200600_302600_NS6detail15normal_iteratorINSA_10device_ptrIiEEEEPS6_SG_NS0_5tupleIJSF_S6_EEENSH_IJSG_SG_EEES6_PlJ7is_evenIiEEEE10hipError_tPvRmT3_T4_T5_T6_T7_T9_mT8_P12ihipStream_tbDpT10_ENKUlT_T0_E_clISt17integral_constantIbLb0EES16_EEDaS11_S12_EUlS11_E_NS1_11comp_targetILNS1_3genE10ELNS1_11target_archE1200ELNS1_3gpuE4ELNS1_3repE0EEENS1_30default_config_static_selectorELNS0_4arch9wavefront6targetE0EEEvT1_: ; @_ZN7rocprim17ROCPRIM_400000_NS6detail17trampoline_kernelINS0_14default_configENS1_25partition_config_selectorILNS1_17partition_subalgoE6EiNS0_10empty_typeEbEEZZNS1_14partition_implILS5_6ELb0ES3_mN6thrust23THRUST_200600_302600_NS6detail15normal_iteratorINSA_10device_ptrIiEEEEPS6_SG_NS0_5tupleIJSF_S6_EEENSH_IJSG_SG_EEES6_PlJ7is_evenIiEEEE10hipError_tPvRmT3_T4_T5_T6_T7_T9_mT8_P12ihipStream_tbDpT10_ENKUlT_T0_E_clISt17integral_constantIbLb0EES16_EEDaS11_S12_EUlS11_E_NS1_11comp_targetILNS1_3genE10ELNS1_11target_archE1200ELNS1_3gpuE4ELNS1_3repE0EEENS1_30default_config_static_selectorELNS0_4arch9wavefront6targetE0EEEvT1_
; %bb.0:
	.section	.rodata,"a",@progbits
	.p2align	6, 0x0
	.amdhsa_kernel _ZN7rocprim17ROCPRIM_400000_NS6detail17trampoline_kernelINS0_14default_configENS1_25partition_config_selectorILNS1_17partition_subalgoE6EiNS0_10empty_typeEbEEZZNS1_14partition_implILS5_6ELb0ES3_mN6thrust23THRUST_200600_302600_NS6detail15normal_iteratorINSA_10device_ptrIiEEEEPS6_SG_NS0_5tupleIJSF_S6_EEENSH_IJSG_SG_EEES6_PlJ7is_evenIiEEEE10hipError_tPvRmT3_T4_T5_T6_T7_T9_mT8_P12ihipStream_tbDpT10_ENKUlT_T0_E_clISt17integral_constantIbLb0EES16_EEDaS11_S12_EUlS11_E_NS1_11comp_targetILNS1_3genE10ELNS1_11target_archE1200ELNS1_3gpuE4ELNS1_3repE0EEENS1_30default_config_static_selectorELNS0_4arch9wavefront6targetE0EEEvT1_
		.amdhsa_group_segment_fixed_size 0
		.amdhsa_private_segment_fixed_size 0
		.amdhsa_kernarg_size 112
		.amdhsa_user_sgpr_count 15
		.amdhsa_user_sgpr_dispatch_ptr 0
		.amdhsa_user_sgpr_queue_ptr 0
		.amdhsa_user_sgpr_kernarg_segment_ptr 1
		.amdhsa_user_sgpr_dispatch_id 0
		.amdhsa_user_sgpr_private_segment_size 0
		.amdhsa_wavefront_size32 1
		.amdhsa_uses_dynamic_stack 0
		.amdhsa_enable_private_segment 0
		.amdhsa_system_sgpr_workgroup_id_x 1
		.amdhsa_system_sgpr_workgroup_id_y 0
		.amdhsa_system_sgpr_workgroup_id_z 0
		.amdhsa_system_sgpr_workgroup_info 0
		.amdhsa_system_vgpr_workitem_id 0
		.amdhsa_next_free_vgpr 1
		.amdhsa_next_free_sgpr 1
		.amdhsa_reserve_vcc 0
		.amdhsa_float_round_mode_32 0
		.amdhsa_float_round_mode_16_64 0
		.amdhsa_float_denorm_mode_32 3
		.amdhsa_float_denorm_mode_16_64 3
		.amdhsa_dx10_clamp 1
		.amdhsa_ieee_mode 1
		.amdhsa_fp16_overflow 0
		.amdhsa_workgroup_processor_mode 1
		.amdhsa_memory_ordered 1
		.amdhsa_forward_progress 0
		.amdhsa_shared_vgpr_count 0
		.amdhsa_exception_fp_ieee_invalid_op 0
		.amdhsa_exception_fp_denorm_src 0
		.amdhsa_exception_fp_ieee_div_zero 0
		.amdhsa_exception_fp_ieee_overflow 0
		.amdhsa_exception_fp_ieee_underflow 0
		.amdhsa_exception_fp_ieee_inexact 0
		.amdhsa_exception_int_div_zero 0
	.end_amdhsa_kernel
	.section	.text._ZN7rocprim17ROCPRIM_400000_NS6detail17trampoline_kernelINS0_14default_configENS1_25partition_config_selectorILNS1_17partition_subalgoE6EiNS0_10empty_typeEbEEZZNS1_14partition_implILS5_6ELb0ES3_mN6thrust23THRUST_200600_302600_NS6detail15normal_iteratorINSA_10device_ptrIiEEEEPS6_SG_NS0_5tupleIJSF_S6_EEENSH_IJSG_SG_EEES6_PlJ7is_evenIiEEEE10hipError_tPvRmT3_T4_T5_T6_T7_T9_mT8_P12ihipStream_tbDpT10_ENKUlT_T0_E_clISt17integral_constantIbLb0EES16_EEDaS11_S12_EUlS11_E_NS1_11comp_targetILNS1_3genE10ELNS1_11target_archE1200ELNS1_3gpuE4ELNS1_3repE0EEENS1_30default_config_static_selectorELNS0_4arch9wavefront6targetE0EEEvT1_,"axG",@progbits,_ZN7rocprim17ROCPRIM_400000_NS6detail17trampoline_kernelINS0_14default_configENS1_25partition_config_selectorILNS1_17partition_subalgoE6EiNS0_10empty_typeEbEEZZNS1_14partition_implILS5_6ELb0ES3_mN6thrust23THRUST_200600_302600_NS6detail15normal_iteratorINSA_10device_ptrIiEEEEPS6_SG_NS0_5tupleIJSF_S6_EEENSH_IJSG_SG_EEES6_PlJ7is_evenIiEEEE10hipError_tPvRmT3_T4_T5_T6_T7_T9_mT8_P12ihipStream_tbDpT10_ENKUlT_T0_E_clISt17integral_constantIbLb0EES16_EEDaS11_S12_EUlS11_E_NS1_11comp_targetILNS1_3genE10ELNS1_11target_archE1200ELNS1_3gpuE4ELNS1_3repE0EEENS1_30default_config_static_selectorELNS0_4arch9wavefront6targetE0EEEvT1_,comdat
.Lfunc_end397:
	.size	_ZN7rocprim17ROCPRIM_400000_NS6detail17trampoline_kernelINS0_14default_configENS1_25partition_config_selectorILNS1_17partition_subalgoE6EiNS0_10empty_typeEbEEZZNS1_14partition_implILS5_6ELb0ES3_mN6thrust23THRUST_200600_302600_NS6detail15normal_iteratorINSA_10device_ptrIiEEEEPS6_SG_NS0_5tupleIJSF_S6_EEENSH_IJSG_SG_EEES6_PlJ7is_evenIiEEEE10hipError_tPvRmT3_T4_T5_T6_T7_T9_mT8_P12ihipStream_tbDpT10_ENKUlT_T0_E_clISt17integral_constantIbLb0EES16_EEDaS11_S12_EUlS11_E_NS1_11comp_targetILNS1_3genE10ELNS1_11target_archE1200ELNS1_3gpuE4ELNS1_3repE0EEENS1_30default_config_static_selectorELNS0_4arch9wavefront6targetE0EEEvT1_, .Lfunc_end397-_ZN7rocprim17ROCPRIM_400000_NS6detail17trampoline_kernelINS0_14default_configENS1_25partition_config_selectorILNS1_17partition_subalgoE6EiNS0_10empty_typeEbEEZZNS1_14partition_implILS5_6ELb0ES3_mN6thrust23THRUST_200600_302600_NS6detail15normal_iteratorINSA_10device_ptrIiEEEEPS6_SG_NS0_5tupleIJSF_S6_EEENSH_IJSG_SG_EEES6_PlJ7is_evenIiEEEE10hipError_tPvRmT3_T4_T5_T6_T7_T9_mT8_P12ihipStream_tbDpT10_ENKUlT_T0_E_clISt17integral_constantIbLb0EES16_EEDaS11_S12_EUlS11_E_NS1_11comp_targetILNS1_3genE10ELNS1_11target_archE1200ELNS1_3gpuE4ELNS1_3repE0EEENS1_30default_config_static_selectorELNS0_4arch9wavefront6targetE0EEEvT1_
                                        ; -- End function
	.section	.AMDGPU.csdata,"",@progbits
; Kernel info:
; codeLenInByte = 0
; NumSgprs: 0
; NumVgprs: 0
; ScratchSize: 0
; MemoryBound: 0
; FloatMode: 240
; IeeeMode: 1
; LDSByteSize: 0 bytes/workgroup (compile time only)
; SGPRBlocks: 0
; VGPRBlocks: 0
; NumSGPRsForWavesPerEU: 1
; NumVGPRsForWavesPerEU: 1
; Occupancy: 15
; WaveLimiterHint : 0
; COMPUTE_PGM_RSRC2:SCRATCH_EN: 0
; COMPUTE_PGM_RSRC2:USER_SGPR: 15
; COMPUTE_PGM_RSRC2:TRAP_HANDLER: 0
; COMPUTE_PGM_RSRC2:TGID_X_EN: 1
; COMPUTE_PGM_RSRC2:TGID_Y_EN: 0
; COMPUTE_PGM_RSRC2:TGID_Z_EN: 0
; COMPUTE_PGM_RSRC2:TIDIG_COMP_CNT: 0
	.section	.text._ZN7rocprim17ROCPRIM_400000_NS6detail17trampoline_kernelINS0_14default_configENS1_25partition_config_selectorILNS1_17partition_subalgoE6EiNS0_10empty_typeEbEEZZNS1_14partition_implILS5_6ELb0ES3_mN6thrust23THRUST_200600_302600_NS6detail15normal_iteratorINSA_10device_ptrIiEEEEPS6_SG_NS0_5tupleIJSF_S6_EEENSH_IJSG_SG_EEES6_PlJ7is_evenIiEEEE10hipError_tPvRmT3_T4_T5_T6_T7_T9_mT8_P12ihipStream_tbDpT10_ENKUlT_T0_E_clISt17integral_constantIbLb0EES16_EEDaS11_S12_EUlS11_E_NS1_11comp_targetILNS1_3genE9ELNS1_11target_archE1100ELNS1_3gpuE3ELNS1_3repE0EEENS1_30default_config_static_selectorELNS0_4arch9wavefront6targetE0EEEvT1_,"axG",@progbits,_ZN7rocprim17ROCPRIM_400000_NS6detail17trampoline_kernelINS0_14default_configENS1_25partition_config_selectorILNS1_17partition_subalgoE6EiNS0_10empty_typeEbEEZZNS1_14partition_implILS5_6ELb0ES3_mN6thrust23THRUST_200600_302600_NS6detail15normal_iteratorINSA_10device_ptrIiEEEEPS6_SG_NS0_5tupleIJSF_S6_EEENSH_IJSG_SG_EEES6_PlJ7is_evenIiEEEE10hipError_tPvRmT3_T4_T5_T6_T7_T9_mT8_P12ihipStream_tbDpT10_ENKUlT_T0_E_clISt17integral_constantIbLb0EES16_EEDaS11_S12_EUlS11_E_NS1_11comp_targetILNS1_3genE9ELNS1_11target_archE1100ELNS1_3gpuE3ELNS1_3repE0EEENS1_30default_config_static_selectorELNS0_4arch9wavefront6targetE0EEEvT1_,comdat
	.protected	_ZN7rocprim17ROCPRIM_400000_NS6detail17trampoline_kernelINS0_14default_configENS1_25partition_config_selectorILNS1_17partition_subalgoE6EiNS0_10empty_typeEbEEZZNS1_14partition_implILS5_6ELb0ES3_mN6thrust23THRUST_200600_302600_NS6detail15normal_iteratorINSA_10device_ptrIiEEEEPS6_SG_NS0_5tupleIJSF_S6_EEENSH_IJSG_SG_EEES6_PlJ7is_evenIiEEEE10hipError_tPvRmT3_T4_T5_T6_T7_T9_mT8_P12ihipStream_tbDpT10_ENKUlT_T0_E_clISt17integral_constantIbLb0EES16_EEDaS11_S12_EUlS11_E_NS1_11comp_targetILNS1_3genE9ELNS1_11target_archE1100ELNS1_3gpuE3ELNS1_3repE0EEENS1_30default_config_static_selectorELNS0_4arch9wavefront6targetE0EEEvT1_ ; -- Begin function _ZN7rocprim17ROCPRIM_400000_NS6detail17trampoline_kernelINS0_14default_configENS1_25partition_config_selectorILNS1_17partition_subalgoE6EiNS0_10empty_typeEbEEZZNS1_14partition_implILS5_6ELb0ES3_mN6thrust23THRUST_200600_302600_NS6detail15normal_iteratorINSA_10device_ptrIiEEEEPS6_SG_NS0_5tupleIJSF_S6_EEENSH_IJSG_SG_EEES6_PlJ7is_evenIiEEEE10hipError_tPvRmT3_T4_T5_T6_T7_T9_mT8_P12ihipStream_tbDpT10_ENKUlT_T0_E_clISt17integral_constantIbLb0EES16_EEDaS11_S12_EUlS11_E_NS1_11comp_targetILNS1_3genE9ELNS1_11target_archE1100ELNS1_3gpuE3ELNS1_3repE0EEENS1_30default_config_static_selectorELNS0_4arch9wavefront6targetE0EEEvT1_
	.globl	_ZN7rocprim17ROCPRIM_400000_NS6detail17trampoline_kernelINS0_14default_configENS1_25partition_config_selectorILNS1_17partition_subalgoE6EiNS0_10empty_typeEbEEZZNS1_14partition_implILS5_6ELb0ES3_mN6thrust23THRUST_200600_302600_NS6detail15normal_iteratorINSA_10device_ptrIiEEEEPS6_SG_NS0_5tupleIJSF_S6_EEENSH_IJSG_SG_EEES6_PlJ7is_evenIiEEEE10hipError_tPvRmT3_T4_T5_T6_T7_T9_mT8_P12ihipStream_tbDpT10_ENKUlT_T0_E_clISt17integral_constantIbLb0EES16_EEDaS11_S12_EUlS11_E_NS1_11comp_targetILNS1_3genE9ELNS1_11target_archE1100ELNS1_3gpuE3ELNS1_3repE0EEENS1_30default_config_static_selectorELNS0_4arch9wavefront6targetE0EEEvT1_
	.p2align	8
	.type	_ZN7rocprim17ROCPRIM_400000_NS6detail17trampoline_kernelINS0_14default_configENS1_25partition_config_selectorILNS1_17partition_subalgoE6EiNS0_10empty_typeEbEEZZNS1_14partition_implILS5_6ELb0ES3_mN6thrust23THRUST_200600_302600_NS6detail15normal_iteratorINSA_10device_ptrIiEEEEPS6_SG_NS0_5tupleIJSF_S6_EEENSH_IJSG_SG_EEES6_PlJ7is_evenIiEEEE10hipError_tPvRmT3_T4_T5_T6_T7_T9_mT8_P12ihipStream_tbDpT10_ENKUlT_T0_E_clISt17integral_constantIbLb0EES16_EEDaS11_S12_EUlS11_E_NS1_11comp_targetILNS1_3genE9ELNS1_11target_archE1100ELNS1_3gpuE3ELNS1_3repE0EEENS1_30default_config_static_selectorELNS0_4arch9wavefront6targetE0EEEvT1_,@function
_ZN7rocprim17ROCPRIM_400000_NS6detail17trampoline_kernelINS0_14default_configENS1_25partition_config_selectorILNS1_17partition_subalgoE6EiNS0_10empty_typeEbEEZZNS1_14partition_implILS5_6ELb0ES3_mN6thrust23THRUST_200600_302600_NS6detail15normal_iteratorINSA_10device_ptrIiEEEEPS6_SG_NS0_5tupleIJSF_S6_EEENSH_IJSG_SG_EEES6_PlJ7is_evenIiEEEE10hipError_tPvRmT3_T4_T5_T6_T7_T9_mT8_P12ihipStream_tbDpT10_ENKUlT_T0_E_clISt17integral_constantIbLb0EES16_EEDaS11_S12_EUlS11_E_NS1_11comp_targetILNS1_3genE9ELNS1_11target_archE1100ELNS1_3gpuE3ELNS1_3repE0EEENS1_30default_config_static_selectorELNS0_4arch9wavefront6targetE0EEEvT1_: ; @_ZN7rocprim17ROCPRIM_400000_NS6detail17trampoline_kernelINS0_14default_configENS1_25partition_config_selectorILNS1_17partition_subalgoE6EiNS0_10empty_typeEbEEZZNS1_14partition_implILS5_6ELb0ES3_mN6thrust23THRUST_200600_302600_NS6detail15normal_iteratorINSA_10device_ptrIiEEEEPS6_SG_NS0_5tupleIJSF_S6_EEENSH_IJSG_SG_EEES6_PlJ7is_evenIiEEEE10hipError_tPvRmT3_T4_T5_T6_T7_T9_mT8_P12ihipStream_tbDpT10_ENKUlT_T0_E_clISt17integral_constantIbLb0EES16_EEDaS11_S12_EUlS11_E_NS1_11comp_targetILNS1_3genE9ELNS1_11target_archE1100ELNS1_3gpuE3ELNS1_3repE0EEENS1_30default_config_static_selectorELNS0_4arch9wavefront6targetE0EEEvT1_
; %bb.0:
	s_clause 0x3
	s_load_b128 s[8:11], s[0:1], 0x8
	s_load_b128 s[4:7], s[0:1], 0x40
	s_load_b32 s14, s[0:1], 0x68
	s_load_b64 s[12:13], s[0:1], 0x50
	v_lshlrev_b32_e32 v17, 2, v0
	s_waitcnt lgkmcnt(0)
	s_lshl_b64 s[16:17], s[10:11], 2
	s_load_b64 s[2:3], s[6:7], 0x0
	s_mul_i32 s6, s14, 0x700
	s_add_u32 s8, s8, s16
	s_addc_u32 s9, s9, s17
	s_add_i32 s7, s6, s10
	s_add_i32 s16, s14, -1
	s_sub_i32 s14, s12, s7
	s_add_u32 s6, s10, s6
	s_addc_u32 s7, s11, 0
	s_cmp_eq_u32 s15, s16
	v_cmp_ge_u64_e64 s11, s[6:7], s[12:13]
	s_cselect_b32 s10, -1, 0
	s_mov_b32 s7, 0
	s_mul_i32 s6, s15, 0x700
	s_mov_b32 s16, -1
	s_lshl_b64 s[6:7], s[6:7], 2
	s_and_b32 s11, s10, s11
	s_delay_alu instid0(SALU_CYCLE_1)
	s_xor_b32 s11, s11, -1
	s_add_u32 s12, s8, s6
	s_addc_u32 s13, s9, s7
	s_and_b32 vcc_lo, exec_lo, s11
	s_cbranch_vccz .LBB398_2
; %bb.1:
	v_add_co_u32 v1, s6, s12, v17
	s_delay_alu instid0(VALU_DEP_1) | instskip(SKIP_1) | instid1(VALU_DEP_2)
	v_add_co_ci_u32_e64 v2, null, s13, 0, s6
	s_mov_b32 s16, 0
	v_add_co_u32 v3, vcc_lo, 0x1000, v1
	s_delay_alu instid0(VALU_DEP_2)
	v_add_co_ci_u32_e32 v4, vcc_lo, 0, v2, vcc_lo
	s_clause 0xd
	flat_load_b32 v5, v[1:2]
	flat_load_b32 v6, v[1:2] offset:512
	flat_load_b32 v7, v[1:2] offset:1024
	;; [unrolled: 1-line block ×7, first 2 shown]
	flat_load_b32 v2, v[3:4]
	flat_load_b32 v12, v[3:4] offset:512
	flat_load_b32 v13, v[3:4] offset:1024
	;; [unrolled: 1-line block ×5, first 2 shown]
	s_waitcnt vmcnt(12) lgkmcnt(0)
	ds_store_2addr_stride64_b32 v17, v5, v6 offset1:2
	s_waitcnt vmcnt(10)
	ds_store_2addr_stride64_b32 v17, v7, v8 offset0:4 offset1:6
	s_waitcnt vmcnt(8)
	ds_store_2addr_stride64_b32 v17, v9, v10 offset0:8 offset1:10
	;; [unrolled: 2-line block ×6, first 2 shown]
	s_waitcnt lgkmcnt(0)
	s_barrier
.LBB398_2:
	s_clause 0x1
	s_load_b64 s[6:7], s[0:1], 0x28
	s_load_b64 s[8:9], s[0:1], 0x60
	s_and_not1_b32 vcc_lo, exec_lo, s16
	s_add_i32 s0, s14, 0x700
	s_cbranch_vccnz .LBB398_32
; %bb.3:
	s_mov_b32 s1, exec_lo
                                        ; implicit-def: $vgpr1_vgpr2_vgpr3_vgpr4_vgpr5_vgpr6_vgpr7_vgpr8_vgpr9_vgpr10_vgpr11_vgpr12_vgpr13_vgpr14_vgpr15_vgpr16
	v_cmpx_gt_u32_e64 s0, v0
	s_cbranch_execz .LBB398_5
; %bb.4:
	v_add_co_u32 v1, s14, s12, v17
	s_delay_alu instid0(VALU_DEP_1)
	v_add_co_ci_u32_e64 v2, null, s13, 0, s14
	flat_load_b32 v1, v[1:2]
.LBB398_5:
	s_or_b32 exec_lo, exec_lo, s1
	v_or_b32_e32 v15, 0x80, v0
	s_mov_b32 s1, exec_lo
	s_delay_alu instid0(VALU_DEP_1)
	v_cmpx_gt_u32_e64 s0, v15
	s_cbranch_execz .LBB398_7
; %bb.6:
	v_add_co_u32 v15, s14, s12, v17
	s_delay_alu instid0(VALU_DEP_1)
	v_add_co_ci_u32_e64 v16, null, s13, 0, s14
	flat_load_b32 v2, v[15:16] offset:512
.LBB398_7:
	s_or_b32 exec_lo, exec_lo, s1
	v_or_b32_e32 v15, 0x100, v0
	s_mov_b32 s1, exec_lo
	s_delay_alu instid0(VALU_DEP_1)
	v_cmpx_gt_u32_e64 s0, v15
	s_cbranch_execz .LBB398_9
; %bb.8:
	v_add_co_u32 v15, s14, s12, v17
	s_delay_alu instid0(VALU_DEP_1)
	v_add_co_ci_u32_e64 v16, null, s13, 0, s14
	flat_load_b32 v3, v[15:16] offset:1024
.LBB398_9:
	;; [unrolled: 12-line block ×7, first 2 shown]
	s_or_b32 exec_lo, exec_lo, s1
	v_or_b32_e32 v15, 0x400, v0
	s_mov_b32 s1, exec_lo
	s_delay_alu instid0(VALU_DEP_1)
	v_cmpx_gt_u32_e64 s0, v15
	s_cbranch_execz .LBB398_21
; %bb.20:
	v_lshlrev_b32_e32 v9, 2, v15
	s_delay_alu instid0(VALU_DEP_1) | instskip(NEXT) | instid1(VALU_DEP_1)
	v_add_co_u32 v15, s14, s12, v9
	v_add_co_ci_u32_e64 v16, null, s13, 0, s14
	flat_load_b32 v9, v[15:16]
.LBB398_21:
	s_or_b32 exec_lo, exec_lo, s1
	v_or_b32_e32 v15, 0x480, v0
	s_mov_b32 s1, exec_lo
	s_delay_alu instid0(VALU_DEP_1)
	v_cmpx_gt_u32_e64 s0, v15
	s_cbranch_execz .LBB398_23
; %bb.22:
	v_lshlrev_b32_e32 v10, 2, v15
	s_delay_alu instid0(VALU_DEP_1) | instskip(NEXT) | instid1(VALU_DEP_1)
	v_add_co_u32 v15, s14, s12, v10
	v_add_co_ci_u32_e64 v16, null, s13, 0, s14
	flat_load_b32 v10, v[15:16]
.LBB398_23:
	;; [unrolled: 13-line block ×6, first 2 shown]
	s_or_b32 exec_lo, exec_lo, s1
	s_waitcnt vmcnt(0) lgkmcnt(0)
	ds_store_2addr_stride64_b32 v17, v1, v2 offset1:2
	ds_store_2addr_stride64_b32 v17, v3, v4 offset0:4 offset1:6
	ds_store_2addr_stride64_b32 v17, v5, v6 offset0:8 offset1:10
	;; [unrolled: 1-line block ×6, first 2 shown]
	s_waitcnt lgkmcnt(0)
	s_barrier
.LBB398_32:
	v_mul_u32_u24_e32 v12, 14, v0
	s_waitcnt lgkmcnt(0)
	buffer_gl0_inv
	s_and_not1_b32 vcc_lo, exec_lo, s11
	v_lshlrev_b32_e32 v61, 2, v12
	ds_load_2addr_b64 v[41:44], v61 offset1:1
	ds_load_2addr_b64 v[37:40], v61 offset0:2 offset1:3
	ds_load_2addr_b64 v[33:36], v61 offset0:4 offset1:5
	ds_load_b64 v[49:50], v61 offset:48
	s_waitcnt lgkmcnt(0)
	s_barrier
	buffer_gl0_inv
	v_xor_b32_e32 v13, -1, v41
	v_xor_b32_e32 v14, -1, v42
	;; [unrolled: 1-line block ×14, first 2 shown]
	s_cbranch_vccnz .LBB398_34
; %bb.33:
	v_and_b32_e32 v16, 1, v14
	v_and_b32_e32 v17, 1, v13
	;; [unrolled: 1-line block ×5, first 2 shown]
	v_lshlrev_b16 v16, 8, v16
	v_and_b32_e32 v26, 1, v6
	v_and_b32_e32 v18, 1, v15
	;; [unrolled: 1-line block ×4, first 2 shown]
	v_or_b32_e32 v16, v17, v16
	v_and_b32_e32 v17, 1, v4
	v_and_b32_e32 v24, 1, v3
	;; [unrolled: 1-line block ×3, first 2 shown]
	v_lshlrev_b16 v19, 8, v19
	v_lshlrev_b16 v21, 8, v21
	;; [unrolled: 1-line block ×5, first 2 shown]
	v_or_b32_e32 v18, v18, v19
	v_or_b32_e32 v19, v20, v21
	;; [unrolled: 1-line block ×5, first 2 shown]
	v_and_b32_e32 v16, 0xffff, v16
	v_lshlrev_b32_e32 v18, 16, v18
	v_and_b32_e32 v19, 0xffff, v19
	v_lshlrev_b32_e32 v20, 16, v20
	;; [unrolled: 2-line block ×3, first 2 shown]
	v_and_b32_e32 v54, 1, v1
	v_and_b32_e32 v53, 1, v2
	v_or_b32_e32 v59, v16, v18
	v_or_b32_e32 v56, v19, v20
	;; [unrolled: 1-line block ×3, first 2 shown]
	s_cbranch_execz .LBB398_35
	s_branch .LBB398_36
.LBB398_34:
                                        ; implicit-def: $vgpr53
                                        ; implicit-def: $vgpr54
                                        ; implicit-def: $vgpr55
                                        ; implicit-def: $vgpr56
                                        ; implicit-def: $vgpr59
.LBB398_35:
	v_or_b32_e32 v16, 1, v12
	v_cmp_gt_u32_e32 vcc_lo, s0, v12
	v_add_nc_u32_e32 v17, 2, v12
	v_add_nc_u32_e32 v18, 3, v12
	;; [unrolled: 1-line block ×4, first 2 shown]
	v_cndmask_b32_e64 v27, 0, 1, vcc_lo
	v_cmp_gt_u32_e32 vcc_lo, s0, v16
	v_add_nc_u32_e32 v21, 6, v12
	v_add_nc_u32_e32 v22, 7, v12
	;; [unrolled: 1-line block ×4, first 2 shown]
	v_cndmask_b32_e64 v16, 0, 1, vcc_lo
	v_cmp_gt_u32_e32 vcc_lo, s0, v17
	v_add_nc_u32_e32 v25, 10, v12
	v_add_nc_u32_e32 v26, 11, v12
	;; [unrolled: 1-line block ×3, first 2 shown]
	v_and_b32_e32 v14, v16, v14
	v_cndmask_b32_e64 v17, 0, 1, vcc_lo
	v_cmp_gt_u32_e32 vcc_lo, s0, v18
	v_add_nc_u32_e32 v12, 13, v12
	v_and_b32_e32 v13, v27, v13
	v_lshlrev_b16 v14, 8, v14
	v_and_b32_e32 v15, v17, v15
	v_cndmask_b32_e64 v16, 0, 1, vcc_lo
	v_cmp_gt_u32_e32 vcc_lo, s0, v19
	s_delay_alu instid0(VALU_DEP_4) | instskip(NEXT) | instid1(VALU_DEP_3)
	v_or_b32_e32 v13, v13, v14
	v_and_b32_e32 v7, v16, v7
	v_cndmask_b32_e64 v17, 0, 1, vcc_lo
	v_cmp_gt_u32_e32 vcc_lo, s0, v20
	s_delay_alu instid0(VALU_DEP_4) | instskip(NEXT) | instid1(VALU_DEP_4)
	v_and_b32_e32 v13, 0xffff, v13
	v_lshlrev_b16 v7, 8, v7
	s_delay_alu instid0(VALU_DEP_4) | instskip(SKIP_2) | instid1(VALU_DEP_4)
	v_and_b32_e32 v8, v17, v8
	v_cndmask_b32_e64 v18, 0, 1, vcc_lo
	v_cmp_gt_u32_e32 vcc_lo, s0, v21
	v_or_b32_e32 v7, v15, v7
	s_delay_alu instid0(VALU_DEP_3) | instskip(SKIP_2) | instid1(VALU_DEP_3)
	v_and_b32_e32 v9, v18, v9
	v_cndmask_b32_e64 v19, 0, 1, vcc_lo
	v_cmp_gt_u32_e32 vcc_lo, s0, v22
	v_lshlrev_b16 v9, 8, v9
	s_delay_alu instid0(VALU_DEP_3) | instskip(SKIP_2) | instid1(VALU_DEP_4)
	v_and_b32_e32 v10, v19, v10
	v_cndmask_b32_e64 v20, 0, 1, vcc_lo
	v_cmp_gt_u32_e32 vcc_lo, s0, v23
	v_or_b32_e32 v8, v8, v9
	s_delay_alu instid0(VALU_DEP_3) | instskip(SKIP_2) | instid1(VALU_DEP_3)
	v_and_b32_e32 v11, v20, v11
	v_cndmask_b32_e64 v16, 0, 1, vcc_lo
	v_cmp_gt_u32_e32 vcc_lo, s0, v24
	v_lshlrev_b16 v11, 8, v11
	s_delay_alu instid0(VALU_DEP_3) | instskip(SKIP_2) | instid1(VALU_DEP_4)
	;; [unrolled: 10-line block ×3, first 2 shown]
	v_and_b32_e32 v5, v18, v5
	v_cndmask_b32_e64 v19, 0, 1, vcc_lo
	v_cmp_gt_u32_e32 vcc_lo, s0, v28
	v_or_b32_e32 v3, v3, v4
	s_delay_alu instid0(VALU_DEP_3) | instskip(SKIP_2) | instid1(VALU_DEP_4)
	v_and_b32_e32 v6, v19, v6
	v_cndmask_b32_e64 v14, 0, 1, vcc_lo
	v_cmp_gt_u32_e32 vcc_lo, s0, v12
	v_and_b32_e32 v3, 0xffff, v3
	s_delay_alu instid0(VALU_DEP_4) | instskip(NEXT) | instid1(VALU_DEP_4)
	v_lshlrev_b16 v6, 8, v6
	v_and_b32_e32 v54, v14, v1
	v_cndmask_b32_e64 v12, 0, 1, vcc_lo
	s_delay_alu instid0(VALU_DEP_3)
	v_or_b32_e32 v4, v5, v6
	v_lshlrev_b32_e32 v5, 16, v7
	v_and_b32_e32 v6, 0xffff, v8
	v_lshlrev_b32_e32 v7, 16, v9
	v_and_b32_e32 v53, v12, v2
	v_lshlrev_b32_e32 v4, 16, v4
	v_or_b32_e32 v59, v13, v5
	s_delay_alu instid0(VALU_DEP_4) | instskip(NEXT) | instid1(VALU_DEP_3)
	v_or_b32_e32 v56, v6, v7
	v_or_b32_e32 v55, v3, v4
.LBB398_36:
	s_delay_alu instid0(VALU_DEP_3)
	v_dual_mov_b32 v2, 0 :: v_dual_and_b32 v63, 0xff, v59
	v_bfe_u32 v64, v59, 8, 8
	v_bfe_u32 v65, v59, 16, 8
	v_lshrrev_b32_e32 v60, 24, v59
	v_and_b32_e32 v66, 0xff, v56
	v_bfe_u32 v67, v56, 8, 8
	v_add_co_u32 v1, s0, v64, v63
	s_delay_alu instid0(VALU_DEP_1) | instskip(SKIP_1) | instid1(VALU_DEP_3)
	v_add_co_ci_u32_e64 v3, null, 0, 0, s0
	v_bfe_u32 v68, v56, 16, 8
	v_add_co_u32 v1, vcc_lo, v1, v65
	s_delay_alu instid0(VALU_DEP_3) | instskip(SKIP_1) | instid1(VALU_DEP_3)
	v_add_co_ci_u32_e32 v3, vcc_lo, 0, v3, vcc_lo
	v_lshrrev_b32_e32 v58, 24, v56
	v_add_co_u32 v1, vcc_lo, v1, v60
	s_delay_alu instid0(VALU_DEP_3) | instskip(SKIP_1) | instid1(VALU_DEP_3)
	v_add_co_ci_u32_e32 v3, vcc_lo, 0, v3, vcc_lo
	v_and_b32_e32 v69, 0xff, v55
	v_add_co_u32 v1, vcc_lo, v1, v66
	s_delay_alu instid0(VALU_DEP_3) | instskip(SKIP_1) | instid1(VALU_DEP_3)
	v_add_co_ci_u32_e32 v3, vcc_lo, 0, v3, vcc_lo
	v_bfe_u32 v70, v55, 8, 8
	v_add_co_u32 v1, vcc_lo, v1, v67
	s_delay_alu instid0(VALU_DEP_3) | instskip(SKIP_1) | instid1(VALU_DEP_3)
	v_add_co_ci_u32_e32 v3, vcc_lo, 0, v3, vcc_lo
	v_bfe_u32 v71, v55, 16, 8
	v_add_co_u32 v1, vcc_lo, v1, v68
	s_delay_alu instid0(VALU_DEP_3) | instskip(SKIP_1) | instid1(VALU_DEP_3)
	v_add_co_ci_u32_e32 v3, vcc_lo, 0, v3, vcc_lo
	v_lshrrev_b32_e32 v57, 24, v55
	v_add_co_u32 v1, vcc_lo, v1, v58
	s_delay_alu instid0(VALU_DEP_3) | instskip(SKIP_1) | instid1(VALU_DEP_3)
	v_add_co_ci_u32_e32 v3, vcc_lo, 0, v3, vcc_lo
	v_and_b32_e32 v62, 0xff, v54
	v_add_co_u32 v1, vcc_lo, v1, v69
	s_delay_alu instid0(VALU_DEP_3) | instskip(SKIP_1) | instid1(VALU_DEP_3)
	v_add_co_ci_u32_e32 v3, vcc_lo, 0, v3, vcc_lo
	v_mbcnt_lo_u32_b32 v72, -1, 0
	v_add_co_u32 v1, vcc_lo, v1, v70
	s_delay_alu instid0(VALU_DEP_3) | instskip(SKIP_1) | instid1(VALU_DEP_3)
	v_add_co_ci_u32_e32 v3, vcc_lo, 0, v3, vcc_lo
	v_and_b32_e32 v4, 0xff, v53
	v_add_co_u32 v1, vcc_lo, v1, v71
	s_delay_alu instid0(VALU_DEP_3) | instskip(SKIP_1) | instid1(VALU_DEP_3)
	v_add_co_ci_u32_e32 v3, vcc_lo, 0, v3, vcc_lo
	v_and_b32_e32 v73, 15, v72
	v_add_co_u32 v1, vcc_lo, v1, v57
	s_delay_alu instid0(VALU_DEP_3) | instskip(NEXT) | instid1(VALU_DEP_3)
	v_add_co_ci_u32_e32 v3, vcc_lo, 0, v3, vcc_lo
	v_cmp_ne_u32_e64 s0, 0, v73
	s_delay_alu instid0(VALU_DEP_3) | instskip(NEXT) | instid1(VALU_DEP_3)
	v_add_co_u32 v1, vcc_lo, v1, v62
	v_add_co_ci_u32_e32 v3, vcc_lo, 0, v3, vcc_lo
	s_cmp_lg_u32 s15, 0
	s_delay_alu instid0(VALU_DEP_2) | instskip(NEXT) | instid1(VALU_DEP_2)
	v_add_co_u32 v51, vcc_lo, v1, v4
	v_add_co_ci_u32_e32 v52, vcc_lo, 0, v3, vcc_lo
	s_mov_b32 s1, -1
	s_cbranch_scc0 .LBB398_96
; %bb.37:
	s_delay_alu instid0(VALU_DEP_2)
	v_mov_b32_e32 v3, v51
	v_mov_b32_dpp v1, v51 row_shr:1 row_mask:0xf bank_mask:0xf
	v_mov_b32_dpp v6, v2 row_shr:1 row_mask:0xf bank_mask:0xf
	v_dual_mov_b32 v5, v51 :: v_dual_mov_b32 v4, v52
	s_and_saveexec_b32 s1, s0
; %bb.38:
	s_delay_alu instid0(VALU_DEP_3) | instskip(SKIP_1) | instid1(VALU_DEP_2)
	v_add_co_u32 v5, vcc_lo, v51, v1
	v_add_co_ci_u32_e32 v2, vcc_lo, 0, v52, vcc_lo
	v_add_co_u32 v1, vcc_lo, 0, v5
	s_delay_alu instid0(VALU_DEP_2) | instskip(NEXT) | instid1(VALU_DEP_1)
	v_add_co_ci_u32_e32 v2, vcc_lo, v6, v2, vcc_lo
	v_dual_mov_b32 v4, v2 :: v_dual_mov_b32 v3, v1
; %bb.39:
	s_or_b32 exec_lo, exec_lo, s1
	v_mov_b32_dpp v1, v5 row_shr:2 row_mask:0xf bank_mask:0xf
	v_mov_b32_dpp v6, v2 row_shr:2 row_mask:0xf bank_mask:0xf
	s_mov_b32 s1, exec_lo
	v_cmpx_lt_u32_e32 1, v73
; %bb.40:
	s_delay_alu instid0(VALU_DEP_3) | instskip(SKIP_1) | instid1(VALU_DEP_2)
	v_add_co_u32 v5, vcc_lo, v3, v1
	v_add_co_ci_u32_e32 v2, vcc_lo, 0, v4, vcc_lo
	v_add_co_u32 v1, vcc_lo, 0, v5
	s_delay_alu instid0(VALU_DEP_2) | instskip(NEXT) | instid1(VALU_DEP_1)
	v_add_co_ci_u32_e32 v2, vcc_lo, v6, v2, vcc_lo
	v_dual_mov_b32 v4, v2 :: v_dual_mov_b32 v3, v1
; %bb.41:
	s_or_b32 exec_lo, exec_lo, s1
	v_mov_b32_dpp v1, v5 row_shr:4 row_mask:0xf bank_mask:0xf
	v_mov_b32_dpp v6, v2 row_shr:4 row_mask:0xf bank_mask:0xf
	s_mov_b32 s1, exec_lo
	v_cmpx_lt_u32_e32 3, v73
	;; [unrolled: 14-line block ×3, first 2 shown]
; %bb.44:
	s_delay_alu instid0(VALU_DEP_3) | instskip(SKIP_1) | instid1(VALU_DEP_2)
	v_add_co_u32 v5, vcc_lo, v3, v6
	v_add_co_ci_u32_e32 v2, vcc_lo, 0, v4, vcc_lo
	v_add_co_u32 v3, vcc_lo, 0, v5
	s_delay_alu instid0(VALU_DEP_2) | instskip(NEXT) | instid1(VALU_DEP_1)
	v_add_co_ci_u32_e32 v4, vcc_lo, v1, v2, vcc_lo
	v_mov_b32_e32 v2, v4
; %bb.45:
	s_or_b32 exec_lo, exec_lo, s1
	ds_swizzle_b32 v1, v5 offset:swizzle(BROADCAST,32,15)
	ds_swizzle_b32 v6, v2 offset:swizzle(BROADCAST,32,15)
	v_and_b32_e32 v7, 16, v72
	s_mov_b32 s1, exec_lo
	s_delay_alu instid0(VALU_DEP_1)
	v_cmpx_ne_u32_e32 0, v7
	s_cbranch_execz .LBB398_47
; %bb.46:
	s_waitcnt lgkmcnt(1)
	v_add_co_u32 v5, vcc_lo, v3, v1
	v_add_co_ci_u32_e32 v2, vcc_lo, 0, v4, vcc_lo
	s_delay_alu instid0(VALU_DEP_2) | instskip(SKIP_1) | instid1(VALU_DEP_2)
	v_add_co_u32 v1, vcc_lo, 0, v5
	s_waitcnt lgkmcnt(0)
	v_add_co_ci_u32_e32 v2, vcc_lo, v6, v2, vcc_lo
	s_delay_alu instid0(VALU_DEP_1)
	v_dual_mov_b32 v4, v2 :: v_dual_mov_b32 v3, v1
.LBB398_47:
	s_or_b32 exec_lo, exec_lo, s1
	s_waitcnt lgkmcnt(0)
	v_or_b32_e32 v6, 31, v0
	v_lshrrev_b32_e32 v1, 5, v0
	s_mov_b32 s1, exec_lo
	s_delay_alu instid0(VALU_DEP_2)
	v_cmpx_eq_u32_e64 v6, v0
	s_cbranch_execz .LBB398_49
; %bb.48:
	s_delay_alu instid0(VALU_DEP_2)
	v_lshlrev_b32_e32 v6, 3, v1
	ds_store_b64 v6, v[3:4]
.LBB398_49:
	s_or_b32 exec_lo, exec_lo, s1
	s_delay_alu instid0(SALU_CYCLE_1)
	s_mov_b32 s1, exec_lo
	s_waitcnt lgkmcnt(0)
	s_barrier
	buffer_gl0_inv
	v_cmpx_gt_u32_e32 4, v0
	s_cbranch_execz .LBB398_55
; %bb.50:
	v_lshlrev_b32_e32 v6, 3, v0
	s_mov_b32 s12, exec_lo
	ds_load_b64 v[3:4], v6
	s_waitcnt lgkmcnt(0)
	v_dual_mov_b32 v8, v3 :: v_dual_and_b32 v7, 3, v72
	v_mov_b32_dpp v10, v3 row_shr:1 row_mask:0xf bank_mask:0xf
	v_mov_b32_dpp v9, v4 row_shr:1 row_mask:0xf bank_mask:0xf
	s_delay_alu instid0(VALU_DEP_3)
	v_cmpx_ne_u32_e32 0, v7
; %bb.51:
	s_delay_alu instid0(VALU_DEP_3) | instskip(SKIP_1) | instid1(VALU_DEP_2)
	v_add_co_u32 v8, vcc_lo, v3, v10
	v_add_co_ci_u32_e32 v4, vcc_lo, 0, v4, vcc_lo
	v_add_co_u32 v3, vcc_lo, 0, v8
	s_delay_alu instid0(VALU_DEP_2)
	v_add_co_ci_u32_e32 v4, vcc_lo, v9, v4, vcc_lo
; %bb.52:
	s_or_b32 exec_lo, exec_lo, s12
	v_mov_b32_dpp v9, v8 row_shr:2 row_mask:0xf bank_mask:0xf
	s_delay_alu instid0(VALU_DEP_2)
	v_mov_b32_dpp v8, v4 row_shr:2 row_mask:0xf bank_mask:0xf
	s_mov_b32 s12, exec_lo
	v_cmpx_lt_u32_e32 1, v7
; %bb.53:
	s_delay_alu instid0(VALU_DEP_3) | instskip(SKIP_1) | instid1(VALU_DEP_2)
	v_add_co_u32 v3, vcc_lo, v3, v9
	v_add_co_ci_u32_e32 v4, vcc_lo, 0, v4, vcc_lo
	v_add_co_u32 v3, vcc_lo, v3, 0
	s_delay_alu instid0(VALU_DEP_2)
	v_add_co_ci_u32_e32 v4, vcc_lo, v4, v8, vcc_lo
; %bb.54:
	s_or_b32 exec_lo, exec_lo, s12
	ds_store_b64 v6, v[3:4]
.LBB398_55:
	s_or_b32 exec_lo, exec_lo, s1
	v_cmp_gt_u32_e32 vcc_lo, 32, v0
	s_mov_b32 s12, exec_lo
	s_waitcnt lgkmcnt(0)
	s_barrier
	buffer_gl0_inv
                                        ; implicit-def: $vgpr9_vgpr10
	v_cmpx_lt_u32_e32 31, v0
	s_cbranch_execz .LBB398_57
; %bb.56:
	v_lshl_add_u32 v1, v1, 3, -8
	ds_load_b64 v[9:10], v1
	s_waitcnt lgkmcnt(0)
	v_add_co_u32 v5, s1, v5, v9
	s_delay_alu instid0(VALU_DEP_1)
	v_add_co_ci_u32_e64 v2, s1, v2, v10, s1
.LBB398_57:
	s_or_b32 exec_lo, exec_lo, s12
	v_add_nc_u32_e32 v1, -1, v72
	s_delay_alu instid0(VALU_DEP_1) | instskip(NEXT) | instid1(VALU_DEP_1)
	v_cmp_gt_i32_e64 s1, 0, v1
	v_cndmask_b32_e64 v1, v1, v72, s1
	v_cmp_eq_u32_e64 s1, 0, v72
	s_delay_alu instid0(VALU_DEP_2)
	v_lshlrev_b32_e32 v1, 2, v1
	ds_bpermute_b32 v15, v1, v5
	ds_bpermute_b32 v16, v1, v2
	s_and_saveexec_b32 s12, vcc_lo
	s_cbranch_execz .LBB398_95
; %bb.58:
	v_mov_b32_e32 v4, 0
	ds_load_b64 v[1:2], v4 offset:24
	s_and_saveexec_b32 s13, s1
	s_cbranch_execz .LBB398_60
; %bb.59:
	s_add_i32 s16, s15, 32
	s_mov_b32 s17, 0
	s_delay_alu instid0(SALU_CYCLE_1) | instskip(NEXT) | instid1(SALU_CYCLE_1)
	s_lshl_b64 s[16:17], s[16:17], 4
	s_add_u32 s16, s8, s16
	s_addc_u32 s17, s9, s17
	v_mov_b32_e32 v5, s16
	v_dual_mov_b32 v3, 1 :: v_dual_mov_b32 v6, s17
	s_waitcnt lgkmcnt(0)
	;;#ASMSTART
	global_store_dwordx4 v[5:6], v[1:4] off	
s_waitcnt vmcnt(0)
	;;#ASMEND
.LBB398_60:
	s_or_b32 exec_lo, exec_lo, s13
	v_xad_u32 v11, v72, -1, s15
	s_mov_b32 s14, 0
	s_mov_b32 s13, exec_lo
	s_delay_alu instid0(VALU_DEP_1) | instskip(NEXT) | instid1(VALU_DEP_1)
	v_add_nc_u32_e32 v3, 32, v11
	v_lshlrev_b64 v[3:4], 4, v[3:4]
	s_delay_alu instid0(VALU_DEP_1) | instskip(NEXT) | instid1(VALU_DEP_2)
	v_add_co_u32 v3, vcc_lo, s8, v3
	v_add_co_ci_u32_e32 v4, vcc_lo, s9, v4, vcc_lo
	;;#ASMSTART
	global_load_dwordx4 v[5:8], v[3:4] off glc	
s_waitcnt vmcnt(0)
	;;#ASMEND
	v_and_b32_e32 v8, 0xff, v6
	v_and_b32_e32 v12, 0xff00, v6
	v_or3_b32 v5, v5, 0, 0
	v_and_b32_e32 v13, 0xff000000, v6
	v_and_b32_e32 v6, 0xff0000, v6
	s_delay_alu instid0(VALU_DEP_4) | instskip(SKIP_2) | instid1(VALU_DEP_3)
	v_or3_b32 v8, 0, v8, v12
	v_and_b32_e32 v12, 0xff, v7
	v_or3_b32 v5, v5, 0, 0
	v_or3_b32 v6, v8, v6, v13
	s_delay_alu instid0(VALU_DEP_3)
	v_cmpx_eq_u16_e32 0, v12
	s_cbranch_execz .LBB398_63
.LBB398_61:                             ; =>This Inner Loop Header: Depth=1
	;;#ASMSTART
	global_load_dwordx4 v[5:8], v[3:4] off glc	
s_waitcnt vmcnt(0)
	;;#ASMEND
	v_and_b32_e32 v8, 0xff, v7
	s_delay_alu instid0(VALU_DEP_1) | instskip(SKIP_1) | instid1(SALU_CYCLE_1)
	v_cmp_ne_u16_e32 vcc_lo, 0, v8
	s_or_b32 s14, vcc_lo, s14
	s_and_not1_b32 exec_lo, exec_lo, s14
	s_cbranch_execnz .LBB398_61
; %bb.62:
	s_or_b32 exec_lo, exec_lo, s14
.LBB398_63:
	s_delay_alu instid0(SALU_CYCLE_1)
	s_or_b32 exec_lo, exec_lo, s13
	v_cmp_ne_u32_e32 vcc_lo, 31, v72
	v_and_b32_e32 v4, 0xff, v7
	v_lshlrev_b32_e64 v18, v72, -1
	s_mov_b32 s13, exec_lo
	v_add_co_ci_u32_e32 v3, vcc_lo, 0, v72, vcc_lo
	s_delay_alu instid0(VALU_DEP_3) | instskip(NEXT) | instid1(VALU_DEP_2)
	v_cmp_eq_u16_e32 vcc_lo, 2, v4
	v_dual_mov_b32 v4, v5 :: v_dual_lshlrev_b32 v17, 2, v3
	v_and_or_b32 v3, vcc_lo, v18, 0x80000000
	ds_bpermute_b32 v12, v17, v5
	ds_bpermute_b32 v8, v17, v6
	v_ctz_i32_b32_e32 v3, v3
	s_delay_alu instid0(VALU_DEP_1)
	v_cmpx_lt_u32_e64 v72, v3
	s_cbranch_execz .LBB398_65
; %bb.64:
	s_waitcnt lgkmcnt(1)
	v_add_co_u32 v4, vcc_lo, v5, v12
	v_add_co_ci_u32_e32 v6, vcc_lo, 0, v6, vcc_lo
	s_delay_alu instid0(VALU_DEP_2) | instskip(SKIP_1) | instid1(VALU_DEP_2)
	v_add_co_u32 v5, vcc_lo, 0, v4
	s_waitcnt lgkmcnt(0)
	v_add_co_ci_u32_e32 v6, vcc_lo, v8, v6, vcc_lo
.LBB398_65:
	s_or_b32 exec_lo, exec_lo, s13
	v_cmp_gt_u32_e32 vcc_lo, 30, v72
	v_add_nc_u32_e32 v20, 2, v72
	s_mov_b32 s13, exec_lo
	s_waitcnt lgkmcnt(0)
	v_cndmask_b32_e64 v8, 0, 1, vcc_lo
	s_delay_alu instid0(VALU_DEP_1) | instskip(NEXT) | instid1(VALU_DEP_1)
	v_lshlrev_b32_e32 v8, 1, v8
	v_add_lshl_u32 v19, v8, v72, 2
	ds_bpermute_b32 v12, v19, v4
	ds_bpermute_b32 v8, v19, v6
	v_cmpx_le_u32_e64 v20, v3
	s_cbranch_execz .LBB398_67
; %bb.66:
	s_waitcnt lgkmcnt(1)
	v_add_co_u32 v4, vcc_lo, v5, v12
	v_add_co_ci_u32_e32 v6, vcc_lo, 0, v6, vcc_lo
	s_delay_alu instid0(VALU_DEP_2) | instskip(SKIP_1) | instid1(VALU_DEP_2)
	v_add_co_u32 v5, vcc_lo, 0, v4
	s_waitcnt lgkmcnt(0)
	v_add_co_ci_u32_e32 v6, vcc_lo, v8, v6, vcc_lo
.LBB398_67:
	s_or_b32 exec_lo, exec_lo, s13
	v_cmp_gt_u32_e32 vcc_lo, 28, v72
	v_add_nc_u32_e32 v22, 4, v72
	s_mov_b32 s13, exec_lo
	s_waitcnt lgkmcnt(0)
	v_cndmask_b32_e64 v8, 0, 1, vcc_lo
	s_delay_alu instid0(VALU_DEP_1) | instskip(NEXT) | instid1(VALU_DEP_1)
	v_lshlrev_b32_e32 v8, 2, v8
	v_add_lshl_u32 v21, v8, v72, 2
	ds_bpermute_b32 v12, v21, v4
	ds_bpermute_b32 v8, v21, v6
	v_cmpx_le_u32_e64 v22, v3
	;; [unrolled: 22-line block ×4, first 2 shown]
	s_cbranch_execz .LBB398_73
; %bb.72:
	s_waitcnt lgkmcnt(1)
	v_add_co_u32 v3, vcc_lo, v5, v8
	v_add_co_ci_u32_e32 v6, vcc_lo, 0, v6, vcc_lo
	s_delay_alu instid0(VALU_DEP_2) | instskip(SKIP_1) | instid1(VALU_DEP_2)
	v_add_co_u32 v5, vcc_lo, v3, 0
	s_waitcnt lgkmcnt(0)
	v_add_co_ci_u32_e32 v6, vcc_lo, v6, v4, vcc_lo
.LBB398_73:
	s_or_b32 exec_lo, exec_lo, s13
	v_mov_b32_e32 v12, 0
	s_branch .LBB398_75
.LBB398_74:                             ;   in Loop: Header=BB398_75 Depth=1
	s_or_b32 exec_lo, exec_lo, s13
	v_add_co_u32 v5, vcc_lo, v5, v3
	v_subrev_nc_u32_e32 v11, 32, v11
	v_add_co_ci_u32_e32 v6, vcc_lo, v6, v4, vcc_lo
.LBB398_75:                             ; =>This Loop Header: Depth=1
                                        ;     Child Loop BB398_78 Depth 2
	v_and_b32_e32 v3, 0xff, v7
	s_delay_alu instid0(VALU_DEP_1) | instskip(SKIP_2) | instid1(VALU_DEP_1)
	v_cmp_ne_u16_e32 vcc_lo, 2, v3
	v_cndmask_b32_e64 v3, 0, 1, vcc_lo
	;;#ASMSTART
	;;#ASMEND
	v_cmp_ne_u32_e32 vcc_lo, 0, v3
	s_waitcnt lgkmcnt(0)
	v_dual_mov_b32 v3, v5 :: v_dual_mov_b32 v4, v6
	s_cmp_lg_u32 vcc_lo, exec_lo
	s_cbranch_scc1 .LBB398_90
; %bb.76:                               ;   in Loop: Header=BB398_75 Depth=1
	v_lshlrev_b64 v[5:6], 4, v[11:12]
	s_mov_b32 s13, exec_lo
	s_delay_alu instid0(VALU_DEP_1) | instskip(NEXT) | instid1(VALU_DEP_2)
	v_add_co_u32 v13, vcc_lo, s8, v5
	v_add_co_ci_u32_e32 v14, vcc_lo, s9, v6, vcc_lo
	;;#ASMSTART
	global_load_dwordx4 v[5:8], v[13:14] off glc	
s_waitcnt vmcnt(0)
	;;#ASMEND
	v_and_b32_e32 v8, 0xff, v6
	v_and_b32_e32 v27, 0xff00, v6
	v_or3_b32 v5, v5, 0, 0
	v_and_b32_e32 v28, 0xff000000, v6
	v_and_b32_e32 v6, 0xff0000, v6
	s_delay_alu instid0(VALU_DEP_4) | instskip(SKIP_2) | instid1(VALU_DEP_3)
	v_or3_b32 v8, 0, v8, v27
	v_and_b32_e32 v27, 0xff, v7
	v_or3_b32 v5, v5, 0, 0
	v_or3_b32 v6, v8, v6, v28
	s_delay_alu instid0(VALU_DEP_3)
	v_cmpx_eq_u16_e32 0, v27
	s_cbranch_execz .LBB398_80
; %bb.77:                               ;   in Loop: Header=BB398_75 Depth=1
	s_mov_b32 s14, 0
.LBB398_78:                             ;   Parent Loop BB398_75 Depth=1
                                        ; =>  This Inner Loop Header: Depth=2
	;;#ASMSTART
	global_load_dwordx4 v[5:8], v[13:14] off glc	
s_waitcnt vmcnt(0)
	;;#ASMEND
	v_and_b32_e32 v8, 0xff, v7
	s_delay_alu instid0(VALU_DEP_1) | instskip(SKIP_1) | instid1(SALU_CYCLE_1)
	v_cmp_ne_u16_e32 vcc_lo, 0, v8
	s_or_b32 s14, vcc_lo, s14
	s_and_not1_b32 exec_lo, exec_lo, s14
	s_cbranch_execnz .LBB398_78
; %bb.79:                               ;   in Loop: Header=BB398_75 Depth=1
	s_or_b32 exec_lo, exec_lo, s14
.LBB398_80:                             ;   in Loop: Header=BB398_75 Depth=1
	s_delay_alu instid0(SALU_CYCLE_1)
	s_or_b32 exec_lo, exec_lo, s13
	v_dual_mov_b32 v13, v5 :: v_dual_and_b32 v8, 0xff, v7
	ds_bpermute_b32 v27, v17, v5
	ds_bpermute_b32 v14, v17, v6
	s_mov_b32 s13, exec_lo
	v_cmp_eq_u16_e32 vcc_lo, 2, v8
	v_and_or_b32 v8, vcc_lo, v18, 0x80000000
	s_delay_alu instid0(VALU_DEP_1) | instskip(NEXT) | instid1(VALU_DEP_1)
	v_ctz_i32_b32_e32 v8, v8
	v_cmpx_lt_u32_e64 v72, v8
	s_cbranch_execz .LBB398_82
; %bb.81:                               ;   in Loop: Header=BB398_75 Depth=1
	s_waitcnt lgkmcnt(1)
	v_add_co_u32 v13, vcc_lo, v5, v27
	v_add_co_ci_u32_e32 v6, vcc_lo, 0, v6, vcc_lo
	s_delay_alu instid0(VALU_DEP_2) | instskip(SKIP_1) | instid1(VALU_DEP_2)
	v_add_co_u32 v5, vcc_lo, 0, v13
	s_waitcnt lgkmcnt(0)
	v_add_co_ci_u32_e32 v6, vcc_lo, v14, v6, vcc_lo
.LBB398_82:                             ;   in Loop: Header=BB398_75 Depth=1
	s_or_b32 exec_lo, exec_lo, s13
	s_waitcnt lgkmcnt(1)
	ds_bpermute_b32 v27, v19, v13
	s_waitcnt lgkmcnt(1)
	ds_bpermute_b32 v14, v19, v6
	s_mov_b32 s13, exec_lo
	v_cmpx_le_u32_e64 v20, v8
	s_cbranch_execz .LBB398_84
; %bb.83:                               ;   in Loop: Header=BB398_75 Depth=1
	s_waitcnt lgkmcnt(1)
	v_add_co_u32 v13, vcc_lo, v5, v27
	v_add_co_ci_u32_e32 v6, vcc_lo, 0, v6, vcc_lo
	s_delay_alu instid0(VALU_DEP_2) | instskip(SKIP_1) | instid1(VALU_DEP_2)
	v_add_co_u32 v5, vcc_lo, 0, v13
	s_waitcnt lgkmcnt(0)
	v_add_co_ci_u32_e32 v6, vcc_lo, v14, v6, vcc_lo
.LBB398_84:                             ;   in Loop: Header=BB398_75 Depth=1
	s_or_b32 exec_lo, exec_lo, s13
	s_waitcnt lgkmcnt(1)
	ds_bpermute_b32 v27, v21, v13
	s_waitcnt lgkmcnt(1)
	ds_bpermute_b32 v14, v21, v6
	s_mov_b32 s13, exec_lo
	v_cmpx_le_u32_e64 v22, v8
	;; [unrolled: 17-line block ×3, first 2 shown]
	s_cbranch_execz .LBB398_88
; %bb.87:                               ;   in Loop: Header=BB398_75 Depth=1
	s_waitcnt lgkmcnt(1)
	v_add_co_u32 v13, vcc_lo, v5, v27
	v_add_co_ci_u32_e32 v6, vcc_lo, 0, v6, vcc_lo
	s_delay_alu instid0(VALU_DEP_2) | instskip(SKIP_1) | instid1(VALU_DEP_2)
	v_add_co_u32 v5, vcc_lo, 0, v13
	s_waitcnt lgkmcnt(0)
	v_add_co_ci_u32_e32 v6, vcc_lo, v14, v6, vcc_lo
.LBB398_88:                             ;   in Loop: Header=BB398_75 Depth=1
	s_or_b32 exec_lo, exec_lo, s13
	s_waitcnt lgkmcnt(0)
	ds_bpermute_b32 v14, v25, v13
	ds_bpermute_b32 v13, v25, v6
	s_mov_b32 s13, exec_lo
	v_cmpx_le_u32_e64 v26, v8
	s_cbranch_execz .LBB398_74
; %bb.89:                               ;   in Loop: Header=BB398_75 Depth=1
	s_waitcnt lgkmcnt(1)
	v_add_co_u32 v5, vcc_lo, v5, v14
	v_add_co_ci_u32_e32 v6, vcc_lo, 0, v6, vcc_lo
	s_delay_alu instid0(VALU_DEP_2) | instskip(SKIP_1) | instid1(VALU_DEP_2)
	v_add_co_u32 v5, vcc_lo, v5, 0
	s_waitcnt lgkmcnt(0)
	v_add_co_ci_u32_e32 v6, vcc_lo, v6, v13, vcc_lo
	s_branch .LBB398_74
.LBB398_90:                             ;   in Loop: Header=BB398_75 Depth=1
                                        ; implicit-def: $vgpr5_vgpr6
	s_cbranch_execz .LBB398_75
; %bb.91:
	s_and_saveexec_b32 s13, s1
	s_cbranch_execz .LBB398_93
; %bb.92:
	s_add_i32 s14, s15, 32
	s_mov_b32 s15, 0
	v_add_co_u32 v5, vcc_lo, v3, v1
	s_lshl_b64 s[14:15], s[14:15], 4
	v_dual_mov_b32 v7, 2 :: v_dual_mov_b32 v8, 0
	s_add_u32 s14, s8, s14
	s_addc_u32 s15, s9, s15
	v_add_co_ci_u32_e32 v6, vcc_lo, v4, v2, vcc_lo
	v_dual_mov_b32 v11, s14 :: v_dual_mov_b32 v12, s15
	;;#ASMSTART
	global_store_dwordx4 v[11:12], v[5:8] off	
s_waitcnt vmcnt(0)
	;;#ASMEND
	ds_store_b128 v8, v[1:4] offset:7168
.LBB398_93:
	s_or_b32 exec_lo, exec_lo, s13
	v_cmp_eq_u32_e32 vcc_lo, 0, v0
	s_and_b32 exec_lo, exec_lo, vcc_lo
	s_cbranch_execz .LBB398_95
; %bb.94:
	v_mov_b32_e32 v1, 0
	ds_store_b64 v1, v[3:4] offset:24
.LBB398_95:
	s_or_b32 exec_lo, exec_lo, s12
	s_waitcnt lgkmcnt(0)
	v_cndmask_b32_e64 v4, v16, v10, s1
	v_cmp_ne_u32_e32 vcc_lo, 0, v0
	v_mov_b32_e32 v21, 0
	s_barrier
	buffer_gl0_inv
	v_cndmask_b32_e32 v4, 0, v4, vcc_lo
	ds_load_b64 v[1:2], v21 offset:24
	v_cndmask_b32_e64 v3, v15, v9, s1
	s_waitcnt lgkmcnt(0)
	s_barrier
	buffer_gl0_inv
	ds_load_b128 v[45:48], v21 offset:7168
	v_cndmask_b32_e32 v3, 0, v3, vcc_lo
	s_delay_alu instid0(VALU_DEP_1) | instskip(SKIP_1) | instid1(VALU_DEP_2)
	v_add_co_u32 v1, vcc_lo, v1, v3
	v_add_co_ci_u32_e32 v2, vcc_lo, v2, v4, vcc_lo
	v_add_co_u32 v3, vcc_lo, v1, v63
	s_delay_alu instid0(VALU_DEP_2) | instskip(NEXT) | instid1(VALU_DEP_2)
	v_add_co_ci_u32_e32 v4, vcc_lo, 0, v2, vcc_lo
	v_add_co_u32 v5, vcc_lo, v3, v64
	s_delay_alu instid0(VALU_DEP_2) | instskip(NEXT) | instid1(VALU_DEP_2)
	;; [unrolled: 3-line block ×12, first 2 shown]
	v_add_co_ci_u32_e32 v26, vcc_lo, 0, v24, vcc_lo
	v_add_co_u32 v27, vcc_lo, v25, v62
	s_delay_alu instid0(VALU_DEP_2)
	v_add_co_ci_u32_e32 v28, vcc_lo, 0, v26, vcc_lo
	s_branch .LBB398_120
.LBB398_96:
                                        ; implicit-def: $vgpr47_vgpr48
                                        ; implicit-def: $vgpr1_vgpr2_vgpr3_vgpr4_vgpr5_vgpr6_vgpr7_vgpr8_vgpr9_vgpr10_vgpr11_vgpr12_vgpr13_vgpr14_vgpr15_vgpr16_vgpr17_vgpr18_vgpr19_vgpr20_vgpr21_vgpr22_vgpr23_vgpr24_vgpr25_vgpr26_vgpr27_vgpr28_vgpr29_vgpr30_vgpr31_vgpr32
	s_and_b32 vcc_lo, exec_lo, s1
	s_cbranch_vccz .LBB398_120
; %bb.97:
	v_dual_mov_b32 v2, 0 :: v_dual_mov_b32 v3, v51
	v_mov_b32_dpp v4, v51 row_shr:1 row_mask:0xf bank_mask:0xf
	s_delay_alu instid0(VALU_DEP_2)
	v_mov_b32_dpp v1, v2 row_shr:1 row_mask:0xf bank_mask:0xf
	s_and_saveexec_b32 s1, s0
; %bb.98:
	s_delay_alu instid0(VALU_DEP_2) | instskip(SKIP_1) | instid1(VALU_DEP_2)
	v_add_co_u32 v3, vcc_lo, v51, v4
	v_add_co_ci_u32_e32 v2, vcc_lo, 0, v52, vcc_lo
	v_add_co_u32 v51, vcc_lo, 0, v3
	s_delay_alu instid0(VALU_DEP_2) | instskip(NEXT) | instid1(VALU_DEP_1)
	v_add_co_ci_u32_e32 v52, vcc_lo, v1, v2, vcc_lo
	v_mov_b32_e32 v2, v52
; %bb.99:
	s_or_b32 exec_lo, exec_lo, s1
	v_mov_b32_dpp v1, v3 row_shr:2 row_mask:0xf bank_mask:0xf
	s_delay_alu instid0(VALU_DEP_2)
	v_mov_b32_dpp v4, v2 row_shr:2 row_mask:0xf bank_mask:0xf
	s_mov_b32 s0, exec_lo
	v_cmpx_lt_u32_e32 1, v73
; %bb.100:
	s_delay_alu instid0(VALU_DEP_3) | instskip(SKIP_1) | instid1(VALU_DEP_2)
	v_add_co_u32 v3, vcc_lo, v51, v1
	v_add_co_ci_u32_e32 v2, vcc_lo, 0, v52, vcc_lo
	v_add_co_u32 v1, vcc_lo, 0, v3
	s_delay_alu instid0(VALU_DEP_2) | instskip(NEXT) | instid1(VALU_DEP_1)
	v_add_co_ci_u32_e32 v2, vcc_lo, v4, v2, vcc_lo
	v_dual_mov_b32 v52, v2 :: v_dual_mov_b32 v51, v1
; %bb.101:
	s_or_b32 exec_lo, exec_lo, s0
	v_mov_b32_dpp v1, v3 row_shr:4 row_mask:0xf bank_mask:0xf
	v_mov_b32_dpp v4, v2 row_shr:4 row_mask:0xf bank_mask:0xf
	s_mov_b32 s0, exec_lo
	v_cmpx_lt_u32_e32 3, v73
; %bb.102:
	s_delay_alu instid0(VALU_DEP_3) | instskip(SKIP_1) | instid1(VALU_DEP_2)
	v_add_co_u32 v3, vcc_lo, v51, v1
	v_add_co_ci_u32_e32 v2, vcc_lo, 0, v52, vcc_lo
	v_add_co_u32 v1, vcc_lo, 0, v3
	s_delay_alu instid0(VALU_DEP_2) | instskip(NEXT) | instid1(VALU_DEP_1)
	v_add_co_ci_u32_e32 v2, vcc_lo, v4, v2, vcc_lo
	v_dual_mov_b32 v52, v2 :: v_dual_mov_b32 v51, v1
; %bb.103:
	s_or_b32 exec_lo, exec_lo, s0
	v_mov_b32_dpp v4, v3 row_shr:8 row_mask:0xf bank_mask:0xf
	v_mov_b32_dpp v1, v2 row_shr:8 row_mask:0xf bank_mask:0xf
	s_mov_b32 s0, exec_lo
	v_cmpx_lt_u32_e32 7, v73
; %bb.104:
	s_delay_alu instid0(VALU_DEP_3) | instskip(SKIP_1) | instid1(VALU_DEP_2)
	v_add_co_u32 v3, vcc_lo, v51, v4
	v_add_co_ci_u32_e32 v2, vcc_lo, 0, v52, vcc_lo
	v_add_co_u32 v51, vcc_lo, 0, v3
	s_delay_alu instid0(VALU_DEP_2) | instskip(NEXT) | instid1(VALU_DEP_1)
	v_add_co_ci_u32_e32 v52, vcc_lo, v1, v2, vcc_lo
	v_mov_b32_e32 v2, v52
; %bb.105:
	s_or_b32 exec_lo, exec_lo, s0
	ds_swizzle_b32 v3, v3 offset:swizzle(BROADCAST,32,15)
	ds_swizzle_b32 v1, v2 offset:swizzle(BROADCAST,32,15)
	v_and_b32_e32 v2, 16, v72
	s_mov_b32 s0, exec_lo
	s_delay_alu instid0(VALU_DEP_1)
	v_cmpx_ne_u32_e32 0, v2
	s_cbranch_execz .LBB398_107
; %bb.106:
	s_waitcnt lgkmcnt(1)
	v_add_co_u32 v2, vcc_lo, v51, v3
	v_add_co_ci_u32_e32 v3, vcc_lo, 0, v52, vcc_lo
	s_delay_alu instid0(VALU_DEP_2) | instskip(SKIP_1) | instid1(VALU_DEP_2)
	v_add_co_u32 v51, vcc_lo, v2, 0
	s_waitcnt lgkmcnt(0)
	v_add_co_ci_u32_e32 v52, vcc_lo, v3, v1, vcc_lo
.LBB398_107:
	s_or_b32 exec_lo, exec_lo, s0
	s_waitcnt lgkmcnt(0)
	v_or_b32_e32 v1, 31, v0
	v_lshrrev_b32_e32 v3, 5, v0
	s_mov_b32 s0, exec_lo
	s_delay_alu instid0(VALU_DEP_2)
	v_cmpx_eq_u32_e64 v1, v0
	s_cbranch_execz .LBB398_109
; %bb.108:
	s_delay_alu instid0(VALU_DEP_2)
	v_lshlrev_b32_e32 v1, 3, v3
	ds_store_b64 v1, v[51:52]
.LBB398_109:
	s_or_b32 exec_lo, exec_lo, s0
	s_delay_alu instid0(SALU_CYCLE_1)
	s_mov_b32 s0, exec_lo
	s_waitcnt lgkmcnt(0)
	s_barrier
	buffer_gl0_inv
	v_cmpx_gt_u32_e32 4, v0
	s_cbranch_execz .LBB398_115
; %bb.110:
	v_mad_i32_i24 v1, 0xffffffd0, v0, v61
	s_mov_b32 s1, exec_lo
	ds_load_b64 v[1:2], v1
	s_waitcnt lgkmcnt(0)
	v_dual_mov_b32 v5, v1 :: v_dual_and_b32 v4, 3, v72
	v_mov_b32_dpp v7, v1 row_shr:1 row_mask:0xf bank_mask:0xf
	v_mov_b32_dpp v6, v2 row_shr:1 row_mask:0xf bank_mask:0xf
	s_delay_alu instid0(VALU_DEP_3)
	v_cmpx_ne_u32_e32 0, v4
; %bb.111:
	s_delay_alu instid0(VALU_DEP_3) | instskip(SKIP_1) | instid1(VALU_DEP_2)
	v_add_co_u32 v5, vcc_lo, v1, v7
	v_add_co_ci_u32_e32 v2, vcc_lo, 0, v2, vcc_lo
	v_add_co_u32 v1, vcc_lo, 0, v5
	s_delay_alu instid0(VALU_DEP_2)
	v_add_co_ci_u32_e32 v2, vcc_lo, v6, v2, vcc_lo
; %bb.112:
	s_or_b32 exec_lo, exec_lo, s1
	v_mul_i32_i24_e32 v6, 0xffffffd0, v0
	v_mov_b32_dpp v7, v5 row_shr:2 row_mask:0xf bank_mask:0xf
	s_delay_alu instid0(VALU_DEP_3)
	v_mov_b32_dpp v5, v2 row_shr:2 row_mask:0xf bank_mask:0xf
	s_mov_b32 s1, exec_lo
	v_cmpx_lt_u32_e32 1, v4
; %bb.113:
	s_delay_alu instid0(VALU_DEP_3) | instskip(SKIP_1) | instid1(VALU_DEP_2)
	v_add_co_u32 v1, vcc_lo, v1, v7
	v_add_co_ci_u32_e32 v2, vcc_lo, 0, v2, vcc_lo
	v_add_co_u32 v1, vcc_lo, v1, 0
	s_delay_alu instid0(VALU_DEP_2)
	v_add_co_ci_u32_e32 v2, vcc_lo, v2, v5, vcc_lo
; %bb.114:
	s_or_b32 exec_lo, exec_lo, s1
	v_add_nc_u32_e32 v4, v61, v6
	ds_store_b64 v4, v[1:2]
.LBB398_115:
	s_or_b32 exec_lo, exec_lo, s0
	v_mov_b32_e32 v1, 0
	v_mov_b32_e32 v2, 0
	s_mov_b32 s0, exec_lo
	s_waitcnt lgkmcnt(0)
	s_barrier
	buffer_gl0_inv
	v_cmpx_lt_u32_e32 31, v0
	s_cbranch_execz .LBB398_117
; %bb.116:
	v_lshl_add_u32 v1, v3, 3, -8
	ds_load_b64 v[1:2], v1
.LBB398_117:
	s_or_b32 exec_lo, exec_lo, s0
	v_dual_mov_b32 v48, 0 :: v_dual_add_nc_u32 v3, -1, v72
	s_delay_alu instid0(VALU_DEP_1) | instskip(SKIP_2) | instid1(VALU_DEP_1)
	v_cmp_gt_i32_e32 vcc_lo, 0, v3
	ds_load_b64 v[45:46], v48 offset:24
	v_cndmask_b32_e32 v3, v3, v72, vcc_lo
	v_lshlrev_b32_e32 v4, 2, v3
	s_waitcnt lgkmcnt(1)
	v_add_co_u32 v3, vcc_lo, v1, v51
	v_add_co_ci_u32_e32 v5, vcc_lo, v2, v52, vcc_lo
	v_cmp_eq_u32_e32 vcc_lo, 0, v0
	ds_bpermute_b32 v3, v4, v3
	ds_bpermute_b32 v4, v4, v5
	s_and_saveexec_b32 s0, vcc_lo
	s_cbranch_execz .LBB398_119
; %bb.118:
	s_add_u32 s8, s8, 0x200
	s_addc_u32 s9, s9, 0
	v_mov_b32_e32 v5, s8
	v_dual_mov_b32 v47, 2 :: v_dual_mov_b32 v6, s9
	s_waitcnt lgkmcnt(2)
	;;#ASMSTART
	global_store_dwordx4 v[5:6], v[45:48] off	
s_waitcnt vmcnt(0)
	;;#ASMEND
.LBB398_119:
	s_or_b32 exec_lo, exec_lo, s0
	v_cmp_eq_u32_e64 s0, 0, v72
	v_mov_b32_e32 v47, 0
	v_mov_b32_e32 v48, 0
	s_waitcnt lgkmcnt(0)
	s_barrier
	v_cndmask_b32_e64 v1, v3, v1, s0
	v_cndmask_b32_e64 v2, v4, v2, s0
	buffer_gl0_inv
	v_cndmask_b32_e64 v1, v1, 0, vcc_lo
	v_cndmask_b32_e64 v2, v2, 0, vcc_lo
	s_delay_alu instid0(VALU_DEP_2) | instskip(NEXT) | instid1(VALU_DEP_2)
	v_add_co_u32 v3, vcc_lo, v1, v63
	v_add_co_ci_u32_e32 v4, vcc_lo, 0, v2, vcc_lo
	s_delay_alu instid0(VALU_DEP_2) | instskip(NEXT) | instid1(VALU_DEP_2)
	v_add_co_u32 v5, vcc_lo, v3, v64
	v_add_co_ci_u32_e32 v6, vcc_lo, 0, v4, vcc_lo
	;; [unrolled: 3-line block ×13, first 2 shown]
.LBB398_120:
	s_waitcnt lgkmcnt(0)
	v_cmp_gt_u64_e32 vcc_lo, 0x81, v[45:46]
	v_lshrrev_b32_e32 v51, 16, v56
	v_lshrrev_b32_e32 v52, 8, v56
	;; [unrolled: 1-line block ×6, first 2 shown]
	s_mov_b32 s0, -1
	s_cbranch_vccnz .LBB398_124
; %bb.121:
	s_and_b32 vcc_lo, exec_lo, s0
	s_cbranch_vccnz .LBB398_167
.LBB398_122:
	v_cmp_eq_u32_e32 vcc_lo, 0, v0
	s_and_b32 s0, vcc_lo, s10
	s_delay_alu instid0(SALU_CYCLE_1)
	s_and_saveexec_b32 s1, s0
	s_cbranch_execnz .LBB398_199
.LBB398_123:
	s_nop 0
	s_sendmsg sendmsg(MSG_DEALLOC_VGPRS)
	s_endpgm
.LBB398_124:
	v_add_co_u32 v29, vcc_lo, v47, v45
	v_add_co_ci_u32_e32 v30, vcc_lo, v48, v46, vcc_lo
	s_lshl_b64 s[0:1], s[2:3], 2
	s_delay_alu instid0(SALU_CYCLE_1) | instskip(NEXT) | instid1(VALU_DEP_1)
	s_add_u32 s0, s6, s0
	v_cmp_lt_u64_e32 vcc_lo, v[1:2], v[29:30]
	s_addc_u32 s1, s7, s1
	s_or_b32 s9, s11, vcc_lo
	s_delay_alu instid0(SALU_CYCLE_1)
	s_and_saveexec_b32 s8, s9
	s_cbranch_execz .LBB398_127
; %bb.125:
	v_and_b32_e32 v63, 1, v59
	s_delay_alu instid0(VALU_DEP_1)
	v_cmp_eq_u32_e32 vcc_lo, 1, v63
	s_and_b32 exec_lo, exec_lo, vcc_lo
	s_cbranch_execz .LBB398_127
; %bb.126:
	v_lshlrev_b64 v[63:64], 2, v[1:2]
	s_delay_alu instid0(VALU_DEP_1) | instskip(NEXT) | instid1(VALU_DEP_2)
	v_add_co_u32 v63, vcc_lo, s0, v63
	v_add_co_ci_u32_e32 v64, vcc_lo, s1, v64, vcc_lo
	global_store_b32 v[63:64], v41, off
.LBB398_127:
	s_or_b32 exec_lo, exec_lo, s8
	v_cmp_lt_u64_e32 vcc_lo, v[3:4], v[29:30]
	s_or_b32 s9, s11, vcc_lo
	s_delay_alu instid0(SALU_CYCLE_1)
	s_and_saveexec_b32 s8, s9
	s_cbranch_execz .LBB398_130
; %bb.128:
	v_and_b32_e32 v2, 1, v62
	s_delay_alu instid0(VALU_DEP_1)
	v_cmp_eq_u32_e32 vcc_lo, 1, v2
	s_and_b32 exec_lo, exec_lo, vcc_lo
	s_cbranch_execz .LBB398_130
; %bb.129:
	v_lshlrev_b64 v[63:64], 2, v[3:4]
	s_delay_alu instid0(VALU_DEP_1) | instskip(NEXT) | instid1(VALU_DEP_2)
	v_add_co_u32 v63, vcc_lo, s0, v63
	v_add_co_ci_u32_e32 v64, vcc_lo, s1, v64, vcc_lo
	global_store_b32 v[63:64], v42, off
.LBB398_130:
	s_or_b32 exec_lo, exec_lo, s8
	v_cmp_lt_u64_e32 vcc_lo, v[5:6], v[29:30]
	;; [unrolled: 19-line block ×13, first 2 shown]
	s_or_b32 s9, s11, vcc_lo
	s_delay_alu instid0(SALU_CYCLE_1)
	s_and_saveexec_b32 s8, s9
	s_cbranch_execz .LBB398_166
; %bb.164:
	v_and_b32_e32 v2, 1, v53
	s_delay_alu instid0(VALU_DEP_1)
	v_cmp_eq_u32_e32 vcc_lo, 1, v2
	s_and_b32 exec_lo, exec_lo, vcc_lo
	s_cbranch_execz .LBB398_166
; %bb.165:
	v_lshlrev_b64 v[28:29], 2, v[27:28]
	s_delay_alu instid0(VALU_DEP_1) | instskip(NEXT) | instid1(VALU_DEP_2)
	v_add_co_u32 v28, vcc_lo, s0, v28
	v_add_co_ci_u32_e32 v29, vcc_lo, s1, v29, vcc_lo
	global_store_b32 v[28:29], v50, off
.LBB398_166:
	s_or_b32 exec_lo, exec_lo, s8
	s_branch .LBB398_122
.LBB398_167:
	v_and_b32_e32 v2, 1, v59
	s_mov_b32 s0, exec_lo
	s_delay_alu instid0(VALU_DEP_1)
	v_cmpx_eq_u32_e32 1, v2
	s_cbranch_execz .LBB398_169
; %bb.168:
	v_sub_nc_u32_e32 v1, v1, v47
	s_delay_alu instid0(VALU_DEP_1)
	v_lshlrev_b32_e32 v1, 2, v1
	ds_store_b32 v1, v41
.LBB398_169:
	s_or_b32 exec_lo, exec_lo, s0
	v_and_b32_e32 v1, 1, v62
	s_mov_b32 s0, exec_lo
	s_delay_alu instid0(VALU_DEP_1)
	v_cmpx_eq_u32_e32 1, v1
	s_cbranch_execz .LBB398_171
; %bb.170:
	v_sub_nc_u32_e32 v1, v3, v47
	s_delay_alu instid0(VALU_DEP_1)
	v_lshlrev_b32_e32 v1, 2, v1
	ds_store_b32 v1, v42
.LBB398_171:
	s_or_b32 exec_lo, exec_lo, s0
	;; [unrolled: 12-line block ×14, first 2 shown]
	v_mov_b32_e32 v3, 0
	s_mov_b32 s1, exec_lo
	s_waitcnt lgkmcnt(0)
	s_waitcnt_vscnt null, 0x0
	s_barrier
	buffer_gl0_inv
	v_mov_b32_e32 v1, v3
	s_delay_alu instid0(VALU_DEP_1)
	v_cmpx_gt_u64_e64 v[45:46], v[0:1]
	s_cbranch_execz .LBB398_198
; %bb.196:
	v_lshlrev_b64 v[4:5], 2, v[47:48]
	s_lshl_b64 s[8:9], s[2:3], 2
	v_or_b32_e32 v2, 0x80, v0
	s_delay_alu instid0(VALU_DEP_2) | instskip(NEXT) | instid1(VALU_DEP_3)
	v_add_co_u32 v4, vcc_lo, s6, v4
	v_add_co_ci_u32_e32 v5, vcc_lo, s7, v5, vcc_lo
	s_mov_b32 s6, 0
	s_delay_alu instid0(VALU_DEP_2) | instskip(NEXT) | instid1(VALU_DEP_2)
	v_add_co_u32 v6, vcc_lo, v4, s8
	v_add_co_ci_u32_e32 v7, vcc_lo, s9, v5, vcc_lo
	v_dual_mov_b32 v5, v1 :: v_dual_mov_b32 v4, v0
	.p2align	6
.LBB398_197:                            ; =>This Inner Loop Header: Depth=1
	s_delay_alu instid0(VALU_DEP_1) | instskip(NEXT) | instid1(VALU_DEP_2)
	v_lshlrev_b32_e32 v1, 2, v4
	v_lshlrev_b64 v[8:9], 2, v[4:5]
	v_dual_mov_b32 v5, v3 :: v_dual_mov_b32 v4, v2
	v_cmp_le_u64_e32 vcc_lo, v[45:46], v[2:3]
	v_add_nc_u32_e32 v2, 0x80, v2
	ds_load_b32 v1, v1
	v_add_co_u32 v8, s0, v6, v8
	s_delay_alu instid0(VALU_DEP_1)
	v_add_co_ci_u32_e64 v9, s0, v7, v9, s0
	s_or_b32 s6, vcc_lo, s6
	s_waitcnt lgkmcnt(0)
	global_store_b32 v[8:9], v1, off
	s_and_not1_b32 exec_lo, exec_lo, s6
	s_cbranch_execnz .LBB398_197
.LBB398_198:
	s_or_b32 exec_lo, exec_lo, s1
	v_cmp_eq_u32_e32 vcc_lo, 0, v0
	s_and_b32 s0, vcc_lo, s10
	s_delay_alu instid0(SALU_CYCLE_1)
	s_and_saveexec_b32 s1, s0
	s_cbranch_execz .LBB398_123
.LBB398_199:
	v_add_co_u32 v0, vcc_lo, v47, v45
	v_add_co_ci_u32_e32 v1, vcc_lo, v48, v46, vcc_lo
	v_mov_b32_e32 v2, 0
	s_delay_alu instid0(VALU_DEP_3) | instskip(NEXT) | instid1(VALU_DEP_3)
	v_add_co_u32 v0, vcc_lo, v0, s2
	v_add_co_ci_u32_e32 v1, vcc_lo, s3, v1, vcc_lo
	global_store_b64 v2, v[0:1], s[4:5]
	s_nop 0
	s_sendmsg sendmsg(MSG_DEALLOC_VGPRS)
	s_endpgm
	.section	.rodata,"a",@progbits
	.p2align	6, 0x0
	.amdhsa_kernel _ZN7rocprim17ROCPRIM_400000_NS6detail17trampoline_kernelINS0_14default_configENS1_25partition_config_selectorILNS1_17partition_subalgoE6EiNS0_10empty_typeEbEEZZNS1_14partition_implILS5_6ELb0ES3_mN6thrust23THRUST_200600_302600_NS6detail15normal_iteratorINSA_10device_ptrIiEEEEPS6_SG_NS0_5tupleIJSF_S6_EEENSH_IJSG_SG_EEES6_PlJ7is_evenIiEEEE10hipError_tPvRmT3_T4_T5_T6_T7_T9_mT8_P12ihipStream_tbDpT10_ENKUlT_T0_E_clISt17integral_constantIbLb0EES16_EEDaS11_S12_EUlS11_E_NS1_11comp_targetILNS1_3genE9ELNS1_11target_archE1100ELNS1_3gpuE3ELNS1_3repE0EEENS1_30default_config_static_selectorELNS0_4arch9wavefront6targetE0EEEvT1_
		.amdhsa_group_segment_fixed_size 7184
		.amdhsa_private_segment_fixed_size 0
		.amdhsa_kernarg_size 112
		.amdhsa_user_sgpr_count 15
		.amdhsa_user_sgpr_dispatch_ptr 0
		.amdhsa_user_sgpr_queue_ptr 0
		.amdhsa_user_sgpr_kernarg_segment_ptr 1
		.amdhsa_user_sgpr_dispatch_id 0
		.amdhsa_user_sgpr_private_segment_size 0
		.amdhsa_wavefront_size32 1
		.amdhsa_uses_dynamic_stack 0
		.amdhsa_enable_private_segment 0
		.amdhsa_system_sgpr_workgroup_id_x 1
		.amdhsa_system_sgpr_workgroup_id_y 0
		.amdhsa_system_sgpr_workgroup_id_z 0
		.amdhsa_system_sgpr_workgroup_info 0
		.amdhsa_system_vgpr_workitem_id 0
		.amdhsa_next_free_vgpr 74
		.amdhsa_next_free_sgpr 18
		.amdhsa_reserve_vcc 1
		.amdhsa_float_round_mode_32 0
		.amdhsa_float_round_mode_16_64 0
		.amdhsa_float_denorm_mode_32 3
		.amdhsa_float_denorm_mode_16_64 3
		.amdhsa_dx10_clamp 1
		.amdhsa_ieee_mode 1
		.amdhsa_fp16_overflow 0
		.amdhsa_workgroup_processor_mode 1
		.amdhsa_memory_ordered 1
		.amdhsa_forward_progress 0
		.amdhsa_shared_vgpr_count 0
		.amdhsa_exception_fp_ieee_invalid_op 0
		.amdhsa_exception_fp_denorm_src 0
		.amdhsa_exception_fp_ieee_div_zero 0
		.amdhsa_exception_fp_ieee_overflow 0
		.amdhsa_exception_fp_ieee_underflow 0
		.amdhsa_exception_fp_ieee_inexact 0
		.amdhsa_exception_int_div_zero 0
	.end_amdhsa_kernel
	.section	.text._ZN7rocprim17ROCPRIM_400000_NS6detail17trampoline_kernelINS0_14default_configENS1_25partition_config_selectorILNS1_17partition_subalgoE6EiNS0_10empty_typeEbEEZZNS1_14partition_implILS5_6ELb0ES3_mN6thrust23THRUST_200600_302600_NS6detail15normal_iteratorINSA_10device_ptrIiEEEEPS6_SG_NS0_5tupleIJSF_S6_EEENSH_IJSG_SG_EEES6_PlJ7is_evenIiEEEE10hipError_tPvRmT3_T4_T5_T6_T7_T9_mT8_P12ihipStream_tbDpT10_ENKUlT_T0_E_clISt17integral_constantIbLb0EES16_EEDaS11_S12_EUlS11_E_NS1_11comp_targetILNS1_3genE9ELNS1_11target_archE1100ELNS1_3gpuE3ELNS1_3repE0EEENS1_30default_config_static_selectorELNS0_4arch9wavefront6targetE0EEEvT1_,"axG",@progbits,_ZN7rocprim17ROCPRIM_400000_NS6detail17trampoline_kernelINS0_14default_configENS1_25partition_config_selectorILNS1_17partition_subalgoE6EiNS0_10empty_typeEbEEZZNS1_14partition_implILS5_6ELb0ES3_mN6thrust23THRUST_200600_302600_NS6detail15normal_iteratorINSA_10device_ptrIiEEEEPS6_SG_NS0_5tupleIJSF_S6_EEENSH_IJSG_SG_EEES6_PlJ7is_evenIiEEEE10hipError_tPvRmT3_T4_T5_T6_T7_T9_mT8_P12ihipStream_tbDpT10_ENKUlT_T0_E_clISt17integral_constantIbLb0EES16_EEDaS11_S12_EUlS11_E_NS1_11comp_targetILNS1_3genE9ELNS1_11target_archE1100ELNS1_3gpuE3ELNS1_3repE0EEENS1_30default_config_static_selectorELNS0_4arch9wavefront6targetE0EEEvT1_,comdat
.Lfunc_end398:
	.size	_ZN7rocprim17ROCPRIM_400000_NS6detail17trampoline_kernelINS0_14default_configENS1_25partition_config_selectorILNS1_17partition_subalgoE6EiNS0_10empty_typeEbEEZZNS1_14partition_implILS5_6ELb0ES3_mN6thrust23THRUST_200600_302600_NS6detail15normal_iteratorINSA_10device_ptrIiEEEEPS6_SG_NS0_5tupleIJSF_S6_EEENSH_IJSG_SG_EEES6_PlJ7is_evenIiEEEE10hipError_tPvRmT3_T4_T5_T6_T7_T9_mT8_P12ihipStream_tbDpT10_ENKUlT_T0_E_clISt17integral_constantIbLb0EES16_EEDaS11_S12_EUlS11_E_NS1_11comp_targetILNS1_3genE9ELNS1_11target_archE1100ELNS1_3gpuE3ELNS1_3repE0EEENS1_30default_config_static_selectorELNS0_4arch9wavefront6targetE0EEEvT1_, .Lfunc_end398-_ZN7rocprim17ROCPRIM_400000_NS6detail17trampoline_kernelINS0_14default_configENS1_25partition_config_selectorILNS1_17partition_subalgoE6EiNS0_10empty_typeEbEEZZNS1_14partition_implILS5_6ELb0ES3_mN6thrust23THRUST_200600_302600_NS6detail15normal_iteratorINSA_10device_ptrIiEEEEPS6_SG_NS0_5tupleIJSF_S6_EEENSH_IJSG_SG_EEES6_PlJ7is_evenIiEEEE10hipError_tPvRmT3_T4_T5_T6_T7_T9_mT8_P12ihipStream_tbDpT10_ENKUlT_T0_E_clISt17integral_constantIbLb0EES16_EEDaS11_S12_EUlS11_E_NS1_11comp_targetILNS1_3genE9ELNS1_11target_archE1100ELNS1_3gpuE3ELNS1_3repE0EEENS1_30default_config_static_selectorELNS0_4arch9wavefront6targetE0EEEvT1_
                                        ; -- End function
	.section	.AMDGPU.csdata,"",@progbits
; Kernel info:
; codeLenInByte = 8524
; NumSgprs: 20
; NumVgprs: 74
; ScratchSize: 0
; MemoryBound: 0
; FloatMode: 240
; IeeeMode: 1
; LDSByteSize: 7184 bytes/workgroup (compile time only)
; SGPRBlocks: 2
; VGPRBlocks: 9
; NumSGPRsForWavesPerEU: 20
; NumVGPRsForWavesPerEU: 74
; Occupancy: 16
; WaveLimiterHint : 1
; COMPUTE_PGM_RSRC2:SCRATCH_EN: 0
; COMPUTE_PGM_RSRC2:USER_SGPR: 15
; COMPUTE_PGM_RSRC2:TRAP_HANDLER: 0
; COMPUTE_PGM_RSRC2:TGID_X_EN: 1
; COMPUTE_PGM_RSRC2:TGID_Y_EN: 0
; COMPUTE_PGM_RSRC2:TGID_Z_EN: 0
; COMPUTE_PGM_RSRC2:TIDIG_COMP_CNT: 0
	.section	.text._ZN7rocprim17ROCPRIM_400000_NS6detail17trampoline_kernelINS0_14default_configENS1_25partition_config_selectorILNS1_17partition_subalgoE6EiNS0_10empty_typeEbEEZZNS1_14partition_implILS5_6ELb0ES3_mN6thrust23THRUST_200600_302600_NS6detail15normal_iteratorINSA_10device_ptrIiEEEEPS6_SG_NS0_5tupleIJSF_S6_EEENSH_IJSG_SG_EEES6_PlJ7is_evenIiEEEE10hipError_tPvRmT3_T4_T5_T6_T7_T9_mT8_P12ihipStream_tbDpT10_ENKUlT_T0_E_clISt17integral_constantIbLb0EES16_EEDaS11_S12_EUlS11_E_NS1_11comp_targetILNS1_3genE8ELNS1_11target_archE1030ELNS1_3gpuE2ELNS1_3repE0EEENS1_30default_config_static_selectorELNS0_4arch9wavefront6targetE0EEEvT1_,"axG",@progbits,_ZN7rocprim17ROCPRIM_400000_NS6detail17trampoline_kernelINS0_14default_configENS1_25partition_config_selectorILNS1_17partition_subalgoE6EiNS0_10empty_typeEbEEZZNS1_14partition_implILS5_6ELb0ES3_mN6thrust23THRUST_200600_302600_NS6detail15normal_iteratorINSA_10device_ptrIiEEEEPS6_SG_NS0_5tupleIJSF_S6_EEENSH_IJSG_SG_EEES6_PlJ7is_evenIiEEEE10hipError_tPvRmT3_T4_T5_T6_T7_T9_mT8_P12ihipStream_tbDpT10_ENKUlT_T0_E_clISt17integral_constantIbLb0EES16_EEDaS11_S12_EUlS11_E_NS1_11comp_targetILNS1_3genE8ELNS1_11target_archE1030ELNS1_3gpuE2ELNS1_3repE0EEENS1_30default_config_static_selectorELNS0_4arch9wavefront6targetE0EEEvT1_,comdat
	.protected	_ZN7rocprim17ROCPRIM_400000_NS6detail17trampoline_kernelINS0_14default_configENS1_25partition_config_selectorILNS1_17partition_subalgoE6EiNS0_10empty_typeEbEEZZNS1_14partition_implILS5_6ELb0ES3_mN6thrust23THRUST_200600_302600_NS6detail15normal_iteratorINSA_10device_ptrIiEEEEPS6_SG_NS0_5tupleIJSF_S6_EEENSH_IJSG_SG_EEES6_PlJ7is_evenIiEEEE10hipError_tPvRmT3_T4_T5_T6_T7_T9_mT8_P12ihipStream_tbDpT10_ENKUlT_T0_E_clISt17integral_constantIbLb0EES16_EEDaS11_S12_EUlS11_E_NS1_11comp_targetILNS1_3genE8ELNS1_11target_archE1030ELNS1_3gpuE2ELNS1_3repE0EEENS1_30default_config_static_selectorELNS0_4arch9wavefront6targetE0EEEvT1_ ; -- Begin function _ZN7rocprim17ROCPRIM_400000_NS6detail17trampoline_kernelINS0_14default_configENS1_25partition_config_selectorILNS1_17partition_subalgoE6EiNS0_10empty_typeEbEEZZNS1_14partition_implILS5_6ELb0ES3_mN6thrust23THRUST_200600_302600_NS6detail15normal_iteratorINSA_10device_ptrIiEEEEPS6_SG_NS0_5tupleIJSF_S6_EEENSH_IJSG_SG_EEES6_PlJ7is_evenIiEEEE10hipError_tPvRmT3_T4_T5_T6_T7_T9_mT8_P12ihipStream_tbDpT10_ENKUlT_T0_E_clISt17integral_constantIbLb0EES16_EEDaS11_S12_EUlS11_E_NS1_11comp_targetILNS1_3genE8ELNS1_11target_archE1030ELNS1_3gpuE2ELNS1_3repE0EEENS1_30default_config_static_selectorELNS0_4arch9wavefront6targetE0EEEvT1_
	.globl	_ZN7rocprim17ROCPRIM_400000_NS6detail17trampoline_kernelINS0_14default_configENS1_25partition_config_selectorILNS1_17partition_subalgoE6EiNS0_10empty_typeEbEEZZNS1_14partition_implILS5_6ELb0ES3_mN6thrust23THRUST_200600_302600_NS6detail15normal_iteratorINSA_10device_ptrIiEEEEPS6_SG_NS0_5tupleIJSF_S6_EEENSH_IJSG_SG_EEES6_PlJ7is_evenIiEEEE10hipError_tPvRmT3_T4_T5_T6_T7_T9_mT8_P12ihipStream_tbDpT10_ENKUlT_T0_E_clISt17integral_constantIbLb0EES16_EEDaS11_S12_EUlS11_E_NS1_11comp_targetILNS1_3genE8ELNS1_11target_archE1030ELNS1_3gpuE2ELNS1_3repE0EEENS1_30default_config_static_selectorELNS0_4arch9wavefront6targetE0EEEvT1_
	.p2align	8
	.type	_ZN7rocprim17ROCPRIM_400000_NS6detail17trampoline_kernelINS0_14default_configENS1_25partition_config_selectorILNS1_17partition_subalgoE6EiNS0_10empty_typeEbEEZZNS1_14partition_implILS5_6ELb0ES3_mN6thrust23THRUST_200600_302600_NS6detail15normal_iteratorINSA_10device_ptrIiEEEEPS6_SG_NS0_5tupleIJSF_S6_EEENSH_IJSG_SG_EEES6_PlJ7is_evenIiEEEE10hipError_tPvRmT3_T4_T5_T6_T7_T9_mT8_P12ihipStream_tbDpT10_ENKUlT_T0_E_clISt17integral_constantIbLb0EES16_EEDaS11_S12_EUlS11_E_NS1_11comp_targetILNS1_3genE8ELNS1_11target_archE1030ELNS1_3gpuE2ELNS1_3repE0EEENS1_30default_config_static_selectorELNS0_4arch9wavefront6targetE0EEEvT1_,@function
_ZN7rocprim17ROCPRIM_400000_NS6detail17trampoline_kernelINS0_14default_configENS1_25partition_config_selectorILNS1_17partition_subalgoE6EiNS0_10empty_typeEbEEZZNS1_14partition_implILS5_6ELb0ES3_mN6thrust23THRUST_200600_302600_NS6detail15normal_iteratorINSA_10device_ptrIiEEEEPS6_SG_NS0_5tupleIJSF_S6_EEENSH_IJSG_SG_EEES6_PlJ7is_evenIiEEEE10hipError_tPvRmT3_T4_T5_T6_T7_T9_mT8_P12ihipStream_tbDpT10_ENKUlT_T0_E_clISt17integral_constantIbLb0EES16_EEDaS11_S12_EUlS11_E_NS1_11comp_targetILNS1_3genE8ELNS1_11target_archE1030ELNS1_3gpuE2ELNS1_3repE0EEENS1_30default_config_static_selectorELNS0_4arch9wavefront6targetE0EEEvT1_: ; @_ZN7rocprim17ROCPRIM_400000_NS6detail17trampoline_kernelINS0_14default_configENS1_25partition_config_selectorILNS1_17partition_subalgoE6EiNS0_10empty_typeEbEEZZNS1_14partition_implILS5_6ELb0ES3_mN6thrust23THRUST_200600_302600_NS6detail15normal_iteratorINSA_10device_ptrIiEEEEPS6_SG_NS0_5tupleIJSF_S6_EEENSH_IJSG_SG_EEES6_PlJ7is_evenIiEEEE10hipError_tPvRmT3_T4_T5_T6_T7_T9_mT8_P12ihipStream_tbDpT10_ENKUlT_T0_E_clISt17integral_constantIbLb0EES16_EEDaS11_S12_EUlS11_E_NS1_11comp_targetILNS1_3genE8ELNS1_11target_archE1030ELNS1_3gpuE2ELNS1_3repE0EEENS1_30default_config_static_selectorELNS0_4arch9wavefront6targetE0EEEvT1_
; %bb.0:
	.section	.rodata,"a",@progbits
	.p2align	6, 0x0
	.amdhsa_kernel _ZN7rocprim17ROCPRIM_400000_NS6detail17trampoline_kernelINS0_14default_configENS1_25partition_config_selectorILNS1_17partition_subalgoE6EiNS0_10empty_typeEbEEZZNS1_14partition_implILS5_6ELb0ES3_mN6thrust23THRUST_200600_302600_NS6detail15normal_iteratorINSA_10device_ptrIiEEEEPS6_SG_NS0_5tupleIJSF_S6_EEENSH_IJSG_SG_EEES6_PlJ7is_evenIiEEEE10hipError_tPvRmT3_T4_T5_T6_T7_T9_mT8_P12ihipStream_tbDpT10_ENKUlT_T0_E_clISt17integral_constantIbLb0EES16_EEDaS11_S12_EUlS11_E_NS1_11comp_targetILNS1_3genE8ELNS1_11target_archE1030ELNS1_3gpuE2ELNS1_3repE0EEENS1_30default_config_static_selectorELNS0_4arch9wavefront6targetE0EEEvT1_
		.amdhsa_group_segment_fixed_size 0
		.amdhsa_private_segment_fixed_size 0
		.amdhsa_kernarg_size 112
		.amdhsa_user_sgpr_count 15
		.amdhsa_user_sgpr_dispatch_ptr 0
		.amdhsa_user_sgpr_queue_ptr 0
		.amdhsa_user_sgpr_kernarg_segment_ptr 1
		.amdhsa_user_sgpr_dispatch_id 0
		.amdhsa_user_sgpr_private_segment_size 0
		.amdhsa_wavefront_size32 1
		.amdhsa_uses_dynamic_stack 0
		.amdhsa_enable_private_segment 0
		.amdhsa_system_sgpr_workgroup_id_x 1
		.amdhsa_system_sgpr_workgroup_id_y 0
		.amdhsa_system_sgpr_workgroup_id_z 0
		.amdhsa_system_sgpr_workgroup_info 0
		.amdhsa_system_vgpr_workitem_id 0
		.amdhsa_next_free_vgpr 1
		.amdhsa_next_free_sgpr 1
		.amdhsa_reserve_vcc 0
		.amdhsa_float_round_mode_32 0
		.amdhsa_float_round_mode_16_64 0
		.amdhsa_float_denorm_mode_32 3
		.amdhsa_float_denorm_mode_16_64 3
		.amdhsa_dx10_clamp 1
		.amdhsa_ieee_mode 1
		.amdhsa_fp16_overflow 0
		.amdhsa_workgroup_processor_mode 1
		.amdhsa_memory_ordered 1
		.amdhsa_forward_progress 0
		.amdhsa_shared_vgpr_count 0
		.amdhsa_exception_fp_ieee_invalid_op 0
		.amdhsa_exception_fp_denorm_src 0
		.amdhsa_exception_fp_ieee_div_zero 0
		.amdhsa_exception_fp_ieee_overflow 0
		.amdhsa_exception_fp_ieee_underflow 0
		.amdhsa_exception_fp_ieee_inexact 0
		.amdhsa_exception_int_div_zero 0
	.end_amdhsa_kernel
	.section	.text._ZN7rocprim17ROCPRIM_400000_NS6detail17trampoline_kernelINS0_14default_configENS1_25partition_config_selectorILNS1_17partition_subalgoE6EiNS0_10empty_typeEbEEZZNS1_14partition_implILS5_6ELb0ES3_mN6thrust23THRUST_200600_302600_NS6detail15normal_iteratorINSA_10device_ptrIiEEEEPS6_SG_NS0_5tupleIJSF_S6_EEENSH_IJSG_SG_EEES6_PlJ7is_evenIiEEEE10hipError_tPvRmT3_T4_T5_T6_T7_T9_mT8_P12ihipStream_tbDpT10_ENKUlT_T0_E_clISt17integral_constantIbLb0EES16_EEDaS11_S12_EUlS11_E_NS1_11comp_targetILNS1_3genE8ELNS1_11target_archE1030ELNS1_3gpuE2ELNS1_3repE0EEENS1_30default_config_static_selectorELNS0_4arch9wavefront6targetE0EEEvT1_,"axG",@progbits,_ZN7rocprim17ROCPRIM_400000_NS6detail17trampoline_kernelINS0_14default_configENS1_25partition_config_selectorILNS1_17partition_subalgoE6EiNS0_10empty_typeEbEEZZNS1_14partition_implILS5_6ELb0ES3_mN6thrust23THRUST_200600_302600_NS6detail15normal_iteratorINSA_10device_ptrIiEEEEPS6_SG_NS0_5tupleIJSF_S6_EEENSH_IJSG_SG_EEES6_PlJ7is_evenIiEEEE10hipError_tPvRmT3_T4_T5_T6_T7_T9_mT8_P12ihipStream_tbDpT10_ENKUlT_T0_E_clISt17integral_constantIbLb0EES16_EEDaS11_S12_EUlS11_E_NS1_11comp_targetILNS1_3genE8ELNS1_11target_archE1030ELNS1_3gpuE2ELNS1_3repE0EEENS1_30default_config_static_selectorELNS0_4arch9wavefront6targetE0EEEvT1_,comdat
.Lfunc_end399:
	.size	_ZN7rocprim17ROCPRIM_400000_NS6detail17trampoline_kernelINS0_14default_configENS1_25partition_config_selectorILNS1_17partition_subalgoE6EiNS0_10empty_typeEbEEZZNS1_14partition_implILS5_6ELb0ES3_mN6thrust23THRUST_200600_302600_NS6detail15normal_iteratorINSA_10device_ptrIiEEEEPS6_SG_NS0_5tupleIJSF_S6_EEENSH_IJSG_SG_EEES6_PlJ7is_evenIiEEEE10hipError_tPvRmT3_T4_T5_T6_T7_T9_mT8_P12ihipStream_tbDpT10_ENKUlT_T0_E_clISt17integral_constantIbLb0EES16_EEDaS11_S12_EUlS11_E_NS1_11comp_targetILNS1_3genE8ELNS1_11target_archE1030ELNS1_3gpuE2ELNS1_3repE0EEENS1_30default_config_static_selectorELNS0_4arch9wavefront6targetE0EEEvT1_, .Lfunc_end399-_ZN7rocprim17ROCPRIM_400000_NS6detail17trampoline_kernelINS0_14default_configENS1_25partition_config_selectorILNS1_17partition_subalgoE6EiNS0_10empty_typeEbEEZZNS1_14partition_implILS5_6ELb0ES3_mN6thrust23THRUST_200600_302600_NS6detail15normal_iteratorINSA_10device_ptrIiEEEEPS6_SG_NS0_5tupleIJSF_S6_EEENSH_IJSG_SG_EEES6_PlJ7is_evenIiEEEE10hipError_tPvRmT3_T4_T5_T6_T7_T9_mT8_P12ihipStream_tbDpT10_ENKUlT_T0_E_clISt17integral_constantIbLb0EES16_EEDaS11_S12_EUlS11_E_NS1_11comp_targetILNS1_3genE8ELNS1_11target_archE1030ELNS1_3gpuE2ELNS1_3repE0EEENS1_30default_config_static_selectorELNS0_4arch9wavefront6targetE0EEEvT1_
                                        ; -- End function
	.section	.AMDGPU.csdata,"",@progbits
; Kernel info:
; codeLenInByte = 0
; NumSgprs: 0
; NumVgprs: 0
; ScratchSize: 0
; MemoryBound: 0
; FloatMode: 240
; IeeeMode: 1
; LDSByteSize: 0 bytes/workgroup (compile time only)
; SGPRBlocks: 0
; VGPRBlocks: 0
; NumSGPRsForWavesPerEU: 1
; NumVGPRsForWavesPerEU: 1
; Occupancy: 16
; WaveLimiterHint : 0
; COMPUTE_PGM_RSRC2:SCRATCH_EN: 0
; COMPUTE_PGM_RSRC2:USER_SGPR: 15
; COMPUTE_PGM_RSRC2:TRAP_HANDLER: 0
; COMPUTE_PGM_RSRC2:TGID_X_EN: 1
; COMPUTE_PGM_RSRC2:TGID_Y_EN: 0
; COMPUTE_PGM_RSRC2:TGID_Z_EN: 0
; COMPUTE_PGM_RSRC2:TIDIG_COMP_CNT: 0
	.section	.text._ZN7rocprim17ROCPRIM_400000_NS6detail17trampoline_kernelINS0_14default_configENS1_25partition_config_selectorILNS1_17partition_subalgoE6EiNS0_10empty_typeEbEEZZNS1_14partition_implILS5_6ELb0ES3_mN6thrust23THRUST_200600_302600_NS6detail15normal_iteratorINSA_10device_ptrIiEEEEPS6_SG_NS0_5tupleIJSF_S6_EEENSH_IJSG_SG_EEES6_PlJ7is_evenIiEEEE10hipError_tPvRmT3_T4_T5_T6_T7_T9_mT8_P12ihipStream_tbDpT10_ENKUlT_T0_E_clISt17integral_constantIbLb1EES16_EEDaS11_S12_EUlS11_E_NS1_11comp_targetILNS1_3genE0ELNS1_11target_archE4294967295ELNS1_3gpuE0ELNS1_3repE0EEENS1_30default_config_static_selectorELNS0_4arch9wavefront6targetE0EEEvT1_,"axG",@progbits,_ZN7rocprim17ROCPRIM_400000_NS6detail17trampoline_kernelINS0_14default_configENS1_25partition_config_selectorILNS1_17partition_subalgoE6EiNS0_10empty_typeEbEEZZNS1_14partition_implILS5_6ELb0ES3_mN6thrust23THRUST_200600_302600_NS6detail15normal_iteratorINSA_10device_ptrIiEEEEPS6_SG_NS0_5tupleIJSF_S6_EEENSH_IJSG_SG_EEES6_PlJ7is_evenIiEEEE10hipError_tPvRmT3_T4_T5_T6_T7_T9_mT8_P12ihipStream_tbDpT10_ENKUlT_T0_E_clISt17integral_constantIbLb1EES16_EEDaS11_S12_EUlS11_E_NS1_11comp_targetILNS1_3genE0ELNS1_11target_archE4294967295ELNS1_3gpuE0ELNS1_3repE0EEENS1_30default_config_static_selectorELNS0_4arch9wavefront6targetE0EEEvT1_,comdat
	.protected	_ZN7rocprim17ROCPRIM_400000_NS6detail17trampoline_kernelINS0_14default_configENS1_25partition_config_selectorILNS1_17partition_subalgoE6EiNS0_10empty_typeEbEEZZNS1_14partition_implILS5_6ELb0ES3_mN6thrust23THRUST_200600_302600_NS6detail15normal_iteratorINSA_10device_ptrIiEEEEPS6_SG_NS0_5tupleIJSF_S6_EEENSH_IJSG_SG_EEES6_PlJ7is_evenIiEEEE10hipError_tPvRmT3_T4_T5_T6_T7_T9_mT8_P12ihipStream_tbDpT10_ENKUlT_T0_E_clISt17integral_constantIbLb1EES16_EEDaS11_S12_EUlS11_E_NS1_11comp_targetILNS1_3genE0ELNS1_11target_archE4294967295ELNS1_3gpuE0ELNS1_3repE0EEENS1_30default_config_static_selectorELNS0_4arch9wavefront6targetE0EEEvT1_ ; -- Begin function _ZN7rocprim17ROCPRIM_400000_NS6detail17trampoline_kernelINS0_14default_configENS1_25partition_config_selectorILNS1_17partition_subalgoE6EiNS0_10empty_typeEbEEZZNS1_14partition_implILS5_6ELb0ES3_mN6thrust23THRUST_200600_302600_NS6detail15normal_iteratorINSA_10device_ptrIiEEEEPS6_SG_NS0_5tupleIJSF_S6_EEENSH_IJSG_SG_EEES6_PlJ7is_evenIiEEEE10hipError_tPvRmT3_T4_T5_T6_T7_T9_mT8_P12ihipStream_tbDpT10_ENKUlT_T0_E_clISt17integral_constantIbLb1EES16_EEDaS11_S12_EUlS11_E_NS1_11comp_targetILNS1_3genE0ELNS1_11target_archE4294967295ELNS1_3gpuE0ELNS1_3repE0EEENS1_30default_config_static_selectorELNS0_4arch9wavefront6targetE0EEEvT1_
	.globl	_ZN7rocprim17ROCPRIM_400000_NS6detail17trampoline_kernelINS0_14default_configENS1_25partition_config_selectorILNS1_17partition_subalgoE6EiNS0_10empty_typeEbEEZZNS1_14partition_implILS5_6ELb0ES3_mN6thrust23THRUST_200600_302600_NS6detail15normal_iteratorINSA_10device_ptrIiEEEEPS6_SG_NS0_5tupleIJSF_S6_EEENSH_IJSG_SG_EEES6_PlJ7is_evenIiEEEE10hipError_tPvRmT3_T4_T5_T6_T7_T9_mT8_P12ihipStream_tbDpT10_ENKUlT_T0_E_clISt17integral_constantIbLb1EES16_EEDaS11_S12_EUlS11_E_NS1_11comp_targetILNS1_3genE0ELNS1_11target_archE4294967295ELNS1_3gpuE0ELNS1_3repE0EEENS1_30default_config_static_selectorELNS0_4arch9wavefront6targetE0EEEvT1_
	.p2align	8
	.type	_ZN7rocprim17ROCPRIM_400000_NS6detail17trampoline_kernelINS0_14default_configENS1_25partition_config_selectorILNS1_17partition_subalgoE6EiNS0_10empty_typeEbEEZZNS1_14partition_implILS5_6ELb0ES3_mN6thrust23THRUST_200600_302600_NS6detail15normal_iteratorINSA_10device_ptrIiEEEEPS6_SG_NS0_5tupleIJSF_S6_EEENSH_IJSG_SG_EEES6_PlJ7is_evenIiEEEE10hipError_tPvRmT3_T4_T5_T6_T7_T9_mT8_P12ihipStream_tbDpT10_ENKUlT_T0_E_clISt17integral_constantIbLb1EES16_EEDaS11_S12_EUlS11_E_NS1_11comp_targetILNS1_3genE0ELNS1_11target_archE4294967295ELNS1_3gpuE0ELNS1_3repE0EEENS1_30default_config_static_selectorELNS0_4arch9wavefront6targetE0EEEvT1_,@function
_ZN7rocprim17ROCPRIM_400000_NS6detail17trampoline_kernelINS0_14default_configENS1_25partition_config_selectorILNS1_17partition_subalgoE6EiNS0_10empty_typeEbEEZZNS1_14partition_implILS5_6ELb0ES3_mN6thrust23THRUST_200600_302600_NS6detail15normal_iteratorINSA_10device_ptrIiEEEEPS6_SG_NS0_5tupleIJSF_S6_EEENSH_IJSG_SG_EEES6_PlJ7is_evenIiEEEE10hipError_tPvRmT3_T4_T5_T6_T7_T9_mT8_P12ihipStream_tbDpT10_ENKUlT_T0_E_clISt17integral_constantIbLb1EES16_EEDaS11_S12_EUlS11_E_NS1_11comp_targetILNS1_3genE0ELNS1_11target_archE4294967295ELNS1_3gpuE0ELNS1_3repE0EEENS1_30default_config_static_selectorELNS0_4arch9wavefront6targetE0EEEvT1_: ; @_ZN7rocprim17ROCPRIM_400000_NS6detail17trampoline_kernelINS0_14default_configENS1_25partition_config_selectorILNS1_17partition_subalgoE6EiNS0_10empty_typeEbEEZZNS1_14partition_implILS5_6ELb0ES3_mN6thrust23THRUST_200600_302600_NS6detail15normal_iteratorINSA_10device_ptrIiEEEEPS6_SG_NS0_5tupleIJSF_S6_EEENSH_IJSG_SG_EEES6_PlJ7is_evenIiEEEE10hipError_tPvRmT3_T4_T5_T6_T7_T9_mT8_P12ihipStream_tbDpT10_ENKUlT_T0_E_clISt17integral_constantIbLb1EES16_EEDaS11_S12_EUlS11_E_NS1_11comp_targetILNS1_3genE0ELNS1_11target_archE4294967295ELNS1_3gpuE0ELNS1_3repE0EEENS1_30default_config_static_selectorELNS0_4arch9wavefront6targetE0EEEvT1_
; %bb.0:
	.section	.rodata,"a",@progbits
	.p2align	6, 0x0
	.amdhsa_kernel _ZN7rocprim17ROCPRIM_400000_NS6detail17trampoline_kernelINS0_14default_configENS1_25partition_config_selectorILNS1_17partition_subalgoE6EiNS0_10empty_typeEbEEZZNS1_14partition_implILS5_6ELb0ES3_mN6thrust23THRUST_200600_302600_NS6detail15normal_iteratorINSA_10device_ptrIiEEEEPS6_SG_NS0_5tupleIJSF_S6_EEENSH_IJSG_SG_EEES6_PlJ7is_evenIiEEEE10hipError_tPvRmT3_T4_T5_T6_T7_T9_mT8_P12ihipStream_tbDpT10_ENKUlT_T0_E_clISt17integral_constantIbLb1EES16_EEDaS11_S12_EUlS11_E_NS1_11comp_targetILNS1_3genE0ELNS1_11target_archE4294967295ELNS1_3gpuE0ELNS1_3repE0EEENS1_30default_config_static_selectorELNS0_4arch9wavefront6targetE0EEEvT1_
		.amdhsa_group_segment_fixed_size 0
		.amdhsa_private_segment_fixed_size 0
		.amdhsa_kernarg_size 128
		.amdhsa_user_sgpr_count 15
		.amdhsa_user_sgpr_dispatch_ptr 0
		.amdhsa_user_sgpr_queue_ptr 0
		.amdhsa_user_sgpr_kernarg_segment_ptr 1
		.amdhsa_user_sgpr_dispatch_id 0
		.amdhsa_user_sgpr_private_segment_size 0
		.amdhsa_wavefront_size32 1
		.amdhsa_uses_dynamic_stack 0
		.amdhsa_enable_private_segment 0
		.amdhsa_system_sgpr_workgroup_id_x 1
		.amdhsa_system_sgpr_workgroup_id_y 0
		.amdhsa_system_sgpr_workgroup_id_z 0
		.amdhsa_system_sgpr_workgroup_info 0
		.amdhsa_system_vgpr_workitem_id 0
		.amdhsa_next_free_vgpr 1
		.amdhsa_next_free_sgpr 1
		.amdhsa_reserve_vcc 0
		.amdhsa_float_round_mode_32 0
		.amdhsa_float_round_mode_16_64 0
		.amdhsa_float_denorm_mode_32 3
		.amdhsa_float_denorm_mode_16_64 3
		.amdhsa_dx10_clamp 1
		.amdhsa_ieee_mode 1
		.amdhsa_fp16_overflow 0
		.amdhsa_workgroup_processor_mode 1
		.amdhsa_memory_ordered 1
		.amdhsa_forward_progress 0
		.amdhsa_shared_vgpr_count 0
		.amdhsa_exception_fp_ieee_invalid_op 0
		.amdhsa_exception_fp_denorm_src 0
		.amdhsa_exception_fp_ieee_div_zero 0
		.amdhsa_exception_fp_ieee_overflow 0
		.amdhsa_exception_fp_ieee_underflow 0
		.amdhsa_exception_fp_ieee_inexact 0
		.amdhsa_exception_int_div_zero 0
	.end_amdhsa_kernel
	.section	.text._ZN7rocprim17ROCPRIM_400000_NS6detail17trampoline_kernelINS0_14default_configENS1_25partition_config_selectorILNS1_17partition_subalgoE6EiNS0_10empty_typeEbEEZZNS1_14partition_implILS5_6ELb0ES3_mN6thrust23THRUST_200600_302600_NS6detail15normal_iteratorINSA_10device_ptrIiEEEEPS6_SG_NS0_5tupleIJSF_S6_EEENSH_IJSG_SG_EEES6_PlJ7is_evenIiEEEE10hipError_tPvRmT3_T4_T5_T6_T7_T9_mT8_P12ihipStream_tbDpT10_ENKUlT_T0_E_clISt17integral_constantIbLb1EES16_EEDaS11_S12_EUlS11_E_NS1_11comp_targetILNS1_3genE0ELNS1_11target_archE4294967295ELNS1_3gpuE0ELNS1_3repE0EEENS1_30default_config_static_selectorELNS0_4arch9wavefront6targetE0EEEvT1_,"axG",@progbits,_ZN7rocprim17ROCPRIM_400000_NS6detail17trampoline_kernelINS0_14default_configENS1_25partition_config_selectorILNS1_17partition_subalgoE6EiNS0_10empty_typeEbEEZZNS1_14partition_implILS5_6ELb0ES3_mN6thrust23THRUST_200600_302600_NS6detail15normal_iteratorINSA_10device_ptrIiEEEEPS6_SG_NS0_5tupleIJSF_S6_EEENSH_IJSG_SG_EEES6_PlJ7is_evenIiEEEE10hipError_tPvRmT3_T4_T5_T6_T7_T9_mT8_P12ihipStream_tbDpT10_ENKUlT_T0_E_clISt17integral_constantIbLb1EES16_EEDaS11_S12_EUlS11_E_NS1_11comp_targetILNS1_3genE0ELNS1_11target_archE4294967295ELNS1_3gpuE0ELNS1_3repE0EEENS1_30default_config_static_selectorELNS0_4arch9wavefront6targetE0EEEvT1_,comdat
.Lfunc_end400:
	.size	_ZN7rocprim17ROCPRIM_400000_NS6detail17trampoline_kernelINS0_14default_configENS1_25partition_config_selectorILNS1_17partition_subalgoE6EiNS0_10empty_typeEbEEZZNS1_14partition_implILS5_6ELb0ES3_mN6thrust23THRUST_200600_302600_NS6detail15normal_iteratorINSA_10device_ptrIiEEEEPS6_SG_NS0_5tupleIJSF_S6_EEENSH_IJSG_SG_EEES6_PlJ7is_evenIiEEEE10hipError_tPvRmT3_T4_T5_T6_T7_T9_mT8_P12ihipStream_tbDpT10_ENKUlT_T0_E_clISt17integral_constantIbLb1EES16_EEDaS11_S12_EUlS11_E_NS1_11comp_targetILNS1_3genE0ELNS1_11target_archE4294967295ELNS1_3gpuE0ELNS1_3repE0EEENS1_30default_config_static_selectorELNS0_4arch9wavefront6targetE0EEEvT1_, .Lfunc_end400-_ZN7rocprim17ROCPRIM_400000_NS6detail17trampoline_kernelINS0_14default_configENS1_25partition_config_selectorILNS1_17partition_subalgoE6EiNS0_10empty_typeEbEEZZNS1_14partition_implILS5_6ELb0ES3_mN6thrust23THRUST_200600_302600_NS6detail15normal_iteratorINSA_10device_ptrIiEEEEPS6_SG_NS0_5tupleIJSF_S6_EEENSH_IJSG_SG_EEES6_PlJ7is_evenIiEEEE10hipError_tPvRmT3_T4_T5_T6_T7_T9_mT8_P12ihipStream_tbDpT10_ENKUlT_T0_E_clISt17integral_constantIbLb1EES16_EEDaS11_S12_EUlS11_E_NS1_11comp_targetILNS1_3genE0ELNS1_11target_archE4294967295ELNS1_3gpuE0ELNS1_3repE0EEENS1_30default_config_static_selectorELNS0_4arch9wavefront6targetE0EEEvT1_
                                        ; -- End function
	.section	.AMDGPU.csdata,"",@progbits
; Kernel info:
; codeLenInByte = 0
; NumSgprs: 0
; NumVgprs: 0
; ScratchSize: 0
; MemoryBound: 0
; FloatMode: 240
; IeeeMode: 1
; LDSByteSize: 0 bytes/workgroup (compile time only)
; SGPRBlocks: 0
; VGPRBlocks: 0
; NumSGPRsForWavesPerEU: 1
; NumVGPRsForWavesPerEU: 1
; Occupancy: 16
; WaveLimiterHint : 0
; COMPUTE_PGM_RSRC2:SCRATCH_EN: 0
; COMPUTE_PGM_RSRC2:USER_SGPR: 15
; COMPUTE_PGM_RSRC2:TRAP_HANDLER: 0
; COMPUTE_PGM_RSRC2:TGID_X_EN: 1
; COMPUTE_PGM_RSRC2:TGID_Y_EN: 0
; COMPUTE_PGM_RSRC2:TGID_Z_EN: 0
; COMPUTE_PGM_RSRC2:TIDIG_COMP_CNT: 0
	.section	.text._ZN7rocprim17ROCPRIM_400000_NS6detail17trampoline_kernelINS0_14default_configENS1_25partition_config_selectorILNS1_17partition_subalgoE6EiNS0_10empty_typeEbEEZZNS1_14partition_implILS5_6ELb0ES3_mN6thrust23THRUST_200600_302600_NS6detail15normal_iteratorINSA_10device_ptrIiEEEEPS6_SG_NS0_5tupleIJSF_S6_EEENSH_IJSG_SG_EEES6_PlJ7is_evenIiEEEE10hipError_tPvRmT3_T4_T5_T6_T7_T9_mT8_P12ihipStream_tbDpT10_ENKUlT_T0_E_clISt17integral_constantIbLb1EES16_EEDaS11_S12_EUlS11_E_NS1_11comp_targetILNS1_3genE5ELNS1_11target_archE942ELNS1_3gpuE9ELNS1_3repE0EEENS1_30default_config_static_selectorELNS0_4arch9wavefront6targetE0EEEvT1_,"axG",@progbits,_ZN7rocprim17ROCPRIM_400000_NS6detail17trampoline_kernelINS0_14default_configENS1_25partition_config_selectorILNS1_17partition_subalgoE6EiNS0_10empty_typeEbEEZZNS1_14partition_implILS5_6ELb0ES3_mN6thrust23THRUST_200600_302600_NS6detail15normal_iteratorINSA_10device_ptrIiEEEEPS6_SG_NS0_5tupleIJSF_S6_EEENSH_IJSG_SG_EEES6_PlJ7is_evenIiEEEE10hipError_tPvRmT3_T4_T5_T6_T7_T9_mT8_P12ihipStream_tbDpT10_ENKUlT_T0_E_clISt17integral_constantIbLb1EES16_EEDaS11_S12_EUlS11_E_NS1_11comp_targetILNS1_3genE5ELNS1_11target_archE942ELNS1_3gpuE9ELNS1_3repE0EEENS1_30default_config_static_selectorELNS0_4arch9wavefront6targetE0EEEvT1_,comdat
	.protected	_ZN7rocprim17ROCPRIM_400000_NS6detail17trampoline_kernelINS0_14default_configENS1_25partition_config_selectorILNS1_17partition_subalgoE6EiNS0_10empty_typeEbEEZZNS1_14partition_implILS5_6ELb0ES3_mN6thrust23THRUST_200600_302600_NS6detail15normal_iteratorINSA_10device_ptrIiEEEEPS6_SG_NS0_5tupleIJSF_S6_EEENSH_IJSG_SG_EEES6_PlJ7is_evenIiEEEE10hipError_tPvRmT3_T4_T5_T6_T7_T9_mT8_P12ihipStream_tbDpT10_ENKUlT_T0_E_clISt17integral_constantIbLb1EES16_EEDaS11_S12_EUlS11_E_NS1_11comp_targetILNS1_3genE5ELNS1_11target_archE942ELNS1_3gpuE9ELNS1_3repE0EEENS1_30default_config_static_selectorELNS0_4arch9wavefront6targetE0EEEvT1_ ; -- Begin function _ZN7rocprim17ROCPRIM_400000_NS6detail17trampoline_kernelINS0_14default_configENS1_25partition_config_selectorILNS1_17partition_subalgoE6EiNS0_10empty_typeEbEEZZNS1_14partition_implILS5_6ELb0ES3_mN6thrust23THRUST_200600_302600_NS6detail15normal_iteratorINSA_10device_ptrIiEEEEPS6_SG_NS0_5tupleIJSF_S6_EEENSH_IJSG_SG_EEES6_PlJ7is_evenIiEEEE10hipError_tPvRmT3_T4_T5_T6_T7_T9_mT8_P12ihipStream_tbDpT10_ENKUlT_T0_E_clISt17integral_constantIbLb1EES16_EEDaS11_S12_EUlS11_E_NS1_11comp_targetILNS1_3genE5ELNS1_11target_archE942ELNS1_3gpuE9ELNS1_3repE0EEENS1_30default_config_static_selectorELNS0_4arch9wavefront6targetE0EEEvT1_
	.globl	_ZN7rocprim17ROCPRIM_400000_NS6detail17trampoline_kernelINS0_14default_configENS1_25partition_config_selectorILNS1_17partition_subalgoE6EiNS0_10empty_typeEbEEZZNS1_14partition_implILS5_6ELb0ES3_mN6thrust23THRUST_200600_302600_NS6detail15normal_iteratorINSA_10device_ptrIiEEEEPS6_SG_NS0_5tupleIJSF_S6_EEENSH_IJSG_SG_EEES6_PlJ7is_evenIiEEEE10hipError_tPvRmT3_T4_T5_T6_T7_T9_mT8_P12ihipStream_tbDpT10_ENKUlT_T0_E_clISt17integral_constantIbLb1EES16_EEDaS11_S12_EUlS11_E_NS1_11comp_targetILNS1_3genE5ELNS1_11target_archE942ELNS1_3gpuE9ELNS1_3repE0EEENS1_30default_config_static_selectorELNS0_4arch9wavefront6targetE0EEEvT1_
	.p2align	8
	.type	_ZN7rocprim17ROCPRIM_400000_NS6detail17trampoline_kernelINS0_14default_configENS1_25partition_config_selectorILNS1_17partition_subalgoE6EiNS0_10empty_typeEbEEZZNS1_14partition_implILS5_6ELb0ES3_mN6thrust23THRUST_200600_302600_NS6detail15normal_iteratorINSA_10device_ptrIiEEEEPS6_SG_NS0_5tupleIJSF_S6_EEENSH_IJSG_SG_EEES6_PlJ7is_evenIiEEEE10hipError_tPvRmT3_T4_T5_T6_T7_T9_mT8_P12ihipStream_tbDpT10_ENKUlT_T0_E_clISt17integral_constantIbLb1EES16_EEDaS11_S12_EUlS11_E_NS1_11comp_targetILNS1_3genE5ELNS1_11target_archE942ELNS1_3gpuE9ELNS1_3repE0EEENS1_30default_config_static_selectorELNS0_4arch9wavefront6targetE0EEEvT1_,@function
_ZN7rocprim17ROCPRIM_400000_NS6detail17trampoline_kernelINS0_14default_configENS1_25partition_config_selectorILNS1_17partition_subalgoE6EiNS0_10empty_typeEbEEZZNS1_14partition_implILS5_6ELb0ES3_mN6thrust23THRUST_200600_302600_NS6detail15normal_iteratorINSA_10device_ptrIiEEEEPS6_SG_NS0_5tupleIJSF_S6_EEENSH_IJSG_SG_EEES6_PlJ7is_evenIiEEEE10hipError_tPvRmT3_T4_T5_T6_T7_T9_mT8_P12ihipStream_tbDpT10_ENKUlT_T0_E_clISt17integral_constantIbLb1EES16_EEDaS11_S12_EUlS11_E_NS1_11comp_targetILNS1_3genE5ELNS1_11target_archE942ELNS1_3gpuE9ELNS1_3repE0EEENS1_30default_config_static_selectorELNS0_4arch9wavefront6targetE0EEEvT1_: ; @_ZN7rocprim17ROCPRIM_400000_NS6detail17trampoline_kernelINS0_14default_configENS1_25partition_config_selectorILNS1_17partition_subalgoE6EiNS0_10empty_typeEbEEZZNS1_14partition_implILS5_6ELb0ES3_mN6thrust23THRUST_200600_302600_NS6detail15normal_iteratorINSA_10device_ptrIiEEEEPS6_SG_NS0_5tupleIJSF_S6_EEENSH_IJSG_SG_EEES6_PlJ7is_evenIiEEEE10hipError_tPvRmT3_T4_T5_T6_T7_T9_mT8_P12ihipStream_tbDpT10_ENKUlT_T0_E_clISt17integral_constantIbLb1EES16_EEDaS11_S12_EUlS11_E_NS1_11comp_targetILNS1_3genE5ELNS1_11target_archE942ELNS1_3gpuE9ELNS1_3repE0EEENS1_30default_config_static_selectorELNS0_4arch9wavefront6targetE0EEEvT1_
; %bb.0:
	.section	.rodata,"a",@progbits
	.p2align	6, 0x0
	.amdhsa_kernel _ZN7rocprim17ROCPRIM_400000_NS6detail17trampoline_kernelINS0_14default_configENS1_25partition_config_selectorILNS1_17partition_subalgoE6EiNS0_10empty_typeEbEEZZNS1_14partition_implILS5_6ELb0ES3_mN6thrust23THRUST_200600_302600_NS6detail15normal_iteratorINSA_10device_ptrIiEEEEPS6_SG_NS0_5tupleIJSF_S6_EEENSH_IJSG_SG_EEES6_PlJ7is_evenIiEEEE10hipError_tPvRmT3_T4_T5_T6_T7_T9_mT8_P12ihipStream_tbDpT10_ENKUlT_T0_E_clISt17integral_constantIbLb1EES16_EEDaS11_S12_EUlS11_E_NS1_11comp_targetILNS1_3genE5ELNS1_11target_archE942ELNS1_3gpuE9ELNS1_3repE0EEENS1_30default_config_static_selectorELNS0_4arch9wavefront6targetE0EEEvT1_
		.amdhsa_group_segment_fixed_size 0
		.amdhsa_private_segment_fixed_size 0
		.amdhsa_kernarg_size 128
		.amdhsa_user_sgpr_count 15
		.amdhsa_user_sgpr_dispatch_ptr 0
		.amdhsa_user_sgpr_queue_ptr 0
		.amdhsa_user_sgpr_kernarg_segment_ptr 1
		.amdhsa_user_sgpr_dispatch_id 0
		.amdhsa_user_sgpr_private_segment_size 0
		.amdhsa_wavefront_size32 1
		.amdhsa_uses_dynamic_stack 0
		.amdhsa_enable_private_segment 0
		.amdhsa_system_sgpr_workgroup_id_x 1
		.amdhsa_system_sgpr_workgroup_id_y 0
		.amdhsa_system_sgpr_workgroup_id_z 0
		.amdhsa_system_sgpr_workgroup_info 0
		.amdhsa_system_vgpr_workitem_id 0
		.amdhsa_next_free_vgpr 1
		.amdhsa_next_free_sgpr 1
		.amdhsa_reserve_vcc 0
		.amdhsa_float_round_mode_32 0
		.amdhsa_float_round_mode_16_64 0
		.amdhsa_float_denorm_mode_32 3
		.amdhsa_float_denorm_mode_16_64 3
		.amdhsa_dx10_clamp 1
		.amdhsa_ieee_mode 1
		.amdhsa_fp16_overflow 0
		.amdhsa_workgroup_processor_mode 1
		.amdhsa_memory_ordered 1
		.amdhsa_forward_progress 0
		.amdhsa_shared_vgpr_count 0
		.amdhsa_exception_fp_ieee_invalid_op 0
		.amdhsa_exception_fp_denorm_src 0
		.amdhsa_exception_fp_ieee_div_zero 0
		.amdhsa_exception_fp_ieee_overflow 0
		.amdhsa_exception_fp_ieee_underflow 0
		.amdhsa_exception_fp_ieee_inexact 0
		.amdhsa_exception_int_div_zero 0
	.end_amdhsa_kernel
	.section	.text._ZN7rocprim17ROCPRIM_400000_NS6detail17trampoline_kernelINS0_14default_configENS1_25partition_config_selectorILNS1_17partition_subalgoE6EiNS0_10empty_typeEbEEZZNS1_14partition_implILS5_6ELb0ES3_mN6thrust23THRUST_200600_302600_NS6detail15normal_iteratorINSA_10device_ptrIiEEEEPS6_SG_NS0_5tupleIJSF_S6_EEENSH_IJSG_SG_EEES6_PlJ7is_evenIiEEEE10hipError_tPvRmT3_T4_T5_T6_T7_T9_mT8_P12ihipStream_tbDpT10_ENKUlT_T0_E_clISt17integral_constantIbLb1EES16_EEDaS11_S12_EUlS11_E_NS1_11comp_targetILNS1_3genE5ELNS1_11target_archE942ELNS1_3gpuE9ELNS1_3repE0EEENS1_30default_config_static_selectorELNS0_4arch9wavefront6targetE0EEEvT1_,"axG",@progbits,_ZN7rocprim17ROCPRIM_400000_NS6detail17trampoline_kernelINS0_14default_configENS1_25partition_config_selectorILNS1_17partition_subalgoE6EiNS0_10empty_typeEbEEZZNS1_14partition_implILS5_6ELb0ES3_mN6thrust23THRUST_200600_302600_NS6detail15normal_iteratorINSA_10device_ptrIiEEEEPS6_SG_NS0_5tupleIJSF_S6_EEENSH_IJSG_SG_EEES6_PlJ7is_evenIiEEEE10hipError_tPvRmT3_T4_T5_T6_T7_T9_mT8_P12ihipStream_tbDpT10_ENKUlT_T0_E_clISt17integral_constantIbLb1EES16_EEDaS11_S12_EUlS11_E_NS1_11comp_targetILNS1_3genE5ELNS1_11target_archE942ELNS1_3gpuE9ELNS1_3repE0EEENS1_30default_config_static_selectorELNS0_4arch9wavefront6targetE0EEEvT1_,comdat
.Lfunc_end401:
	.size	_ZN7rocprim17ROCPRIM_400000_NS6detail17trampoline_kernelINS0_14default_configENS1_25partition_config_selectorILNS1_17partition_subalgoE6EiNS0_10empty_typeEbEEZZNS1_14partition_implILS5_6ELb0ES3_mN6thrust23THRUST_200600_302600_NS6detail15normal_iteratorINSA_10device_ptrIiEEEEPS6_SG_NS0_5tupleIJSF_S6_EEENSH_IJSG_SG_EEES6_PlJ7is_evenIiEEEE10hipError_tPvRmT3_T4_T5_T6_T7_T9_mT8_P12ihipStream_tbDpT10_ENKUlT_T0_E_clISt17integral_constantIbLb1EES16_EEDaS11_S12_EUlS11_E_NS1_11comp_targetILNS1_3genE5ELNS1_11target_archE942ELNS1_3gpuE9ELNS1_3repE0EEENS1_30default_config_static_selectorELNS0_4arch9wavefront6targetE0EEEvT1_, .Lfunc_end401-_ZN7rocprim17ROCPRIM_400000_NS6detail17trampoline_kernelINS0_14default_configENS1_25partition_config_selectorILNS1_17partition_subalgoE6EiNS0_10empty_typeEbEEZZNS1_14partition_implILS5_6ELb0ES3_mN6thrust23THRUST_200600_302600_NS6detail15normal_iteratorINSA_10device_ptrIiEEEEPS6_SG_NS0_5tupleIJSF_S6_EEENSH_IJSG_SG_EEES6_PlJ7is_evenIiEEEE10hipError_tPvRmT3_T4_T5_T6_T7_T9_mT8_P12ihipStream_tbDpT10_ENKUlT_T0_E_clISt17integral_constantIbLb1EES16_EEDaS11_S12_EUlS11_E_NS1_11comp_targetILNS1_3genE5ELNS1_11target_archE942ELNS1_3gpuE9ELNS1_3repE0EEENS1_30default_config_static_selectorELNS0_4arch9wavefront6targetE0EEEvT1_
                                        ; -- End function
	.section	.AMDGPU.csdata,"",@progbits
; Kernel info:
; codeLenInByte = 0
; NumSgprs: 0
; NumVgprs: 0
; ScratchSize: 0
; MemoryBound: 0
; FloatMode: 240
; IeeeMode: 1
; LDSByteSize: 0 bytes/workgroup (compile time only)
; SGPRBlocks: 0
; VGPRBlocks: 0
; NumSGPRsForWavesPerEU: 1
; NumVGPRsForWavesPerEU: 1
; Occupancy: 16
; WaveLimiterHint : 0
; COMPUTE_PGM_RSRC2:SCRATCH_EN: 0
; COMPUTE_PGM_RSRC2:USER_SGPR: 15
; COMPUTE_PGM_RSRC2:TRAP_HANDLER: 0
; COMPUTE_PGM_RSRC2:TGID_X_EN: 1
; COMPUTE_PGM_RSRC2:TGID_Y_EN: 0
; COMPUTE_PGM_RSRC2:TGID_Z_EN: 0
; COMPUTE_PGM_RSRC2:TIDIG_COMP_CNT: 0
	.section	.text._ZN7rocprim17ROCPRIM_400000_NS6detail17trampoline_kernelINS0_14default_configENS1_25partition_config_selectorILNS1_17partition_subalgoE6EiNS0_10empty_typeEbEEZZNS1_14partition_implILS5_6ELb0ES3_mN6thrust23THRUST_200600_302600_NS6detail15normal_iteratorINSA_10device_ptrIiEEEEPS6_SG_NS0_5tupleIJSF_S6_EEENSH_IJSG_SG_EEES6_PlJ7is_evenIiEEEE10hipError_tPvRmT3_T4_T5_T6_T7_T9_mT8_P12ihipStream_tbDpT10_ENKUlT_T0_E_clISt17integral_constantIbLb1EES16_EEDaS11_S12_EUlS11_E_NS1_11comp_targetILNS1_3genE4ELNS1_11target_archE910ELNS1_3gpuE8ELNS1_3repE0EEENS1_30default_config_static_selectorELNS0_4arch9wavefront6targetE0EEEvT1_,"axG",@progbits,_ZN7rocprim17ROCPRIM_400000_NS6detail17trampoline_kernelINS0_14default_configENS1_25partition_config_selectorILNS1_17partition_subalgoE6EiNS0_10empty_typeEbEEZZNS1_14partition_implILS5_6ELb0ES3_mN6thrust23THRUST_200600_302600_NS6detail15normal_iteratorINSA_10device_ptrIiEEEEPS6_SG_NS0_5tupleIJSF_S6_EEENSH_IJSG_SG_EEES6_PlJ7is_evenIiEEEE10hipError_tPvRmT3_T4_T5_T6_T7_T9_mT8_P12ihipStream_tbDpT10_ENKUlT_T0_E_clISt17integral_constantIbLb1EES16_EEDaS11_S12_EUlS11_E_NS1_11comp_targetILNS1_3genE4ELNS1_11target_archE910ELNS1_3gpuE8ELNS1_3repE0EEENS1_30default_config_static_selectorELNS0_4arch9wavefront6targetE0EEEvT1_,comdat
	.protected	_ZN7rocprim17ROCPRIM_400000_NS6detail17trampoline_kernelINS0_14default_configENS1_25partition_config_selectorILNS1_17partition_subalgoE6EiNS0_10empty_typeEbEEZZNS1_14partition_implILS5_6ELb0ES3_mN6thrust23THRUST_200600_302600_NS6detail15normal_iteratorINSA_10device_ptrIiEEEEPS6_SG_NS0_5tupleIJSF_S6_EEENSH_IJSG_SG_EEES6_PlJ7is_evenIiEEEE10hipError_tPvRmT3_T4_T5_T6_T7_T9_mT8_P12ihipStream_tbDpT10_ENKUlT_T0_E_clISt17integral_constantIbLb1EES16_EEDaS11_S12_EUlS11_E_NS1_11comp_targetILNS1_3genE4ELNS1_11target_archE910ELNS1_3gpuE8ELNS1_3repE0EEENS1_30default_config_static_selectorELNS0_4arch9wavefront6targetE0EEEvT1_ ; -- Begin function _ZN7rocprim17ROCPRIM_400000_NS6detail17trampoline_kernelINS0_14default_configENS1_25partition_config_selectorILNS1_17partition_subalgoE6EiNS0_10empty_typeEbEEZZNS1_14partition_implILS5_6ELb0ES3_mN6thrust23THRUST_200600_302600_NS6detail15normal_iteratorINSA_10device_ptrIiEEEEPS6_SG_NS0_5tupleIJSF_S6_EEENSH_IJSG_SG_EEES6_PlJ7is_evenIiEEEE10hipError_tPvRmT3_T4_T5_T6_T7_T9_mT8_P12ihipStream_tbDpT10_ENKUlT_T0_E_clISt17integral_constantIbLb1EES16_EEDaS11_S12_EUlS11_E_NS1_11comp_targetILNS1_3genE4ELNS1_11target_archE910ELNS1_3gpuE8ELNS1_3repE0EEENS1_30default_config_static_selectorELNS0_4arch9wavefront6targetE0EEEvT1_
	.globl	_ZN7rocprim17ROCPRIM_400000_NS6detail17trampoline_kernelINS0_14default_configENS1_25partition_config_selectorILNS1_17partition_subalgoE6EiNS0_10empty_typeEbEEZZNS1_14partition_implILS5_6ELb0ES3_mN6thrust23THRUST_200600_302600_NS6detail15normal_iteratorINSA_10device_ptrIiEEEEPS6_SG_NS0_5tupleIJSF_S6_EEENSH_IJSG_SG_EEES6_PlJ7is_evenIiEEEE10hipError_tPvRmT3_T4_T5_T6_T7_T9_mT8_P12ihipStream_tbDpT10_ENKUlT_T0_E_clISt17integral_constantIbLb1EES16_EEDaS11_S12_EUlS11_E_NS1_11comp_targetILNS1_3genE4ELNS1_11target_archE910ELNS1_3gpuE8ELNS1_3repE0EEENS1_30default_config_static_selectorELNS0_4arch9wavefront6targetE0EEEvT1_
	.p2align	8
	.type	_ZN7rocprim17ROCPRIM_400000_NS6detail17trampoline_kernelINS0_14default_configENS1_25partition_config_selectorILNS1_17partition_subalgoE6EiNS0_10empty_typeEbEEZZNS1_14partition_implILS5_6ELb0ES3_mN6thrust23THRUST_200600_302600_NS6detail15normal_iteratorINSA_10device_ptrIiEEEEPS6_SG_NS0_5tupleIJSF_S6_EEENSH_IJSG_SG_EEES6_PlJ7is_evenIiEEEE10hipError_tPvRmT3_T4_T5_T6_T7_T9_mT8_P12ihipStream_tbDpT10_ENKUlT_T0_E_clISt17integral_constantIbLb1EES16_EEDaS11_S12_EUlS11_E_NS1_11comp_targetILNS1_3genE4ELNS1_11target_archE910ELNS1_3gpuE8ELNS1_3repE0EEENS1_30default_config_static_selectorELNS0_4arch9wavefront6targetE0EEEvT1_,@function
_ZN7rocprim17ROCPRIM_400000_NS6detail17trampoline_kernelINS0_14default_configENS1_25partition_config_selectorILNS1_17partition_subalgoE6EiNS0_10empty_typeEbEEZZNS1_14partition_implILS5_6ELb0ES3_mN6thrust23THRUST_200600_302600_NS6detail15normal_iteratorINSA_10device_ptrIiEEEEPS6_SG_NS0_5tupleIJSF_S6_EEENSH_IJSG_SG_EEES6_PlJ7is_evenIiEEEE10hipError_tPvRmT3_T4_T5_T6_T7_T9_mT8_P12ihipStream_tbDpT10_ENKUlT_T0_E_clISt17integral_constantIbLb1EES16_EEDaS11_S12_EUlS11_E_NS1_11comp_targetILNS1_3genE4ELNS1_11target_archE910ELNS1_3gpuE8ELNS1_3repE0EEENS1_30default_config_static_selectorELNS0_4arch9wavefront6targetE0EEEvT1_: ; @_ZN7rocprim17ROCPRIM_400000_NS6detail17trampoline_kernelINS0_14default_configENS1_25partition_config_selectorILNS1_17partition_subalgoE6EiNS0_10empty_typeEbEEZZNS1_14partition_implILS5_6ELb0ES3_mN6thrust23THRUST_200600_302600_NS6detail15normal_iteratorINSA_10device_ptrIiEEEEPS6_SG_NS0_5tupleIJSF_S6_EEENSH_IJSG_SG_EEES6_PlJ7is_evenIiEEEE10hipError_tPvRmT3_T4_T5_T6_T7_T9_mT8_P12ihipStream_tbDpT10_ENKUlT_T0_E_clISt17integral_constantIbLb1EES16_EEDaS11_S12_EUlS11_E_NS1_11comp_targetILNS1_3genE4ELNS1_11target_archE910ELNS1_3gpuE8ELNS1_3repE0EEENS1_30default_config_static_selectorELNS0_4arch9wavefront6targetE0EEEvT1_
; %bb.0:
	.section	.rodata,"a",@progbits
	.p2align	6, 0x0
	.amdhsa_kernel _ZN7rocprim17ROCPRIM_400000_NS6detail17trampoline_kernelINS0_14default_configENS1_25partition_config_selectorILNS1_17partition_subalgoE6EiNS0_10empty_typeEbEEZZNS1_14partition_implILS5_6ELb0ES3_mN6thrust23THRUST_200600_302600_NS6detail15normal_iteratorINSA_10device_ptrIiEEEEPS6_SG_NS0_5tupleIJSF_S6_EEENSH_IJSG_SG_EEES6_PlJ7is_evenIiEEEE10hipError_tPvRmT3_T4_T5_T6_T7_T9_mT8_P12ihipStream_tbDpT10_ENKUlT_T0_E_clISt17integral_constantIbLb1EES16_EEDaS11_S12_EUlS11_E_NS1_11comp_targetILNS1_3genE4ELNS1_11target_archE910ELNS1_3gpuE8ELNS1_3repE0EEENS1_30default_config_static_selectorELNS0_4arch9wavefront6targetE0EEEvT1_
		.amdhsa_group_segment_fixed_size 0
		.amdhsa_private_segment_fixed_size 0
		.amdhsa_kernarg_size 128
		.amdhsa_user_sgpr_count 15
		.amdhsa_user_sgpr_dispatch_ptr 0
		.amdhsa_user_sgpr_queue_ptr 0
		.amdhsa_user_sgpr_kernarg_segment_ptr 1
		.amdhsa_user_sgpr_dispatch_id 0
		.amdhsa_user_sgpr_private_segment_size 0
		.amdhsa_wavefront_size32 1
		.amdhsa_uses_dynamic_stack 0
		.amdhsa_enable_private_segment 0
		.amdhsa_system_sgpr_workgroup_id_x 1
		.amdhsa_system_sgpr_workgroup_id_y 0
		.amdhsa_system_sgpr_workgroup_id_z 0
		.amdhsa_system_sgpr_workgroup_info 0
		.amdhsa_system_vgpr_workitem_id 0
		.amdhsa_next_free_vgpr 1
		.amdhsa_next_free_sgpr 1
		.amdhsa_reserve_vcc 0
		.amdhsa_float_round_mode_32 0
		.amdhsa_float_round_mode_16_64 0
		.amdhsa_float_denorm_mode_32 3
		.amdhsa_float_denorm_mode_16_64 3
		.amdhsa_dx10_clamp 1
		.amdhsa_ieee_mode 1
		.amdhsa_fp16_overflow 0
		.amdhsa_workgroup_processor_mode 1
		.amdhsa_memory_ordered 1
		.amdhsa_forward_progress 0
		.amdhsa_shared_vgpr_count 0
		.amdhsa_exception_fp_ieee_invalid_op 0
		.amdhsa_exception_fp_denorm_src 0
		.amdhsa_exception_fp_ieee_div_zero 0
		.amdhsa_exception_fp_ieee_overflow 0
		.amdhsa_exception_fp_ieee_underflow 0
		.amdhsa_exception_fp_ieee_inexact 0
		.amdhsa_exception_int_div_zero 0
	.end_amdhsa_kernel
	.section	.text._ZN7rocprim17ROCPRIM_400000_NS6detail17trampoline_kernelINS0_14default_configENS1_25partition_config_selectorILNS1_17partition_subalgoE6EiNS0_10empty_typeEbEEZZNS1_14partition_implILS5_6ELb0ES3_mN6thrust23THRUST_200600_302600_NS6detail15normal_iteratorINSA_10device_ptrIiEEEEPS6_SG_NS0_5tupleIJSF_S6_EEENSH_IJSG_SG_EEES6_PlJ7is_evenIiEEEE10hipError_tPvRmT3_T4_T5_T6_T7_T9_mT8_P12ihipStream_tbDpT10_ENKUlT_T0_E_clISt17integral_constantIbLb1EES16_EEDaS11_S12_EUlS11_E_NS1_11comp_targetILNS1_3genE4ELNS1_11target_archE910ELNS1_3gpuE8ELNS1_3repE0EEENS1_30default_config_static_selectorELNS0_4arch9wavefront6targetE0EEEvT1_,"axG",@progbits,_ZN7rocprim17ROCPRIM_400000_NS6detail17trampoline_kernelINS0_14default_configENS1_25partition_config_selectorILNS1_17partition_subalgoE6EiNS0_10empty_typeEbEEZZNS1_14partition_implILS5_6ELb0ES3_mN6thrust23THRUST_200600_302600_NS6detail15normal_iteratorINSA_10device_ptrIiEEEEPS6_SG_NS0_5tupleIJSF_S6_EEENSH_IJSG_SG_EEES6_PlJ7is_evenIiEEEE10hipError_tPvRmT3_T4_T5_T6_T7_T9_mT8_P12ihipStream_tbDpT10_ENKUlT_T0_E_clISt17integral_constantIbLb1EES16_EEDaS11_S12_EUlS11_E_NS1_11comp_targetILNS1_3genE4ELNS1_11target_archE910ELNS1_3gpuE8ELNS1_3repE0EEENS1_30default_config_static_selectorELNS0_4arch9wavefront6targetE0EEEvT1_,comdat
.Lfunc_end402:
	.size	_ZN7rocprim17ROCPRIM_400000_NS6detail17trampoline_kernelINS0_14default_configENS1_25partition_config_selectorILNS1_17partition_subalgoE6EiNS0_10empty_typeEbEEZZNS1_14partition_implILS5_6ELb0ES3_mN6thrust23THRUST_200600_302600_NS6detail15normal_iteratorINSA_10device_ptrIiEEEEPS6_SG_NS0_5tupleIJSF_S6_EEENSH_IJSG_SG_EEES6_PlJ7is_evenIiEEEE10hipError_tPvRmT3_T4_T5_T6_T7_T9_mT8_P12ihipStream_tbDpT10_ENKUlT_T0_E_clISt17integral_constantIbLb1EES16_EEDaS11_S12_EUlS11_E_NS1_11comp_targetILNS1_3genE4ELNS1_11target_archE910ELNS1_3gpuE8ELNS1_3repE0EEENS1_30default_config_static_selectorELNS0_4arch9wavefront6targetE0EEEvT1_, .Lfunc_end402-_ZN7rocprim17ROCPRIM_400000_NS6detail17trampoline_kernelINS0_14default_configENS1_25partition_config_selectorILNS1_17partition_subalgoE6EiNS0_10empty_typeEbEEZZNS1_14partition_implILS5_6ELb0ES3_mN6thrust23THRUST_200600_302600_NS6detail15normal_iteratorINSA_10device_ptrIiEEEEPS6_SG_NS0_5tupleIJSF_S6_EEENSH_IJSG_SG_EEES6_PlJ7is_evenIiEEEE10hipError_tPvRmT3_T4_T5_T6_T7_T9_mT8_P12ihipStream_tbDpT10_ENKUlT_T0_E_clISt17integral_constantIbLb1EES16_EEDaS11_S12_EUlS11_E_NS1_11comp_targetILNS1_3genE4ELNS1_11target_archE910ELNS1_3gpuE8ELNS1_3repE0EEENS1_30default_config_static_selectorELNS0_4arch9wavefront6targetE0EEEvT1_
                                        ; -- End function
	.section	.AMDGPU.csdata,"",@progbits
; Kernel info:
; codeLenInByte = 0
; NumSgprs: 0
; NumVgprs: 0
; ScratchSize: 0
; MemoryBound: 0
; FloatMode: 240
; IeeeMode: 1
; LDSByteSize: 0 bytes/workgroup (compile time only)
; SGPRBlocks: 0
; VGPRBlocks: 0
; NumSGPRsForWavesPerEU: 1
; NumVGPRsForWavesPerEU: 1
; Occupancy: 16
; WaveLimiterHint : 0
; COMPUTE_PGM_RSRC2:SCRATCH_EN: 0
; COMPUTE_PGM_RSRC2:USER_SGPR: 15
; COMPUTE_PGM_RSRC2:TRAP_HANDLER: 0
; COMPUTE_PGM_RSRC2:TGID_X_EN: 1
; COMPUTE_PGM_RSRC2:TGID_Y_EN: 0
; COMPUTE_PGM_RSRC2:TGID_Z_EN: 0
; COMPUTE_PGM_RSRC2:TIDIG_COMP_CNT: 0
	.section	.text._ZN7rocprim17ROCPRIM_400000_NS6detail17trampoline_kernelINS0_14default_configENS1_25partition_config_selectorILNS1_17partition_subalgoE6EiNS0_10empty_typeEbEEZZNS1_14partition_implILS5_6ELb0ES3_mN6thrust23THRUST_200600_302600_NS6detail15normal_iteratorINSA_10device_ptrIiEEEEPS6_SG_NS0_5tupleIJSF_S6_EEENSH_IJSG_SG_EEES6_PlJ7is_evenIiEEEE10hipError_tPvRmT3_T4_T5_T6_T7_T9_mT8_P12ihipStream_tbDpT10_ENKUlT_T0_E_clISt17integral_constantIbLb1EES16_EEDaS11_S12_EUlS11_E_NS1_11comp_targetILNS1_3genE3ELNS1_11target_archE908ELNS1_3gpuE7ELNS1_3repE0EEENS1_30default_config_static_selectorELNS0_4arch9wavefront6targetE0EEEvT1_,"axG",@progbits,_ZN7rocprim17ROCPRIM_400000_NS6detail17trampoline_kernelINS0_14default_configENS1_25partition_config_selectorILNS1_17partition_subalgoE6EiNS0_10empty_typeEbEEZZNS1_14partition_implILS5_6ELb0ES3_mN6thrust23THRUST_200600_302600_NS6detail15normal_iteratorINSA_10device_ptrIiEEEEPS6_SG_NS0_5tupleIJSF_S6_EEENSH_IJSG_SG_EEES6_PlJ7is_evenIiEEEE10hipError_tPvRmT3_T4_T5_T6_T7_T9_mT8_P12ihipStream_tbDpT10_ENKUlT_T0_E_clISt17integral_constantIbLb1EES16_EEDaS11_S12_EUlS11_E_NS1_11comp_targetILNS1_3genE3ELNS1_11target_archE908ELNS1_3gpuE7ELNS1_3repE0EEENS1_30default_config_static_selectorELNS0_4arch9wavefront6targetE0EEEvT1_,comdat
	.protected	_ZN7rocprim17ROCPRIM_400000_NS6detail17trampoline_kernelINS0_14default_configENS1_25partition_config_selectorILNS1_17partition_subalgoE6EiNS0_10empty_typeEbEEZZNS1_14partition_implILS5_6ELb0ES3_mN6thrust23THRUST_200600_302600_NS6detail15normal_iteratorINSA_10device_ptrIiEEEEPS6_SG_NS0_5tupleIJSF_S6_EEENSH_IJSG_SG_EEES6_PlJ7is_evenIiEEEE10hipError_tPvRmT3_T4_T5_T6_T7_T9_mT8_P12ihipStream_tbDpT10_ENKUlT_T0_E_clISt17integral_constantIbLb1EES16_EEDaS11_S12_EUlS11_E_NS1_11comp_targetILNS1_3genE3ELNS1_11target_archE908ELNS1_3gpuE7ELNS1_3repE0EEENS1_30default_config_static_selectorELNS0_4arch9wavefront6targetE0EEEvT1_ ; -- Begin function _ZN7rocprim17ROCPRIM_400000_NS6detail17trampoline_kernelINS0_14default_configENS1_25partition_config_selectorILNS1_17partition_subalgoE6EiNS0_10empty_typeEbEEZZNS1_14partition_implILS5_6ELb0ES3_mN6thrust23THRUST_200600_302600_NS6detail15normal_iteratorINSA_10device_ptrIiEEEEPS6_SG_NS0_5tupleIJSF_S6_EEENSH_IJSG_SG_EEES6_PlJ7is_evenIiEEEE10hipError_tPvRmT3_T4_T5_T6_T7_T9_mT8_P12ihipStream_tbDpT10_ENKUlT_T0_E_clISt17integral_constantIbLb1EES16_EEDaS11_S12_EUlS11_E_NS1_11comp_targetILNS1_3genE3ELNS1_11target_archE908ELNS1_3gpuE7ELNS1_3repE0EEENS1_30default_config_static_selectorELNS0_4arch9wavefront6targetE0EEEvT1_
	.globl	_ZN7rocprim17ROCPRIM_400000_NS6detail17trampoline_kernelINS0_14default_configENS1_25partition_config_selectorILNS1_17partition_subalgoE6EiNS0_10empty_typeEbEEZZNS1_14partition_implILS5_6ELb0ES3_mN6thrust23THRUST_200600_302600_NS6detail15normal_iteratorINSA_10device_ptrIiEEEEPS6_SG_NS0_5tupleIJSF_S6_EEENSH_IJSG_SG_EEES6_PlJ7is_evenIiEEEE10hipError_tPvRmT3_T4_T5_T6_T7_T9_mT8_P12ihipStream_tbDpT10_ENKUlT_T0_E_clISt17integral_constantIbLb1EES16_EEDaS11_S12_EUlS11_E_NS1_11comp_targetILNS1_3genE3ELNS1_11target_archE908ELNS1_3gpuE7ELNS1_3repE0EEENS1_30default_config_static_selectorELNS0_4arch9wavefront6targetE0EEEvT1_
	.p2align	8
	.type	_ZN7rocprim17ROCPRIM_400000_NS6detail17trampoline_kernelINS0_14default_configENS1_25partition_config_selectorILNS1_17partition_subalgoE6EiNS0_10empty_typeEbEEZZNS1_14partition_implILS5_6ELb0ES3_mN6thrust23THRUST_200600_302600_NS6detail15normal_iteratorINSA_10device_ptrIiEEEEPS6_SG_NS0_5tupleIJSF_S6_EEENSH_IJSG_SG_EEES6_PlJ7is_evenIiEEEE10hipError_tPvRmT3_T4_T5_T6_T7_T9_mT8_P12ihipStream_tbDpT10_ENKUlT_T0_E_clISt17integral_constantIbLb1EES16_EEDaS11_S12_EUlS11_E_NS1_11comp_targetILNS1_3genE3ELNS1_11target_archE908ELNS1_3gpuE7ELNS1_3repE0EEENS1_30default_config_static_selectorELNS0_4arch9wavefront6targetE0EEEvT1_,@function
_ZN7rocprim17ROCPRIM_400000_NS6detail17trampoline_kernelINS0_14default_configENS1_25partition_config_selectorILNS1_17partition_subalgoE6EiNS0_10empty_typeEbEEZZNS1_14partition_implILS5_6ELb0ES3_mN6thrust23THRUST_200600_302600_NS6detail15normal_iteratorINSA_10device_ptrIiEEEEPS6_SG_NS0_5tupleIJSF_S6_EEENSH_IJSG_SG_EEES6_PlJ7is_evenIiEEEE10hipError_tPvRmT3_T4_T5_T6_T7_T9_mT8_P12ihipStream_tbDpT10_ENKUlT_T0_E_clISt17integral_constantIbLb1EES16_EEDaS11_S12_EUlS11_E_NS1_11comp_targetILNS1_3genE3ELNS1_11target_archE908ELNS1_3gpuE7ELNS1_3repE0EEENS1_30default_config_static_selectorELNS0_4arch9wavefront6targetE0EEEvT1_: ; @_ZN7rocprim17ROCPRIM_400000_NS6detail17trampoline_kernelINS0_14default_configENS1_25partition_config_selectorILNS1_17partition_subalgoE6EiNS0_10empty_typeEbEEZZNS1_14partition_implILS5_6ELb0ES3_mN6thrust23THRUST_200600_302600_NS6detail15normal_iteratorINSA_10device_ptrIiEEEEPS6_SG_NS0_5tupleIJSF_S6_EEENSH_IJSG_SG_EEES6_PlJ7is_evenIiEEEE10hipError_tPvRmT3_T4_T5_T6_T7_T9_mT8_P12ihipStream_tbDpT10_ENKUlT_T0_E_clISt17integral_constantIbLb1EES16_EEDaS11_S12_EUlS11_E_NS1_11comp_targetILNS1_3genE3ELNS1_11target_archE908ELNS1_3gpuE7ELNS1_3repE0EEENS1_30default_config_static_selectorELNS0_4arch9wavefront6targetE0EEEvT1_
; %bb.0:
	.section	.rodata,"a",@progbits
	.p2align	6, 0x0
	.amdhsa_kernel _ZN7rocprim17ROCPRIM_400000_NS6detail17trampoline_kernelINS0_14default_configENS1_25partition_config_selectorILNS1_17partition_subalgoE6EiNS0_10empty_typeEbEEZZNS1_14partition_implILS5_6ELb0ES3_mN6thrust23THRUST_200600_302600_NS6detail15normal_iteratorINSA_10device_ptrIiEEEEPS6_SG_NS0_5tupleIJSF_S6_EEENSH_IJSG_SG_EEES6_PlJ7is_evenIiEEEE10hipError_tPvRmT3_T4_T5_T6_T7_T9_mT8_P12ihipStream_tbDpT10_ENKUlT_T0_E_clISt17integral_constantIbLb1EES16_EEDaS11_S12_EUlS11_E_NS1_11comp_targetILNS1_3genE3ELNS1_11target_archE908ELNS1_3gpuE7ELNS1_3repE0EEENS1_30default_config_static_selectorELNS0_4arch9wavefront6targetE0EEEvT1_
		.amdhsa_group_segment_fixed_size 0
		.amdhsa_private_segment_fixed_size 0
		.amdhsa_kernarg_size 128
		.amdhsa_user_sgpr_count 15
		.amdhsa_user_sgpr_dispatch_ptr 0
		.amdhsa_user_sgpr_queue_ptr 0
		.amdhsa_user_sgpr_kernarg_segment_ptr 1
		.amdhsa_user_sgpr_dispatch_id 0
		.amdhsa_user_sgpr_private_segment_size 0
		.amdhsa_wavefront_size32 1
		.amdhsa_uses_dynamic_stack 0
		.amdhsa_enable_private_segment 0
		.amdhsa_system_sgpr_workgroup_id_x 1
		.amdhsa_system_sgpr_workgroup_id_y 0
		.amdhsa_system_sgpr_workgroup_id_z 0
		.amdhsa_system_sgpr_workgroup_info 0
		.amdhsa_system_vgpr_workitem_id 0
		.amdhsa_next_free_vgpr 1
		.amdhsa_next_free_sgpr 1
		.amdhsa_reserve_vcc 0
		.amdhsa_float_round_mode_32 0
		.amdhsa_float_round_mode_16_64 0
		.amdhsa_float_denorm_mode_32 3
		.amdhsa_float_denorm_mode_16_64 3
		.amdhsa_dx10_clamp 1
		.amdhsa_ieee_mode 1
		.amdhsa_fp16_overflow 0
		.amdhsa_workgroup_processor_mode 1
		.amdhsa_memory_ordered 1
		.amdhsa_forward_progress 0
		.amdhsa_shared_vgpr_count 0
		.amdhsa_exception_fp_ieee_invalid_op 0
		.amdhsa_exception_fp_denorm_src 0
		.amdhsa_exception_fp_ieee_div_zero 0
		.amdhsa_exception_fp_ieee_overflow 0
		.amdhsa_exception_fp_ieee_underflow 0
		.amdhsa_exception_fp_ieee_inexact 0
		.amdhsa_exception_int_div_zero 0
	.end_amdhsa_kernel
	.section	.text._ZN7rocprim17ROCPRIM_400000_NS6detail17trampoline_kernelINS0_14default_configENS1_25partition_config_selectorILNS1_17partition_subalgoE6EiNS0_10empty_typeEbEEZZNS1_14partition_implILS5_6ELb0ES3_mN6thrust23THRUST_200600_302600_NS6detail15normal_iteratorINSA_10device_ptrIiEEEEPS6_SG_NS0_5tupleIJSF_S6_EEENSH_IJSG_SG_EEES6_PlJ7is_evenIiEEEE10hipError_tPvRmT3_T4_T5_T6_T7_T9_mT8_P12ihipStream_tbDpT10_ENKUlT_T0_E_clISt17integral_constantIbLb1EES16_EEDaS11_S12_EUlS11_E_NS1_11comp_targetILNS1_3genE3ELNS1_11target_archE908ELNS1_3gpuE7ELNS1_3repE0EEENS1_30default_config_static_selectorELNS0_4arch9wavefront6targetE0EEEvT1_,"axG",@progbits,_ZN7rocprim17ROCPRIM_400000_NS6detail17trampoline_kernelINS0_14default_configENS1_25partition_config_selectorILNS1_17partition_subalgoE6EiNS0_10empty_typeEbEEZZNS1_14partition_implILS5_6ELb0ES3_mN6thrust23THRUST_200600_302600_NS6detail15normal_iteratorINSA_10device_ptrIiEEEEPS6_SG_NS0_5tupleIJSF_S6_EEENSH_IJSG_SG_EEES6_PlJ7is_evenIiEEEE10hipError_tPvRmT3_T4_T5_T6_T7_T9_mT8_P12ihipStream_tbDpT10_ENKUlT_T0_E_clISt17integral_constantIbLb1EES16_EEDaS11_S12_EUlS11_E_NS1_11comp_targetILNS1_3genE3ELNS1_11target_archE908ELNS1_3gpuE7ELNS1_3repE0EEENS1_30default_config_static_selectorELNS0_4arch9wavefront6targetE0EEEvT1_,comdat
.Lfunc_end403:
	.size	_ZN7rocprim17ROCPRIM_400000_NS6detail17trampoline_kernelINS0_14default_configENS1_25partition_config_selectorILNS1_17partition_subalgoE6EiNS0_10empty_typeEbEEZZNS1_14partition_implILS5_6ELb0ES3_mN6thrust23THRUST_200600_302600_NS6detail15normal_iteratorINSA_10device_ptrIiEEEEPS6_SG_NS0_5tupleIJSF_S6_EEENSH_IJSG_SG_EEES6_PlJ7is_evenIiEEEE10hipError_tPvRmT3_T4_T5_T6_T7_T9_mT8_P12ihipStream_tbDpT10_ENKUlT_T0_E_clISt17integral_constantIbLb1EES16_EEDaS11_S12_EUlS11_E_NS1_11comp_targetILNS1_3genE3ELNS1_11target_archE908ELNS1_3gpuE7ELNS1_3repE0EEENS1_30default_config_static_selectorELNS0_4arch9wavefront6targetE0EEEvT1_, .Lfunc_end403-_ZN7rocprim17ROCPRIM_400000_NS6detail17trampoline_kernelINS0_14default_configENS1_25partition_config_selectorILNS1_17partition_subalgoE6EiNS0_10empty_typeEbEEZZNS1_14partition_implILS5_6ELb0ES3_mN6thrust23THRUST_200600_302600_NS6detail15normal_iteratorINSA_10device_ptrIiEEEEPS6_SG_NS0_5tupleIJSF_S6_EEENSH_IJSG_SG_EEES6_PlJ7is_evenIiEEEE10hipError_tPvRmT3_T4_T5_T6_T7_T9_mT8_P12ihipStream_tbDpT10_ENKUlT_T0_E_clISt17integral_constantIbLb1EES16_EEDaS11_S12_EUlS11_E_NS1_11comp_targetILNS1_3genE3ELNS1_11target_archE908ELNS1_3gpuE7ELNS1_3repE0EEENS1_30default_config_static_selectorELNS0_4arch9wavefront6targetE0EEEvT1_
                                        ; -- End function
	.section	.AMDGPU.csdata,"",@progbits
; Kernel info:
; codeLenInByte = 0
; NumSgprs: 0
; NumVgprs: 0
; ScratchSize: 0
; MemoryBound: 0
; FloatMode: 240
; IeeeMode: 1
; LDSByteSize: 0 bytes/workgroup (compile time only)
; SGPRBlocks: 0
; VGPRBlocks: 0
; NumSGPRsForWavesPerEU: 1
; NumVGPRsForWavesPerEU: 1
; Occupancy: 16
; WaveLimiterHint : 0
; COMPUTE_PGM_RSRC2:SCRATCH_EN: 0
; COMPUTE_PGM_RSRC2:USER_SGPR: 15
; COMPUTE_PGM_RSRC2:TRAP_HANDLER: 0
; COMPUTE_PGM_RSRC2:TGID_X_EN: 1
; COMPUTE_PGM_RSRC2:TGID_Y_EN: 0
; COMPUTE_PGM_RSRC2:TGID_Z_EN: 0
; COMPUTE_PGM_RSRC2:TIDIG_COMP_CNT: 0
	.section	.text._ZN7rocprim17ROCPRIM_400000_NS6detail17trampoline_kernelINS0_14default_configENS1_25partition_config_selectorILNS1_17partition_subalgoE6EiNS0_10empty_typeEbEEZZNS1_14partition_implILS5_6ELb0ES3_mN6thrust23THRUST_200600_302600_NS6detail15normal_iteratorINSA_10device_ptrIiEEEEPS6_SG_NS0_5tupleIJSF_S6_EEENSH_IJSG_SG_EEES6_PlJ7is_evenIiEEEE10hipError_tPvRmT3_T4_T5_T6_T7_T9_mT8_P12ihipStream_tbDpT10_ENKUlT_T0_E_clISt17integral_constantIbLb1EES16_EEDaS11_S12_EUlS11_E_NS1_11comp_targetILNS1_3genE2ELNS1_11target_archE906ELNS1_3gpuE6ELNS1_3repE0EEENS1_30default_config_static_selectorELNS0_4arch9wavefront6targetE0EEEvT1_,"axG",@progbits,_ZN7rocprim17ROCPRIM_400000_NS6detail17trampoline_kernelINS0_14default_configENS1_25partition_config_selectorILNS1_17partition_subalgoE6EiNS0_10empty_typeEbEEZZNS1_14partition_implILS5_6ELb0ES3_mN6thrust23THRUST_200600_302600_NS6detail15normal_iteratorINSA_10device_ptrIiEEEEPS6_SG_NS0_5tupleIJSF_S6_EEENSH_IJSG_SG_EEES6_PlJ7is_evenIiEEEE10hipError_tPvRmT3_T4_T5_T6_T7_T9_mT8_P12ihipStream_tbDpT10_ENKUlT_T0_E_clISt17integral_constantIbLb1EES16_EEDaS11_S12_EUlS11_E_NS1_11comp_targetILNS1_3genE2ELNS1_11target_archE906ELNS1_3gpuE6ELNS1_3repE0EEENS1_30default_config_static_selectorELNS0_4arch9wavefront6targetE0EEEvT1_,comdat
	.protected	_ZN7rocprim17ROCPRIM_400000_NS6detail17trampoline_kernelINS0_14default_configENS1_25partition_config_selectorILNS1_17partition_subalgoE6EiNS0_10empty_typeEbEEZZNS1_14partition_implILS5_6ELb0ES3_mN6thrust23THRUST_200600_302600_NS6detail15normal_iteratorINSA_10device_ptrIiEEEEPS6_SG_NS0_5tupleIJSF_S6_EEENSH_IJSG_SG_EEES6_PlJ7is_evenIiEEEE10hipError_tPvRmT3_T4_T5_T6_T7_T9_mT8_P12ihipStream_tbDpT10_ENKUlT_T0_E_clISt17integral_constantIbLb1EES16_EEDaS11_S12_EUlS11_E_NS1_11comp_targetILNS1_3genE2ELNS1_11target_archE906ELNS1_3gpuE6ELNS1_3repE0EEENS1_30default_config_static_selectorELNS0_4arch9wavefront6targetE0EEEvT1_ ; -- Begin function _ZN7rocprim17ROCPRIM_400000_NS6detail17trampoline_kernelINS0_14default_configENS1_25partition_config_selectorILNS1_17partition_subalgoE6EiNS0_10empty_typeEbEEZZNS1_14partition_implILS5_6ELb0ES3_mN6thrust23THRUST_200600_302600_NS6detail15normal_iteratorINSA_10device_ptrIiEEEEPS6_SG_NS0_5tupleIJSF_S6_EEENSH_IJSG_SG_EEES6_PlJ7is_evenIiEEEE10hipError_tPvRmT3_T4_T5_T6_T7_T9_mT8_P12ihipStream_tbDpT10_ENKUlT_T0_E_clISt17integral_constantIbLb1EES16_EEDaS11_S12_EUlS11_E_NS1_11comp_targetILNS1_3genE2ELNS1_11target_archE906ELNS1_3gpuE6ELNS1_3repE0EEENS1_30default_config_static_selectorELNS0_4arch9wavefront6targetE0EEEvT1_
	.globl	_ZN7rocprim17ROCPRIM_400000_NS6detail17trampoline_kernelINS0_14default_configENS1_25partition_config_selectorILNS1_17partition_subalgoE6EiNS0_10empty_typeEbEEZZNS1_14partition_implILS5_6ELb0ES3_mN6thrust23THRUST_200600_302600_NS6detail15normal_iteratorINSA_10device_ptrIiEEEEPS6_SG_NS0_5tupleIJSF_S6_EEENSH_IJSG_SG_EEES6_PlJ7is_evenIiEEEE10hipError_tPvRmT3_T4_T5_T6_T7_T9_mT8_P12ihipStream_tbDpT10_ENKUlT_T0_E_clISt17integral_constantIbLb1EES16_EEDaS11_S12_EUlS11_E_NS1_11comp_targetILNS1_3genE2ELNS1_11target_archE906ELNS1_3gpuE6ELNS1_3repE0EEENS1_30default_config_static_selectorELNS0_4arch9wavefront6targetE0EEEvT1_
	.p2align	8
	.type	_ZN7rocprim17ROCPRIM_400000_NS6detail17trampoline_kernelINS0_14default_configENS1_25partition_config_selectorILNS1_17partition_subalgoE6EiNS0_10empty_typeEbEEZZNS1_14partition_implILS5_6ELb0ES3_mN6thrust23THRUST_200600_302600_NS6detail15normal_iteratorINSA_10device_ptrIiEEEEPS6_SG_NS0_5tupleIJSF_S6_EEENSH_IJSG_SG_EEES6_PlJ7is_evenIiEEEE10hipError_tPvRmT3_T4_T5_T6_T7_T9_mT8_P12ihipStream_tbDpT10_ENKUlT_T0_E_clISt17integral_constantIbLb1EES16_EEDaS11_S12_EUlS11_E_NS1_11comp_targetILNS1_3genE2ELNS1_11target_archE906ELNS1_3gpuE6ELNS1_3repE0EEENS1_30default_config_static_selectorELNS0_4arch9wavefront6targetE0EEEvT1_,@function
_ZN7rocprim17ROCPRIM_400000_NS6detail17trampoline_kernelINS0_14default_configENS1_25partition_config_selectorILNS1_17partition_subalgoE6EiNS0_10empty_typeEbEEZZNS1_14partition_implILS5_6ELb0ES3_mN6thrust23THRUST_200600_302600_NS6detail15normal_iteratorINSA_10device_ptrIiEEEEPS6_SG_NS0_5tupleIJSF_S6_EEENSH_IJSG_SG_EEES6_PlJ7is_evenIiEEEE10hipError_tPvRmT3_T4_T5_T6_T7_T9_mT8_P12ihipStream_tbDpT10_ENKUlT_T0_E_clISt17integral_constantIbLb1EES16_EEDaS11_S12_EUlS11_E_NS1_11comp_targetILNS1_3genE2ELNS1_11target_archE906ELNS1_3gpuE6ELNS1_3repE0EEENS1_30default_config_static_selectorELNS0_4arch9wavefront6targetE0EEEvT1_: ; @_ZN7rocprim17ROCPRIM_400000_NS6detail17trampoline_kernelINS0_14default_configENS1_25partition_config_selectorILNS1_17partition_subalgoE6EiNS0_10empty_typeEbEEZZNS1_14partition_implILS5_6ELb0ES3_mN6thrust23THRUST_200600_302600_NS6detail15normal_iteratorINSA_10device_ptrIiEEEEPS6_SG_NS0_5tupleIJSF_S6_EEENSH_IJSG_SG_EEES6_PlJ7is_evenIiEEEE10hipError_tPvRmT3_T4_T5_T6_T7_T9_mT8_P12ihipStream_tbDpT10_ENKUlT_T0_E_clISt17integral_constantIbLb1EES16_EEDaS11_S12_EUlS11_E_NS1_11comp_targetILNS1_3genE2ELNS1_11target_archE906ELNS1_3gpuE6ELNS1_3repE0EEENS1_30default_config_static_selectorELNS0_4arch9wavefront6targetE0EEEvT1_
; %bb.0:
	.section	.rodata,"a",@progbits
	.p2align	6, 0x0
	.amdhsa_kernel _ZN7rocprim17ROCPRIM_400000_NS6detail17trampoline_kernelINS0_14default_configENS1_25partition_config_selectorILNS1_17partition_subalgoE6EiNS0_10empty_typeEbEEZZNS1_14partition_implILS5_6ELb0ES3_mN6thrust23THRUST_200600_302600_NS6detail15normal_iteratorINSA_10device_ptrIiEEEEPS6_SG_NS0_5tupleIJSF_S6_EEENSH_IJSG_SG_EEES6_PlJ7is_evenIiEEEE10hipError_tPvRmT3_T4_T5_T6_T7_T9_mT8_P12ihipStream_tbDpT10_ENKUlT_T0_E_clISt17integral_constantIbLb1EES16_EEDaS11_S12_EUlS11_E_NS1_11comp_targetILNS1_3genE2ELNS1_11target_archE906ELNS1_3gpuE6ELNS1_3repE0EEENS1_30default_config_static_selectorELNS0_4arch9wavefront6targetE0EEEvT1_
		.amdhsa_group_segment_fixed_size 0
		.amdhsa_private_segment_fixed_size 0
		.amdhsa_kernarg_size 128
		.amdhsa_user_sgpr_count 15
		.amdhsa_user_sgpr_dispatch_ptr 0
		.amdhsa_user_sgpr_queue_ptr 0
		.amdhsa_user_sgpr_kernarg_segment_ptr 1
		.amdhsa_user_sgpr_dispatch_id 0
		.amdhsa_user_sgpr_private_segment_size 0
		.amdhsa_wavefront_size32 1
		.amdhsa_uses_dynamic_stack 0
		.amdhsa_enable_private_segment 0
		.amdhsa_system_sgpr_workgroup_id_x 1
		.amdhsa_system_sgpr_workgroup_id_y 0
		.amdhsa_system_sgpr_workgroup_id_z 0
		.amdhsa_system_sgpr_workgroup_info 0
		.amdhsa_system_vgpr_workitem_id 0
		.amdhsa_next_free_vgpr 1
		.amdhsa_next_free_sgpr 1
		.amdhsa_reserve_vcc 0
		.amdhsa_float_round_mode_32 0
		.amdhsa_float_round_mode_16_64 0
		.amdhsa_float_denorm_mode_32 3
		.amdhsa_float_denorm_mode_16_64 3
		.amdhsa_dx10_clamp 1
		.amdhsa_ieee_mode 1
		.amdhsa_fp16_overflow 0
		.amdhsa_workgroup_processor_mode 1
		.amdhsa_memory_ordered 1
		.amdhsa_forward_progress 0
		.amdhsa_shared_vgpr_count 0
		.amdhsa_exception_fp_ieee_invalid_op 0
		.amdhsa_exception_fp_denorm_src 0
		.amdhsa_exception_fp_ieee_div_zero 0
		.amdhsa_exception_fp_ieee_overflow 0
		.amdhsa_exception_fp_ieee_underflow 0
		.amdhsa_exception_fp_ieee_inexact 0
		.amdhsa_exception_int_div_zero 0
	.end_amdhsa_kernel
	.section	.text._ZN7rocprim17ROCPRIM_400000_NS6detail17trampoline_kernelINS0_14default_configENS1_25partition_config_selectorILNS1_17partition_subalgoE6EiNS0_10empty_typeEbEEZZNS1_14partition_implILS5_6ELb0ES3_mN6thrust23THRUST_200600_302600_NS6detail15normal_iteratorINSA_10device_ptrIiEEEEPS6_SG_NS0_5tupleIJSF_S6_EEENSH_IJSG_SG_EEES6_PlJ7is_evenIiEEEE10hipError_tPvRmT3_T4_T5_T6_T7_T9_mT8_P12ihipStream_tbDpT10_ENKUlT_T0_E_clISt17integral_constantIbLb1EES16_EEDaS11_S12_EUlS11_E_NS1_11comp_targetILNS1_3genE2ELNS1_11target_archE906ELNS1_3gpuE6ELNS1_3repE0EEENS1_30default_config_static_selectorELNS0_4arch9wavefront6targetE0EEEvT1_,"axG",@progbits,_ZN7rocprim17ROCPRIM_400000_NS6detail17trampoline_kernelINS0_14default_configENS1_25partition_config_selectorILNS1_17partition_subalgoE6EiNS0_10empty_typeEbEEZZNS1_14partition_implILS5_6ELb0ES3_mN6thrust23THRUST_200600_302600_NS6detail15normal_iteratorINSA_10device_ptrIiEEEEPS6_SG_NS0_5tupleIJSF_S6_EEENSH_IJSG_SG_EEES6_PlJ7is_evenIiEEEE10hipError_tPvRmT3_T4_T5_T6_T7_T9_mT8_P12ihipStream_tbDpT10_ENKUlT_T0_E_clISt17integral_constantIbLb1EES16_EEDaS11_S12_EUlS11_E_NS1_11comp_targetILNS1_3genE2ELNS1_11target_archE906ELNS1_3gpuE6ELNS1_3repE0EEENS1_30default_config_static_selectorELNS0_4arch9wavefront6targetE0EEEvT1_,comdat
.Lfunc_end404:
	.size	_ZN7rocprim17ROCPRIM_400000_NS6detail17trampoline_kernelINS0_14default_configENS1_25partition_config_selectorILNS1_17partition_subalgoE6EiNS0_10empty_typeEbEEZZNS1_14partition_implILS5_6ELb0ES3_mN6thrust23THRUST_200600_302600_NS6detail15normal_iteratorINSA_10device_ptrIiEEEEPS6_SG_NS0_5tupleIJSF_S6_EEENSH_IJSG_SG_EEES6_PlJ7is_evenIiEEEE10hipError_tPvRmT3_T4_T5_T6_T7_T9_mT8_P12ihipStream_tbDpT10_ENKUlT_T0_E_clISt17integral_constantIbLb1EES16_EEDaS11_S12_EUlS11_E_NS1_11comp_targetILNS1_3genE2ELNS1_11target_archE906ELNS1_3gpuE6ELNS1_3repE0EEENS1_30default_config_static_selectorELNS0_4arch9wavefront6targetE0EEEvT1_, .Lfunc_end404-_ZN7rocprim17ROCPRIM_400000_NS6detail17trampoline_kernelINS0_14default_configENS1_25partition_config_selectorILNS1_17partition_subalgoE6EiNS0_10empty_typeEbEEZZNS1_14partition_implILS5_6ELb0ES3_mN6thrust23THRUST_200600_302600_NS6detail15normal_iteratorINSA_10device_ptrIiEEEEPS6_SG_NS0_5tupleIJSF_S6_EEENSH_IJSG_SG_EEES6_PlJ7is_evenIiEEEE10hipError_tPvRmT3_T4_T5_T6_T7_T9_mT8_P12ihipStream_tbDpT10_ENKUlT_T0_E_clISt17integral_constantIbLb1EES16_EEDaS11_S12_EUlS11_E_NS1_11comp_targetILNS1_3genE2ELNS1_11target_archE906ELNS1_3gpuE6ELNS1_3repE0EEENS1_30default_config_static_selectorELNS0_4arch9wavefront6targetE0EEEvT1_
                                        ; -- End function
	.section	.AMDGPU.csdata,"",@progbits
; Kernel info:
; codeLenInByte = 0
; NumSgprs: 0
; NumVgprs: 0
; ScratchSize: 0
; MemoryBound: 0
; FloatMode: 240
; IeeeMode: 1
; LDSByteSize: 0 bytes/workgroup (compile time only)
; SGPRBlocks: 0
; VGPRBlocks: 0
; NumSGPRsForWavesPerEU: 1
; NumVGPRsForWavesPerEU: 1
; Occupancy: 15
; WaveLimiterHint : 0
; COMPUTE_PGM_RSRC2:SCRATCH_EN: 0
; COMPUTE_PGM_RSRC2:USER_SGPR: 15
; COMPUTE_PGM_RSRC2:TRAP_HANDLER: 0
; COMPUTE_PGM_RSRC2:TGID_X_EN: 1
; COMPUTE_PGM_RSRC2:TGID_Y_EN: 0
; COMPUTE_PGM_RSRC2:TGID_Z_EN: 0
; COMPUTE_PGM_RSRC2:TIDIG_COMP_CNT: 0
	.section	.text._ZN7rocprim17ROCPRIM_400000_NS6detail17trampoline_kernelINS0_14default_configENS1_25partition_config_selectorILNS1_17partition_subalgoE6EiNS0_10empty_typeEbEEZZNS1_14partition_implILS5_6ELb0ES3_mN6thrust23THRUST_200600_302600_NS6detail15normal_iteratorINSA_10device_ptrIiEEEEPS6_SG_NS0_5tupleIJSF_S6_EEENSH_IJSG_SG_EEES6_PlJ7is_evenIiEEEE10hipError_tPvRmT3_T4_T5_T6_T7_T9_mT8_P12ihipStream_tbDpT10_ENKUlT_T0_E_clISt17integral_constantIbLb1EES16_EEDaS11_S12_EUlS11_E_NS1_11comp_targetILNS1_3genE10ELNS1_11target_archE1200ELNS1_3gpuE4ELNS1_3repE0EEENS1_30default_config_static_selectorELNS0_4arch9wavefront6targetE0EEEvT1_,"axG",@progbits,_ZN7rocprim17ROCPRIM_400000_NS6detail17trampoline_kernelINS0_14default_configENS1_25partition_config_selectorILNS1_17partition_subalgoE6EiNS0_10empty_typeEbEEZZNS1_14partition_implILS5_6ELb0ES3_mN6thrust23THRUST_200600_302600_NS6detail15normal_iteratorINSA_10device_ptrIiEEEEPS6_SG_NS0_5tupleIJSF_S6_EEENSH_IJSG_SG_EEES6_PlJ7is_evenIiEEEE10hipError_tPvRmT3_T4_T5_T6_T7_T9_mT8_P12ihipStream_tbDpT10_ENKUlT_T0_E_clISt17integral_constantIbLb1EES16_EEDaS11_S12_EUlS11_E_NS1_11comp_targetILNS1_3genE10ELNS1_11target_archE1200ELNS1_3gpuE4ELNS1_3repE0EEENS1_30default_config_static_selectorELNS0_4arch9wavefront6targetE0EEEvT1_,comdat
	.protected	_ZN7rocprim17ROCPRIM_400000_NS6detail17trampoline_kernelINS0_14default_configENS1_25partition_config_selectorILNS1_17partition_subalgoE6EiNS0_10empty_typeEbEEZZNS1_14partition_implILS5_6ELb0ES3_mN6thrust23THRUST_200600_302600_NS6detail15normal_iteratorINSA_10device_ptrIiEEEEPS6_SG_NS0_5tupleIJSF_S6_EEENSH_IJSG_SG_EEES6_PlJ7is_evenIiEEEE10hipError_tPvRmT3_T4_T5_T6_T7_T9_mT8_P12ihipStream_tbDpT10_ENKUlT_T0_E_clISt17integral_constantIbLb1EES16_EEDaS11_S12_EUlS11_E_NS1_11comp_targetILNS1_3genE10ELNS1_11target_archE1200ELNS1_3gpuE4ELNS1_3repE0EEENS1_30default_config_static_selectorELNS0_4arch9wavefront6targetE0EEEvT1_ ; -- Begin function _ZN7rocprim17ROCPRIM_400000_NS6detail17trampoline_kernelINS0_14default_configENS1_25partition_config_selectorILNS1_17partition_subalgoE6EiNS0_10empty_typeEbEEZZNS1_14partition_implILS5_6ELb0ES3_mN6thrust23THRUST_200600_302600_NS6detail15normal_iteratorINSA_10device_ptrIiEEEEPS6_SG_NS0_5tupleIJSF_S6_EEENSH_IJSG_SG_EEES6_PlJ7is_evenIiEEEE10hipError_tPvRmT3_T4_T5_T6_T7_T9_mT8_P12ihipStream_tbDpT10_ENKUlT_T0_E_clISt17integral_constantIbLb1EES16_EEDaS11_S12_EUlS11_E_NS1_11comp_targetILNS1_3genE10ELNS1_11target_archE1200ELNS1_3gpuE4ELNS1_3repE0EEENS1_30default_config_static_selectorELNS0_4arch9wavefront6targetE0EEEvT1_
	.globl	_ZN7rocprim17ROCPRIM_400000_NS6detail17trampoline_kernelINS0_14default_configENS1_25partition_config_selectorILNS1_17partition_subalgoE6EiNS0_10empty_typeEbEEZZNS1_14partition_implILS5_6ELb0ES3_mN6thrust23THRUST_200600_302600_NS6detail15normal_iteratorINSA_10device_ptrIiEEEEPS6_SG_NS0_5tupleIJSF_S6_EEENSH_IJSG_SG_EEES6_PlJ7is_evenIiEEEE10hipError_tPvRmT3_T4_T5_T6_T7_T9_mT8_P12ihipStream_tbDpT10_ENKUlT_T0_E_clISt17integral_constantIbLb1EES16_EEDaS11_S12_EUlS11_E_NS1_11comp_targetILNS1_3genE10ELNS1_11target_archE1200ELNS1_3gpuE4ELNS1_3repE0EEENS1_30default_config_static_selectorELNS0_4arch9wavefront6targetE0EEEvT1_
	.p2align	8
	.type	_ZN7rocprim17ROCPRIM_400000_NS6detail17trampoline_kernelINS0_14default_configENS1_25partition_config_selectorILNS1_17partition_subalgoE6EiNS0_10empty_typeEbEEZZNS1_14partition_implILS5_6ELb0ES3_mN6thrust23THRUST_200600_302600_NS6detail15normal_iteratorINSA_10device_ptrIiEEEEPS6_SG_NS0_5tupleIJSF_S6_EEENSH_IJSG_SG_EEES6_PlJ7is_evenIiEEEE10hipError_tPvRmT3_T4_T5_T6_T7_T9_mT8_P12ihipStream_tbDpT10_ENKUlT_T0_E_clISt17integral_constantIbLb1EES16_EEDaS11_S12_EUlS11_E_NS1_11comp_targetILNS1_3genE10ELNS1_11target_archE1200ELNS1_3gpuE4ELNS1_3repE0EEENS1_30default_config_static_selectorELNS0_4arch9wavefront6targetE0EEEvT1_,@function
_ZN7rocprim17ROCPRIM_400000_NS6detail17trampoline_kernelINS0_14default_configENS1_25partition_config_selectorILNS1_17partition_subalgoE6EiNS0_10empty_typeEbEEZZNS1_14partition_implILS5_6ELb0ES3_mN6thrust23THRUST_200600_302600_NS6detail15normal_iteratorINSA_10device_ptrIiEEEEPS6_SG_NS0_5tupleIJSF_S6_EEENSH_IJSG_SG_EEES6_PlJ7is_evenIiEEEE10hipError_tPvRmT3_T4_T5_T6_T7_T9_mT8_P12ihipStream_tbDpT10_ENKUlT_T0_E_clISt17integral_constantIbLb1EES16_EEDaS11_S12_EUlS11_E_NS1_11comp_targetILNS1_3genE10ELNS1_11target_archE1200ELNS1_3gpuE4ELNS1_3repE0EEENS1_30default_config_static_selectorELNS0_4arch9wavefront6targetE0EEEvT1_: ; @_ZN7rocprim17ROCPRIM_400000_NS6detail17trampoline_kernelINS0_14default_configENS1_25partition_config_selectorILNS1_17partition_subalgoE6EiNS0_10empty_typeEbEEZZNS1_14partition_implILS5_6ELb0ES3_mN6thrust23THRUST_200600_302600_NS6detail15normal_iteratorINSA_10device_ptrIiEEEEPS6_SG_NS0_5tupleIJSF_S6_EEENSH_IJSG_SG_EEES6_PlJ7is_evenIiEEEE10hipError_tPvRmT3_T4_T5_T6_T7_T9_mT8_P12ihipStream_tbDpT10_ENKUlT_T0_E_clISt17integral_constantIbLb1EES16_EEDaS11_S12_EUlS11_E_NS1_11comp_targetILNS1_3genE10ELNS1_11target_archE1200ELNS1_3gpuE4ELNS1_3repE0EEENS1_30default_config_static_selectorELNS0_4arch9wavefront6targetE0EEEvT1_
; %bb.0:
	.section	.rodata,"a",@progbits
	.p2align	6, 0x0
	.amdhsa_kernel _ZN7rocprim17ROCPRIM_400000_NS6detail17trampoline_kernelINS0_14default_configENS1_25partition_config_selectorILNS1_17partition_subalgoE6EiNS0_10empty_typeEbEEZZNS1_14partition_implILS5_6ELb0ES3_mN6thrust23THRUST_200600_302600_NS6detail15normal_iteratorINSA_10device_ptrIiEEEEPS6_SG_NS0_5tupleIJSF_S6_EEENSH_IJSG_SG_EEES6_PlJ7is_evenIiEEEE10hipError_tPvRmT3_T4_T5_T6_T7_T9_mT8_P12ihipStream_tbDpT10_ENKUlT_T0_E_clISt17integral_constantIbLb1EES16_EEDaS11_S12_EUlS11_E_NS1_11comp_targetILNS1_3genE10ELNS1_11target_archE1200ELNS1_3gpuE4ELNS1_3repE0EEENS1_30default_config_static_selectorELNS0_4arch9wavefront6targetE0EEEvT1_
		.amdhsa_group_segment_fixed_size 0
		.amdhsa_private_segment_fixed_size 0
		.amdhsa_kernarg_size 128
		.amdhsa_user_sgpr_count 15
		.amdhsa_user_sgpr_dispatch_ptr 0
		.amdhsa_user_sgpr_queue_ptr 0
		.amdhsa_user_sgpr_kernarg_segment_ptr 1
		.amdhsa_user_sgpr_dispatch_id 0
		.amdhsa_user_sgpr_private_segment_size 0
		.amdhsa_wavefront_size32 1
		.amdhsa_uses_dynamic_stack 0
		.amdhsa_enable_private_segment 0
		.amdhsa_system_sgpr_workgroup_id_x 1
		.amdhsa_system_sgpr_workgroup_id_y 0
		.amdhsa_system_sgpr_workgroup_id_z 0
		.amdhsa_system_sgpr_workgroup_info 0
		.amdhsa_system_vgpr_workitem_id 0
		.amdhsa_next_free_vgpr 1
		.amdhsa_next_free_sgpr 1
		.amdhsa_reserve_vcc 0
		.amdhsa_float_round_mode_32 0
		.amdhsa_float_round_mode_16_64 0
		.amdhsa_float_denorm_mode_32 3
		.amdhsa_float_denorm_mode_16_64 3
		.amdhsa_dx10_clamp 1
		.amdhsa_ieee_mode 1
		.amdhsa_fp16_overflow 0
		.amdhsa_workgroup_processor_mode 1
		.amdhsa_memory_ordered 1
		.amdhsa_forward_progress 0
		.amdhsa_shared_vgpr_count 0
		.amdhsa_exception_fp_ieee_invalid_op 0
		.amdhsa_exception_fp_denorm_src 0
		.amdhsa_exception_fp_ieee_div_zero 0
		.amdhsa_exception_fp_ieee_overflow 0
		.amdhsa_exception_fp_ieee_underflow 0
		.amdhsa_exception_fp_ieee_inexact 0
		.amdhsa_exception_int_div_zero 0
	.end_amdhsa_kernel
	.section	.text._ZN7rocprim17ROCPRIM_400000_NS6detail17trampoline_kernelINS0_14default_configENS1_25partition_config_selectorILNS1_17partition_subalgoE6EiNS0_10empty_typeEbEEZZNS1_14partition_implILS5_6ELb0ES3_mN6thrust23THRUST_200600_302600_NS6detail15normal_iteratorINSA_10device_ptrIiEEEEPS6_SG_NS0_5tupleIJSF_S6_EEENSH_IJSG_SG_EEES6_PlJ7is_evenIiEEEE10hipError_tPvRmT3_T4_T5_T6_T7_T9_mT8_P12ihipStream_tbDpT10_ENKUlT_T0_E_clISt17integral_constantIbLb1EES16_EEDaS11_S12_EUlS11_E_NS1_11comp_targetILNS1_3genE10ELNS1_11target_archE1200ELNS1_3gpuE4ELNS1_3repE0EEENS1_30default_config_static_selectorELNS0_4arch9wavefront6targetE0EEEvT1_,"axG",@progbits,_ZN7rocprim17ROCPRIM_400000_NS6detail17trampoline_kernelINS0_14default_configENS1_25partition_config_selectorILNS1_17partition_subalgoE6EiNS0_10empty_typeEbEEZZNS1_14partition_implILS5_6ELb0ES3_mN6thrust23THRUST_200600_302600_NS6detail15normal_iteratorINSA_10device_ptrIiEEEEPS6_SG_NS0_5tupleIJSF_S6_EEENSH_IJSG_SG_EEES6_PlJ7is_evenIiEEEE10hipError_tPvRmT3_T4_T5_T6_T7_T9_mT8_P12ihipStream_tbDpT10_ENKUlT_T0_E_clISt17integral_constantIbLb1EES16_EEDaS11_S12_EUlS11_E_NS1_11comp_targetILNS1_3genE10ELNS1_11target_archE1200ELNS1_3gpuE4ELNS1_3repE0EEENS1_30default_config_static_selectorELNS0_4arch9wavefront6targetE0EEEvT1_,comdat
.Lfunc_end405:
	.size	_ZN7rocprim17ROCPRIM_400000_NS6detail17trampoline_kernelINS0_14default_configENS1_25partition_config_selectorILNS1_17partition_subalgoE6EiNS0_10empty_typeEbEEZZNS1_14partition_implILS5_6ELb0ES3_mN6thrust23THRUST_200600_302600_NS6detail15normal_iteratorINSA_10device_ptrIiEEEEPS6_SG_NS0_5tupleIJSF_S6_EEENSH_IJSG_SG_EEES6_PlJ7is_evenIiEEEE10hipError_tPvRmT3_T4_T5_T6_T7_T9_mT8_P12ihipStream_tbDpT10_ENKUlT_T0_E_clISt17integral_constantIbLb1EES16_EEDaS11_S12_EUlS11_E_NS1_11comp_targetILNS1_3genE10ELNS1_11target_archE1200ELNS1_3gpuE4ELNS1_3repE0EEENS1_30default_config_static_selectorELNS0_4arch9wavefront6targetE0EEEvT1_, .Lfunc_end405-_ZN7rocprim17ROCPRIM_400000_NS6detail17trampoline_kernelINS0_14default_configENS1_25partition_config_selectorILNS1_17partition_subalgoE6EiNS0_10empty_typeEbEEZZNS1_14partition_implILS5_6ELb0ES3_mN6thrust23THRUST_200600_302600_NS6detail15normal_iteratorINSA_10device_ptrIiEEEEPS6_SG_NS0_5tupleIJSF_S6_EEENSH_IJSG_SG_EEES6_PlJ7is_evenIiEEEE10hipError_tPvRmT3_T4_T5_T6_T7_T9_mT8_P12ihipStream_tbDpT10_ENKUlT_T0_E_clISt17integral_constantIbLb1EES16_EEDaS11_S12_EUlS11_E_NS1_11comp_targetILNS1_3genE10ELNS1_11target_archE1200ELNS1_3gpuE4ELNS1_3repE0EEENS1_30default_config_static_selectorELNS0_4arch9wavefront6targetE0EEEvT1_
                                        ; -- End function
	.section	.AMDGPU.csdata,"",@progbits
; Kernel info:
; codeLenInByte = 0
; NumSgprs: 0
; NumVgprs: 0
; ScratchSize: 0
; MemoryBound: 0
; FloatMode: 240
; IeeeMode: 1
; LDSByteSize: 0 bytes/workgroup (compile time only)
; SGPRBlocks: 0
; VGPRBlocks: 0
; NumSGPRsForWavesPerEU: 1
; NumVGPRsForWavesPerEU: 1
; Occupancy: 15
; WaveLimiterHint : 0
; COMPUTE_PGM_RSRC2:SCRATCH_EN: 0
; COMPUTE_PGM_RSRC2:USER_SGPR: 15
; COMPUTE_PGM_RSRC2:TRAP_HANDLER: 0
; COMPUTE_PGM_RSRC2:TGID_X_EN: 1
; COMPUTE_PGM_RSRC2:TGID_Y_EN: 0
; COMPUTE_PGM_RSRC2:TGID_Z_EN: 0
; COMPUTE_PGM_RSRC2:TIDIG_COMP_CNT: 0
	.section	.text._ZN7rocprim17ROCPRIM_400000_NS6detail17trampoline_kernelINS0_14default_configENS1_25partition_config_selectorILNS1_17partition_subalgoE6EiNS0_10empty_typeEbEEZZNS1_14partition_implILS5_6ELb0ES3_mN6thrust23THRUST_200600_302600_NS6detail15normal_iteratorINSA_10device_ptrIiEEEEPS6_SG_NS0_5tupleIJSF_S6_EEENSH_IJSG_SG_EEES6_PlJ7is_evenIiEEEE10hipError_tPvRmT3_T4_T5_T6_T7_T9_mT8_P12ihipStream_tbDpT10_ENKUlT_T0_E_clISt17integral_constantIbLb1EES16_EEDaS11_S12_EUlS11_E_NS1_11comp_targetILNS1_3genE9ELNS1_11target_archE1100ELNS1_3gpuE3ELNS1_3repE0EEENS1_30default_config_static_selectorELNS0_4arch9wavefront6targetE0EEEvT1_,"axG",@progbits,_ZN7rocprim17ROCPRIM_400000_NS6detail17trampoline_kernelINS0_14default_configENS1_25partition_config_selectorILNS1_17partition_subalgoE6EiNS0_10empty_typeEbEEZZNS1_14partition_implILS5_6ELb0ES3_mN6thrust23THRUST_200600_302600_NS6detail15normal_iteratorINSA_10device_ptrIiEEEEPS6_SG_NS0_5tupleIJSF_S6_EEENSH_IJSG_SG_EEES6_PlJ7is_evenIiEEEE10hipError_tPvRmT3_T4_T5_T6_T7_T9_mT8_P12ihipStream_tbDpT10_ENKUlT_T0_E_clISt17integral_constantIbLb1EES16_EEDaS11_S12_EUlS11_E_NS1_11comp_targetILNS1_3genE9ELNS1_11target_archE1100ELNS1_3gpuE3ELNS1_3repE0EEENS1_30default_config_static_selectorELNS0_4arch9wavefront6targetE0EEEvT1_,comdat
	.protected	_ZN7rocprim17ROCPRIM_400000_NS6detail17trampoline_kernelINS0_14default_configENS1_25partition_config_selectorILNS1_17partition_subalgoE6EiNS0_10empty_typeEbEEZZNS1_14partition_implILS5_6ELb0ES3_mN6thrust23THRUST_200600_302600_NS6detail15normal_iteratorINSA_10device_ptrIiEEEEPS6_SG_NS0_5tupleIJSF_S6_EEENSH_IJSG_SG_EEES6_PlJ7is_evenIiEEEE10hipError_tPvRmT3_T4_T5_T6_T7_T9_mT8_P12ihipStream_tbDpT10_ENKUlT_T0_E_clISt17integral_constantIbLb1EES16_EEDaS11_S12_EUlS11_E_NS1_11comp_targetILNS1_3genE9ELNS1_11target_archE1100ELNS1_3gpuE3ELNS1_3repE0EEENS1_30default_config_static_selectorELNS0_4arch9wavefront6targetE0EEEvT1_ ; -- Begin function _ZN7rocprim17ROCPRIM_400000_NS6detail17trampoline_kernelINS0_14default_configENS1_25partition_config_selectorILNS1_17partition_subalgoE6EiNS0_10empty_typeEbEEZZNS1_14partition_implILS5_6ELb0ES3_mN6thrust23THRUST_200600_302600_NS6detail15normal_iteratorINSA_10device_ptrIiEEEEPS6_SG_NS0_5tupleIJSF_S6_EEENSH_IJSG_SG_EEES6_PlJ7is_evenIiEEEE10hipError_tPvRmT3_T4_T5_T6_T7_T9_mT8_P12ihipStream_tbDpT10_ENKUlT_T0_E_clISt17integral_constantIbLb1EES16_EEDaS11_S12_EUlS11_E_NS1_11comp_targetILNS1_3genE9ELNS1_11target_archE1100ELNS1_3gpuE3ELNS1_3repE0EEENS1_30default_config_static_selectorELNS0_4arch9wavefront6targetE0EEEvT1_
	.globl	_ZN7rocprim17ROCPRIM_400000_NS6detail17trampoline_kernelINS0_14default_configENS1_25partition_config_selectorILNS1_17partition_subalgoE6EiNS0_10empty_typeEbEEZZNS1_14partition_implILS5_6ELb0ES3_mN6thrust23THRUST_200600_302600_NS6detail15normal_iteratorINSA_10device_ptrIiEEEEPS6_SG_NS0_5tupleIJSF_S6_EEENSH_IJSG_SG_EEES6_PlJ7is_evenIiEEEE10hipError_tPvRmT3_T4_T5_T6_T7_T9_mT8_P12ihipStream_tbDpT10_ENKUlT_T0_E_clISt17integral_constantIbLb1EES16_EEDaS11_S12_EUlS11_E_NS1_11comp_targetILNS1_3genE9ELNS1_11target_archE1100ELNS1_3gpuE3ELNS1_3repE0EEENS1_30default_config_static_selectorELNS0_4arch9wavefront6targetE0EEEvT1_
	.p2align	8
	.type	_ZN7rocprim17ROCPRIM_400000_NS6detail17trampoline_kernelINS0_14default_configENS1_25partition_config_selectorILNS1_17partition_subalgoE6EiNS0_10empty_typeEbEEZZNS1_14partition_implILS5_6ELb0ES3_mN6thrust23THRUST_200600_302600_NS6detail15normal_iteratorINSA_10device_ptrIiEEEEPS6_SG_NS0_5tupleIJSF_S6_EEENSH_IJSG_SG_EEES6_PlJ7is_evenIiEEEE10hipError_tPvRmT3_T4_T5_T6_T7_T9_mT8_P12ihipStream_tbDpT10_ENKUlT_T0_E_clISt17integral_constantIbLb1EES16_EEDaS11_S12_EUlS11_E_NS1_11comp_targetILNS1_3genE9ELNS1_11target_archE1100ELNS1_3gpuE3ELNS1_3repE0EEENS1_30default_config_static_selectorELNS0_4arch9wavefront6targetE0EEEvT1_,@function
_ZN7rocprim17ROCPRIM_400000_NS6detail17trampoline_kernelINS0_14default_configENS1_25partition_config_selectorILNS1_17partition_subalgoE6EiNS0_10empty_typeEbEEZZNS1_14partition_implILS5_6ELb0ES3_mN6thrust23THRUST_200600_302600_NS6detail15normal_iteratorINSA_10device_ptrIiEEEEPS6_SG_NS0_5tupleIJSF_S6_EEENSH_IJSG_SG_EEES6_PlJ7is_evenIiEEEE10hipError_tPvRmT3_T4_T5_T6_T7_T9_mT8_P12ihipStream_tbDpT10_ENKUlT_T0_E_clISt17integral_constantIbLb1EES16_EEDaS11_S12_EUlS11_E_NS1_11comp_targetILNS1_3genE9ELNS1_11target_archE1100ELNS1_3gpuE3ELNS1_3repE0EEENS1_30default_config_static_selectorELNS0_4arch9wavefront6targetE0EEEvT1_: ; @_ZN7rocprim17ROCPRIM_400000_NS6detail17trampoline_kernelINS0_14default_configENS1_25partition_config_selectorILNS1_17partition_subalgoE6EiNS0_10empty_typeEbEEZZNS1_14partition_implILS5_6ELb0ES3_mN6thrust23THRUST_200600_302600_NS6detail15normal_iteratorINSA_10device_ptrIiEEEEPS6_SG_NS0_5tupleIJSF_S6_EEENSH_IJSG_SG_EEES6_PlJ7is_evenIiEEEE10hipError_tPvRmT3_T4_T5_T6_T7_T9_mT8_P12ihipStream_tbDpT10_ENKUlT_T0_E_clISt17integral_constantIbLb1EES16_EEDaS11_S12_EUlS11_E_NS1_11comp_targetILNS1_3genE9ELNS1_11target_archE1100ELNS1_3gpuE3ELNS1_3repE0EEENS1_30default_config_static_selectorELNS0_4arch9wavefront6targetE0EEEvT1_
; %bb.0:
	s_clause 0x3
	s_load_b64 s[12:13], s[0:1], 0x28
	s_load_b128 s[4:7], s[0:1], 0x40
	s_load_b64 s[16:17], s[0:1], 0x50
	s_load_b64 s[14:15], s[0:1], 0x60
	v_cmp_eq_u32_e64 s2, 0, v0
	s_delay_alu instid0(VALU_DEP_1)
	s_and_saveexec_b32 s3, s2
	s_cbranch_execz .LBB406_4
; %bb.1:
	s_mov_b32 s9, exec_lo
	s_mov_b32 s8, exec_lo
	v_mbcnt_lo_u32_b32 v1, s9, 0
                                        ; implicit-def: $vgpr2
	s_delay_alu instid0(VALU_DEP_1)
	v_cmpx_eq_u32_e32 0, v1
	s_cbranch_execz .LBB406_3
; %bb.2:
	s_load_b64 s[10:11], s[0:1], 0x70
	s_bcnt1_i32_b32 s9, s9
	s_delay_alu instid0(SALU_CYCLE_1)
	v_dual_mov_b32 v2, 0 :: v_dual_mov_b32 v3, s9
	s_waitcnt lgkmcnt(0)
	global_atomic_add_u32 v2, v2, v3, s[10:11] glc
.LBB406_3:
	s_or_b32 exec_lo, exec_lo, s8
	s_waitcnt vmcnt(0)
	v_readfirstlane_b32 s8, v2
	s_delay_alu instid0(VALU_DEP_1)
	v_dual_mov_b32 v2, 0 :: v_dual_add_nc_u32 v1, s8, v1
	ds_store_b32 v2, v1
.LBB406_4:
	s_or_b32 exec_lo, exec_lo, s3
	v_dual_mov_b32 v2, 0 :: v_dual_lshlrev_b32 v17, 2, v0
	s_clause 0x1
	s_load_b128 s[8:11], s[0:1], 0x8
	s_load_b32 s0, s[0:1], 0x68
	s_waitcnt lgkmcnt(0)
	s_barrier
	buffer_gl0_inv
	ds_load_b32 v1, v2
	s_waitcnt lgkmcnt(0)
	s_barrier
	buffer_gl0_inv
	global_load_b64 v[49:50], v2, s[6:7]
	s_lshl_b64 s[6:7], s[10:11], 2
	s_mul_i32 s3, s0, 0x700
	s_add_u32 s1, s8, s6
	s_addc_u32 s18, s9, s7
	s_add_i32 s6, s3, s10
	v_readfirstlane_b32 s7, v1
	v_mul_lo_u32 v1, 0x700, v1
	s_add_i32 s19, s0, -1
	s_sub_i32 s0, s16, s6
	s_add_u32 s8, s10, s3
	s_addc_u32 s9, s11, 0
	s_cmp_eq_u32 s7, s19
	v_cmp_ge_u64_e64 s6, s[8:9], s[16:17]
	s_cselect_b32 s3, -1, 0
	v_lshlrev_b64 v[1:2], 2, v[1:2]
	s_delay_alu instid0(VALU_DEP_2) | instskip(NEXT) | instid1(VALU_DEP_1)
	s_and_b32 s6, s6, s3
	v_add_co_u32 v18, vcc_lo, s1, v1
	s_delay_alu instid0(VALU_DEP_2)
	v_add_co_ci_u32_e32 v19, vcc_lo, s18, v2, vcc_lo
	s_xor_b32 s6, s6, -1
	s_mov_b32 s1, -1
	s_and_b32 vcc_lo, exec_lo, s6
	s_cbranch_vccz .LBB406_6
; %bb.5:
	v_add_co_u32 v1, vcc_lo, v18, v17
	v_add_co_ci_u32_e32 v2, vcc_lo, 0, v19, vcc_lo
	s_mov_b32 s1, 0
	s_delay_alu instid0(VALU_DEP_2) | instskip(NEXT) | instid1(VALU_DEP_2)
	v_add_co_u32 v3, vcc_lo, 0x1000, v1
	v_add_co_ci_u32_e32 v4, vcc_lo, 0, v2, vcc_lo
	s_clause 0xd
	flat_load_b32 v5, v[1:2]
	flat_load_b32 v6, v[1:2] offset:512
	flat_load_b32 v7, v[1:2] offset:1024
	;; [unrolled: 1-line block ×7, first 2 shown]
	flat_load_b32 v2, v[3:4]
	flat_load_b32 v12, v[3:4] offset:512
	flat_load_b32 v13, v[3:4] offset:1024
	;; [unrolled: 1-line block ×5, first 2 shown]
	s_waitcnt vmcnt(12) lgkmcnt(12)
	ds_store_2addr_stride64_b32 v17, v5, v6 offset1:2
	s_waitcnt vmcnt(10) lgkmcnt(11)
	ds_store_2addr_stride64_b32 v17, v7, v8 offset0:4 offset1:6
	s_waitcnt vmcnt(8) lgkmcnt(10)
	ds_store_2addr_stride64_b32 v17, v9, v10 offset0:8 offset1:10
	;; [unrolled: 2-line block ×6, first 2 shown]
	s_waitcnt lgkmcnt(0)
	s_barrier
.LBB406_6:
	s_and_not1_b32 vcc_lo, exec_lo, s1
	s_addk_i32 s0, 0x700
	s_cbranch_vccnz .LBB406_36
; %bb.7:
	s_mov_b32 s1, exec_lo
                                        ; implicit-def: $vgpr1_vgpr2_vgpr3_vgpr4_vgpr5_vgpr6_vgpr7_vgpr8_vgpr9_vgpr10_vgpr11_vgpr12_vgpr13_vgpr14_vgpr15_vgpr16
	v_cmpx_gt_u32_e64 s0, v0
	s_cbranch_execz .LBB406_9
; %bb.8:
	v_add_co_u32 v1, vcc_lo, v18, v17
	v_add_co_ci_u32_e32 v2, vcc_lo, 0, v19, vcc_lo
	flat_load_b32 v1, v[1:2]
.LBB406_9:
	s_or_b32 exec_lo, exec_lo, s1
	v_or_b32_e32 v15, 0x80, v0
	s_mov_b32 s1, exec_lo
	s_delay_alu instid0(VALU_DEP_1)
	v_cmpx_gt_u32_e64 s0, v15
	s_cbranch_execz .LBB406_11
; %bb.10:
	v_add_co_u32 v15, vcc_lo, v18, v17
	v_add_co_ci_u32_e32 v16, vcc_lo, 0, v19, vcc_lo
	flat_load_b32 v2, v[15:16] offset:512
.LBB406_11:
	s_or_b32 exec_lo, exec_lo, s1
	v_or_b32_e32 v15, 0x100, v0
	s_mov_b32 s1, exec_lo
	s_delay_alu instid0(VALU_DEP_1)
	v_cmpx_gt_u32_e64 s0, v15
	s_cbranch_execz .LBB406_13
; %bb.12:
	v_add_co_u32 v15, vcc_lo, v18, v17
	v_add_co_ci_u32_e32 v16, vcc_lo, 0, v19, vcc_lo
	flat_load_b32 v3, v[15:16] offset:1024
.LBB406_13:
	;; [unrolled: 11-line block ×7, first 2 shown]
	s_or_b32 exec_lo, exec_lo, s1
	v_or_b32_e32 v15, 0x400, v0
	s_mov_b32 s1, exec_lo
	s_delay_alu instid0(VALU_DEP_1)
	v_cmpx_gt_u32_e64 s0, v15
	s_cbranch_execz .LBB406_25
; %bb.24:
	v_lshlrev_b32_e32 v9, 2, v15
	s_delay_alu instid0(VALU_DEP_1)
	v_add_co_u32 v15, vcc_lo, v18, v9
	v_add_co_ci_u32_e32 v16, vcc_lo, 0, v19, vcc_lo
	flat_load_b32 v9, v[15:16]
.LBB406_25:
	s_or_b32 exec_lo, exec_lo, s1
	v_or_b32_e32 v15, 0x480, v0
	s_mov_b32 s1, exec_lo
	s_delay_alu instid0(VALU_DEP_1)
	v_cmpx_gt_u32_e64 s0, v15
	s_cbranch_execz .LBB406_27
; %bb.26:
	v_lshlrev_b32_e32 v10, 2, v15
	s_delay_alu instid0(VALU_DEP_1)
	v_add_co_u32 v15, vcc_lo, v18, v10
	v_add_co_ci_u32_e32 v16, vcc_lo, 0, v19, vcc_lo
	flat_load_b32 v10, v[15:16]
.LBB406_27:
	s_or_b32 exec_lo, exec_lo, s1
	v_or_b32_e32 v15, 0x500, v0
	s_mov_b32 s1, exec_lo
	s_delay_alu instid0(VALU_DEP_1)
	v_cmpx_gt_u32_e64 s0, v15
	s_cbranch_execz .LBB406_29
; %bb.28:
	v_lshlrev_b32_e32 v11, 2, v15
	s_delay_alu instid0(VALU_DEP_1)
	v_add_co_u32 v15, vcc_lo, v18, v11
	v_add_co_ci_u32_e32 v16, vcc_lo, 0, v19, vcc_lo
	flat_load_b32 v11, v[15:16]
.LBB406_29:
	s_or_b32 exec_lo, exec_lo, s1
	v_or_b32_e32 v15, 0x580, v0
	s_mov_b32 s1, exec_lo
	s_delay_alu instid0(VALU_DEP_1)
	v_cmpx_gt_u32_e64 s0, v15
	s_cbranch_execz .LBB406_31
; %bb.30:
	v_lshlrev_b32_e32 v12, 2, v15
	s_delay_alu instid0(VALU_DEP_1)
	v_add_co_u32 v15, vcc_lo, v18, v12
	v_add_co_ci_u32_e32 v16, vcc_lo, 0, v19, vcc_lo
	flat_load_b32 v12, v[15:16]
.LBB406_31:
	s_or_b32 exec_lo, exec_lo, s1
	v_or_b32_e32 v15, 0x600, v0
	s_mov_b32 s1, exec_lo
	s_delay_alu instid0(VALU_DEP_1)
	v_cmpx_gt_u32_e64 s0, v15
	s_cbranch_execz .LBB406_33
; %bb.32:
	v_lshlrev_b32_e32 v13, 2, v15
	s_delay_alu instid0(VALU_DEP_1)
	v_add_co_u32 v15, vcc_lo, v18, v13
	v_add_co_ci_u32_e32 v16, vcc_lo, 0, v19, vcc_lo
	flat_load_b32 v13, v[15:16]
.LBB406_33:
	s_or_b32 exec_lo, exec_lo, s1
	v_or_b32_e32 v15, 0x680, v0
	s_mov_b32 s1, exec_lo
	s_delay_alu instid0(VALU_DEP_1)
	v_cmpx_gt_u32_e64 s0, v15
	s_cbranch_execz .LBB406_35
; %bb.34:
	v_lshlrev_b32_e32 v14, 2, v15
	s_delay_alu instid0(VALU_DEP_1)
	v_add_co_u32 v14, vcc_lo, v18, v14
	v_add_co_ci_u32_e32 v15, vcc_lo, 0, v19, vcc_lo
	flat_load_b32 v14, v[14:15]
.LBB406_35:
	s_or_b32 exec_lo, exec_lo, s1
	s_waitcnt vmcnt(0) lgkmcnt(0)
	ds_store_2addr_stride64_b32 v17, v1, v2 offset1:2
	ds_store_2addr_stride64_b32 v17, v3, v4 offset0:4 offset1:6
	ds_store_2addr_stride64_b32 v17, v5, v6 offset0:8 offset1:10
	;; [unrolled: 1-line block ×6, first 2 shown]
	s_waitcnt lgkmcnt(0)
	s_barrier
.LBB406_36:
	v_mul_u32_u24_e32 v12, 14, v0
	s_waitcnt vmcnt(0)
	buffer_gl0_inv
	s_and_not1_b32 vcc_lo, exec_lo, s6
	v_lshlrev_b32_e32 v63, 2, v12
	ds_load_2addr_b64 v[41:44], v63 offset1:1
	ds_load_2addr_b64 v[37:40], v63 offset0:2 offset1:3
	ds_load_2addr_b64 v[33:36], v63 offset0:4 offset1:5
	ds_load_b64 v[51:52], v63 offset:48
	s_waitcnt lgkmcnt(0)
	s_barrier
	buffer_gl0_inv
	v_xor_b32_e32 v13, -1, v41
	v_xor_b32_e32 v14, -1, v42
	;; [unrolled: 1-line block ×14, first 2 shown]
	s_cbranch_vccnz .LBB406_38
; %bb.37:
	v_and_b32_e32 v16, 1, v14
	v_and_b32_e32 v17, 1, v13
	;; [unrolled: 1-line block ×5, first 2 shown]
	v_lshlrev_b16 v16, 8, v16
	v_and_b32_e32 v26, 1, v6
	v_and_b32_e32 v18, 1, v15
	;; [unrolled: 1-line block ×4, first 2 shown]
	v_or_b32_e32 v16, v17, v16
	v_and_b32_e32 v17, 1, v4
	v_and_b32_e32 v24, 1, v3
	;; [unrolled: 1-line block ×3, first 2 shown]
	v_lshlrev_b16 v19, 8, v19
	v_lshlrev_b16 v21, 8, v21
	;; [unrolled: 1-line block ×5, first 2 shown]
	v_or_b32_e32 v18, v18, v19
	v_or_b32_e32 v19, v20, v21
	;; [unrolled: 1-line block ×5, first 2 shown]
	v_and_b32_e32 v16, 0xffff, v16
	v_lshlrev_b32_e32 v18, 16, v18
	v_and_b32_e32 v19, 0xffff, v19
	v_lshlrev_b32_e32 v20, 16, v20
	;; [unrolled: 2-line block ×3, first 2 shown]
	v_and_b32_e32 v56, 1, v1
	v_and_b32_e32 v55, 1, v2
	v_or_b32_e32 v61, v16, v18
	v_or_b32_e32 v58, v19, v20
	;; [unrolled: 1-line block ×3, first 2 shown]
	s_cbranch_execz .LBB406_39
	s_branch .LBB406_40
.LBB406_38:
                                        ; implicit-def: $vgpr55
                                        ; implicit-def: $vgpr56
                                        ; implicit-def: $vgpr57
                                        ; implicit-def: $vgpr58
                                        ; implicit-def: $vgpr61
.LBB406_39:
	v_or_b32_e32 v16, 1, v12
	v_cmp_gt_u32_e32 vcc_lo, s0, v12
	v_add_nc_u32_e32 v17, 2, v12
	v_add_nc_u32_e32 v18, 3, v12
	;; [unrolled: 1-line block ×4, first 2 shown]
	v_cndmask_b32_e64 v27, 0, 1, vcc_lo
	v_cmp_gt_u32_e32 vcc_lo, s0, v16
	v_add_nc_u32_e32 v21, 6, v12
	v_add_nc_u32_e32 v22, 7, v12
	;; [unrolled: 1-line block ×4, first 2 shown]
	v_cndmask_b32_e64 v16, 0, 1, vcc_lo
	v_cmp_gt_u32_e32 vcc_lo, s0, v17
	v_add_nc_u32_e32 v25, 10, v12
	v_add_nc_u32_e32 v26, 11, v12
	;; [unrolled: 1-line block ×3, first 2 shown]
	v_and_b32_e32 v14, v16, v14
	v_cndmask_b32_e64 v17, 0, 1, vcc_lo
	v_cmp_gt_u32_e32 vcc_lo, s0, v18
	v_add_nc_u32_e32 v12, 13, v12
	v_and_b32_e32 v13, v27, v13
	v_lshlrev_b16 v14, 8, v14
	v_and_b32_e32 v15, v17, v15
	v_cndmask_b32_e64 v16, 0, 1, vcc_lo
	v_cmp_gt_u32_e32 vcc_lo, s0, v19
	s_delay_alu instid0(VALU_DEP_4) | instskip(NEXT) | instid1(VALU_DEP_3)
	v_or_b32_e32 v13, v13, v14
	v_and_b32_e32 v7, v16, v7
	v_cndmask_b32_e64 v17, 0, 1, vcc_lo
	v_cmp_gt_u32_e32 vcc_lo, s0, v20
	s_delay_alu instid0(VALU_DEP_4) | instskip(NEXT) | instid1(VALU_DEP_4)
	v_and_b32_e32 v13, 0xffff, v13
	v_lshlrev_b16 v7, 8, v7
	s_delay_alu instid0(VALU_DEP_4) | instskip(SKIP_2) | instid1(VALU_DEP_4)
	v_and_b32_e32 v8, v17, v8
	v_cndmask_b32_e64 v18, 0, 1, vcc_lo
	v_cmp_gt_u32_e32 vcc_lo, s0, v21
	v_or_b32_e32 v7, v15, v7
	s_delay_alu instid0(VALU_DEP_3) | instskip(SKIP_2) | instid1(VALU_DEP_3)
	v_and_b32_e32 v9, v18, v9
	v_cndmask_b32_e64 v19, 0, 1, vcc_lo
	v_cmp_gt_u32_e32 vcc_lo, s0, v22
	v_lshlrev_b16 v9, 8, v9
	s_delay_alu instid0(VALU_DEP_3) | instskip(SKIP_2) | instid1(VALU_DEP_4)
	v_and_b32_e32 v10, v19, v10
	v_cndmask_b32_e64 v20, 0, 1, vcc_lo
	v_cmp_gt_u32_e32 vcc_lo, s0, v23
	v_or_b32_e32 v8, v8, v9
	s_delay_alu instid0(VALU_DEP_3) | instskip(SKIP_2) | instid1(VALU_DEP_3)
	v_and_b32_e32 v11, v20, v11
	v_cndmask_b32_e64 v16, 0, 1, vcc_lo
	v_cmp_gt_u32_e32 vcc_lo, s0, v24
	v_lshlrev_b16 v11, 8, v11
	s_delay_alu instid0(VALU_DEP_3) | instskip(SKIP_2) | instid1(VALU_DEP_4)
	;; [unrolled: 10-line block ×3, first 2 shown]
	v_and_b32_e32 v5, v18, v5
	v_cndmask_b32_e64 v19, 0, 1, vcc_lo
	v_cmp_gt_u32_e32 vcc_lo, s0, v28
	v_or_b32_e32 v3, v3, v4
	s_delay_alu instid0(VALU_DEP_3) | instskip(SKIP_2) | instid1(VALU_DEP_4)
	v_and_b32_e32 v6, v19, v6
	v_cndmask_b32_e64 v14, 0, 1, vcc_lo
	v_cmp_gt_u32_e32 vcc_lo, s0, v12
	v_and_b32_e32 v3, 0xffff, v3
	s_delay_alu instid0(VALU_DEP_4) | instskip(NEXT) | instid1(VALU_DEP_4)
	v_lshlrev_b16 v6, 8, v6
	v_and_b32_e32 v56, v14, v1
	v_cndmask_b32_e64 v12, 0, 1, vcc_lo
	s_delay_alu instid0(VALU_DEP_3)
	v_or_b32_e32 v4, v5, v6
	v_lshlrev_b32_e32 v5, 16, v7
	v_and_b32_e32 v6, 0xffff, v8
	v_lshlrev_b32_e32 v7, 16, v9
	v_and_b32_e32 v55, v12, v2
	v_lshlrev_b32_e32 v4, 16, v4
	v_or_b32_e32 v61, v13, v5
	s_delay_alu instid0(VALU_DEP_4) | instskip(NEXT) | instid1(VALU_DEP_3)
	v_or_b32_e32 v58, v6, v7
	v_or_b32_e32 v57, v3, v4
.LBB406_40:
	s_delay_alu instid0(VALU_DEP_3)
	v_dual_mov_b32 v2, 0 :: v_dual_and_b32 v65, 0xff, v61
	v_bfe_u32 v66, v61, 8, 8
	v_bfe_u32 v67, v61, 16, 8
	v_lshrrev_b32_e32 v62, 24, v61
	v_and_b32_e32 v68, 0xff, v58
	v_bfe_u32 v69, v58, 8, 8
	v_add_co_u32 v1, s0, v66, v65
	s_delay_alu instid0(VALU_DEP_1) | instskip(SKIP_1) | instid1(VALU_DEP_3)
	v_add_co_ci_u32_e64 v3, null, 0, 0, s0
	v_bfe_u32 v70, v58, 16, 8
	v_add_co_u32 v1, vcc_lo, v1, v67
	s_delay_alu instid0(VALU_DEP_3) | instskip(SKIP_1) | instid1(VALU_DEP_3)
	v_add_co_ci_u32_e32 v3, vcc_lo, 0, v3, vcc_lo
	v_lshrrev_b32_e32 v60, 24, v58
	v_add_co_u32 v1, vcc_lo, v1, v62
	s_delay_alu instid0(VALU_DEP_3) | instskip(SKIP_1) | instid1(VALU_DEP_3)
	v_add_co_ci_u32_e32 v3, vcc_lo, 0, v3, vcc_lo
	v_and_b32_e32 v71, 0xff, v57
	v_add_co_u32 v1, vcc_lo, v1, v68
	s_delay_alu instid0(VALU_DEP_3) | instskip(SKIP_1) | instid1(VALU_DEP_3)
	v_add_co_ci_u32_e32 v3, vcc_lo, 0, v3, vcc_lo
	v_bfe_u32 v72, v57, 8, 8
	v_add_co_u32 v1, vcc_lo, v1, v69
	s_delay_alu instid0(VALU_DEP_3) | instskip(SKIP_1) | instid1(VALU_DEP_3)
	v_add_co_ci_u32_e32 v3, vcc_lo, 0, v3, vcc_lo
	v_bfe_u32 v73, v57, 16, 8
	v_add_co_u32 v1, vcc_lo, v1, v70
	s_delay_alu instid0(VALU_DEP_3) | instskip(SKIP_1) | instid1(VALU_DEP_3)
	v_add_co_ci_u32_e32 v3, vcc_lo, 0, v3, vcc_lo
	v_lshrrev_b32_e32 v59, 24, v57
	v_add_co_u32 v1, vcc_lo, v1, v60
	s_delay_alu instid0(VALU_DEP_3) | instskip(SKIP_1) | instid1(VALU_DEP_3)
	v_add_co_ci_u32_e32 v3, vcc_lo, 0, v3, vcc_lo
	v_and_b32_e32 v64, 0xff, v56
	v_add_co_u32 v1, vcc_lo, v1, v71
	s_delay_alu instid0(VALU_DEP_3) | instskip(SKIP_1) | instid1(VALU_DEP_3)
	v_add_co_ci_u32_e32 v3, vcc_lo, 0, v3, vcc_lo
	v_mbcnt_lo_u32_b32 v74, -1, 0
	v_add_co_u32 v1, vcc_lo, v1, v72
	s_delay_alu instid0(VALU_DEP_3) | instskip(SKIP_1) | instid1(VALU_DEP_3)
	v_add_co_ci_u32_e32 v3, vcc_lo, 0, v3, vcc_lo
	v_and_b32_e32 v4, 0xff, v55
	v_add_co_u32 v1, vcc_lo, v1, v73
	s_delay_alu instid0(VALU_DEP_3) | instskip(SKIP_1) | instid1(VALU_DEP_3)
	v_add_co_ci_u32_e32 v3, vcc_lo, 0, v3, vcc_lo
	v_and_b32_e32 v75, 15, v74
	v_add_co_u32 v1, vcc_lo, v1, v59
	s_delay_alu instid0(VALU_DEP_3) | instskip(NEXT) | instid1(VALU_DEP_3)
	v_add_co_ci_u32_e32 v3, vcc_lo, 0, v3, vcc_lo
	v_cmp_ne_u32_e64 s0, 0, v75
	s_delay_alu instid0(VALU_DEP_3) | instskip(NEXT) | instid1(VALU_DEP_3)
	v_add_co_u32 v1, vcc_lo, v1, v64
	v_add_co_ci_u32_e32 v3, vcc_lo, 0, v3, vcc_lo
	s_cmp_lg_u32 s7, 0
	s_delay_alu instid0(VALU_DEP_2) | instskip(NEXT) | instid1(VALU_DEP_2)
	v_add_co_u32 v53, vcc_lo, v1, v4
	v_add_co_ci_u32_e32 v54, vcc_lo, 0, v3, vcc_lo
	s_mov_b32 s1, -1
	s_cbranch_scc0 .LBB406_105
; %bb.41:
	s_delay_alu instid0(VALU_DEP_2)
	v_mov_b32_e32 v3, v53
	v_mov_b32_dpp v1, v53 row_shr:1 row_mask:0xf bank_mask:0xf
	v_mov_b32_dpp v6, v2 row_shr:1 row_mask:0xf bank_mask:0xf
	v_dual_mov_b32 v5, v53 :: v_dual_mov_b32 v4, v54
	s_and_saveexec_b32 s1, s0
; %bb.42:
	s_delay_alu instid0(VALU_DEP_3) | instskip(SKIP_1) | instid1(VALU_DEP_2)
	v_add_co_u32 v5, vcc_lo, v53, v1
	v_add_co_ci_u32_e32 v2, vcc_lo, 0, v54, vcc_lo
	v_add_co_u32 v1, vcc_lo, 0, v5
	s_delay_alu instid0(VALU_DEP_2) | instskip(NEXT) | instid1(VALU_DEP_1)
	v_add_co_ci_u32_e32 v2, vcc_lo, v6, v2, vcc_lo
	v_dual_mov_b32 v4, v2 :: v_dual_mov_b32 v3, v1
; %bb.43:
	s_or_b32 exec_lo, exec_lo, s1
	v_mov_b32_dpp v1, v5 row_shr:2 row_mask:0xf bank_mask:0xf
	v_mov_b32_dpp v6, v2 row_shr:2 row_mask:0xf bank_mask:0xf
	s_mov_b32 s1, exec_lo
	v_cmpx_lt_u32_e32 1, v75
; %bb.44:
	s_delay_alu instid0(VALU_DEP_3) | instskip(SKIP_1) | instid1(VALU_DEP_2)
	v_add_co_u32 v5, vcc_lo, v3, v1
	v_add_co_ci_u32_e32 v2, vcc_lo, 0, v4, vcc_lo
	v_add_co_u32 v1, vcc_lo, 0, v5
	s_delay_alu instid0(VALU_DEP_2) | instskip(NEXT) | instid1(VALU_DEP_1)
	v_add_co_ci_u32_e32 v2, vcc_lo, v6, v2, vcc_lo
	v_dual_mov_b32 v4, v2 :: v_dual_mov_b32 v3, v1
; %bb.45:
	s_or_b32 exec_lo, exec_lo, s1
	v_mov_b32_dpp v1, v5 row_shr:4 row_mask:0xf bank_mask:0xf
	v_mov_b32_dpp v6, v2 row_shr:4 row_mask:0xf bank_mask:0xf
	s_mov_b32 s1, exec_lo
	v_cmpx_lt_u32_e32 3, v75
	;; [unrolled: 14-line block ×3, first 2 shown]
; %bb.48:
	s_delay_alu instid0(VALU_DEP_3) | instskip(SKIP_1) | instid1(VALU_DEP_2)
	v_add_co_u32 v5, vcc_lo, v3, v6
	v_add_co_ci_u32_e32 v2, vcc_lo, 0, v4, vcc_lo
	v_add_co_u32 v3, vcc_lo, 0, v5
	s_delay_alu instid0(VALU_DEP_2) | instskip(NEXT) | instid1(VALU_DEP_1)
	v_add_co_ci_u32_e32 v4, vcc_lo, v1, v2, vcc_lo
	v_mov_b32_e32 v2, v4
; %bb.49:
	s_or_b32 exec_lo, exec_lo, s1
	ds_swizzle_b32 v1, v5 offset:swizzle(BROADCAST,32,15)
	ds_swizzle_b32 v6, v2 offset:swizzle(BROADCAST,32,15)
	v_and_b32_e32 v7, 16, v74
	s_mov_b32 s1, exec_lo
	s_delay_alu instid0(VALU_DEP_1)
	v_cmpx_ne_u32_e32 0, v7
	s_cbranch_execz .LBB406_51
; %bb.50:
	s_waitcnt lgkmcnt(1)
	v_add_co_u32 v5, vcc_lo, v3, v1
	v_add_co_ci_u32_e32 v2, vcc_lo, 0, v4, vcc_lo
	s_delay_alu instid0(VALU_DEP_2) | instskip(SKIP_1) | instid1(VALU_DEP_2)
	v_add_co_u32 v1, vcc_lo, 0, v5
	s_waitcnt lgkmcnt(0)
	v_add_co_ci_u32_e32 v2, vcc_lo, v6, v2, vcc_lo
	s_delay_alu instid0(VALU_DEP_1)
	v_dual_mov_b32 v4, v2 :: v_dual_mov_b32 v3, v1
.LBB406_51:
	s_or_b32 exec_lo, exec_lo, s1
	s_waitcnt lgkmcnt(0)
	v_or_b32_e32 v6, 31, v0
	v_lshrrev_b32_e32 v1, 5, v0
	s_mov_b32 s1, exec_lo
	s_delay_alu instid0(VALU_DEP_2)
	v_cmpx_eq_u32_e64 v6, v0
	s_cbranch_execz .LBB406_53
; %bb.52:
	s_delay_alu instid0(VALU_DEP_2)
	v_lshlrev_b32_e32 v6, 3, v1
	ds_store_b64 v6, v[3:4]
.LBB406_53:
	s_or_b32 exec_lo, exec_lo, s1
	s_delay_alu instid0(SALU_CYCLE_1)
	s_mov_b32 s1, exec_lo
	s_waitcnt lgkmcnt(0)
	s_barrier
	buffer_gl0_inv
	v_cmpx_gt_u32_e32 4, v0
	s_cbranch_execz .LBB406_59
; %bb.54:
	v_lshlrev_b32_e32 v6, 3, v0
	s_mov_b32 s8, exec_lo
	ds_load_b64 v[3:4], v6
	s_waitcnt lgkmcnt(0)
	v_dual_mov_b32 v8, v3 :: v_dual_and_b32 v7, 3, v74
	v_mov_b32_dpp v10, v3 row_shr:1 row_mask:0xf bank_mask:0xf
	v_mov_b32_dpp v9, v4 row_shr:1 row_mask:0xf bank_mask:0xf
	s_delay_alu instid0(VALU_DEP_3)
	v_cmpx_ne_u32_e32 0, v7
; %bb.55:
	s_delay_alu instid0(VALU_DEP_3) | instskip(SKIP_1) | instid1(VALU_DEP_2)
	v_add_co_u32 v8, vcc_lo, v3, v10
	v_add_co_ci_u32_e32 v4, vcc_lo, 0, v4, vcc_lo
	v_add_co_u32 v3, vcc_lo, 0, v8
	s_delay_alu instid0(VALU_DEP_2)
	v_add_co_ci_u32_e32 v4, vcc_lo, v9, v4, vcc_lo
; %bb.56:
	s_or_b32 exec_lo, exec_lo, s8
	v_mov_b32_dpp v9, v8 row_shr:2 row_mask:0xf bank_mask:0xf
	s_delay_alu instid0(VALU_DEP_2)
	v_mov_b32_dpp v8, v4 row_shr:2 row_mask:0xf bank_mask:0xf
	s_mov_b32 s8, exec_lo
	v_cmpx_lt_u32_e32 1, v7
; %bb.57:
	s_delay_alu instid0(VALU_DEP_3) | instskip(SKIP_1) | instid1(VALU_DEP_2)
	v_add_co_u32 v3, vcc_lo, v3, v9
	v_add_co_ci_u32_e32 v4, vcc_lo, 0, v4, vcc_lo
	v_add_co_u32 v3, vcc_lo, v3, 0
	s_delay_alu instid0(VALU_DEP_2)
	v_add_co_ci_u32_e32 v4, vcc_lo, v4, v8, vcc_lo
; %bb.58:
	s_or_b32 exec_lo, exec_lo, s8
	ds_store_b64 v6, v[3:4]
.LBB406_59:
	s_or_b32 exec_lo, exec_lo, s1
	v_cmp_gt_u32_e32 vcc_lo, 32, v0
	s_mov_b32 s8, exec_lo
	s_waitcnt lgkmcnt(0)
	s_barrier
	buffer_gl0_inv
                                        ; implicit-def: $vgpr9_vgpr10
	v_cmpx_lt_u32_e32 31, v0
	s_cbranch_execz .LBB406_61
; %bb.60:
	v_lshl_add_u32 v1, v1, 3, -8
	ds_load_b64 v[9:10], v1
	s_waitcnt lgkmcnt(0)
	v_add_co_u32 v5, s1, v5, v9
	s_delay_alu instid0(VALU_DEP_1)
	v_add_co_ci_u32_e64 v2, s1, v2, v10, s1
.LBB406_61:
	s_or_b32 exec_lo, exec_lo, s8
	v_add_nc_u32_e32 v1, -1, v74
	s_delay_alu instid0(VALU_DEP_1) | instskip(NEXT) | instid1(VALU_DEP_1)
	v_cmp_gt_i32_e64 s1, 0, v1
	v_cndmask_b32_e64 v1, v1, v74, s1
	v_cmp_eq_u32_e64 s1, 0, v74
	s_delay_alu instid0(VALU_DEP_2)
	v_lshlrev_b32_e32 v1, 2, v1
	ds_bpermute_b32 v15, v1, v5
	ds_bpermute_b32 v16, v1, v2
	s_and_saveexec_b32 s8, vcc_lo
	s_cbranch_execz .LBB406_104
; %bb.62:
	v_mov_b32_e32 v4, 0
	ds_load_b64 v[1:2], v4 offset:24
	s_and_saveexec_b32 s9, s1
	s_cbranch_execz .LBB406_64
; %bb.63:
	s_add_i32 s10, s7, 32
	s_mov_b32 s11, 0
	s_delay_alu instid0(SALU_CYCLE_1) | instskip(NEXT) | instid1(SALU_CYCLE_1)
	s_lshl_b64 s[10:11], s[10:11], 4
	s_add_u32 s10, s14, s10
	s_addc_u32 s11, s15, s11
	v_mov_b32_e32 v5, s10
	v_dual_mov_b32 v3, 1 :: v_dual_mov_b32 v6, s11
	s_waitcnt lgkmcnt(0)
	;;#ASMSTART
	global_store_dwordx4 v[5:6], v[1:4] off	
s_waitcnt vmcnt(0)
	;;#ASMEND
.LBB406_64:
	s_or_b32 exec_lo, exec_lo, s9
	v_xad_u32 v11, v74, -1, s7
	s_mov_b32 s10, 0
	s_mov_b32 s9, exec_lo
	s_delay_alu instid0(VALU_DEP_1) | instskip(NEXT) | instid1(VALU_DEP_1)
	v_add_nc_u32_e32 v3, 32, v11
	v_lshlrev_b64 v[3:4], 4, v[3:4]
	s_delay_alu instid0(VALU_DEP_1) | instskip(NEXT) | instid1(VALU_DEP_2)
	v_add_co_u32 v3, vcc_lo, s14, v3
	v_add_co_ci_u32_e32 v4, vcc_lo, s15, v4, vcc_lo
	;;#ASMSTART
	global_load_dwordx4 v[5:8], v[3:4] off glc	
s_waitcnt vmcnt(0)
	;;#ASMEND
	v_and_b32_e32 v8, 0xff, v6
	v_and_b32_e32 v12, 0xff00, v6
	v_or3_b32 v5, v5, 0, 0
	v_and_b32_e32 v13, 0xff000000, v6
	v_and_b32_e32 v6, 0xff0000, v6
	s_delay_alu instid0(VALU_DEP_4) | instskip(SKIP_2) | instid1(VALU_DEP_3)
	v_or3_b32 v8, 0, v8, v12
	v_and_b32_e32 v12, 0xff, v7
	v_or3_b32 v5, v5, 0, 0
	v_or3_b32 v6, v8, v6, v13
	s_delay_alu instid0(VALU_DEP_3)
	v_cmpx_eq_u16_e32 0, v12
	s_cbranch_execz .LBB406_70
; %bb.65:
	s_mov_b32 s11, 1
	.p2align	6
.LBB406_66:                             ; =>This Loop Header: Depth=1
                                        ;     Child Loop BB406_67 Depth 2
	s_delay_alu instid0(SALU_CYCLE_1)
	s_max_u32 s16, s11, 1
.LBB406_67:                             ;   Parent Loop BB406_66 Depth=1
                                        ; =>  This Inner Loop Header: Depth=2
	s_delay_alu instid0(SALU_CYCLE_1)
	s_add_i32 s16, s16, -1
	s_sleep 1
	s_cmp_eq_u32 s16, 0
	s_cbranch_scc0 .LBB406_67
; %bb.68:                               ;   in Loop: Header=BB406_66 Depth=1
	;;#ASMSTART
	global_load_dwordx4 v[5:8], v[3:4] off glc	
s_waitcnt vmcnt(0)
	;;#ASMEND
	v_and_b32_e32 v8, 0xff, v7
	s_cmp_lt_u32 s11, 32
	s_cselect_b32 s16, -1, 0
	s_delay_alu instid0(SALU_CYCLE_1) | instskip(NEXT) | instid1(VALU_DEP_1)
	s_cmp_lg_u32 s16, 0
	v_cmp_ne_u16_e32 vcc_lo, 0, v8
	s_addc_u32 s11, s11, 0
	s_or_b32 s10, vcc_lo, s10
	s_delay_alu instid0(SALU_CYCLE_1)
	s_and_not1_b32 exec_lo, exec_lo, s10
	s_cbranch_execnz .LBB406_66
; %bb.69:
	s_or_b32 exec_lo, exec_lo, s10
.LBB406_70:
	s_delay_alu instid0(SALU_CYCLE_1)
	s_or_b32 exec_lo, exec_lo, s9
	v_cmp_ne_u32_e32 vcc_lo, 31, v74
	v_and_b32_e32 v4, 0xff, v7
	v_lshlrev_b32_e64 v18, v74, -1
	s_mov_b32 s9, exec_lo
	v_add_co_ci_u32_e32 v3, vcc_lo, 0, v74, vcc_lo
	s_delay_alu instid0(VALU_DEP_3) | instskip(NEXT) | instid1(VALU_DEP_2)
	v_cmp_eq_u16_e32 vcc_lo, 2, v4
	v_dual_mov_b32 v4, v5 :: v_dual_lshlrev_b32 v17, 2, v3
	v_and_or_b32 v3, vcc_lo, v18, 0x80000000
	ds_bpermute_b32 v12, v17, v5
	ds_bpermute_b32 v8, v17, v6
	v_ctz_i32_b32_e32 v3, v3
	s_delay_alu instid0(VALU_DEP_1)
	v_cmpx_lt_u32_e64 v74, v3
	s_cbranch_execz .LBB406_72
; %bb.71:
	s_waitcnt lgkmcnt(1)
	v_add_co_u32 v4, vcc_lo, v5, v12
	v_add_co_ci_u32_e32 v6, vcc_lo, 0, v6, vcc_lo
	s_delay_alu instid0(VALU_DEP_2) | instskip(SKIP_1) | instid1(VALU_DEP_2)
	v_add_co_u32 v5, vcc_lo, 0, v4
	s_waitcnt lgkmcnt(0)
	v_add_co_ci_u32_e32 v6, vcc_lo, v8, v6, vcc_lo
.LBB406_72:
	s_or_b32 exec_lo, exec_lo, s9
	v_cmp_gt_u32_e32 vcc_lo, 30, v74
	v_add_nc_u32_e32 v20, 2, v74
	s_mov_b32 s9, exec_lo
	s_waitcnt lgkmcnt(0)
	v_cndmask_b32_e64 v8, 0, 1, vcc_lo
	s_delay_alu instid0(VALU_DEP_1) | instskip(NEXT) | instid1(VALU_DEP_1)
	v_lshlrev_b32_e32 v8, 1, v8
	v_add_lshl_u32 v19, v8, v74, 2
	ds_bpermute_b32 v12, v19, v4
	ds_bpermute_b32 v8, v19, v6
	v_cmpx_le_u32_e64 v20, v3
	s_cbranch_execz .LBB406_74
; %bb.73:
	s_waitcnt lgkmcnt(1)
	v_add_co_u32 v4, vcc_lo, v5, v12
	v_add_co_ci_u32_e32 v6, vcc_lo, 0, v6, vcc_lo
	s_delay_alu instid0(VALU_DEP_2) | instskip(SKIP_1) | instid1(VALU_DEP_2)
	v_add_co_u32 v5, vcc_lo, 0, v4
	s_waitcnt lgkmcnt(0)
	v_add_co_ci_u32_e32 v6, vcc_lo, v8, v6, vcc_lo
.LBB406_74:
	s_or_b32 exec_lo, exec_lo, s9
	v_cmp_gt_u32_e32 vcc_lo, 28, v74
	v_add_nc_u32_e32 v22, 4, v74
	s_mov_b32 s9, exec_lo
	s_waitcnt lgkmcnt(0)
	v_cndmask_b32_e64 v8, 0, 1, vcc_lo
	s_delay_alu instid0(VALU_DEP_1) | instskip(NEXT) | instid1(VALU_DEP_1)
	v_lshlrev_b32_e32 v8, 2, v8
	v_add_lshl_u32 v21, v8, v74, 2
	ds_bpermute_b32 v12, v21, v4
	ds_bpermute_b32 v8, v21, v6
	v_cmpx_le_u32_e64 v22, v3
	;; [unrolled: 22-line block ×4, first 2 shown]
	s_cbranch_execz .LBB406_80
; %bb.79:
	s_waitcnt lgkmcnt(1)
	v_add_co_u32 v3, vcc_lo, v5, v8
	v_add_co_ci_u32_e32 v6, vcc_lo, 0, v6, vcc_lo
	s_delay_alu instid0(VALU_DEP_2) | instskip(SKIP_1) | instid1(VALU_DEP_2)
	v_add_co_u32 v5, vcc_lo, v3, 0
	s_waitcnt lgkmcnt(0)
	v_add_co_ci_u32_e32 v6, vcc_lo, v6, v4, vcc_lo
.LBB406_80:
	s_or_b32 exec_lo, exec_lo, s9
	v_mov_b32_e32 v12, 0
	s_branch .LBB406_82
.LBB406_81:                             ;   in Loop: Header=BB406_82 Depth=1
	s_or_b32 exec_lo, exec_lo, s9
	v_add_co_u32 v5, vcc_lo, v5, v3
	v_subrev_nc_u32_e32 v11, 32, v11
	v_add_co_ci_u32_e32 v6, vcc_lo, v6, v4, vcc_lo
.LBB406_82:                             ; =>This Loop Header: Depth=1
                                        ;     Child Loop BB406_85 Depth 2
                                        ;       Child Loop BB406_86 Depth 3
	v_and_b32_e32 v3, 0xff, v7
	s_delay_alu instid0(VALU_DEP_1) | instskip(SKIP_2) | instid1(VALU_DEP_1)
	v_cmp_ne_u16_e32 vcc_lo, 2, v3
	v_cndmask_b32_e64 v3, 0, 1, vcc_lo
	;;#ASMSTART
	;;#ASMEND
	v_cmp_ne_u32_e32 vcc_lo, 0, v3
	s_waitcnt lgkmcnt(0)
	v_dual_mov_b32 v3, v5 :: v_dual_mov_b32 v4, v6
	s_cmp_lg_u32 vcc_lo, exec_lo
	s_cbranch_scc1 .LBB406_99
; %bb.83:                               ;   in Loop: Header=BB406_82 Depth=1
	v_lshlrev_b64 v[5:6], 4, v[11:12]
	s_mov_b32 s9, exec_lo
	s_delay_alu instid0(VALU_DEP_1) | instskip(NEXT) | instid1(VALU_DEP_2)
	v_add_co_u32 v13, vcc_lo, s14, v5
	v_add_co_ci_u32_e32 v14, vcc_lo, s15, v6, vcc_lo
	;;#ASMSTART
	global_load_dwordx4 v[5:8], v[13:14] off glc	
s_waitcnt vmcnt(0)
	;;#ASMEND
	v_and_b32_e32 v8, 0xff, v6
	v_and_b32_e32 v27, 0xff00, v6
	v_or3_b32 v5, v5, 0, 0
	v_and_b32_e32 v28, 0xff000000, v6
	v_and_b32_e32 v6, 0xff0000, v6
	s_delay_alu instid0(VALU_DEP_4) | instskip(SKIP_2) | instid1(VALU_DEP_3)
	v_or3_b32 v8, 0, v8, v27
	v_and_b32_e32 v27, 0xff, v7
	v_or3_b32 v5, v5, 0, 0
	v_or3_b32 v6, v8, v6, v28
	s_delay_alu instid0(VALU_DEP_3)
	v_cmpx_eq_u16_e32 0, v27
	s_cbranch_execz .LBB406_89
; %bb.84:                               ;   in Loop: Header=BB406_82 Depth=1
	s_mov_b32 s11, 1
	s_mov_b32 s10, 0
	.p2align	6
.LBB406_85:                             ;   Parent Loop BB406_82 Depth=1
                                        ; =>  This Loop Header: Depth=2
                                        ;       Child Loop BB406_86 Depth 3
	s_max_u32 s16, s11, 1
.LBB406_86:                             ;   Parent Loop BB406_82 Depth=1
                                        ;     Parent Loop BB406_85 Depth=2
                                        ; =>    This Inner Loop Header: Depth=3
	s_delay_alu instid0(SALU_CYCLE_1)
	s_add_i32 s16, s16, -1
	s_sleep 1
	s_cmp_eq_u32 s16, 0
	s_cbranch_scc0 .LBB406_86
; %bb.87:                               ;   in Loop: Header=BB406_85 Depth=2
	;;#ASMSTART
	global_load_dwordx4 v[5:8], v[13:14] off glc	
s_waitcnt vmcnt(0)
	;;#ASMEND
	v_and_b32_e32 v8, 0xff, v7
	s_cmp_lt_u32 s11, 32
	s_cselect_b32 s16, -1, 0
	s_delay_alu instid0(SALU_CYCLE_1) | instskip(NEXT) | instid1(VALU_DEP_1)
	s_cmp_lg_u32 s16, 0
	v_cmp_ne_u16_e32 vcc_lo, 0, v8
	s_addc_u32 s11, s11, 0
	s_or_b32 s10, vcc_lo, s10
	s_delay_alu instid0(SALU_CYCLE_1)
	s_and_not1_b32 exec_lo, exec_lo, s10
	s_cbranch_execnz .LBB406_85
; %bb.88:                               ;   in Loop: Header=BB406_82 Depth=1
	s_or_b32 exec_lo, exec_lo, s10
.LBB406_89:                             ;   in Loop: Header=BB406_82 Depth=1
	s_delay_alu instid0(SALU_CYCLE_1)
	s_or_b32 exec_lo, exec_lo, s9
	v_dual_mov_b32 v13, v5 :: v_dual_and_b32 v8, 0xff, v7
	ds_bpermute_b32 v27, v17, v5
	ds_bpermute_b32 v14, v17, v6
	s_mov_b32 s9, exec_lo
	v_cmp_eq_u16_e32 vcc_lo, 2, v8
	v_and_or_b32 v8, vcc_lo, v18, 0x80000000
	s_delay_alu instid0(VALU_DEP_1) | instskip(NEXT) | instid1(VALU_DEP_1)
	v_ctz_i32_b32_e32 v8, v8
	v_cmpx_lt_u32_e64 v74, v8
	s_cbranch_execz .LBB406_91
; %bb.90:                               ;   in Loop: Header=BB406_82 Depth=1
	s_waitcnt lgkmcnt(1)
	v_add_co_u32 v13, vcc_lo, v5, v27
	v_add_co_ci_u32_e32 v6, vcc_lo, 0, v6, vcc_lo
	s_delay_alu instid0(VALU_DEP_2) | instskip(SKIP_1) | instid1(VALU_DEP_2)
	v_add_co_u32 v5, vcc_lo, 0, v13
	s_waitcnt lgkmcnt(0)
	v_add_co_ci_u32_e32 v6, vcc_lo, v14, v6, vcc_lo
.LBB406_91:                             ;   in Loop: Header=BB406_82 Depth=1
	s_or_b32 exec_lo, exec_lo, s9
	s_waitcnt lgkmcnt(1)
	ds_bpermute_b32 v27, v19, v13
	s_waitcnt lgkmcnt(1)
	ds_bpermute_b32 v14, v19, v6
	s_mov_b32 s9, exec_lo
	v_cmpx_le_u32_e64 v20, v8
	s_cbranch_execz .LBB406_93
; %bb.92:                               ;   in Loop: Header=BB406_82 Depth=1
	s_waitcnt lgkmcnt(1)
	v_add_co_u32 v13, vcc_lo, v5, v27
	v_add_co_ci_u32_e32 v6, vcc_lo, 0, v6, vcc_lo
	s_delay_alu instid0(VALU_DEP_2) | instskip(SKIP_1) | instid1(VALU_DEP_2)
	v_add_co_u32 v5, vcc_lo, 0, v13
	s_waitcnt lgkmcnt(0)
	v_add_co_ci_u32_e32 v6, vcc_lo, v14, v6, vcc_lo
.LBB406_93:                             ;   in Loop: Header=BB406_82 Depth=1
	s_or_b32 exec_lo, exec_lo, s9
	s_waitcnt lgkmcnt(1)
	ds_bpermute_b32 v27, v21, v13
	s_waitcnt lgkmcnt(1)
	ds_bpermute_b32 v14, v21, v6
	s_mov_b32 s9, exec_lo
	v_cmpx_le_u32_e64 v22, v8
	;; [unrolled: 17-line block ×3, first 2 shown]
	s_cbranch_execz .LBB406_97
; %bb.96:                               ;   in Loop: Header=BB406_82 Depth=1
	s_waitcnt lgkmcnt(1)
	v_add_co_u32 v13, vcc_lo, v5, v27
	v_add_co_ci_u32_e32 v6, vcc_lo, 0, v6, vcc_lo
	s_delay_alu instid0(VALU_DEP_2) | instskip(SKIP_1) | instid1(VALU_DEP_2)
	v_add_co_u32 v5, vcc_lo, 0, v13
	s_waitcnt lgkmcnt(0)
	v_add_co_ci_u32_e32 v6, vcc_lo, v14, v6, vcc_lo
.LBB406_97:                             ;   in Loop: Header=BB406_82 Depth=1
	s_or_b32 exec_lo, exec_lo, s9
	s_waitcnt lgkmcnt(0)
	ds_bpermute_b32 v14, v25, v13
	ds_bpermute_b32 v13, v25, v6
	s_mov_b32 s9, exec_lo
	v_cmpx_le_u32_e64 v26, v8
	s_cbranch_execz .LBB406_81
; %bb.98:                               ;   in Loop: Header=BB406_82 Depth=1
	s_waitcnt lgkmcnt(1)
	v_add_co_u32 v5, vcc_lo, v5, v14
	v_add_co_ci_u32_e32 v6, vcc_lo, 0, v6, vcc_lo
	s_delay_alu instid0(VALU_DEP_2) | instskip(SKIP_1) | instid1(VALU_DEP_2)
	v_add_co_u32 v5, vcc_lo, v5, 0
	s_waitcnt lgkmcnt(0)
	v_add_co_ci_u32_e32 v6, vcc_lo, v6, v13, vcc_lo
	s_branch .LBB406_81
.LBB406_99:                             ;   in Loop: Header=BB406_82 Depth=1
                                        ; implicit-def: $vgpr5_vgpr6
	s_cbranch_execz .LBB406_82
; %bb.100:
	s_and_saveexec_b32 s9, s1
	s_cbranch_execz .LBB406_102
; %bb.101:
	s_add_i32 s10, s7, 32
	s_mov_b32 s11, 0
	v_add_co_u32 v5, vcc_lo, v3, v1
	s_lshl_b64 s[10:11], s[10:11], 4
	v_dual_mov_b32 v7, 2 :: v_dual_mov_b32 v8, 0
	s_add_u32 s10, s14, s10
	s_addc_u32 s11, s15, s11
	v_add_co_ci_u32_e32 v6, vcc_lo, v4, v2, vcc_lo
	v_dual_mov_b32 v12, s11 :: v_dual_mov_b32 v11, s10
	;;#ASMSTART
	global_store_dwordx4 v[11:12], v[5:8] off	
s_waitcnt vmcnt(0)
	;;#ASMEND
	ds_store_b128 v8, v[1:4] offset:7168
.LBB406_102:
	s_or_b32 exec_lo, exec_lo, s9
	s_delay_alu instid0(SALU_CYCLE_1)
	s_and_b32 exec_lo, exec_lo, s2
	s_cbranch_execz .LBB406_104
; %bb.103:
	v_mov_b32_e32 v1, 0
	ds_store_b64 v1, v[3:4] offset:24
.LBB406_104:
	s_or_b32 exec_lo, exec_lo, s8
	v_mov_b32_e32 v21, 0
	s_waitcnt lgkmcnt(0)
	s_barrier
	buffer_gl0_inv
	v_cndmask_b32_e64 v3, v15, v9, s1
	ds_load_b64 v[1:2], v21 offset:24
	v_cndmask_b32_e64 v4, v16, v10, s1
	s_waitcnt lgkmcnt(0)
	s_barrier
	v_cndmask_b32_e64 v3, v3, 0, s2
	buffer_gl0_inv
	v_cndmask_b32_e64 v4, v4, 0, s2
	ds_load_b128 v[45:48], v21 offset:7168
	v_add_co_u32 v1, vcc_lo, v1, v3
	v_add_co_ci_u32_e32 v2, vcc_lo, v2, v4, vcc_lo
	s_delay_alu instid0(VALU_DEP_2) | instskip(NEXT) | instid1(VALU_DEP_2)
	v_add_co_u32 v3, vcc_lo, v1, v65
	v_add_co_ci_u32_e32 v4, vcc_lo, 0, v2, vcc_lo
	s_delay_alu instid0(VALU_DEP_2) | instskip(NEXT) | instid1(VALU_DEP_2)
	;; [unrolled: 3-line block ×13, first 2 shown]
	v_add_co_u32 v27, vcc_lo, v25, v64
	v_add_co_ci_u32_e32 v28, vcc_lo, 0, v26, vcc_lo
	s_branch .LBB406_129
.LBB406_105:
                                        ; implicit-def: $vgpr47_vgpr48
                                        ; implicit-def: $vgpr1_vgpr2_vgpr3_vgpr4_vgpr5_vgpr6_vgpr7_vgpr8_vgpr9_vgpr10_vgpr11_vgpr12_vgpr13_vgpr14_vgpr15_vgpr16_vgpr17_vgpr18_vgpr19_vgpr20_vgpr21_vgpr22_vgpr23_vgpr24_vgpr25_vgpr26_vgpr27_vgpr28_vgpr29_vgpr30_vgpr31_vgpr32
	s_and_b32 vcc_lo, exec_lo, s1
	s_cbranch_vccz .LBB406_129
; %bb.106:
	v_dual_mov_b32 v2, 0 :: v_dual_mov_b32 v3, v53
	v_mov_b32_dpp v4, v53 row_shr:1 row_mask:0xf bank_mask:0xf
	s_delay_alu instid0(VALU_DEP_2)
	v_mov_b32_dpp v1, v2 row_shr:1 row_mask:0xf bank_mask:0xf
	s_and_saveexec_b32 s1, s0
; %bb.107:
	s_delay_alu instid0(VALU_DEP_2) | instskip(SKIP_1) | instid1(VALU_DEP_2)
	v_add_co_u32 v3, vcc_lo, v53, v4
	v_add_co_ci_u32_e32 v2, vcc_lo, 0, v54, vcc_lo
	v_add_co_u32 v53, vcc_lo, 0, v3
	s_delay_alu instid0(VALU_DEP_2) | instskip(NEXT) | instid1(VALU_DEP_1)
	v_add_co_ci_u32_e32 v54, vcc_lo, v1, v2, vcc_lo
	v_mov_b32_e32 v2, v54
; %bb.108:
	s_or_b32 exec_lo, exec_lo, s1
	v_mov_b32_dpp v1, v3 row_shr:2 row_mask:0xf bank_mask:0xf
	s_delay_alu instid0(VALU_DEP_2)
	v_mov_b32_dpp v4, v2 row_shr:2 row_mask:0xf bank_mask:0xf
	s_mov_b32 s0, exec_lo
	v_cmpx_lt_u32_e32 1, v75
; %bb.109:
	s_delay_alu instid0(VALU_DEP_3) | instskip(SKIP_1) | instid1(VALU_DEP_2)
	v_add_co_u32 v3, vcc_lo, v53, v1
	v_add_co_ci_u32_e32 v2, vcc_lo, 0, v54, vcc_lo
	v_add_co_u32 v1, vcc_lo, 0, v3
	s_delay_alu instid0(VALU_DEP_2) | instskip(NEXT) | instid1(VALU_DEP_1)
	v_add_co_ci_u32_e32 v2, vcc_lo, v4, v2, vcc_lo
	v_dual_mov_b32 v54, v2 :: v_dual_mov_b32 v53, v1
; %bb.110:
	s_or_b32 exec_lo, exec_lo, s0
	v_mov_b32_dpp v1, v3 row_shr:4 row_mask:0xf bank_mask:0xf
	v_mov_b32_dpp v4, v2 row_shr:4 row_mask:0xf bank_mask:0xf
	s_mov_b32 s0, exec_lo
	v_cmpx_lt_u32_e32 3, v75
; %bb.111:
	s_delay_alu instid0(VALU_DEP_3) | instskip(SKIP_1) | instid1(VALU_DEP_2)
	v_add_co_u32 v3, vcc_lo, v53, v1
	v_add_co_ci_u32_e32 v2, vcc_lo, 0, v54, vcc_lo
	v_add_co_u32 v1, vcc_lo, 0, v3
	s_delay_alu instid0(VALU_DEP_2) | instskip(NEXT) | instid1(VALU_DEP_1)
	v_add_co_ci_u32_e32 v2, vcc_lo, v4, v2, vcc_lo
	v_dual_mov_b32 v54, v2 :: v_dual_mov_b32 v53, v1
; %bb.112:
	s_or_b32 exec_lo, exec_lo, s0
	v_mov_b32_dpp v4, v3 row_shr:8 row_mask:0xf bank_mask:0xf
	v_mov_b32_dpp v1, v2 row_shr:8 row_mask:0xf bank_mask:0xf
	s_mov_b32 s0, exec_lo
	v_cmpx_lt_u32_e32 7, v75
; %bb.113:
	s_delay_alu instid0(VALU_DEP_3) | instskip(SKIP_1) | instid1(VALU_DEP_2)
	v_add_co_u32 v3, vcc_lo, v53, v4
	v_add_co_ci_u32_e32 v2, vcc_lo, 0, v54, vcc_lo
	v_add_co_u32 v53, vcc_lo, 0, v3
	s_delay_alu instid0(VALU_DEP_2) | instskip(NEXT) | instid1(VALU_DEP_1)
	v_add_co_ci_u32_e32 v54, vcc_lo, v1, v2, vcc_lo
	v_mov_b32_e32 v2, v54
; %bb.114:
	s_or_b32 exec_lo, exec_lo, s0
	ds_swizzle_b32 v3, v3 offset:swizzle(BROADCAST,32,15)
	ds_swizzle_b32 v1, v2 offset:swizzle(BROADCAST,32,15)
	v_and_b32_e32 v2, 16, v74
	s_mov_b32 s0, exec_lo
	s_delay_alu instid0(VALU_DEP_1)
	v_cmpx_ne_u32_e32 0, v2
	s_cbranch_execz .LBB406_116
; %bb.115:
	s_waitcnt lgkmcnt(1)
	v_add_co_u32 v2, vcc_lo, v53, v3
	v_add_co_ci_u32_e32 v3, vcc_lo, 0, v54, vcc_lo
	s_delay_alu instid0(VALU_DEP_2) | instskip(SKIP_1) | instid1(VALU_DEP_2)
	v_add_co_u32 v53, vcc_lo, v2, 0
	s_waitcnt lgkmcnt(0)
	v_add_co_ci_u32_e32 v54, vcc_lo, v3, v1, vcc_lo
.LBB406_116:
	s_or_b32 exec_lo, exec_lo, s0
	s_waitcnt lgkmcnt(0)
	v_or_b32_e32 v1, 31, v0
	v_lshrrev_b32_e32 v3, 5, v0
	s_mov_b32 s0, exec_lo
	s_delay_alu instid0(VALU_DEP_2)
	v_cmpx_eq_u32_e64 v1, v0
	s_cbranch_execz .LBB406_118
; %bb.117:
	s_delay_alu instid0(VALU_DEP_2)
	v_lshlrev_b32_e32 v1, 3, v3
	ds_store_b64 v1, v[53:54]
.LBB406_118:
	s_or_b32 exec_lo, exec_lo, s0
	s_delay_alu instid0(SALU_CYCLE_1)
	s_mov_b32 s0, exec_lo
	s_waitcnt lgkmcnt(0)
	s_barrier
	buffer_gl0_inv
	v_cmpx_gt_u32_e32 4, v0
	s_cbranch_execz .LBB406_124
; %bb.119:
	v_mad_i32_i24 v1, 0xffffffd0, v0, v63
	s_mov_b32 s1, exec_lo
	ds_load_b64 v[1:2], v1
	s_waitcnt lgkmcnt(0)
	v_dual_mov_b32 v5, v1 :: v_dual_and_b32 v4, 3, v74
	v_mov_b32_dpp v7, v1 row_shr:1 row_mask:0xf bank_mask:0xf
	v_mov_b32_dpp v6, v2 row_shr:1 row_mask:0xf bank_mask:0xf
	s_delay_alu instid0(VALU_DEP_3)
	v_cmpx_ne_u32_e32 0, v4
; %bb.120:
	s_delay_alu instid0(VALU_DEP_3) | instskip(SKIP_1) | instid1(VALU_DEP_2)
	v_add_co_u32 v5, vcc_lo, v1, v7
	v_add_co_ci_u32_e32 v2, vcc_lo, 0, v2, vcc_lo
	v_add_co_u32 v1, vcc_lo, 0, v5
	s_delay_alu instid0(VALU_DEP_2)
	v_add_co_ci_u32_e32 v2, vcc_lo, v6, v2, vcc_lo
; %bb.121:
	s_or_b32 exec_lo, exec_lo, s1
	v_mul_i32_i24_e32 v6, 0xffffffd0, v0
	v_mov_b32_dpp v7, v5 row_shr:2 row_mask:0xf bank_mask:0xf
	s_delay_alu instid0(VALU_DEP_3)
	v_mov_b32_dpp v5, v2 row_shr:2 row_mask:0xf bank_mask:0xf
	s_mov_b32 s1, exec_lo
	v_cmpx_lt_u32_e32 1, v4
; %bb.122:
	s_delay_alu instid0(VALU_DEP_3) | instskip(SKIP_1) | instid1(VALU_DEP_2)
	v_add_co_u32 v1, vcc_lo, v1, v7
	v_add_co_ci_u32_e32 v2, vcc_lo, 0, v2, vcc_lo
	v_add_co_u32 v1, vcc_lo, v1, 0
	s_delay_alu instid0(VALU_DEP_2)
	v_add_co_ci_u32_e32 v2, vcc_lo, v2, v5, vcc_lo
; %bb.123:
	s_or_b32 exec_lo, exec_lo, s1
	v_add_nc_u32_e32 v4, v63, v6
	ds_store_b64 v4, v[1:2]
.LBB406_124:
	s_or_b32 exec_lo, exec_lo, s0
	v_mov_b32_e32 v1, 0
	v_mov_b32_e32 v2, 0
	s_mov_b32 s0, exec_lo
	s_waitcnt lgkmcnt(0)
	s_barrier
	buffer_gl0_inv
	v_cmpx_lt_u32_e32 31, v0
	s_cbranch_execz .LBB406_126
; %bb.125:
	v_lshl_add_u32 v1, v3, 3, -8
	ds_load_b64 v[1:2], v1
.LBB406_126:
	s_or_b32 exec_lo, exec_lo, s0
	v_dual_mov_b32 v48, 0 :: v_dual_add_nc_u32 v3, -1, v74
	s_delay_alu instid0(VALU_DEP_1) | instskip(SKIP_2) | instid1(VALU_DEP_1)
	v_cmp_gt_i32_e32 vcc_lo, 0, v3
	ds_load_b64 v[45:46], v48 offset:24
	v_cndmask_b32_e32 v3, v3, v74, vcc_lo
	v_lshlrev_b32_e32 v4, 2, v3
	s_waitcnt lgkmcnt(1)
	v_add_co_u32 v3, vcc_lo, v1, v53
	v_add_co_ci_u32_e32 v5, vcc_lo, v2, v54, vcc_lo
	ds_bpermute_b32 v3, v4, v3
	ds_bpermute_b32 v4, v4, v5
	s_and_saveexec_b32 s0, s2
	s_cbranch_execz .LBB406_128
; %bb.127:
	s_add_u32 s8, s14, 0x200
	s_addc_u32 s9, s15, 0
	v_mov_b32_e32 v5, s8
	v_dual_mov_b32 v47, 2 :: v_dual_mov_b32 v6, s9
	s_waitcnt lgkmcnt(2)
	;;#ASMSTART
	global_store_dwordx4 v[5:6], v[45:48] off	
s_waitcnt vmcnt(0)
	;;#ASMEND
.LBB406_128:
	s_or_b32 exec_lo, exec_lo, s0
	v_cmp_eq_u32_e32 vcc_lo, 0, v74
	v_mov_b32_e32 v47, 0
	v_mov_b32_e32 v48, 0
	s_waitcnt lgkmcnt(0)
	s_barrier
	v_dual_cndmask_b32 v1, v3, v1 :: v_dual_cndmask_b32 v2, v4, v2
	buffer_gl0_inv
	v_cndmask_b32_e64 v1, v1, 0, s2
	v_cndmask_b32_e64 v2, v2, 0, s2
	s_delay_alu instid0(VALU_DEP_2) | instskip(NEXT) | instid1(VALU_DEP_2)
	v_add_co_u32 v3, vcc_lo, v1, v65
	v_add_co_ci_u32_e32 v4, vcc_lo, 0, v2, vcc_lo
	s_delay_alu instid0(VALU_DEP_2) | instskip(NEXT) | instid1(VALU_DEP_2)
	v_add_co_u32 v5, vcc_lo, v3, v66
	v_add_co_ci_u32_e32 v6, vcc_lo, 0, v4, vcc_lo
	;; [unrolled: 3-line block ×13, first 2 shown]
.LBB406_129:
	s_waitcnt lgkmcnt(0)
	v_cmp_gt_u64_e32 vcc_lo, 0x81, v[45:46]
	v_lshrrev_b32_e32 v53, 16, v58
	v_lshrrev_b32_e32 v54, 8, v58
	v_lshrrev_b32_e32 v64, 8, v61
	v_lshrrev_b32_e32 v63, 16, v61
	v_lshrrev_b32_e32 v32, 8, v57
	v_lshrrev_b32_e32 v31, 16, v57
	s_mov_b32 s0, -1
	s_cbranch_vccnz .LBB406_133
; %bb.130:
	s_and_b32 vcc_lo, exec_lo, s0
	s_cbranch_vccnz .LBB406_176
.LBB406_131:
	s_and_b32 s0, s2, s3
	s_delay_alu instid0(SALU_CYCLE_1)
	s_and_saveexec_b32 s1, s0
	s_cbranch_execnz .LBB406_208
.LBB406_132:
	s_nop 0
	s_sendmsg sendmsg(MSG_DEALLOC_VGPRS)
	s_endpgm
.LBB406_133:
	v_add_co_u32 v29, vcc_lo, v47, v45
	v_add_co_ci_u32_e32 v30, vcc_lo, v48, v46, vcc_lo
	v_lshlrev_b64 v[65:66], 2, v[49:50]
	s_delay_alu instid0(VALU_DEP_2) | instskip(NEXT) | instid1(VALU_DEP_2)
	v_cmp_lt_u64_e32 vcc_lo, v[1:2], v[29:30]
	v_add_co_u32 v65, s0, s12, v65
	s_delay_alu instid0(VALU_DEP_1) | instskip(SKIP_1) | instid1(SALU_CYCLE_1)
	v_add_co_ci_u32_e64 v66, s0, s13, v66, s0
	s_or_b32 s1, s6, vcc_lo
	s_and_saveexec_b32 s0, s1
	s_cbranch_execz .LBB406_136
; %bb.134:
	v_and_b32_e32 v67, 1, v61
	s_delay_alu instid0(VALU_DEP_1)
	v_cmp_eq_u32_e32 vcc_lo, 1, v67
	s_and_b32 exec_lo, exec_lo, vcc_lo
	s_cbranch_execz .LBB406_136
; %bb.135:
	v_lshlrev_b64 v[67:68], 2, v[1:2]
	s_delay_alu instid0(VALU_DEP_1) | instskip(NEXT) | instid1(VALU_DEP_2)
	v_add_co_u32 v67, vcc_lo, v65, v67
	v_add_co_ci_u32_e32 v68, vcc_lo, v66, v68, vcc_lo
	global_store_b32 v[67:68], v41, off
.LBB406_136:
	s_or_b32 exec_lo, exec_lo, s0
	v_cmp_lt_u64_e32 vcc_lo, v[3:4], v[29:30]
	s_or_b32 s1, s6, vcc_lo
	s_delay_alu instid0(SALU_CYCLE_1)
	s_and_saveexec_b32 s0, s1
	s_cbranch_execz .LBB406_139
; %bb.137:
	v_and_b32_e32 v2, 1, v64
	s_delay_alu instid0(VALU_DEP_1)
	v_cmp_eq_u32_e32 vcc_lo, 1, v2
	s_and_b32 exec_lo, exec_lo, vcc_lo
	s_cbranch_execz .LBB406_139
; %bb.138:
	v_lshlrev_b64 v[67:68], 2, v[3:4]
	s_delay_alu instid0(VALU_DEP_1) | instskip(NEXT) | instid1(VALU_DEP_2)
	v_add_co_u32 v67, vcc_lo, v65, v67
	v_add_co_ci_u32_e32 v68, vcc_lo, v66, v68, vcc_lo
	global_store_b32 v[67:68], v42, off
.LBB406_139:
	s_or_b32 exec_lo, exec_lo, s0
	v_cmp_lt_u64_e32 vcc_lo, v[5:6], v[29:30]
	s_or_b32 s1, s6, vcc_lo
	s_delay_alu instid0(SALU_CYCLE_1)
	;; [unrolled: 19-line block ×13, first 2 shown]
	s_and_saveexec_b32 s0, s1
	s_cbranch_execz .LBB406_175
; %bb.173:
	v_and_b32_e32 v2, 1, v55
	s_delay_alu instid0(VALU_DEP_1)
	v_cmp_eq_u32_e32 vcc_lo, 1, v2
	s_and_b32 exec_lo, exec_lo, vcc_lo
	s_cbranch_execz .LBB406_175
; %bb.174:
	v_lshlrev_b64 v[28:29], 2, v[27:28]
	s_delay_alu instid0(VALU_DEP_1) | instskip(NEXT) | instid1(VALU_DEP_2)
	v_add_co_u32 v28, vcc_lo, v65, v28
	v_add_co_ci_u32_e32 v29, vcc_lo, v66, v29, vcc_lo
	global_store_b32 v[28:29], v52, off
.LBB406_175:
	s_or_b32 exec_lo, exec_lo, s0
	s_branch .LBB406_131
.LBB406_176:
	v_and_b32_e32 v2, 1, v61
	s_mov_b32 s0, exec_lo
	s_delay_alu instid0(VALU_DEP_1)
	v_cmpx_eq_u32_e32 1, v2
	s_cbranch_execz .LBB406_178
; %bb.177:
	v_sub_nc_u32_e32 v1, v1, v47
	s_delay_alu instid0(VALU_DEP_1)
	v_lshlrev_b32_e32 v1, 2, v1
	ds_store_b32 v1, v41
.LBB406_178:
	s_or_b32 exec_lo, exec_lo, s0
	v_and_b32_e32 v1, 1, v64
	s_mov_b32 s0, exec_lo
	s_delay_alu instid0(VALU_DEP_1)
	v_cmpx_eq_u32_e32 1, v1
	s_cbranch_execz .LBB406_180
; %bb.179:
	v_sub_nc_u32_e32 v1, v3, v47
	s_delay_alu instid0(VALU_DEP_1)
	v_lshlrev_b32_e32 v1, 2, v1
	ds_store_b32 v1, v42
.LBB406_180:
	s_or_b32 exec_lo, exec_lo, s0
	;; [unrolled: 12-line block ×14, first 2 shown]
	v_mov_b32_e32 v1, 0
	s_mov_b32 s1, exec_lo
	s_waitcnt lgkmcnt(0)
	s_waitcnt_vscnt null, 0x0
	s_barrier
	buffer_gl0_inv
	v_cmpx_gt_u64_e64 v[45:46], v[0:1]
	s_cbranch_execz .LBB406_207
; %bb.205:
	v_lshlrev_b64 v[2:3], 2, v[47:48]
	v_lshlrev_b64 v[4:5], 2, v[49:50]
	s_mov_b32 s6, 0
	s_delay_alu instid0(VALU_DEP_2) | instskip(NEXT) | instid1(VALU_DEP_3)
	v_add_co_u32 v6, vcc_lo, s12, v2
	v_add_co_ci_u32_e32 v7, vcc_lo, s13, v3, vcc_lo
	v_dual_mov_b32 v3, v1 :: v_dual_mov_b32 v2, v0
	s_delay_alu instid0(VALU_DEP_3) | instskip(NEXT) | instid1(VALU_DEP_3)
	v_add_co_u32 v4, vcc_lo, v6, v4
	v_add_co_ci_u32_e32 v5, vcc_lo, v7, v5, vcc_lo
	v_or_b32_e32 v0, 0x80, v0
	.p2align	6
.LBB406_206:                            ; =>This Inner Loop Header: Depth=1
	s_delay_alu instid0(VALU_DEP_4) | instskip(NEXT) | instid1(VALU_DEP_2)
	v_lshlrev_b32_e32 v6, 2, v2
	v_cmp_le_u64_e32 vcc_lo, v[45:46], v[0:1]
	ds_load_b32 v8, v6
	v_lshlrev_b64 v[6:7], 2, v[2:3]
	v_dual_mov_b32 v3, v1 :: v_dual_mov_b32 v2, v0
	v_add_nc_u32_e32 v0, 0x80, v0
	s_or_b32 s6, vcc_lo, s6
	s_delay_alu instid0(VALU_DEP_3) | instskip(NEXT) | instid1(VALU_DEP_1)
	v_add_co_u32 v6, s0, v4, v6
	v_add_co_ci_u32_e64 v7, s0, v5, v7, s0
	s_waitcnt lgkmcnt(0)
	global_store_b32 v[6:7], v8, off
	s_and_not1_b32 exec_lo, exec_lo, s6
	s_cbranch_execnz .LBB406_206
.LBB406_207:
	s_or_b32 exec_lo, exec_lo, s1
	s_and_b32 s0, s2, s3
	s_delay_alu instid0(SALU_CYCLE_1)
	s_and_saveexec_b32 s1, s0
	s_cbranch_execz .LBB406_132
.LBB406_208:
	v_add_co_u32 v0, vcc_lo, v47, v45
	v_add_co_ci_u32_e32 v1, vcc_lo, v48, v46, vcc_lo
	v_mov_b32_e32 v2, 0
	s_delay_alu instid0(VALU_DEP_3) | instskip(NEXT) | instid1(VALU_DEP_3)
	v_add_co_u32 v0, vcc_lo, v0, v49
	v_add_co_ci_u32_e32 v1, vcc_lo, v1, v50, vcc_lo
	global_store_b64 v2, v[0:1], s[4:5]
	s_nop 0
	s_sendmsg sendmsg(MSG_DEALLOC_VGPRS)
	s_endpgm
	.section	.rodata,"a",@progbits
	.p2align	6, 0x0
	.amdhsa_kernel _ZN7rocprim17ROCPRIM_400000_NS6detail17trampoline_kernelINS0_14default_configENS1_25partition_config_selectorILNS1_17partition_subalgoE6EiNS0_10empty_typeEbEEZZNS1_14partition_implILS5_6ELb0ES3_mN6thrust23THRUST_200600_302600_NS6detail15normal_iteratorINSA_10device_ptrIiEEEEPS6_SG_NS0_5tupleIJSF_S6_EEENSH_IJSG_SG_EEES6_PlJ7is_evenIiEEEE10hipError_tPvRmT3_T4_T5_T6_T7_T9_mT8_P12ihipStream_tbDpT10_ENKUlT_T0_E_clISt17integral_constantIbLb1EES16_EEDaS11_S12_EUlS11_E_NS1_11comp_targetILNS1_3genE9ELNS1_11target_archE1100ELNS1_3gpuE3ELNS1_3repE0EEENS1_30default_config_static_selectorELNS0_4arch9wavefront6targetE0EEEvT1_
		.amdhsa_group_segment_fixed_size 7184
		.amdhsa_private_segment_fixed_size 0
		.amdhsa_kernarg_size 128
		.amdhsa_user_sgpr_count 15
		.amdhsa_user_sgpr_dispatch_ptr 0
		.amdhsa_user_sgpr_queue_ptr 0
		.amdhsa_user_sgpr_kernarg_segment_ptr 1
		.amdhsa_user_sgpr_dispatch_id 0
		.amdhsa_user_sgpr_private_segment_size 0
		.amdhsa_wavefront_size32 1
		.amdhsa_uses_dynamic_stack 0
		.amdhsa_enable_private_segment 0
		.amdhsa_system_sgpr_workgroup_id_x 1
		.amdhsa_system_sgpr_workgroup_id_y 0
		.amdhsa_system_sgpr_workgroup_id_z 0
		.amdhsa_system_sgpr_workgroup_info 0
		.amdhsa_system_vgpr_workitem_id 0
		.amdhsa_next_free_vgpr 76
		.amdhsa_next_free_sgpr 20
		.amdhsa_reserve_vcc 1
		.amdhsa_float_round_mode_32 0
		.amdhsa_float_round_mode_16_64 0
		.amdhsa_float_denorm_mode_32 3
		.amdhsa_float_denorm_mode_16_64 3
		.amdhsa_dx10_clamp 1
		.amdhsa_ieee_mode 1
		.amdhsa_fp16_overflow 0
		.amdhsa_workgroup_processor_mode 1
		.amdhsa_memory_ordered 1
		.amdhsa_forward_progress 0
		.amdhsa_shared_vgpr_count 0
		.amdhsa_exception_fp_ieee_invalid_op 0
		.amdhsa_exception_fp_denorm_src 0
		.amdhsa_exception_fp_ieee_div_zero 0
		.amdhsa_exception_fp_ieee_overflow 0
		.amdhsa_exception_fp_ieee_underflow 0
		.amdhsa_exception_fp_ieee_inexact 0
		.amdhsa_exception_int_div_zero 0
	.end_amdhsa_kernel
	.section	.text._ZN7rocprim17ROCPRIM_400000_NS6detail17trampoline_kernelINS0_14default_configENS1_25partition_config_selectorILNS1_17partition_subalgoE6EiNS0_10empty_typeEbEEZZNS1_14partition_implILS5_6ELb0ES3_mN6thrust23THRUST_200600_302600_NS6detail15normal_iteratorINSA_10device_ptrIiEEEEPS6_SG_NS0_5tupleIJSF_S6_EEENSH_IJSG_SG_EEES6_PlJ7is_evenIiEEEE10hipError_tPvRmT3_T4_T5_T6_T7_T9_mT8_P12ihipStream_tbDpT10_ENKUlT_T0_E_clISt17integral_constantIbLb1EES16_EEDaS11_S12_EUlS11_E_NS1_11comp_targetILNS1_3genE9ELNS1_11target_archE1100ELNS1_3gpuE3ELNS1_3repE0EEENS1_30default_config_static_selectorELNS0_4arch9wavefront6targetE0EEEvT1_,"axG",@progbits,_ZN7rocprim17ROCPRIM_400000_NS6detail17trampoline_kernelINS0_14default_configENS1_25partition_config_selectorILNS1_17partition_subalgoE6EiNS0_10empty_typeEbEEZZNS1_14partition_implILS5_6ELb0ES3_mN6thrust23THRUST_200600_302600_NS6detail15normal_iteratorINSA_10device_ptrIiEEEEPS6_SG_NS0_5tupleIJSF_S6_EEENSH_IJSG_SG_EEES6_PlJ7is_evenIiEEEE10hipError_tPvRmT3_T4_T5_T6_T7_T9_mT8_P12ihipStream_tbDpT10_ENKUlT_T0_E_clISt17integral_constantIbLb1EES16_EEDaS11_S12_EUlS11_E_NS1_11comp_targetILNS1_3genE9ELNS1_11target_archE1100ELNS1_3gpuE3ELNS1_3repE0EEENS1_30default_config_static_selectorELNS0_4arch9wavefront6targetE0EEEvT1_,comdat
.Lfunc_end406:
	.size	_ZN7rocprim17ROCPRIM_400000_NS6detail17trampoline_kernelINS0_14default_configENS1_25partition_config_selectorILNS1_17partition_subalgoE6EiNS0_10empty_typeEbEEZZNS1_14partition_implILS5_6ELb0ES3_mN6thrust23THRUST_200600_302600_NS6detail15normal_iteratorINSA_10device_ptrIiEEEEPS6_SG_NS0_5tupleIJSF_S6_EEENSH_IJSG_SG_EEES6_PlJ7is_evenIiEEEE10hipError_tPvRmT3_T4_T5_T6_T7_T9_mT8_P12ihipStream_tbDpT10_ENKUlT_T0_E_clISt17integral_constantIbLb1EES16_EEDaS11_S12_EUlS11_E_NS1_11comp_targetILNS1_3genE9ELNS1_11target_archE1100ELNS1_3gpuE3ELNS1_3repE0EEENS1_30default_config_static_selectorELNS0_4arch9wavefront6targetE0EEEvT1_, .Lfunc_end406-_ZN7rocprim17ROCPRIM_400000_NS6detail17trampoline_kernelINS0_14default_configENS1_25partition_config_selectorILNS1_17partition_subalgoE6EiNS0_10empty_typeEbEEZZNS1_14partition_implILS5_6ELb0ES3_mN6thrust23THRUST_200600_302600_NS6detail15normal_iteratorINSA_10device_ptrIiEEEEPS6_SG_NS0_5tupleIJSF_S6_EEENSH_IJSG_SG_EEES6_PlJ7is_evenIiEEEE10hipError_tPvRmT3_T4_T5_T6_T7_T9_mT8_P12ihipStream_tbDpT10_ENKUlT_T0_E_clISt17integral_constantIbLb1EES16_EEDaS11_S12_EUlS11_E_NS1_11comp_targetILNS1_3genE9ELNS1_11target_archE1100ELNS1_3gpuE3ELNS1_3repE0EEENS1_30default_config_static_selectorELNS0_4arch9wavefront6targetE0EEEvT1_
                                        ; -- End function
	.section	.AMDGPU.csdata,"",@progbits
; Kernel info:
; codeLenInByte = 8684
; NumSgprs: 22
; NumVgprs: 76
; ScratchSize: 0
; MemoryBound: 0
; FloatMode: 240
; IeeeMode: 1
; LDSByteSize: 7184 bytes/workgroup (compile time only)
; SGPRBlocks: 2
; VGPRBlocks: 9
; NumSGPRsForWavesPerEU: 22
; NumVGPRsForWavesPerEU: 76
; Occupancy: 16
; WaveLimiterHint : 1
; COMPUTE_PGM_RSRC2:SCRATCH_EN: 0
; COMPUTE_PGM_RSRC2:USER_SGPR: 15
; COMPUTE_PGM_RSRC2:TRAP_HANDLER: 0
; COMPUTE_PGM_RSRC2:TGID_X_EN: 1
; COMPUTE_PGM_RSRC2:TGID_Y_EN: 0
; COMPUTE_PGM_RSRC2:TGID_Z_EN: 0
; COMPUTE_PGM_RSRC2:TIDIG_COMP_CNT: 0
	.section	.text._ZN7rocprim17ROCPRIM_400000_NS6detail17trampoline_kernelINS0_14default_configENS1_25partition_config_selectorILNS1_17partition_subalgoE6EiNS0_10empty_typeEbEEZZNS1_14partition_implILS5_6ELb0ES3_mN6thrust23THRUST_200600_302600_NS6detail15normal_iteratorINSA_10device_ptrIiEEEEPS6_SG_NS0_5tupleIJSF_S6_EEENSH_IJSG_SG_EEES6_PlJ7is_evenIiEEEE10hipError_tPvRmT3_T4_T5_T6_T7_T9_mT8_P12ihipStream_tbDpT10_ENKUlT_T0_E_clISt17integral_constantIbLb1EES16_EEDaS11_S12_EUlS11_E_NS1_11comp_targetILNS1_3genE8ELNS1_11target_archE1030ELNS1_3gpuE2ELNS1_3repE0EEENS1_30default_config_static_selectorELNS0_4arch9wavefront6targetE0EEEvT1_,"axG",@progbits,_ZN7rocprim17ROCPRIM_400000_NS6detail17trampoline_kernelINS0_14default_configENS1_25partition_config_selectorILNS1_17partition_subalgoE6EiNS0_10empty_typeEbEEZZNS1_14partition_implILS5_6ELb0ES3_mN6thrust23THRUST_200600_302600_NS6detail15normal_iteratorINSA_10device_ptrIiEEEEPS6_SG_NS0_5tupleIJSF_S6_EEENSH_IJSG_SG_EEES6_PlJ7is_evenIiEEEE10hipError_tPvRmT3_T4_T5_T6_T7_T9_mT8_P12ihipStream_tbDpT10_ENKUlT_T0_E_clISt17integral_constantIbLb1EES16_EEDaS11_S12_EUlS11_E_NS1_11comp_targetILNS1_3genE8ELNS1_11target_archE1030ELNS1_3gpuE2ELNS1_3repE0EEENS1_30default_config_static_selectorELNS0_4arch9wavefront6targetE0EEEvT1_,comdat
	.protected	_ZN7rocprim17ROCPRIM_400000_NS6detail17trampoline_kernelINS0_14default_configENS1_25partition_config_selectorILNS1_17partition_subalgoE6EiNS0_10empty_typeEbEEZZNS1_14partition_implILS5_6ELb0ES3_mN6thrust23THRUST_200600_302600_NS6detail15normal_iteratorINSA_10device_ptrIiEEEEPS6_SG_NS0_5tupleIJSF_S6_EEENSH_IJSG_SG_EEES6_PlJ7is_evenIiEEEE10hipError_tPvRmT3_T4_T5_T6_T7_T9_mT8_P12ihipStream_tbDpT10_ENKUlT_T0_E_clISt17integral_constantIbLb1EES16_EEDaS11_S12_EUlS11_E_NS1_11comp_targetILNS1_3genE8ELNS1_11target_archE1030ELNS1_3gpuE2ELNS1_3repE0EEENS1_30default_config_static_selectorELNS0_4arch9wavefront6targetE0EEEvT1_ ; -- Begin function _ZN7rocprim17ROCPRIM_400000_NS6detail17trampoline_kernelINS0_14default_configENS1_25partition_config_selectorILNS1_17partition_subalgoE6EiNS0_10empty_typeEbEEZZNS1_14partition_implILS5_6ELb0ES3_mN6thrust23THRUST_200600_302600_NS6detail15normal_iteratorINSA_10device_ptrIiEEEEPS6_SG_NS0_5tupleIJSF_S6_EEENSH_IJSG_SG_EEES6_PlJ7is_evenIiEEEE10hipError_tPvRmT3_T4_T5_T6_T7_T9_mT8_P12ihipStream_tbDpT10_ENKUlT_T0_E_clISt17integral_constantIbLb1EES16_EEDaS11_S12_EUlS11_E_NS1_11comp_targetILNS1_3genE8ELNS1_11target_archE1030ELNS1_3gpuE2ELNS1_3repE0EEENS1_30default_config_static_selectorELNS0_4arch9wavefront6targetE0EEEvT1_
	.globl	_ZN7rocprim17ROCPRIM_400000_NS6detail17trampoline_kernelINS0_14default_configENS1_25partition_config_selectorILNS1_17partition_subalgoE6EiNS0_10empty_typeEbEEZZNS1_14partition_implILS5_6ELb0ES3_mN6thrust23THRUST_200600_302600_NS6detail15normal_iteratorINSA_10device_ptrIiEEEEPS6_SG_NS0_5tupleIJSF_S6_EEENSH_IJSG_SG_EEES6_PlJ7is_evenIiEEEE10hipError_tPvRmT3_T4_T5_T6_T7_T9_mT8_P12ihipStream_tbDpT10_ENKUlT_T0_E_clISt17integral_constantIbLb1EES16_EEDaS11_S12_EUlS11_E_NS1_11comp_targetILNS1_3genE8ELNS1_11target_archE1030ELNS1_3gpuE2ELNS1_3repE0EEENS1_30default_config_static_selectorELNS0_4arch9wavefront6targetE0EEEvT1_
	.p2align	8
	.type	_ZN7rocprim17ROCPRIM_400000_NS6detail17trampoline_kernelINS0_14default_configENS1_25partition_config_selectorILNS1_17partition_subalgoE6EiNS0_10empty_typeEbEEZZNS1_14partition_implILS5_6ELb0ES3_mN6thrust23THRUST_200600_302600_NS6detail15normal_iteratorINSA_10device_ptrIiEEEEPS6_SG_NS0_5tupleIJSF_S6_EEENSH_IJSG_SG_EEES6_PlJ7is_evenIiEEEE10hipError_tPvRmT3_T4_T5_T6_T7_T9_mT8_P12ihipStream_tbDpT10_ENKUlT_T0_E_clISt17integral_constantIbLb1EES16_EEDaS11_S12_EUlS11_E_NS1_11comp_targetILNS1_3genE8ELNS1_11target_archE1030ELNS1_3gpuE2ELNS1_3repE0EEENS1_30default_config_static_selectorELNS0_4arch9wavefront6targetE0EEEvT1_,@function
_ZN7rocprim17ROCPRIM_400000_NS6detail17trampoline_kernelINS0_14default_configENS1_25partition_config_selectorILNS1_17partition_subalgoE6EiNS0_10empty_typeEbEEZZNS1_14partition_implILS5_6ELb0ES3_mN6thrust23THRUST_200600_302600_NS6detail15normal_iteratorINSA_10device_ptrIiEEEEPS6_SG_NS0_5tupleIJSF_S6_EEENSH_IJSG_SG_EEES6_PlJ7is_evenIiEEEE10hipError_tPvRmT3_T4_T5_T6_T7_T9_mT8_P12ihipStream_tbDpT10_ENKUlT_T0_E_clISt17integral_constantIbLb1EES16_EEDaS11_S12_EUlS11_E_NS1_11comp_targetILNS1_3genE8ELNS1_11target_archE1030ELNS1_3gpuE2ELNS1_3repE0EEENS1_30default_config_static_selectorELNS0_4arch9wavefront6targetE0EEEvT1_: ; @_ZN7rocprim17ROCPRIM_400000_NS6detail17trampoline_kernelINS0_14default_configENS1_25partition_config_selectorILNS1_17partition_subalgoE6EiNS0_10empty_typeEbEEZZNS1_14partition_implILS5_6ELb0ES3_mN6thrust23THRUST_200600_302600_NS6detail15normal_iteratorINSA_10device_ptrIiEEEEPS6_SG_NS0_5tupleIJSF_S6_EEENSH_IJSG_SG_EEES6_PlJ7is_evenIiEEEE10hipError_tPvRmT3_T4_T5_T6_T7_T9_mT8_P12ihipStream_tbDpT10_ENKUlT_T0_E_clISt17integral_constantIbLb1EES16_EEDaS11_S12_EUlS11_E_NS1_11comp_targetILNS1_3genE8ELNS1_11target_archE1030ELNS1_3gpuE2ELNS1_3repE0EEENS1_30default_config_static_selectorELNS0_4arch9wavefront6targetE0EEEvT1_
; %bb.0:
	.section	.rodata,"a",@progbits
	.p2align	6, 0x0
	.amdhsa_kernel _ZN7rocprim17ROCPRIM_400000_NS6detail17trampoline_kernelINS0_14default_configENS1_25partition_config_selectorILNS1_17partition_subalgoE6EiNS0_10empty_typeEbEEZZNS1_14partition_implILS5_6ELb0ES3_mN6thrust23THRUST_200600_302600_NS6detail15normal_iteratorINSA_10device_ptrIiEEEEPS6_SG_NS0_5tupleIJSF_S6_EEENSH_IJSG_SG_EEES6_PlJ7is_evenIiEEEE10hipError_tPvRmT3_T4_T5_T6_T7_T9_mT8_P12ihipStream_tbDpT10_ENKUlT_T0_E_clISt17integral_constantIbLb1EES16_EEDaS11_S12_EUlS11_E_NS1_11comp_targetILNS1_3genE8ELNS1_11target_archE1030ELNS1_3gpuE2ELNS1_3repE0EEENS1_30default_config_static_selectorELNS0_4arch9wavefront6targetE0EEEvT1_
		.amdhsa_group_segment_fixed_size 0
		.amdhsa_private_segment_fixed_size 0
		.amdhsa_kernarg_size 128
		.amdhsa_user_sgpr_count 15
		.amdhsa_user_sgpr_dispatch_ptr 0
		.amdhsa_user_sgpr_queue_ptr 0
		.amdhsa_user_sgpr_kernarg_segment_ptr 1
		.amdhsa_user_sgpr_dispatch_id 0
		.amdhsa_user_sgpr_private_segment_size 0
		.amdhsa_wavefront_size32 1
		.amdhsa_uses_dynamic_stack 0
		.amdhsa_enable_private_segment 0
		.amdhsa_system_sgpr_workgroup_id_x 1
		.amdhsa_system_sgpr_workgroup_id_y 0
		.amdhsa_system_sgpr_workgroup_id_z 0
		.amdhsa_system_sgpr_workgroup_info 0
		.amdhsa_system_vgpr_workitem_id 0
		.amdhsa_next_free_vgpr 1
		.amdhsa_next_free_sgpr 1
		.amdhsa_reserve_vcc 0
		.amdhsa_float_round_mode_32 0
		.amdhsa_float_round_mode_16_64 0
		.amdhsa_float_denorm_mode_32 3
		.amdhsa_float_denorm_mode_16_64 3
		.amdhsa_dx10_clamp 1
		.amdhsa_ieee_mode 1
		.amdhsa_fp16_overflow 0
		.amdhsa_workgroup_processor_mode 1
		.amdhsa_memory_ordered 1
		.amdhsa_forward_progress 0
		.amdhsa_shared_vgpr_count 0
		.amdhsa_exception_fp_ieee_invalid_op 0
		.amdhsa_exception_fp_denorm_src 0
		.amdhsa_exception_fp_ieee_div_zero 0
		.amdhsa_exception_fp_ieee_overflow 0
		.amdhsa_exception_fp_ieee_underflow 0
		.amdhsa_exception_fp_ieee_inexact 0
		.amdhsa_exception_int_div_zero 0
	.end_amdhsa_kernel
	.section	.text._ZN7rocprim17ROCPRIM_400000_NS6detail17trampoline_kernelINS0_14default_configENS1_25partition_config_selectorILNS1_17partition_subalgoE6EiNS0_10empty_typeEbEEZZNS1_14partition_implILS5_6ELb0ES3_mN6thrust23THRUST_200600_302600_NS6detail15normal_iteratorINSA_10device_ptrIiEEEEPS6_SG_NS0_5tupleIJSF_S6_EEENSH_IJSG_SG_EEES6_PlJ7is_evenIiEEEE10hipError_tPvRmT3_T4_T5_T6_T7_T9_mT8_P12ihipStream_tbDpT10_ENKUlT_T0_E_clISt17integral_constantIbLb1EES16_EEDaS11_S12_EUlS11_E_NS1_11comp_targetILNS1_3genE8ELNS1_11target_archE1030ELNS1_3gpuE2ELNS1_3repE0EEENS1_30default_config_static_selectorELNS0_4arch9wavefront6targetE0EEEvT1_,"axG",@progbits,_ZN7rocprim17ROCPRIM_400000_NS6detail17trampoline_kernelINS0_14default_configENS1_25partition_config_selectorILNS1_17partition_subalgoE6EiNS0_10empty_typeEbEEZZNS1_14partition_implILS5_6ELb0ES3_mN6thrust23THRUST_200600_302600_NS6detail15normal_iteratorINSA_10device_ptrIiEEEEPS6_SG_NS0_5tupleIJSF_S6_EEENSH_IJSG_SG_EEES6_PlJ7is_evenIiEEEE10hipError_tPvRmT3_T4_T5_T6_T7_T9_mT8_P12ihipStream_tbDpT10_ENKUlT_T0_E_clISt17integral_constantIbLb1EES16_EEDaS11_S12_EUlS11_E_NS1_11comp_targetILNS1_3genE8ELNS1_11target_archE1030ELNS1_3gpuE2ELNS1_3repE0EEENS1_30default_config_static_selectorELNS0_4arch9wavefront6targetE0EEEvT1_,comdat
.Lfunc_end407:
	.size	_ZN7rocprim17ROCPRIM_400000_NS6detail17trampoline_kernelINS0_14default_configENS1_25partition_config_selectorILNS1_17partition_subalgoE6EiNS0_10empty_typeEbEEZZNS1_14partition_implILS5_6ELb0ES3_mN6thrust23THRUST_200600_302600_NS6detail15normal_iteratorINSA_10device_ptrIiEEEEPS6_SG_NS0_5tupleIJSF_S6_EEENSH_IJSG_SG_EEES6_PlJ7is_evenIiEEEE10hipError_tPvRmT3_T4_T5_T6_T7_T9_mT8_P12ihipStream_tbDpT10_ENKUlT_T0_E_clISt17integral_constantIbLb1EES16_EEDaS11_S12_EUlS11_E_NS1_11comp_targetILNS1_3genE8ELNS1_11target_archE1030ELNS1_3gpuE2ELNS1_3repE0EEENS1_30default_config_static_selectorELNS0_4arch9wavefront6targetE0EEEvT1_, .Lfunc_end407-_ZN7rocprim17ROCPRIM_400000_NS6detail17trampoline_kernelINS0_14default_configENS1_25partition_config_selectorILNS1_17partition_subalgoE6EiNS0_10empty_typeEbEEZZNS1_14partition_implILS5_6ELb0ES3_mN6thrust23THRUST_200600_302600_NS6detail15normal_iteratorINSA_10device_ptrIiEEEEPS6_SG_NS0_5tupleIJSF_S6_EEENSH_IJSG_SG_EEES6_PlJ7is_evenIiEEEE10hipError_tPvRmT3_T4_T5_T6_T7_T9_mT8_P12ihipStream_tbDpT10_ENKUlT_T0_E_clISt17integral_constantIbLb1EES16_EEDaS11_S12_EUlS11_E_NS1_11comp_targetILNS1_3genE8ELNS1_11target_archE1030ELNS1_3gpuE2ELNS1_3repE0EEENS1_30default_config_static_selectorELNS0_4arch9wavefront6targetE0EEEvT1_
                                        ; -- End function
	.section	.AMDGPU.csdata,"",@progbits
; Kernel info:
; codeLenInByte = 0
; NumSgprs: 0
; NumVgprs: 0
; ScratchSize: 0
; MemoryBound: 0
; FloatMode: 240
; IeeeMode: 1
; LDSByteSize: 0 bytes/workgroup (compile time only)
; SGPRBlocks: 0
; VGPRBlocks: 0
; NumSGPRsForWavesPerEU: 1
; NumVGPRsForWavesPerEU: 1
; Occupancy: 16
; WaveLimiterHint : 0
; COMPUTE_PGM_RSRC2:SCRATCH_EN: 0
; COMPUTE_PGM_RSRC2:USER_SGPR: 15
; COMPUTE_PGM_RSRC2:TRAP_HANDLER: 0
; COMPUTE_PGM_RSRC2:TGID_X_EN: 1
; COMPUTE_PGM_RSRC2:TGID_Y_EN: 0
; COMPUTE_PGM_RSRC2:TGID_Z_EN: 0
; COMPUTE_PGM_RSRC2:TIDIG_COMP_CNT: 0
	.section	.text._ZN7rocprim17ROCPRIM_400000_NS6detail17trampoline_kernelINS0_14default_configENS1_25partition_config_selectorILNS1_17partition_subalgoE6EiNS0_10empty_typeEbEEZZNS1_14partition_implILS5_6ELb0ES3_mN6thrust23THRUST_200600_302600_NS6detail15normal_iteratorINSA_10device_ptrIiEEEEPS6_SG_NS0_5tupleIJSF_S6_EEENSH_IJSG_SG_EEES6_PlJ7is_evenIiEEEE10hipError_tPvRmT3_T4_T5_T6_T7_T9_mT8_P12ihipStream_tbDpT10_ENKUlT_T0_E_clISt17integral_constantIbLb1EES15_IbLb0EEEEDaS11_S12_EUlS11_E_NS1_11comp_targetILNS1_3genE0ELNS1_11target_archE4294967295ELNS1_3gpuE0ELNS1_3repE0EEENS1_30default_config_static_selectorELNS0_4arch9wavefront6targetE0EEEvT1_,"axG",@progbits,_ZN7rocprim17ROCPRIM_400000_NS6detail17trampoline_kernelINS0_14default_configENS1_25partition_config_selectorILNS1_17partition_subalgoE6EiNS0_10empty_typeEbEEZZNS1_14partition_implILS5_6ELb0ES3_mN6thrust23THRUST_200600_302600_NS6detail15normal_iteratorINSA_10device_ptrIiEEEEPS6_SG_NS0_5tupleIJSF_S6_EEENSH_IJSG_SG_EEES6_PlJ7is_evenIiEEEE10hipError_tPvRmT3_T4_T5_T6_T7_T9_mT8_P12ihipStream_tbDpT10_ENKUlT_T0_E_clISt17integral_constantIbLb1EES15_IbLb0EEEEDaS11_S12_EUlS11_E_NS1_11comp_targetILNS1_3genE0ELNS1_11target_archE4294967295ELNS1_3gpuE0ELNS1_3repE0EEENS1_30default_config_static_selectorELNS0_4arch9wavefront6targetE0EEEvT1_,comdat
	.protected	_ZN7rocprim17ROCPRIM_400000_NS6detail17trampoline_kernelINS0_14default_configENS1_25partition_config_selectorILNS1_17partition_subalgoE6EiNS0_10empty_typeEbEEZZNS1_14partition_implILS5_6ELb0ES3_mN6thrust23THRUST_200600_302600_NS6detail15normal_iteratorINSA_10device_ptrIiEEEEPS6_SG_NS0_5tupleIJSF_S6_EEENSH_IJSG_SG_EEES6_PlJ7is_evenIiEEEE10hipError_tPvRmT3_T4_T5_T6_T7_T9_mT8_P12ihipStream_tbDpT10_ENKUlT_T0_E_clISt17integral_constantIbLb1EES15_IbLb0EEEEDaS11_S12_EUlS11_E_NS1_11comp_targetILNS1_3genE0ELNS1_11target_archE4294967295ELNS1_3gpuE0ELNS1_3repE0EEENS1_30default_config_static_selectorELNS0_4arch9wavefront6targetE0EEEvT1_ ; -- Begin function _ZN7rocprim17ROCPRIM_400000_NS6detail17trampoline_kernelINS0_14default_configENS1_25partition_config_selectorILNS1_17partition_subalgoE6EiNS0_10empty_typeEbEEZZNS1_14partition_implILS5_6ELb0ES3_mN6thrust23THRUST_200600_302600_NS6detail15normal_iteratorINSA_10device_ptrIiEEEEPS6_SG_NS0_5tupleIJSF_S6_EEENSH_IJSG_SG_EEES6_PlJ7is_evenIiEEEE10hipError_tPvRmT3_T4_T5_T6_T7_T9_mT8_P12ihipStream_tbDpT10_ENKUlT_T0_E_clISt17integral_constantIbLb1EES15_IbLb0EEEEDaS11_S12_EUlS11_E_NS1_11comp_targetILNS1_3genE0ELNS1_11target_archE4294967295ELNS1_3gpuE0ELNS1_3repE0EEENS1_30default_config_static_selectorELNS0_4arch9wavefront6targetE0EEEvT1_
	.globl	_ZN7rocprim17ROCPRIM_400000_NS6detail17trampoline_kernelINS0_14default_configENS1_25partition_config_selectorILNS1_17partition_subalgoE6EiNS0_10empty_typeEbEEZZNS1_14partition_implILS5_6ELb0ES3_mN6thrust23THRUST_200600_302600_NS6detail15normal_iteratorINSA_10device_ptrIiEEEEPS6_SG_NS0_5tupleIJSF_S6_EEENSH_IJSG_SG_EEES6_PlJ7is_evenIiEEEE10hipError_tPvRmT3_T4_T5_T6_T7_T9_mT8_P12ihipStream_tbDpT10_ENKUlT_T0_E_clISt17integral_constantIbLb1EES15_IbLb0EEEEDaS11_S12_EUlS11_E_NS1_11comp_targetILNS1_3genE0ELNS1_11target_archE4294967295ELNS1_3gpuE0ELNS1_3repE0EEENS1_30default_config_static_selectorELNS0_4arch9wavefront6targetE0EEEvT1_
	.p2align	8
	.type	_ZN7rocprim17ROCPRIM_400000_NS6detail17trampoline_kernelINS0_14default_configENS1_25partition_config_selectorILNS1_17partition_subalgoE6EiNS0_10empty_typeEbEEZZNS1_14partition_implILS5_6ELb0ES3_mN6thrust23THRUST_200600_302600_NS6detail15normal_iteratorINSA_10device_ptrIiEEEEPS6_SG_NS0_5tupleIJSF_S6_EEENSH_IJSG_SG_EEES6_PlJ7is_evenIiEEEE10hipError_tPvRmT3_T4_T5_T6_T7_T9_mT8_P12ihipStream_tbDpT10_ENKUlT_T0_E_clISt17integral_constantIbLb1EES15_IbLb0EEEEDaS11_S12_EUlS11_E_NS1_11comp_targetILNS1_3genE0ELNS1_11target_archE4294967295ELNS1_3gpuE0ELNS1_3repE0EEENS1_30default_config_static_selectorELNS0_4arch9wavefront6targetE0EEEvT1_,@function
_ZN7rocprim17ROCPRIM_400000_NS6detail17trampoline_kernelINS0_14default_configENS1_25partition_config_selectorILNS1_17partition_subalgoE6EiNS0_10empty_typeEbEEZZNS1_14partition_implILS5_6ELb0ES3_mN6thrust23THRUST_200600_302600_NS6detail15normal_iteratorINSA_10device_ptrIiEEEEPS6_SG_NS0_5tupleIJSF_S6_EEENSH_IJSG_SG_EEES6_PlJ7is_evenIiEEEE10hipError_tPvRmT3_T4_T5_T6_T7_T9_mT8_P12ihipStream_tbDpT10_ENKUlT_T0_E_clISt17integral_constantIbLb1EES15_IbLb0EEEEDaS11_S12_EUlS11_E_NS1_11comp_targetILNS1_3genE0ELNS1_11target_archE4294967295ELNS1_3gpuE0ELNS1_3repE0EEENS1_30default_config_static_selectorELNS0_4arch9wavefront6targetE0EEEvT1_: ; @_ZN7rocprim17ROCPRIM_400000_NS6detail17trampoline_kernelINS0_14default_configENS1_25partition_config_selectorILNS1_17partition_subalgoE6EiNS0_10empty_typeEbEEZZNS1_14partition_implILS5_6ELb0ES3_mN6thrust23THRUST_200600_302600_NS6detail15normal_iteratorINSA_10device_ptrIiEEEEPS6_SG_NS0_5tupleIJSF_S6_EEENSH_IJSG_SG_EEES6_PlJ7is_evenIiEEEE10hipError_tPvRmT3_T4_T5_T6_T7_T9_mT8_P12ihipStream_tbDpT10_ENKUlT_T0_E_clISt17integral_constantIbLb1EES15_IbLb0EEEEDaS11_S12_EUlS11_E_NS1_11comp_targetILNS1_3genE0ELNS1_11target_archE4294967295ELNS1_3gpuE0ELNS1_3repE0EEENS1_30default_config_static_selectorELNS0_4arch9wavefront6targetE0EEEvT1_
; %bb.0:
	.section	.rodata,"a",@progbits
	.p2align	6, 0x0
	.amdhsa_kernel _ZN7rocprim17ROCPRIM_400000_NS6detail17trampoline_kernelINS0_14default_configENS1_25partition_config_selectorILNS1_17partition_subalgoE6EiNS0_10empty_typeEbEEZZNS1_14partition_implILS5_6ELb0ES3_mN6thrust23THRUST_200600_302600_NS6detail15normal_iteratorINSA_10device_ptrIiEEEEPS6_SG_NS0_5tupleIJSF_S6_EEENSH_IJSG_SG_EEES6_PlJ7is_evenIiEEEE10hipError_tPvRmT3_T4_T5_T6_T7_T9_mT8_P12ihipStream_tbDpT10_ENKUlT_T0_E_clISt17integral_constantIbLb1EES15_IbLb0EEEEDaS11_S12_EUlS11_E_NS1_11comp_targetILNS1_3genE0ELNS1_11target_archE4294967295ELNS1_3gpuE0ELNS1_3repE0EEENS1_30default_config_static_selectorELNS0_4arch9wavefront6targetE0EEEvT1_
		.amdhsa_group_segment_fixed_size 0
		.amdhsa_private_segment_fixed_size 0
		.amdhsa_kernarg_size 112
		.amdhsa_user_sgpr_count 15
		.amdhsa_user_sgpr_dispatch_ptr 0
		.amdhsa_user_sgpr_queue_ptr 0
		.amdhsa_user_sgpr_kernarg_segment_ptr 1
		.amdhsa_user_sgpr_dispatch_id 0
		.amdhsa_user_sgpr_private_segment_size 0
		.amdhsa_wavefront_size32 1
		.amdhsa_uses_dynamic_stack 0
		.amdhsa_enable_private_segment 0
		.amdhsa_system_sgpr_workgroup_id_x 1
		.amdhsa_system_sgpr_workgroup_id_y 0
		.amdhsa_system_sgpr_workgroup_id_z 0
		.amdhsa_system_sgpr_workgroup_info 0
		.amdhsa_system_vgpr_workitem_id 0
		.amdhsa_next_free_vgpr 1
		.amdhsa_next_free_sgpr 1
		.amdhsa_reserve_vcc 0
		.amdhsa_float_round_mode_32 0
		.amdhsa_float_round_mode_16_64 0
		.amdhsa_float_denorm_mode_32 3
		.amdhsa_float_denorm_mode_16_64 3
		.amdhsa_dx10_clamp 1
		.amdhsa_ieee_mode 1
		.amdhsa_fp16_overflow 0
		.amdhsa_workgroup_processor_mode 1
		.amdhsa_memory_ordered 1
		.amdhsa_forward_progress 0
		.amdhsa_shared_vgpr_count 0
		.amdhsa_exception_fp_ieee_invalid_op 0
		.amdhsa_exception_fp_denorm_src 0
		.amdhsa_exception_fp_ieee_div_zero 0
		.amdhsa_exception_fp_ieee_overflow 0
		.amdhsa_exception_fp_ieee_underflow 0
		.amdhsa_exception_fp_ieee_inexact 0
		.amdhsa_exception_int_div_zero 0
	.end_amdhsa_kernel
	.section	.text._ZN7rocprim17ROCPRIM_400000_NS6detail17trampoline_kernelINS0_14default_configENS1_25partition_config_selectorILNS1_17partition_subalgoE6EiNS0_10empty_typeEbEEZZNS1_14partition_implILS5_6ELb0ES3_mN6thrust23THRUST_200600_302600_NS6detail15normal_iteratorINSA_10device_ptrIiEEEEPS6_SG_NS0_5tupleIJSF_S6_EEENSH_IJSG_SG_EEES6_PlJ7is_evenIiEEEE10hipError_tPvRmT3_T4_T5_T6_T7_T9_mT8_P12ihipStream_tbDpT10_ENKUlT_T0_E_clISt17integral_constantIbLb1EES15_IbLb0EEEEDaS11_S12_EUlS11_E_NS1_11comp_targetILNS1_3genE0ELNS1_11target_archE4294967295ELNS1_3gpuE0ELNS1_3repE0EEENS1_30default_config_static_selectorELNS0_4arch9wavefront6targetE0EEEvT1_,"axG",@progbits,_ZN7rocprim17ROCPRIM_400000_NS6detail17trampoline_kernelINS0_14default_configENS1_25partition_config_selectorILNS1_17partition_subalgoE6EiNS0_10empty_typeEbEEZZNS1_14partition_implILS5_6ELb0ES3_mN6thrust23THRUST_200600_302600_NS6detail15normal_iteratorINSA_10device_ptrIiEEEEPS6_SG_NS0_5tupleIJSF_S6_EEENSH_IJSG_SG_EEES6_PlJ7is_evenIiEEEE10hipError_tPvRmT3_T4_T5_T6_T7_T9_mT8_P12ihipStream_tbDpT10_ENKUlT_T0_E_clISt17integral_constantIbLb1EES15_IbLb0EEEEDaS11_S12_EUlS11_E_NS1_11comp_targetILNS1_3genE0ELNS1_11target_archE4294967295ELNS1_3gpuE0ELNS1_3repE0EEENS1_30default_config_static_selectorELNS0_4arch9wavefront6targetE0EEEvT1_,comdat
.Lfunc_end408:
	.size	_ZN7rocprim17ROCPRIM_400000_NS6detail17trampoline_kernelINS0_14default_configENS1_25partition_config_selectorILNS1_17partition_subalgoE6EiNS0_10empty_typeEbEEZZNS1_14partition_implILS5_6ELb0ES3_mN6thrust23THRUST_200600_302600_NS6detail15normal_iteratorINSA_10device_ptrIiEEEEPS6_SG_NS0_5tupleIJSF_S6_EEENSH_IJSG_SG_EEES6_PlJ7is_evenIiEEEE10hipError_tPvRmT3_T4_T5_T6_T7_T9_mT8_P12ihipStream_tbDpT10_ENKUlT_T0_E_clISt17integral_constantIbLb1EES15_IbLb0EEEEDaS11_S12_EUlS11_E_NS1_11comp_targetILNS1_3genE0ELNS1_11target_archE4294967295ELNS1_3gpuE0ELNS1_3repE0EEENS1_30default_config_static_selectorELNS0_4arch9wavefront6targetE0EEEvT1_, .Lfunc_end408-_ZN7rocprim17ROCPRIM_400000_NS6detail17trampoline_kernelINS0_14default_configENS1_25partition_config_selectorILNS1_17partition_subalgoE6EiNS0_10empty_typeEbEEZZNS1_14partition_implILS5_6ELb0ES3_mN6thrust23THRUST_200600_302600_NS6detail15normal_iteratorINSA_10device_ptrIiEEEEPS6_SG_NS0_5tupleIJSF_S6_EEENSH_IJSG_SG_EEES6_PlJ7is_evenIiEEEE10hipError_tPvRmT3_T4_T5_T6_T7_T9_mT8_P12ihipStream_tbDpT10_ENKUlT_T0_E_clISt17integral_constantIbLb1EES15_IbLb0EEEEDaS11_S12_EUlS11_E_NS1_11comp_targetILNS1_3genE0ELNS1_11target_archE4294967295ELNS1_3gpuE0ELNS1_3repE0EEENS1_30default_config_static_selectorELNS0_4arch9wavefront6targetE0EEEvT1_
                                        ; -- End function
	.section	.AMDGPU.csdata,"",@progbits
; Kernel info:
; codeLenInByte = 0
; NumSgprs: 0
; NumVgprs: 0
; ScratchSize: 0
; MemoryBound: 0
; FloatMode: 240
; IeeeMode: 1
; LDSByteSize: 0 bytes/workgroup (compile time only)
; SGPRBlocks: 0
; VGPRBlocks: 0
; NumSGPRsForWavesPerEU: 1
; NumVGPRsForWavesPerEU: 1
; Occupancy: 16
; WaveLimiterHint : 0
; COMPUTE_PGM_RSRC2:SCRATCH_EN: 0
; COMPUTE_PGM_RSRC2:USER_SGPR: 15
; COMPUTE_PGM_RSRC2:TRAP_HANDLER: 0
; COMPUTE_PGM_RSRC2:TGID_X_EN: 1
; COMPUTE_PGM_RSRC2:TGID_Y_EN: 0
; COMPUTE_PGM_RSRC2:TGID_Z_EN: 0
; COMPUTE_PGM_RSRC2:TIDIG_COMP_CNT: 0
	.section	.text._ZN7rocprim17ROCPRIM_400000_NS6detail17trampoline_kernelINS0_14default_configENS1_25partition_config_selectorILNS1_17partition_subalgoE6EiNS0_10empty_typeEbEEZZNS1_14partition_implILS5_6ELb0ES3_mN6thrust23THRUST_200600_302600_NS6detail15normal_iteratorINSA_10device_ptrIiEEEEPS6_SG_NS0_5tupleIJSF_S6_EEENSH_IJSG_SG_EEES6_PlJ7is_evenIiEEEE10hipError_tPvRmT3_T4_T5_T6_T7_T9_mT8_P12ihipStream_tbDpT10_ENKUlT_T0_E_clISt17integral_constantIbLb1EES15_IbLb0EEEEDaS11_S12_EUlS11_E_NS1_11comp_targetILNS1_3genE5ELNS1_11target_archE942ELNS1_3gpuE9ELNS1_3repE0EEENS1_30default_config_static_selectorELNS0_4arch9wavefront6targetE0EEEvT1_,"axG",@progbits,_ZN7rocprim17ROCPRIM_400000_NS6detail17trampoline_kernelINS0_14default_configENS1_25partition_config_selectorILNS1_17partition_subalgoE6EiNS0_10empty_typeEbEEZZNS1_14partition_implILS5_6ELb0ES3_mN6thrust23THRUST_200600_302600_NS6detail15normal_iteratorINSA_10device_ptrIiEEEEPS6_SG_NS0_5tupleIJSF_S6_EEENSH_IJSG_SG_EEES6_PlJ7is_evenIiEEEE10hipError_tPvRmT3_T4_T5_T6_T7_T9_mT8_P12ihipStream_tbDpT10_ENKUlT_T0_E_clISt17integral_constantIbLb1EES15_IbLb0EEEEDaS11_S12_EUlS11_E_NS1_11comp_targetILNS1_3genE5ELNS1_11target_archE942ELNS1_3gpuE9ELNS1_3repE0EEENS1_30default_config_static_selectorELNS0_4arch9wavefront6targetE0EEEvT1_,comdat
	.protected	_ZN7rocprim17ROCPRIM_400000_NS6detail17trampoline_kernelINS0_14default_configENS1_25partition_config_selectorILNS1_17partition_subalgoE6EiNS0_10empty_typeEbEEZZNS1_14partition_implILS5_6ELb0ES3_mN6thrust23THRUST_200600_302600_NS6detail15normal_iteratorINSA_10device_ptrIiEEEEPS6_SG_NS0_5tupleIJSF_S6_EEENSH_IJSG_SG_EEES6_PlJ7is_evenIiEEEE10hipError_tPvRmT3_T4_T5_T6_T7_T9_mT8_P12ihipStream_tbDpT10_ENKUlT_T0_E_clISt17integral_constantIbLb1EES15_IbLb0EEEEDaS11_S12_EUlS11_E_NS1_11comp_targetILNS1_3genE5ELNS1_11target_archE942ELNS1_3gpuE9ELNS1_3repE0EEENS1_30default_config_static_selectorELNS0_4arch9wavefront6targetE0EEEvT1_ ; -- Begin function _ZN7rocprim17ROCPRIM_400000_NS6detail17trampoline_kernelINS0_14default_configENS1_25partition_config_selectorILNS1_17partition_subalgoE6EiNS0_10empty_typeEbEEZZNS1_14partition_implILS5_6ELb0ES3_mN6thrust23THRUST_200600_302600_NS6detail15normal_iteratorINSA_10device_ptrIiEEEEPS6_SG_NS0_5tupleIJSF_S6_EEENSH_IJSG_SG_EEES6_PlJ7is_evenIiEEEE10hipError_tPvRmT3_T4_T5_T6_T7_T9_mT8_P12ihipStream_tbDpT10_ENKUlT_T0_E_clISt17integral_constantIbLb1EES15_IbLb0EEEEDaS11_S12_EUlS11_E_NS1_11comp_targetILNS1_3genE5ELNS1_11target_archE942ELNS1_3gpuE9ELNS1_3repE0EEENS1_30default_config_static_selectorELNS0_4arch9wavefront6targetE0EEEvT1_
	.globl	_ZN7rocprim17ROCPRIM_400000_NS6detail17trampoline_kernelINS0_14default_configENS1_25partition_config_selectorILNS1_17partition_subalgoE6EiNS0_10empty_typeEbEEZZNS1_14partition_implILS5_6ELb0ES3_mN6thrust23THRUST_200600_302600_NS6detail15normal_iteratorINSA_10device_ptrIiEEEEPS6_SG_NS0_5tupleIJSF_S6_EEENSH_IJSG_SG_EEES6_PlJ7is_evenIiEEEE10hipError_tPvRmT3_T4_T5_T6_T7_T9_mT8_P12ihipStream_tbDpT10_ENKUlT_T0_E_clISt17integral_constantIbLb1EES15_IbLb0EEEEDaS11_S12_EUlS11_E_NS1_11comp_targetILNS1_3genE5ELNS1_11target_archE942ELNS1_3gpuE9ELNS1_3repE0EEENS1_30default_config_static_selectorELNS0_4arch9wavefront6targetE0EEEvT1_
	.p2align	8
	.type	_ZN7rocprim17ROCPRIM_400000_NS6detail17trampoline_kernelINS0_14default_configENS1_25partition_config_selectorILNS1_17partition_subalgoE6EiNS0_10empty_typeEbEEZZNS1_14partition_implILS5_6ELb0ES3_mN6thrust23THRUST_200600_302600_NS6detail15normal_iteratorINSA_10device_ptrIiEEEEPS6_SG_NS0_5tupleIJSF_S6_EEENSH_IJSG_SG_EEES6_PlJ7is_evenIiEEEE10hipError_tPvRmT3_T4_T5_T6_T7_T9_mT8_P12ihipStream_tbDpT10_ENKUlT_T0_E_clISt17integral_constantIbLb1EES15_IbLb0EEEEDaS11_S12_EUlS11_E_NS1_11comp_targetILNS1_3genE5ELNS1_11target_archE942ELNS1_3gpuE9ELNS1_3repE0EEENS1_30default_config_static_selectorELNS0_4arch9wavefront6targetE0EEEvT1_,@function
_ZN7rocprim17ROCPRIM_400000_NS6detail17trampoline_kernelINS0_14default_configENS1_25partition_config_selectorILNS1_17partition_subalgoE6EiNS0_10empty_typeEbEEZZNS1_14partition_implILS5_6ELb0ES3_mN6thrust23THRUST_200600_302600_NS6detail15normal_iteratorINSA_10device_ptrIiEEEEPS6_SG_NS0_5tupleIJSF_S6_EEENSH_IJSG_SG_EEES6_PlJ7is_evenIiEEEE10hipError_tPvRmT3_T4_T5_T6_T7_T9_mT8_P12ihipStream_tbDpT10_ENKUlT_T0_E_clISt17integral_constantIbLb1EES15_IbLb0EEEEDaS11_S12_EUlS11_E_NS1_11comp_targetILNS1_3genE5ELNS1_11target_archE942ELNS1_3gpuE9ELNS1_3repE0EEENS1_30default_config_static_selectorELNS0_4arch9wavefront6targetE0EEEvT1_: ; @_ZN7rocprim17ROCPRIM_400000_NS6detail17trampoline_kernelINS0_14default_configENS1_25partition_config_selectorILNS1_17partition_subalgoE6EiNS0_10empty_typeEbEEZZNS1_14partition_implILS5_6ELb0ES3_mN6thrust23THRUST_200600_302600_NS6detail15normal_iteratorINSA_10device_ptrIiEEEEPS6_SG_NS0_5tupleIJSF_S6_EEENSH_IJSG_SG_EEES6_PlJ7is_evenIiEEEE10hipError_tPvRmT3_T4_T5_T6_T7_T9_mT8_P12ihipStream_tbDpT10_ENKUlT_T0_E_clISt17integral_constantIbLb1EES15_IbLb0EEEEDaS11_S12_EUlS11_E_NS1_11comp_targetILNS1_3genE5ELNS1_11target_archE942ELNS1_3gpuE9ELNS1_3repE0EEENS1_30default_config_static_selectorELNS0_4arch9wavefront6targetE0EEEvT1_
; %bb.0:
	.section	.rodata,"a",@progbits
	.p2align	6, 0x0
	.amdhsa_kernel _ZN7rocprim17ROCPRIM_400000_NS6detail17trampoline_kernelINS0_14default_configENS1_25partition_config_selectorILNS1_17partition_subalgoE6EiNS0_10empty_typeEbEEZZNS1_14partition_implILS5_6ELb0ES3_mN6thrust23THRUST_200600_302600_NS6detail15normal_iteratorINSA_10device_ptrIiEEEEPS6_SG_NS0_5tupleIJSF_S6_EEENSH_IJSG_SG_EEES6_PlJ7is_evenIiEEEE10hipError_tPvRmT3_T4_T5_T6_T7_T9_mT8_P12ihipStream_tbDpT10_ENKUlT_T0_E_clISt17integral_constantIbLb1EES15_IbLb0EEEEDaS11_S12_EUlS11_E_NS1_11comp_targetILNS1_3genE5ELNS1_11target_archE942ELNS1_3gpuE9ELNS1_3repE0EEENS1_30default_config_static_selectorELNS0_4arch9wavefront6targetE0EEEvT1_
		.amdhsa_group_segment_fixed_size 0
		.amdhsa_private_segment_fixed_size 0
		.amdhsa_kernarg_size 112
		.amdhsa_user_sgpr_count 15
		.amdhsa_user_sgpr_dispatch_ptr 0
		.amdhsa_user_sgpr_queue_ptr 0
		.amdhsa_user_sgpr_kernarg_segment_ptr 1
		.amdhsa_user_sgpr_dispatch_id 0
		.amdhsa_user_sgpr_private_segment_size 0
		.amdhsa_wavefront_size32 1
		.amdhsa_uses_dynamic_stack 0
		.amdhsa_enable_private_segment 0
		.amdhsa_system_sgpr_workgroup_id_x 1
		.amdhsa_system_sgpr_workgroup_id_y 0
		.amdhsa_system_sgpr_workgroup_id_z 0
		.amdhsa_system_sgpr_workgroup_info 0
		.amdhsa_system_vgpr_workitem_id 0
		.amdhsa_next_free_vgpr 1
		.amdhsa_next_free_sgpr 1
		.amdhsa_reserve_vcc 0
		.amdhsa_float_round_mode_32 0
		.amdhsa_float_round_mode_16_64 0
		.amdhsa_float_denorm_mode_32 3
		.amdhsa_float_denorm_mode_16_64 3
		.amdhsa_dx10_clamp 1
		.amdhsa_ieee_mode 1
		.amdhsa_fp16_overflow 0
		.amdhsa_workgroup_processor_mode 1
		.amdhsa_memory_ordered 1
		.amdhsa_forward_progress 0
		.amdhsa_shared_vgpr_count 0
		.amdhsa_exception_fp_ieee_invalid_op 0
		.amdhsa_exception_fp_denorm_src 0
		.amdhsa_exception_fp_ieee_div_zero 0
		.amdhsa_exception_fp_ieee_overflow 0
		.amdhsa_exception_fp_ieee_underflow 0
		.amdhsa_exception_fp_ieee_inexact 0
		.amdhsa_exception_int_div_zero 0
	.end_amdhsa_kernel
	.section	.text._ZN7rocprim17ROCPRIM_400000_NS6detail17trampoline_kernelINS0_14default_configENS1_25partition_config_selectorILNS1_17partition_subalgoE6EiNS0_10empty_typeEbEEZZNS1_14partition_implILS5_6ELb0ES3_mN6thrust23THRUST_200600_302600_NS6detail15normal_iteratorINSA_10device_ptrIiEEEEPS6_SG_NS0_5tupleIJSF_S6_EEENSH_IJSG_SG_EEES6_PlJ7is_evenIiEEEE10hipError_tPvRmT3_T4_T5_T6_T7_T9_mT8_P12ihipStream_tbDpT10_ENKUlT_T0_E_clISt17integral_constantIbLb1EES15_IbLb0EEEEDaS11_S12_EUlS11_E_NS1_11comp_targetILNS1_3genE5ELNS1_11target_archE942ELNS1_3gpuE9ELNS1_3repE0EEENS1_30default_config_static_selectorELNS0_4arch9wavefront6targetE0EEEvT1_,"axG",@progbits,_ZN7rocprim17ROCPRIM_400000_NS6detail17trampoline_kernelINS0_14default_configENS1_25partition_config_selectorILNS1_17partition_subalgoE6EiNS0_10empty_typeEbEEZZNS1_14partition_implILS5_6ELb0ES3_mN6thrust23THRUST_200600_302600_NS6detail15normal_iteratorINSA_10device_ptrIiEEEEPS6_SG_NS0_5tupleIJSF_S6_EEENSH_IJSG_SG_EEES6_PlJ7is_evenIiEEEE10hipError_tPvRmT3_T4_T5_T6_T7_T9_mT8_P12ihipStream_tbDpT10_ENKUlT_T0_E_clISt17integral_constantIbLb1EES15_IbLb0EEEEDaS11_S12_EUlS11_E_NS1_11comp_targetILNS1_3genE5ELNS1_11target_archE942ELNS1_3gpuE9ELNS1_3repE0EEENS1_30default_config_static_selectorELNS0_4arch9wavefront6targetE0EEEvT1_,comdat
.Lfunc_end409:
	.size	_ZN7rocprim17ROCPRIM_400000_NS6detail17trampoline_kernelINS0_14default_configENS1_25partition_config_selectorILNS1_17partition_subalgoE6EiNS0_10empty_typeEbEEZZNS1_14partition_implILS5_6ELb0ES3_mN6thrust23THRUST_200600_302600_NS6detail15normal_iteratorINSA_10device_ptrIiEEEEPS6_SG_NS0_5tupleIJSF_S6_EEENSH_IJSG_SG_EEES6_PlJ7is_evenIiEEEE10hipError_tPvRmT3_T4_T5_T6_T7_T9_mT8_P12ihipStream_tbDpT10_ENKUlT_T0_E_clISt17integral_constantIbLb1EES15_IbLb0EEEEDaS11_S12_EUlS11_E_NS1_11comp_targetILNS1_3genE5ELNS1_11target_archE942ELNS1_3gpuE9ELNS1_3repE0EEENS1_30default_config_static_selectorELNS0_4arch9wavefront6targetE0EEEvT1_, .Lfunc_end409-_ZN7rocprim17ROCPRIM_400000_NS6detail17trampoline_kernelINS0_14default_configENS1_25partition_config_selectorILNS1_17partition_subalgoE6EiNS0_10empty_typeEbEEZZNS1_14partition_implILS5_6ELb0ES3_mN6thrust23THRUST_200600_302600_NS6detail15normal_iteratorINSA_10device_ptrIiEEEEPS6_SG_NS0_5tupleIJSF_S6_EEENSH_IJSG_SG_EEES6_PlJ7is_evenIiEEEE10hipError_tPvRmT3_T4_T5_T6_T7_T9_mT8_P12ihipStream_tbDpT10_ENKUlT_T0_E_clISt17integral_constantIbLb1EES15_IbLb0EEEEDaS11_S12_EUlS11_E_NS1_11comp_targetILNS1_3genE5ELNS1_11target_archE942ELNS1_3gpuE9ELNS1_3repE0EEENS1_30default_config_static_selectorELNS0_4arch9wavefront6targetE0EEEvT1_
                                        ; -- End function
	.section	.AMDGPU.csdata,"",@progbits
; Kernel info:
; codeLenInByte = 0
; NumSgprs: 0
; NumVgprs: 0
; ScratchSize: 0
; MemoryBound: 0
; FloatMode: 240
; IeeeMode: 1
; LDSByteSize: 0 bytes/workgroup (compile time only)
; SGPRBlocks: 0
; VGPRBlocks: 0
; NumSGPRsForWavesPerEU: 1
; NumVGPRsForWavesPerEU: 1
; Occupancy: 16
; WaveLimiterHint : 0
; COMPUTE_PGM_RSRC2:SCRATCH_EN: 0
; COMPUTE_PGM_RSRC2:USER_SGPR: 15
; COMPUTE_PGM_RSRC2:TRAP_HANDLER: 0
; COMPUTE_PGM_RSRC2:TGID_X_EN: 1
; COMPUTE_PGM_RSRC2:TGID_Y_EN: 0
; COMPUTE_PGM_RSRC2:TGID_Z_EN: 0
; COMPUTE_PGM_RSRC2:TIDIG_COMP_CNT: 0
	.section	.text._ZN7rocprim17ROCPRIM_400000_NS6detail17trampoline_kernelINS0_14default_configENS1_25partition_config_selectorILNS1_17partition_subalgoE6EiNS0_10empty_typeEbEEZZNS1_14partition_implILS5_6ELb0ES3_mN6thrust23THRUST_200600_302600_NS6detail15normal_iteratorINSA_10device_ptrIiEEEEPS6_SG_NS0_5tupleIJSF_S6_EEENSH_IJSG_SG_EEES6_PlJ7is_evenIiEEEE10hipError_tPvRmT3_T4_T5_T6_T7_T9_mT8_P12ihipStream_tbDpT10_ENKUlT_T0_E_clISt17integral_constantIbLb1EES15_IbLb0EEEEDaS11_S12_EUlS11_E_NS1_11comp_targetILNS1_3genE4ELNS1_11target_archE910ELNS1_3gpuE8ELNS1_3repE0EEENS1_30default_config_static_selectorELNS0_4arch9wavefront6targetE0EEEvT1_,"axG",@progbits,_ZN7rocprim17ROCPRIM_400000_NS6detail17trampoline_kernelINS0_14default_configENS1_25partition_config_selectorILNS1_17partition_subalgoE6EiNS0_10empty_typeEbEEZZNS1_14partition_implILS5_6ELb0ES3_mN6thrust23THRUST_200600_302600_NS6detail15normal_iteratorINSA_10device_ptrIiEEEEPS6_SG_NS0_5tupleIJSF_S6_EEENSH_IJSG_SG_EEES6_PlJ7is_evenIiEEEE10hipError_tPvRmT3_T4_T5_T6_T7_T9_mT8_P12ihipStream_tbDpT10_ENKUlT_T0_E_clISt17integral_constantIbLb1EES15_IbLb0EEEEDaS11_S12_EUlS11_E_NS1_11comp_targetILNS1_3genE4ELNS1_11target_archE910ELNS1_3gpuE8ELNS1_3repE0EEENS1_30default_config_static_selectorELNS0_4arch9wavefront6targetE0EEEvT1_,comdat
	.protected	_ZN7rocprim17ROCPRIM_400000_NS6detail17trampoline_kernelINS0_14default_configENS1_25partition_config_selectorILNS1_17partition_subalgoE6EiNS0_10empty_typeEbEEZZNS1_14partition_implILS5_6ELb0ES3_mN6thrust23THRUST_200600_302600_NS6detail15normal_iteratorINSA_10device_ptrIiEEEEPS6_SG_NS0_5tupleIJSF_S6_EEENSH_IJSG_SG_EEES6_PlJ7is_evenIiEEEE10hipError_tPvRmT3_T4_T5_T6_T7_T9_mT8_P12ihipStream_tbDpT10_ENKUlT_T0_E_clISt17integral_constantIbLb1EES15_IbLb0EEEEDaS11_S12_EUlS11_E_NS1_11comp_targetILNS1_3genE4ELNS1_11target_archE910ELNS1_3gpuE8ELNS1_3repE0EEENS1_30default_config_static_selectorELNS0_4arch9wavefront6targetE0EEEvT1_ ; -- Begin function _ZN7rocprim17ROCPRIM_400000_NS6detail17trampoline_kernelINS0_14default_configENS1_25partition_config_selectorILNS1_17partition_subalgoE6EiNS0_10empty_typeEbEEZZNS1_14partition_implILS5_6ELb0ES3_mN6thrust23THRUST_200600_302600_NS6detail15normal_iteratorINSA_10device_ptrIiEEEEPS6_SG_NS0_5tupleIJSF_S6_EEENSH_IJSG_SG_EEES6_PlJ7is_evenIiEEEE10hipError_tPvRmT3_T4_T5_T6_T7_T9_mT8_P12ihipStream_tbDpT10_ENKUlT_T0_E_clISt17integral_constantIbLb1EES15_IbLb0EEEEDaS11_S12_EUlS11_E_NS1_11comp_targetILNS1_3genE4ELNS1_11target_archE910ELNS1_3gpuE8ELNS1_3repE0EEENS1_30default_config_static_selectorELNS0_4arch9wavefront6targetE0EEEvT1_
	.globl	_ZN7rocprim17ROCPRIM_400000_NS6detail17trampoline_kernelINS0_14default_configENS1_25partition_config_selectorILNS1_17partition_subalgoE6EiNS0_10empty_typeEbEEZZNS1_14partition_implILS5_6ELb0ES3_mN6thrust23THRUST_200600_302600_NS6detail15normal_iteratorINSA_10device_ptrIiEEEEPS6_SG_NS0_5tupleIJSF_S6_EEENSH_IJSG_SG_EEES6_PlJ7is_evenIiEEEE10hipError_tPvRmT3_T4_T5_T6_T7_T9_mT8_P12ihipStream_tbDpT10_ENKUlT_T0_E_clISt17integral_constantIbLb1EES15_IbLb0EEEEDaS11_S12_EUlS11_E_NS1_11comp_targetILNS1_3genE4ELNS1_11target_archE910ELNS1_3gpuE8ELNS1_3repE0EEENS1_30default_config_static_selectorELNS0_4arch9wavefront6targetE0EEEvT1_
	.p2align	8
	.type	_ZN7rocprim17ROCPRIM_400000_NS6detail17trampoline_kernelINS0_14default_configENS1_25partition_config_selectorILNS1_17partition_subalgoE6EiNS0_10empty_typeEbEEZZNS1_14partition_implILS5_6ELb0ES3_mN6thrust23THRUST_200600_302600_NS6detail15normal_iteratorINSA_10device_ptrIiEEEEPS6_SG_NS0_5tupleIJSF_S6_EEENSH_IJSG_SG_EEES6_PlJ7is_evenIiEEEE10hipError_tPvRmT3_T4_T5_T6_T7_T9_mT8_P12ihipStream_tbDpT10_ENKUlT_T0_E_clISt17integral_constantIbLb1EES15_IbLb0EEEEDaS11_S12_EUlS11_E_NS1_11comp_targetILNS1_3genE4ELNS1_11target_archE910ELNS1_3gpuE8ELNS1_3repE0EEENS1_30default_config_static_selectorELNS0_4arch9wavefront6targetE0EEEvT1_,@function
_ZN7rocprim17ROCPRIM_400000_NS6detail17trampoline_kernelINS0_14default_configENS1_25partition_config_selectorILNS1_17partition_subalgoE6EiNS0_10empty_typeEbEEZZNS1_14partition_implILS5_6ELb0ES3_mN6thrust23THRUST_200600_302600_NS6detail15normal_iteratorINSA_10device_ptrIiEEEEPS6_SG_NS0_5tupleIJSF_S6_EEENSH_IJSG_SG_EEES6_PlJ7is_evenIiEEEE10hipError_tPvRmT3_T4_T5_T6_T7_T9_mT8_P12ihipStream_tbDpT10_ENKUlT_T0_E_clISt17integral_constantIbLb1EES15_IbLb0EEEEDaS11_S12_EUlS11_E_NS1_11comp_targetILNS1_3genE4ELNS1_11target_archE910ELNS1_3gpuE8ELNS1_3repE0EEENS1_30default_config_static_selectorELNS0_4arch9wavefront6targetE0EEEvT1_: ; @_ZN7rocprim17ROCPRIM_400000_NS6detail17trampoline_kernelINS0_14default_configENS1_25partition_config_selectorILNS1_17partition_subalgoE6EiNS0_10empty_typeEbEEZZNS1_14partition_implILS5_6ELb0ES3_mN6thrust23THRUST_200600_302600_NS6detail15normal_iteratorINSA_10device_ptrIiEEEEPS6_SG_NS0_5tupleIJSF_S6_EEENSH_IJSG_SG_EEES6_PlJ7is_evenIiEEEE10hipError_tPvRmT3_T4_T5_T6_T7_T9_mT8_P12ihipStream_tbDpT10_ENKUlT_T0_E_clISt17integral_constantIbLb1EES15_IbLb0EEEEDaS11_S12_EUlS11_E_NS1_11comp_targetILNS1_3genE4ELNS1_11target_archE910ELNS1_3gpuE8ELNS1_3repE0EEENS1_30default_config_static_selectorELNS0_4arch9wavefront6targetE0EEEvT1_
; %bb.0:
	.section	.rodata,"a",@progbits
	.p2align	6, 0x0
	.amdhsa_kernel _ZN7rocprim17ROCPRIM_400000_NS6detail17trampoline_kernelINS0_14default_configENS1_25partition_config_selectorILNS1_17partition_subalgoE6EiNS0_10empty_typeEbEEZZNS1_14partition_implILS5_6ELb0ES3_mN6thrust23THRUST_200600_302600_NS6detail15normal_iteratorINSA_10device_ptrIiEEEEPS6_SG_NS0_5tupleIJSF_S6_EEENSH_IJSG_SG_EEES6_PlJ7is_evenIiEEEE10hipError_tPvRmT3_T4_T5_T6_T7_T9_mT8_P12ihipStream_tbDpT10_ENKUlT_T0_E_clISt17integral_constantIbLb1EES15_IbLb0EEEEDaS11_S12_EUlS11_E_NS1_11comp_targetILNS1_3genE4ELNS1_11target_archE910ELNS1_3gpuE8ELNS1_3repE0EEENS1_30default_config_static_selectorELNS0_4arch9wavefront6targetE0EEEvT1_
		.amdhsa_group_segment_fixed_size 0
		.amdhsa_private_segment_fixed_size 0
		.amdhsa_kernarg_size 112
		.amdhsa_user_sgpr_count 15
		.amdhsa_user_sgpr_dispatch_ptr 0
		.amdhsa_user_sgpr_queue_ptr 0
		.amdhsa_user_sgpr_kernarg_segment_ptr 1
		.amdhsa_user_sgpr_dispatch_id 0
		.amdhsa_user_sgpr_private_segment_size 0
		.amdhsa_wavefront_size32 1
		.amdhsa_uses_dynamic_stack 0
		.amdhsa_enable_private_segment 0
		.amdhsa_system_sgpr_workgroup_id_x 1
		.amdhsa_system_sgpr_workgroup_id_y 0
		.amdhsa_system_sgpr_workgroup_id_z 0
		.amdhsa_system_sgpr_workgroup_info 0
		.amdhsa_system_vgpr_workitem_id 0
		.amdhsa_next_free_vgpr 1
		.amdhsa_next_free_sgpr 1
		.amdhsa_reserve_vcc 0
		.amdhsa_float_round_mode_32 0
		.amdhsa_float_round_mode_16_64 0
		.amdhsa_float_denorm_mode_32 3
		.amdhsa_float_denorm_mode_16_64 3
		.amdhsa_dx10_clamp 1
		.amdhsa_ieee_mode 1
		.amdhsa_fp16_overflow 0
		.amdhsa_workgroup_processor_mode 1
		.amdhsa_memory_ordered 1
		.amdhsa_forward_progress 0
		.amdhsa_shared_vgpr_count 0
		.amdhsa_exception_fp_ieee_invalid_op 0
		.amdhsa_exception_fp_denorm_src 0
		.amdhsa_exception_fp_ieee_div_zero 0
		.amdhsa_exception_fp_ieee_overflow 0
		.amdhsa_exception_fp_ieee_underflow 0
		.amdhsa_exception_fp_ieee_inexact 0
		.amdhsa_exception_int_div_zero 0
	.end_amdhsa_kernel
	.section	.text._ZN7rocprim17ROCPRIM_400000_NS6detail17trampoline_kernelINS0_14default_configENS1_25partition_config_selectorILNS1_17partition_subalgoE6EiNS0_10empty_typeEbEEZZNS1_14partition_implILS5_6ELb0ES3_mN6thrust23THRUST_200600_302600_NS6detail15normal_iteratorINSA_10device_ptrIiEEEEPS6_SG_NS0_5tupleIJSF_S6_EEENSH_IJSG_SG_EEES6_PlJ7is_evenIiEEEE10hipError_tPvRmT3_T4_T5_T6_T7_T9_mT8_P12ihipStream_tbDpT10_ENKUlT_T0_E_clISt17integral_constantIbLb1EES15_IbLb0EEEEDaS11_S12_EUlS11_E_NS1_11comp_targetILNS1_3genE4ELNS1_11target_archE910ELNS1_3gpuE8ELNS1_3repE0EEENS1_30default_config_static_selectorELNS0_4arch9wavefront6targetE0EEEvT1_,"axG",@progbits,_ZN7rocprim17ROCPRIM_400000_NS6detail17trampoline_kernelINS0_14default_configENS1_25partition_config_selectorILNS1_17partition_subalgoE6EiNS0_10empty_typeEbEEZZNS1_14partition_implILS5_6ELb0ES3_mN6thrust23THRUST_200600_302600_NS6detail15normal_iteratorINSA_10device_ptrIiEEEEPS6_SG_NS0_5tupleIJSF_S6_EEENSH_IJSG_SG_EEES6_PlJ7is_evenIiEEEE10hipError_tPvRmT3_T4_T5_T6_T7_T9_mT8_P12ihipStream_tbDpT10_ENKUlT_T0_E_clISt17integral_constantIbLb1EES15_IbLb0EEEEDaS11_S12_EUlS11_E_NS1_11comp_targetILNS1_3genE4ELNS1_11target_archE910ELNS1_3gpuE8ELNS1_3repE0EEENS1_30default_config_static_selectorELNS0_4arch9wavefront6targetE0EEEvT1_,comdat
.Lfunc_end410:
	.size	_ZN7rocprim17ROCPRIM_400000_NS6detail17trampoline_kernelINS0_14default_configENS1_25partition_config_selectorILNS1_17partition_subalgoE6EiNS0_10empty_typeEbEEZZNS1_14partition_implILS5_6ELb0ES3_mN6thrust23THRUST_200600_302600_NS6detail15normal_iteratorINSA_10device_ptrIiEEEEPS6_SG_NS0_5tupleIJSF_S6_EEENSH_IJSG_SG_EEES6_PlJ7is_evenIiEEEE10hipError_tPvRmT3_T4_T5_T6_T7_T9_mT8_P12ihipStream_tbDpT10_ENKUlT_T0_E_clISt17integral_constantIbLb1EES15_IbLb0EEEEDaS11_S12_EUlS11_E_NS1_11comp_targetILNS1_3genE4ELNS1_11target_archE910ELNS1_3gpuE8ELNS1_3repE0EEENS1_30default_config_static_selectorELNS0_4arch9wavefront6targetE0EEEvT1_, .Lfunc_end410-_ZN7rocprim17ROCPRIM_400000_NS6detail17trampoline_kernelINS0_14default_configENS1_25partition_config_selectorILNS1_17partition_subalgoE6EiNS0_10empty_typeEbEEZZNS1_14partition_implILS5_6ELb0ES3_mN6thrust23THRUST_200600_302600_NS6detail15normal_iteratorINSA_10device_ptrIiEEEEPS6_SG_NS0_5tupleIJSF_S6_EEENSH_IJSG_SG_EEES6_PlJ7is_evenIiEEEE10hipError_tPvRmT3_T4_T5_T6_T7_T9_mT8_P12ihipStream_tbDpT10_ENKUlT_T0_E_clISt17integral_constantIbLb1EES15_IbLb0EEEEDaS11_S12_EUlS11_E_NS1_11comp_targetILNS1_3genE4ELNS1_11target_archE910ELNS1_3gpuE8ELNS1_3repE0EEENS1_30default_config_static_selectorELNS0_4arch9wavefront6targetE0EEEvT1_
                                        ; -- End function
	.section	.AMDGPU.csdata,"",@progbits
; Kernel info:
; codeLenInByte = 0
; NumSgprs: 0
; NumVgprs: 0
; ScratchSize: 0
; MemoryBound: 0
; FloatMode: 240
; IeeeMode: 1
; LDSByteSize: 0 bytes/workgroup (compile time only)
; SGPRBlocks: 0
; VGPRBlocks: 0
; NumSGPRsForWavesPerEU: 1
; NumVGPRsForWavesPerEU: 1
; Occupancy: 16
; WaveLimiterHint : 0
; COMPUTE_PGM_RSRC2:SCRATCH_EN: 0
; COMPUTE_PGM_RSRC2:USER_SGPR: 15
; COMPUTE_PGM_RSRC2:TRAP_HANDLER: 0
; COMPUTE_PGM_RSRC2:TGID_X_EN: 1
; COMPUTE_PGM_RSRC2:TGID_Y_EN: 0
; COMPUTE_PGM_RSRC2:TGID_Z_EN: 0
; COMPUTE_PGM_RSRC2:TIDIG_COMP_CNT: 0
	.section	.text._ZN7rocprim17ROCPRIM_400000_NS6detail17trampoline_kernelINS0_14default_configENS1_25partition_config_selectorILNS1_17partition_subalgoE6EiNS0_10empty_typeEbEEZZNS1_14partition_implILS5_6ELb0ES3_mN6thrust23THRUST_200600_302600_NS6detail15normal_iteratorINSA_10device_ptrIiEEEEPS6_SG_NS0_5tupleIJSF_S6_EEENSH_IJSG_SG_EEES6_PlJ7is_evenIiEEEE10hipError_tPvRmT3_T4_T5_T6_T7_T9_mT8_P12ihipStream_tbDpT10_ENKUlT_T0_E_clISt17integral_constantIbLb1EES15_IbLb0EEEEDaS11_S12_EUlS11_E_NS1_11comp_targetILNS1_3genE3ELNS1_11target_archE908ELNS1_3gpuE7ELNS1_3repE0EEENS1_30default_config_static_selectorELNS0_4arch9wavefront6targetE0EEEvT1_,"axG",@progbits,_ZN7rocprim17ROCPRIM_400000_NS6detail17trampoline_kernelINS0_14default_configENS1_25partition_config_selectorILNS1_17partition_subalgoE6EiNS0_10empty_typeEbEEZZNS1_14partition_implILS5_6ELb0ES3_mN6thrust23THRUST_200600_302600_NS6detail15normal_iteratorINSA_10device_ptrIiEEEEPS6_SG_NS0_5tupleIJSF_S6_EEENSH_IJSG_SG_EEES6_PlJ7is_evenIiEEEE10hipError_tPvRmT3_T4_T5_T6_T7_T9_mT8_P12ihipStream_tbDpT10_ENKUlT_T0_E_clISt17integral_constantIbLb1EES15_IbLb0EEEEDaS11_S12_EUlS11_E_NS1_11comp_targetILNS1_3genE3ELNS1_11target_archE908ELNS1_3gpuE7ELNS1_3repE0EEENS1_30default_config_static_selectorELNS0_4arch9wavefront6targetE0EEEvT1_,comdat
	.protected	_ZN7rocprim17ROCPRIM_400000_NS6detail17trampoline_kernelINS0_14default_configENS1_25partition_config_selectorILNS1_17partition_subalgoE6EiNS0_10empty_typeEbEEZZNS1_14partition_implILS5_6ELb0ES3_mN6thrust23THRUST_200600_302600_NS6detail15normal_iteratorINSA_10device_ptrIiEEEEPS6_SG_NS0_5tupleIJSF_S6_EEENSH_IJSG_SG_EEES6_PlJ7is_evenIiEEEE10hipError_tPvRmT3_T4_T5_T6_T7_T9_mT8_P12ihipStream_tbDpT10_ENKUlT_T0_E_clISt17integral_constantIbLb1EES15_IbLb0EEEEDaS11_S12_EUlS11_E_NS1_11comp_targetILNS1_3genE3ELNS1_11target_archE908ELNS1_3gpuE7ELNS1_3repE0EEENS1_30default_config_static_selectorELNS0_4arch9wavefront6targetE0EEEvT1_ ; -- Begin function _ZN7rocprim17ROCPRIM_400000_NS6detail17trampoline_kernelINS0_14default_configENS1_25partition_config_selectorILNS1_17partition_subalgoE6EiNS0_10empty_typeEbEEZZNS1_14partition_implILS5_6ELb0ES3_mN6thrust23THRUST_200600_302600_NS6detail15normal_iteratorINSA_10device_ptrIiEEEEPS6_SG_NS0_5tupleIJSF_S6_EEENSH_IJSG_SG_EEES6_PlJ7is_evenIiEEEE10hipError_tPvRmT3_T4_T5_T6_T7_T9_mT8_P12ihipStream_tbDpT10_ENKUlT_T0_E_clISt17integral_constantIbLb1EES15_IbLb0EEEEDaS11_S12_EUlS11_E_NS1_11comp_targetILNS1_3genE3ELNS1_11target_archE908ELNS1_3gpuE7ELNS1_3repE0EEENS1_30default_config_static_selectorELNS0_4arch9wavefront6targetE0EEEvT1_
	.globl	_ZN7rocprim17ROCPRIM_400000_NS6detail17trampoline_kernelINS0_14default_configENS1_25partition_config_selectorILNS1_17partition_subalgoE6EiNS0_10empty_typeEbEEZZNS1_14partition_implILS5_6ELb0ES3_mN6thrust23THRUST_200600_302600_NS6detail15normal_iteratorINSA_10device_ptrIiEEEEPS6_SG_NS0_5tupleIJSF_S6_EEENSH_IJSG_SG_EEES6_PlJ7is_evenIiEEEE10hipError_tPvRmT3_T4_T5_T6_T7_T9_mT8_P12ihipStream_tbDpT10_ENKUlT_T0_E_clISt17integral_constantIbLb1EES15_IbLb0EEEEDaS11_S12_EUlS11_E_NS1_11comp_targetILNS1_3genE3ELNS1_11target_archE908ELNS1_3gpuE7ELNS1_3repE0EEENS1_30default_config_static_selectorELNS0_4arch9wavefront6targetE0EEEvT1_
	.p2align	8
	.type	_ZN7rocprim17ROCPRIM_400000_NS6detail17trampoline_kernelINS0_14default_configENS1_25partition_config_selectorILNS1_17partition_subalgoE6EiNS0_10empty_typeEbEEZZNS1_14partition_implILS5_6ELb0ES3_mN6thrust23THRUST_200600_302600_NS6detail15normal_iteratorINSA_10device_ptrIiEEEEPS6_SG_NS0_5tupleIJSF_S6_EEENSH_IJSG_SG_EEES6_PlJ7is_evenIiEEEE10hipError_tPvRmT3_T4_T5_T6_T7_T9_mT8_P12ihipStream_tbDpT10_ENKUlT_T0_E_clISt17integral_constantIbLb1EES15_IbLb0EEEEDaS11_S12_EUlS11_E_NS1_11comp_targetILNS1_3genE3ELNS1_11target_archE908ELNS1_3gpuE7ELNS1_3repE0EEENS1_30default_config_static_selectorELNS0_4arch9wavefront6targetE0EEEvT1_,@function
_ZN7rocprim17ROCPRIM_400000_NS6detail17trampoline_kernelINS0_14default_configENS1_25partition_config_selectorILNS1_17partition_subalgoE6EiNS0_10empty_typeEbEEZZNS1_14partition_implILS5_6ELb0ES3_mN6thrust23THRUST_200600_302600_NS6detail15normal_iteratorINSA_10device_ptrIiEEEEPS6_SG_NS0_5tupleIJSF_S6_EEENSH_IJSG_SG_EEES6_PlJ7is_evenIiEEEE10hipError_tPvRmT3_T4_T5_T6_T7_T9_mT8_P12ihipStream_tbDpT10_ENKUlT_T0_E_clISt17integral_constantIbLb1EES15_IbLb0EEEEDaS11_S12_EUlS11_E_NS1_11comp_targetILNS1_3genE3ELNS1_11target_archE908ELNS1_3gpuE7ELNS1_3repE0EEENS1_30default_config_static_selectorELNS0_4arch9wavefront6targetE0EEEvT1_: ; @_ZN7rocprim17ROCPRIM_400000_NS6detail17trampoline_kernelINS0_14default_configENS1_25partition_config_selectorILNS1_17partition_subalgoE6EiNS0_10empty_typeEbEEZZNS1_14partition_implILS5_6ELb0ES3_mN6thrust23THRUST_200600_302600_NS6detail15normal_iteratorINSA_10device_ptrIiEEEEPS6_SG_NS0_5tupleIJSF_S6_EEENSH_IJSG_SG_EEES6_PlJ7is_evenIiEEEE10hipError_tPvRmT3_T4_T5_T6_T7_T9_mT8_P12ihipStream_tbDpT10_ENKUlT_T0_E_clISt17integral_constantIbLb1EES15_IbLb0EEEEDaS11_S12_EUlS11_E_NS1_11comp_targetILNS1_3genE3ELNS1_11target_archE908ELNS1_3gpuE7ELNS1_3repE0EEENS1_30default_config_static_selectorELNS0_4arch9wavefront6targetE0EEEvT1_
; %bb.0:
	.section	.rodata,"a",@progbits
	.p2align	6, 0x0
	.amdhsa_kernel _ZN7rocprim17ROCPRIM_400000_NS6detail17trampoline_kernelINS0_14default_configENS1_25partition_config_selectorILNS1_17partition_subalgoE6EiNS0_10empty_typeEbEEZZNS1_14partition_implILS5_6ELb0ES3_mN6thrust23THRUST_200600_302600_NS6detail15normal_iteratorINSA_10device_ptrIiEEEEPS6_SG_NS0_5tupleIJSF_S6_EEENSH_IJSG_SG_EEES6_PlJ7is_evenIiEEEE10hipError_tPvRmT3_T4_T5_T6_T7_T9_mT8_P12ihipStream_tbDpT10_ENKUlT_T0_E_clISt17integral_constantIbLb1EES15_IbLb0EEEEDaS11_S12_EUlS11_E_NS1_11comp_targetILNS1_3genE3ELNS1_11target_archE908ELNS1_3gpuE7ELNS1_3repE0EEENS1_30default_config_static_selectorELNS0_4arch9wavefront6targetE0EEEvT1_
		.amdhsa_group_segment_fixed_size 0
		.amdhsa_private_segment_fixed_size 0
		.amdhsa_kernarg_size 112
		.amdhsa_user_sgpr_count 15
		.amdhsa_user_sgpr_dispatch_ptr 0
		.amdhsa_user_sgpr_queue_ptr 0
		.amdhsa_user_sgpr_kernarg_segment_ptr 1
		.amdhsa_user_sgpr_dispatch_id 0
		.amdhsa_user_sgpr_private_segment_size 0
		.amdhsa_wavefront_size32 1
		.amdhsa_uses_dynamic_stack 0
		.amdhsa_enable_private_segment 0
		.amdhsa_system_sgpr_workgroup_id_x 1
		.amdhsa_system_sgpr_workgroup_id_y 0
		.amdhsa_system_sgpr_workgroup_id_z 0
		.amdhsa_system_sgpr_workgroup_info 0
		.amdhsa_system_vgpr_workitem_id 0
		.amdhsa_next_free_vgpr 1
		.amdhsa_next_free_sgpr 1
		.amdhsa_reserve_vcc 0
		.amdhsa_float_round_mode_32 0
		.amdhsa_float_round_mode_16_64 0
		.amdhsa_float_denorm_mode_32 3
		.amdhsa_float_denorm_mode_16_64 3
		.amdhsa_dx10_clamp 1
		.amdhsa_ieee_mode 1
		.amdhsa_fp16_overflow 0
		.amdhsa_workgroup_processor_mode 1
		.amdhsa_memory_ordered 1
		.amdhsa_forward_progress 0
		.amdhsa_shared_vgpr_count 0
		.amdhsa_exception_fp_ieee_invalid_op 0
		.amdhsa_exception_fp_denorm_src 0
		.amdhsa_exception_fp_ieee_div_zero 0
		.amdhsa_exception_fp_ieee_overflow 0
		.amdhsa_exception_fp_ieee_underflow 0
		.amdhsa_exception_fp_ieee_inexact 0
		.amdhsa_exception_int_div_zero 0
	.end_amdhsa_kernel
	.section	.text._ZN7rocprim17ROCPRIM_400000_NS6detail17trampoline_kernelINS0_14default_configENS1_25partition_config_selectorILNS1_17partition_subalgoE6EiNS0_10empty_typeEbEEZZNS1_14partition_implILS5_6ELb0ES3_mN6thrust23THRUST_200600_302600_NS6detail15normal_iteratorINSA_10device_ptrIiEEEEPS6_SG_NS0_5tupleIJSF_S6_EEENSH_IJSG_SG_EEES6_PlJ7is_evenIiEEEE10hipError_tPvRmT3_T4_T5_T6_T7_T9_mT8_P12ihipStream_tbDpT10_ENKUlT_T0_E_clISt17integral_constantIbLb1EES15_IbLb0EEEEDaS11_S12_EUlS11_E_NS1_11comp_targetILNS1_3genE3ELNS1_11target_archE908ELNS1_3gpuE7ELNS1_3repE0EEENS1_30default_config_static_selectorELNS0_4arch9wavefront6targetE0EEEvT1_,"axG",@progbits,_ZN7rocprim17ROCPRIM_400000_NS6detail17trampoline_kernelINS0_14default_configENS1_25partition_config_selectorILNS1_17partition_subalgoE6EiNS0_10empty_typeEbEEZZNS1_14partition_implILS5_6ELb0ES3_mN6thrust23THRUST_200600_302600_NS6detail15normal_iteratorINSA_10device_ptrIiEEEEPS6_SG_NS0_5tupleIJSF_S6_EEENSH_IJSG_SG_EEES6_PlJ7is_evenIiEEEE10hipError_tPvRmT3_T4_T5_T6_T7_T9_mT8_P12ihipStream_tbDpT10_ENKUlT_T0_E_clISt17integral_constantIbLb1EES15_IbLb0EEEEDaS11_S12_EUlS11_E_NS1_11comp_targetILNS1_3genE3ELNS1_11target_archE908ELNS1_3gpuE7ELNS1_3repE0EEENS1_30default_config_static_selectorELNS0_4arch9wavefront6targetE0EEEvT1_,comdat
.Lfunc_end411:
	.size	_ZN7rocprim17ROCPRIM_400000_NS6detail17trampoline_kernelINS0_14default_configENS1_25partition_config_selectorILNS1_17partition_subalgoE6EiNS0_10empty_typeEbEEZZNS1_14partition_implILS5_6ELb0ES3_mN6thrust23THRUST_200600_302600_NS6detail15normal_iteratorINSA_10device_ptrIiEEEEPS6_SG_NS0_5tupleIJSF_S6_EEENSH_IJSG_SG_EEES6_PlJ7is_evenIiEEEE10hipError_tPvRmT3_T4_T5_T6_T7_T9_mT8_P12ihipStream_tbDpT10_ENKUlT_T0_E_clISt17integral_constantIbLb1EES15_IbLb0EEEEDaS11_S12_EUlS11_E_NS1_11comp_targetILNS1_3genE3ELNS1_11target_archE908ELNS1_3gpuE7ELNS1_3repE0EEENS1_30default_config_static_selectorELNS0_4arch9wavefront6targetE0EEEvT1_, .Lfunc_end411-_ZN7rocprim17ROCPRIM_400000_NS6detail17trampoline_kernelINS0_14default_configENS1_25partition_config_selectorILNS1_17partition_subalgoE6EiNS0_10empty_typeEbEEZZNS1_14partition_implILS5_6ELb0ES3_mN6thrust23THRUST_200600_302600_NS6detail15normal_iteratorINSA_10device_ptrIiEEEEPS6_SG_NS0_5tupleIJSF_S6_EEENSH_IJSG_SG_EEES6_PlJ7is_evenIiEEEE10hipError_tPvRmT3_T4_T5_T6_T7_T9_mT8_P12ihipStream_tbDpT10_ENKUlT_T0_E_clISt17integral_constantIbLb1EES15_IbLb0EEEEDaS11_S12_EUlS11_E_NS1_11comp_targetILNS1_3genE3ELNS1_11target_archE908ELNS1_3gpuE7ELNS1_3repE0EEENS1_30default_config_static_selectorELNS0_4arch9wavefront6targetE0EEEvT1_
                                        ; -- End function
	.section	.AMDGPU.csdata,"",@progbits
; Kernel info:
; codeLenInByte = 0
; NumSgprs: 0
; NumVgprs: 0
; ScratchSize: 0
; MemoryBound: 0
; FloatMode: 240
; IeeeMode: 1
; LDSByteSize: 0 bytes/workgroup (compile time only)
; SGPRBlocks: 0
; VGPRBlocks: 0
; NumSGPRsForWavesPerEU: 1
; NumVGPRsForWavesPerEU: 1
; Occupancy: 16
; WaveLimiterHint : 0
; COMPUTE_PGM_RSRC2:SCRATCH_EN: 0
; COMPUTE_PGM_RSRC2:USER_SGPR: 15
; COMPUTE_PGM_RSRC2:TRAP_HANDLER: 0
; COMPUTE_PGM_RSRC2:TGID_X_EN: 1
; COMPUTE_PGM_RSRC2:TGID_Y_EN: 0
; COMPUTE_PGM_RSRC2:TGID_Z_EN: 0
; COMPUTE_PGM_RSRC2:TIDIG_COMP_CNT: 0
	.section	.text._ZN7rocprim17ROCPRIM_400000_NS6detail17trampoline_kernelINS0_14default_configENS1_25partition_config_selectorILNS1_17partition_subalgoE6EiNS0_10empty_typeEbEEZZNS1_14partition_implILS5_6ELb0ES3_mN6thrust23THRUST_200600_302600_NS6detail15normal_iteratorINSA_10device_ptrIiEEEEPS6_SG_NS0_5tupleIJSF_S6_EEENSH_IJSG_SG_EEES6_PlJ7is_evenIiEEEE10hipError_tPvRmT3_T4_T5_T6_T7_T9_mT8_P12ihipStream_tbDpT10_ENKUlT_T0_E_clISt17integral_constantIbLb1EES15_IbLb0EEEEDaS11_S12_EUlS11_E_NS1_11comp_targetILNS1_3genE2ELNS1_11target_archE906ELNS1_3gpuE6ELNS1_3repE0EEENS1_30default_config_static_selectorELNS0_4arch9wavefront6targetE0EEEvT1_,"axG",@progbits,_ZN7rocprim17ROCPRIM_400000_NS6detail17trampoline_kernelINS0_14default_configENS1_25partition_config_selectorILNS1_17partition_subalgoE6EiNS0_10empty_typeEbEEZZNS1_14partition_implILS5_6ELb0ES3_mN6thrust23THRUST_200600_302600_NS6detail15normal_iteratorINSA_10device_ptrIiEEEEPS6_SG_NS0_5tupleIJSF_S6_EEENSH_IJSG_SG_EEES6_PlJ7is_evenIiEEEE10hipError_tPvRmT3_T4_T5_T6_T7_T9_mT8_P12ihipStream_tbDpT10_ENKUlT_T0_E_clISt17integral_constantIbLb1EES15_IbLb0EEEEDaS11_S12_EUlS11_E_NS1_11comp_targetILNS1_3genE2ELNS1_11target_archE906ELNS1_3gpuE6ELNS1_3repE0EEENS1_30default_config_static_selectorELNS0_4arch9wavefront6targetE0EEEvT1_,comdat
	.protected	_ZN7rocprim17ROCPRIM_400000_NS6detail17trampoline_kernelINS0_14default_configENS1_25partition_config_selectorILNS1_17partition_subalgoE6EiNS0_10empty_typeEbEEZZNS1_14partition_implILS5_6ELb0ES3_mN6thrust23THRUST_200600_302600_NS6detail15normal_iteratorINSA_10device_ptrIiEEEEPS6_SG_NS0_5tupleIJSF_S6_EEENSH_IJSG_SG_EEES6_PlJ7is_evenIiEEEE10hipError_tPvRmT3_T4_T5_T6_T7_T9_mT8_P12ihipStream_tbDpT10_ENKUlT_T0_E_clISt17integral_constantIbLb1EES15_IbLb0EEEEDaS11_S12_EUlS11_E_NS1_11comp_targetILNS1_3genE2ELNS1_11target_archE906ELNS1_3gpuE6ELNS1_3repE0EEENS1_30default_config_static_selectorELNS0_4arch9wavefront6targetE0EEEvT1_ ; -- Begin function _ZN7rocprim17ROCPRIM_400000_NS6detail17trampoline_kernelINS0_14default_configENS1_25partition_config_selectorILNS1_17partition_subalgoE6EiNS0_10empty_typeEbEEZZNS1_14partition_implILS5_6ELb0ES3_mN6thrust23THRUST_200600_302600_NS6detail15normal_iteratorINSA_10device_ptrIiEEEEPS6_SG_NS0_5tupleIJSF_S6_EEENSH_IJSG_SG_EEES6_PlJ7is_evenIiEEEE10hipError_tPvRmT3_T4_T5_T6_T7_T9_mT8_P12ihipStream_tbDpT10_ENKUlT_T0_E_clISt17integral_constantIbLb1EES15_IbLb0EEEEDaS11_S12_EUlS11_E_NS1_11comp_targetILNS1_3genE2ELNS1_11target_archE906ELNS1_3gpuE6ELNS1_3repE0EEENS1_30default_config_static_selectorELNS0_4arch9wavefront6targetE0EEEvT1_
	.globl	_ZN7rocprim17ROCPRIM_400000_NS6detail17trampoline_kernelINS0_14default_configENS1_25partition_config_selectorILNS1_17partition_subalgoE6EiNS0_10empty_typeEbEEZZNS1_14partition_implILS5_6ELb0ES3_mN6thrust23THRUST_200600_302600_NS6detail15normal_iteratorINSA_10device_ptrIiEEEEPS6_SG_NS0_5tupleIJSF_S6_EEENSH_IJSG_SG_EEES6_PlJ7is_evenIiEEEE10hipError_tPvRmT3_T4_T5_T6_T7_T9_mT8_P12ihipStream_tbDpT10_ENKUlT_T0_E_clISt17integral_constantIbLb1EES15_IbLb0EEEEDaS11_S12_EUlS11_E_NS1_11comp_targetILNS1_3genE2ELNS1_11target_archE906ELNS1_3gpuE6ELNS1_3repE0EEENS1_30default_config_static_selectorELNS0_4arch9wavefront6targetE0EEEvT1_
	.p2align	8
	.type	_ZN7rocprim17ROCPRIM_400000_NS6detail17trampoline_kernelINS0_14default_configENS1_25partition_config_selectorILNS1_17partition_subalgoE6EiNS0_10empty_typeEbEEZZNS1_14partition_implILS5_6ELb0ES3_mN6thrust23THRUST_200600_302600_NS6detail15normal_iteratorINSA_10device_ptrIiEEEEPS6_SG_NS0_5tupleIJSF_S6_EEENSH_IJSG_SG_EEES6_PlJ7is_evenIiEEEE10hipError_tPvRmT3_T4_T5_T6_T7_T9_mT8_P12ihipStream_tbDpT10_ENKUlT_T0_E_clISt17integral_constantIbLb1EES15_IbLb0EEEEDaS11_S12_EUlS11_E_NS1_11comp_targetILNS1_3genE2ELNS1_11target_archE906ELNS1_3gpuE6ELNS1_3repE0EEENS1_30default_config_static_selectorELNS0_4arch9wavefront6targetE0EEEvT1_,@function
_ZN7rocprim17ROCPRIM_400000_NS6detail17trampoline_kernelINS0_14default_configENS1_25partition_config_selectorILNS1_17partition_subalgoE6EiNS0_10empty_typeEbEEZZNS1_14partition_implILS5_6ELb0ES3_mN6thrust23THRUST_200600_302600_NS6detail15normal_iteratorINSA_10device_ptrIiEEEEPS6_SG_NS0_5tupleIJSF_S6_EEENSH_IJSG_SG_EEES6_PlJ7is_evenIiEEEE10hipError_tPvRmT3_T4_T5_T6_T7_T9_mT8_P12ihipStream_tbDpT10_ENKUlT_T0_E_clISt17integral_constantIbLb1EES15_IbLb0EEEEDaS11_S12_EUlS11_E_NS1_11comp_targetILNS1_3genE2ELNS1_11target_archE906ELNS1_3gpuE6ELNS1_3repE0EEENS1_30default_config_static_selectorELNS0_4arch9wavefront6targetE0EEEvT1_: ; @_ZN7rocprim17ROCPRIM_400000_NS6detail17trampoline_kernelINS0_14default_configENS1_25partition_config_selectorILNS1_17partition_subalgoE6EiNS0_10empty_typeEbEEZZNS1_14partition_implILS5_6ELb0ES3_mN6thrust23THRUST_200600_302600_NS6detail15normal_iteratorINSA_10device_ptrIiEEEEPS6_SG_NS0_5tupleIJSF_S6_EEENSH_IJSG_SG_EEES6_PlJ7is_evenIiEEEE10hipError_tPvRmT3_T4_T5_T6_T7_T9_mT8_P12ihipStream_tbDpT10_ENKUlT_T0_E_clISt17integral_constantIbLb1EES15_IbLb0EEEEDaS11_S12_EUlS11_E_NS1_11comp_targetILNS1_3genE2ELNS1_11target_archE906ELNS1_3gpuE6ELNS1_3repE0EEENS1_30default_config_static_selectorELNS0_4arch9wavefront6targetE0EEEvT1_
; %bb.0:
	.section	.rodata,"a",@progbits
	.p2align	6, 0x0
	.amdhsa_kernel _ZN7rocprim17ROCPRIM_400000_NS6detail17trampoline_kernelINS0_14default_configENS1_25partition_config_selectorILNS1_17partition_subalgoE6EiNS0_10empty_typeEbEEZZNS1_14partition_implILS5_6ELb0ES3_mN6thrust23THRUST_200600_302600_NS6detail15normal_iteratorINSA_10device_ptrIiEEEEPS6_SG_NS0_5tupleIJSF_S6_EEENSH_IJSG_SG_EEES6_PlJ7is_evenIiEEEE10hipError_tPvRmT3_T4_T5_T6_T7_T9_mT8_P12ihipStream_tbDpT10_ENKUlT_T0_E_clISt17integral_constantIbLb1EES15_IbLb0EEEEDaS11_S12_EUlS11_E_NS1_11comp_targetILNS1_3genE2ELNS1_11target_archE906ELNS1_3gpuE6ELNS1_3repE0EEENS1_30default_config_static_selectorELNS0_4arch9wavefront6targetE0EEEvT1_
		.amdhsa_group_segment_fixed_size 0
		.amdhsa_private_segment_fixed_size 0
		.amdhsa_kernarg_size 112
		.amdhsa_user_sgpr_count 15
		.amdhsa_user_sgpr_dispatch_ptr 0
		.amdhsa_user_sgpr_queue_ptr 0
		.amdhsa_user_sgpr_kernarg_segment_ptr 1
		.amdhsa_user_sgpr_dispatch_id 0
		.amdhsa_user_sgpr_private_segment_size 0
		.amdhsa_wavefront_size32 1
		.amdhsa_uses_dynamic_stack 0
		.amdhsa_enable_private_segment 0
		.amdhsa_system_sgpr_workgroup_id_x 1
		.amdhsa_system_sgpr_workgroup_id_y 0
		.amdhsa_system_sgpr_workgroup_id_z 0
		.amdhsa_system_sgpr_workgroup_info 0
		.amdhsa_system_vgpr_workitem_id 0
		.amdhsa_next_free_vgpr 1
		.amdhsa_next_free_sgpr 1
		.amdhsa_reserve_vcc 0
		.amdhsa_float_round_mode_32 0
		.amdhsa_float_round_mode_16_64 0
		.amdhsa_float_denorm_mode_32 3
		.amdhsa_float_denorm_mode_16_64 3
		.amdhsa_dx10_clamp 1
		.amdhsa_ieee_mode 1
		.amdhsa_fp16_overflow 0
		.amdhsa_workgroup_processor_mode 1
		.amdhsa_memory_ordered 1
		.amdhsa_forward_progress 0
		.amdhsa_shared_vgpr_count 0
		.amdhsa_exception_fp_ieee_invalid_op 0
		.amdhsa_exception_fp_denorm_src 0
		.amdhsa_exception_fp_ieee_div_zero 0
		.amdhsa_exception_fp_ieee_overflow 0
		.amdhsa_exception_fp_ieee_underflow 0
		.amdhsa_exception_fp_ieee_inexact 0
		.amdhsa_exception_int_div_zero 0
	.end_amdhsa_kernel
	.section	.text._ZN7rocprim17ROCPRIM_400000_NS6detail17trampoline_kernelINS0_14default_configENS1_25partition_config_selectorILNS1_17partition_subalgoE6EiNS0_10empty_typeEbEEZZNS1_14partition_implILS5_6ELb0ES3_mN6thrust23THRUST_200600_302600_NS6detail15normal_iteratorINSA_10device_ptrIiEEEEPS6_SG_NS0_5tupleIJSF_S6_EEENSH_IJSG_SG_EEES6_PlJ7is_evenIiEEEE10hipError_tPvRmT3_T4_T5_T6_T7_T9_mT8_P12ihipStream_tbDpT10_ENKUlT_T0_E_clISt17integral_constantIbLb1EES15_IbLb0EEEEDaS11_S12_EUlS11_E_NS1_11comp_targetILNS1_3genE2ELNS1_11target_archE906ELNS1_3gpuE6ELNS1_3repE0EEENS1_30default_config_static_selectorELNS0_4arch9wavefront6targetE0EEEvT1_,"axG",@progbits,_ZN7rocprim17ROCPRIM_400000_NS6detail17trampoline_kernelINS0_14default_configENS1_25partition_config_selectorILNS1_17partition_subalgoE6EiNS0_10empty_typeEbEEZZNS1_14partition_implILS5_6ELb0ES3_mN6thrust23THRUST_200600_302600_NS6detail15normal_iteratorINSA_10device_ptrIiEEEEPS6_SG_NS0_5tupleIJSF_S6_EEENSH_IJSG_SG_EEES6_PlJ7is_evenIiEEEE10hipError_tPvRmT3_T4_T5_T6_T7_T9_mT8_P12ihipStream_tbDpT10_ENKUlT_T0_E_clISt17integral_constantIbLb1EES15_IbLb0EEEEDaS11_S12_EUlS11_E_NS1_11comp_targetILNS1_3genE2ELNS1_11target_archE906ELNS1_3gpuE6ELNS1_3repE0EEENS1_30default_config_static_selectorELNS0_4arch9wavefront6targetE0EEEvT1_,comdat
.Lfunc_end412:
	.size	_ZN7rocprim17ROCPRIM_400000_NS6detail17trampoline_kernelINS0_14default_configENS1_25partition_config_selectorILNS1_17partition_subalgoE6EiNS0_10empty_typeEbEEZZNS1_14partition_implILS5_6ELb0ES3_mN6thrust23THRUST_200600_302600_NS6detail15normal_iteratorINSA_10device_ptrIiEEEEPS6_SG_NS0_5tupleIJSF_S6_EEENSH_IJSG_SG_EEES6_PlJ7is_evenIiEEEE10hipError_tPvRmT3_T4_T5_T6_T7_T9_mT8_P12ihipStream_tbDpT10_ENKUlT_T0_E_clISt17integral_constantIbLb1EES15_IbLb0EEEEDaS11_S12_EUlS11_E_NS1_11comp_targetILNS1_3genE2ELNS1_11target_archE906ELNS1_3gpuE6ELNS1_3repE0EEENS1_30default_config_static_selectorELNS0_4arch9wavefront6targetE0EEEvT1_, .Lfunc_end412-_ZN7rocprim17ROCPRIM_400000_NS6detail17trampoline_kernelINS0_14default_configENS1_25partition_config_selectorILNS1_17partition_subalgoE6EiNS0_10empty_typeEbEEZZNS1_14partition_implILS5_6ELb0ES3_mN6thrust23THRUST_200600_302600_NS6detail15normal_iteratorINSA_10device_ptrIiEEEEPS6_SG_NS0_5tupleIJSF_S6_EEENSH_IJSG_SG_EEES6_PlJ7is_evenIiEEEE10hipError_tPvRmT3_T4_T5_T6_T7_T9_mT8_P12ihipStream_tbDpT10_ENKUlT_T0_E_clISt17integral_constantIbLb1EES15_IbLb0EEEEDaS11_S12_EUlS11_E_NS1_11comp_targetILNS1_3genE2ELNS1_11target_archE906ELNS1_3gpuE6ELNS1_3repE0EEENS1_30default_config_static_selectorELNS0_4arch9wavefront6targetE0EEEvT1_
                                        ; -- End function
	.section	.AMDGPU.csdata,"",@progbits
; Kernel info:
; codeLenInByte = 0
; NumSgprs: 0
; NumVgprs: 0
; ScratchSize: 0
; MemoryBound: 0
; FloatMode: 240
; IeeeMode: 1
; LDSByteSize: 0 bytes/workgroup (compile time only)
; SGPRBlocks: 0
; VGPRBlocks: 0
; NumSGPRsForWavesPerEU: 1
; NumVGPRsForWavesPerEU: 1
; Occupancy: 15
; WaveLimiterHint : 0
; COMPUTE_PGM_RSRC2:SCRATCH_EN: 0
; COMPUTE_PGM_RSRC2:USER_SGPR: 15
; COMPUTE_PGM_RSRC2:TRAP_HANDLER: 0
; COMPUTE_PGM_RSRC2:TGID_X_EN: 1
; COMPUTE_PGM_RSRC2:TGID_Y_EN: 0
; COMPUTE_PGM_RSRC2:TGID_Z_EN: 0
; COMPUTE_PGM_RSRC2:TIDIG_COMP_CNT: 0
	.section	.text._ZN7rocprim17ROCPRIM_400000_NS6detail17trampoline_kernelINS0_14default_configENS1_25partition_config_selectorILNS1_17partition_subalgoE6EiNS0_10empty_typeEbEEZZNS1_14partition_implILS5_6ELb0ES3_mN6thrust23THRUST_200600_302600_NS6detail15normal_iteratorINSA_10device_ptrIiEEEEPS6_SG_NS0_5tupleIJSF_S6_EEENSH_IJSG_SG_EEES6_PlJ7is_evenIiEEEE10hipError_tPvRmT3_T4_T5_T6_T7_T9_mT8_P12ihipStream_tbDpT10_ENKUlT_T0_E_clISt17integral_constantIbLb1EES15_IbLb0EEEEDaS11_S12_EUlS11_E_NS1_11comp_targetILNS1_3genE10ELNS1_11target_archE1200ELNS1_3gpuE4ELNS1_3repE0EEENS1_30default_config_static_selectorELNS0_4arch9wavefront6targetE0EEEvT1_,"axG",@progbits,_ZN7rocprim17ROCPRIM_400000_NS6detail17trampoline_kernelINS0_14default_configENS1_25partition_config_selectorILNS1_17partition_subalgoE6EiNS0_10empty_typeEbEEZZNS1_14partition_implILS5_6ELb0ES3_mN6thrust23THRUST_200600_302600_NS6detail15normal_iteratorINSA_10device_ptrIiEEEEPS6_SG_NS0_5tupleIJSF_S6_EEENSH_IJSG_SG_EEES6_PlJ7is_evenIiEEEE10hipError_tPvRmT3_T4_T5_T6_T7_T9_mT8_P12ihipStream_tbDpT10_ENKUlT_T0_E_clISt17integral_constantIbLb1EES15_IbLb0EEEEDaS11_S12_EUlS11_E_NS1_11comp_targetILNS1_3genE10ELNS1_11target_archE1200ELNS1_3gpuE4ELNS1_3repE0EEENS1_30default_config_static_selectorELNS0_4arch9wavefront6targetE0EEEvT1_,comdat
	.protected	_ZN7rocprim17ROCPRIM_400000_NS6detail17trampoline_kernelINS0_14default_configENS1_25partition_config_selectorILNS1_17partition_subalgoE6EiNS0_10empty_typeEbEEZZNS1_14partition_implILS5_6ELb0ES3_mN6thrust23THRUST_200600_302600_NS6detail15normal_iteratorINSA_10device_ptrIiEEEEPS6_SG_NS0_5tupleIJSF_S6_EEENSH_IJSG_SG_EEES6_PlJ7is_evenIiEEEE10hipError_tPvRmT3_T4_T5_T6_T7_T9_mT8_P12ihipStream_tbDpT10_ENKUlT_T0_E_clISt17integral_constantIbLb1EES15_IbLb0EEEEDaS11_S12_EUlS11_E_NS1_11comp_targetILNS1_3genE10ELNS1_11target_archE1200ELNS1_3gpuE4ELNS1_3repE0EEENS1_30default_config_static_selectorELNS0_4arch9wavefront6targetE0EEEvT1_ ; -- Begin function _ZN7rocprim17ROCPRIM_400000_NS6detail17trampoline_kernelINS0_14default_configENS1_25partition_config_selectorILNS1_17partition_subalgoE6EiNS0_10empty_typeEbEEZZNS1_14partition_implILS5_6ELb0ES3_mN6thrust23THRUST_200600_302600_NS6detail15normal_iteratorINSA_10device_ptrIiEEEEPS6_SG_NS0_5tupleIJSF_S6_EEENSH_IJSG_SG_EEES6_PlJ7is_evenIiEEEE10hipError_tPvRmT3_T4_T5_T6_T7_T9_mT8_P12ihipStream_tbDpT10_ENKUlT_T0_E_clISt17integral_constantIbLb1EES15_IbLb0EEEEDaS11_S12_EUlS11_E_NS1_11comp_targetILNS1_3genE10ELNS1_11target_archE1200ELNS1_3gpuE4ELNS1_3repE0EEENS1_30default_config_static_selectorELNS0_4arch9wavefront6targetE0EEEvT1_
	.globl	_ZN7rocprim17ROCPRIM_400000_NS6detail17trampoline_kernelINS0_14default_configENS1_25partition_config_selectorILNS1_17partition_subalgoE6EiNS0_10empty_typeEbEEZZNS1_14partition_implILS5_6ELb0ES3_mN6thrust23THRUST_200600_302600_NS6detail15normal_iteratorINSA_10device_ptrIiEEEEPS6_SG_NS0_5tupleIJSF_S6_EEENSH_IJSG_SG_EEES6_PlJ7is_evenIiEEEE10hipError_tPvRmT3_T4_T5_T6_T7_T9_mT8_P12ihipStream_tbDpT10_ENKUlT_T0_E_clISt17integral_constantIbLb1EES15_IbLb0EEEEDaS11_S12_EUlS11_E_NS1_11comp_targetILNS1_3genE10ELNS1_11target_archE1200ELNS1_3gpuE4ELNS1_3repE0EEENS1_30default_config_static_selectorELNS0_4arch9wavefront6targetE0EEEvT1_
	.p2align	8
	.type	_ZN7rocprim17ROCPRIM_400000_NS6detail17trampoline_kernelINS0_14default_configENS1_25partition_config_selectorILNS1_17partition_subalgoE6EiNS0_10empty_typeEbEEZZNS1_14partition_implILS5_6ELb0ES3_mN6thrust23THRUST_200600_302600_NS6detail15normal_iteratorINSA_10device_ptrIiEEEEPS6_SG_NS0_5tupleIJSF_S6_EEENSH_IJSG_SG_EEES6_PlJ7is_evenIiEEEE10hipError_tPvRmT3_T4_T5_T6_T7_T9_mT8_P12ihipStream_tbDpT10_ENKUlT_T0_E_clISt17integral_constantIbLb1EES15_IbLb0EEEEDaS11_S12_EUlS11_E_NS1_11comp_targetILNS1_3genE10ELNS1_11target_archE1200ELNS1_3gpuE4ELNS1_3repE0EEENS1_30default_config_static_selectorELNS0_4arch9wavefront6targetE0EEEvT1_,@function
_ZN7rocprim17ROCPRIM_400000_NS6detail17trampoline_kernelINS0_14default_configENS1_25partition_config_selectorILNS1_17partition_subalgoE6EiNS0_10empty_typeEbEEZZNS1_14partition_implILS5_6ELb0ES3_mN6thrust23THRUST_200600_302600_NS6detail15normal_iteratorINSA_10device_ptrIiEEEEPS6_SG_NS0_5tupleIJSF_S6_EEENSH_IJSG_SG_EEES6_PlJ7is_evenIiEEEE10hipError_tPvRmT3_T4_T5_T6_T7_T9_mT8_P12ihipStream_tbDpT10_ENKUlT_T0_E_clISt17integral_constantIbLb1EES15_IbLb0EEEEDaS11_S12_EUlS11_E_NS1_11comp_targetILNS1_3genE10ELNS1_11target_archE1200ELNS1_3gpuE4ELNS1_3repE0EEENS1_30default_config_static_selectorELNS0_4arch9wavefront6targetE0EEEvT1_: ; @_ZN7rocprim17ROCPRIM_400000_NS6detail17trampoline_kernelINS0_14default_configENS1_25partition_config_selectorILNS1_17partition_subalgoE6EiNS0_10empty_typeEbEEZZNS1_14partition_implILS5_6ELb0ES3_mN6thrust23THRUST_200600_302600_NS6detail15normal_iteratorINSA_10device_ptrIiEEEEPS6_SG_NS0_5tupleIJSF_S6_EEENSH_IJSG_SG_EEES6_PlJ7is_evenIiEEEE10hipError_tPvRmT3_T4_T5_T6_T7_T9_mT8_P12ihipStream_tbDpT10_ENKUlT_T0_E_clISt17integral_constantIbLb1EES15_IbLb0EEEEDaS11_S12_EUlS11_E_NS1_11comp_targetILNS1_3genE10ELNS1_11target_archE1200ELNS1_3gpuE4ELNS1_3repE0EEENS1_30default_config_static_selectorELNS0_4arch9wavefront6targetE0EEEvT1_
; %bb.0:
	.section	.rodata,"a",@progbits
	.p2align	6, 0x0
	.amdhsa_kernel _ZN7rocprim17ROCPRIM_400000_NS6detail17trampoline_kernelINS0_14default_configENS1_25partition_config_selectorILNS1_17partition_subalgoE6EiNS0_10empty_typeEbEEZZNS1_14partition_implILS5_6ELb0ES3_mN6thrust23THRUST_200600_302600_NS6detail15normal_iteratorINSA_10device_ptrIiEEEEPS6_SG_NS0_5tupleIJSF_S6_EEENSH_IJSG_SG_EEES6_PlJ7is_evenIiEEEE10hipError_tPvRmT3_T4_T5_T6_T7_T9_mT8_P12ihipStream_tbDpT10_ENKUlT_T0_E_clISt17integral_constantIbLb1EES15_IbLb0EEEEDaS11_S12_EUlS11_E_NS1_11comp_targetILNS1_3genE10ELNS1_11target_archE1200ELNS1_3gpuE4ELNS1_3repE0EEENS1_30default_config_static_selectorELNS0_4arch9wavefront6targetE0EEEvT1_
		.amdhsa_group_segment_fixed_size 0
		.amdhsa_private_segment_fixed_size 0
		.amdhsa_kernarg_size 112
		.amdhsa_user_sgpr_count 15
		.amdhsa_user_sgpr_dispatch_ptr 0
		.amdhsa_user_sgpr_queue_ptr 0
		.amdhsa_user_sgpr_kernarg_segment_ptr 1
		.amdhsa_user_sgpr_dispatch_id 0
		.amdhsa_user_sgpr_private_segment_size 0
		.amdhsa_wavefront_size32 1
		.amdhsa_uses_dynamic_stack 0
		.amdhsa_enable_private_segment 0
		.amdhsa_system_sgpr_workgroup_id_x 1
		.amdhsa_system_sgpr_workgroup_id_y 0
		.amdhsa_system_sgpr_workgroup_id_z 0
		.amdhsa_system_sgpr_workgroup_info 0
		.amdhsa_system_vgpr_workitem_id 0
		.amdhsa_next_free_vgpr 1
		.amdhsa_next_free_sgpr 1
		.amdhsa_reserve_vcc 0
		.amdhsa_float_round_mode_32 0
		.amdhsa_float_round_mode_16_64 0
		.amdhsa_float_denorm_mode_32 3
		.amdhsa_float_denorm_mode_16_64 3
		.amdhsa_dx10_clamp 1
		.amdhsa_ieee_mode 1
		.amdhsa_fp16_overflow 0
		.amdhsa_workgroup_processor_mode 1
		.amdhsa_memory_ordered 1
		.amdhsa_forward_progress 0
		.amdhsa_shared_vgpr_count 0
		.amdhsa_exception_fp_ieee_invalid_op 0
		.amdhsa_exception_fp_denorm_src 0
		.amdhsa_exception_fp_ieee_div_zero 0
		.amdhsa_exception_fp_ieee_overflow 0
		.amdhsa_exception_fp_ieee_underflow 0
		.amdhsa_exception_fp_ieee_inexact 0
		.amdhsa_exception_int_div_zero 0
	.end_amdhsa_kernel
	.section	.text._ZN7rocprim17ROCPRIM_400000_NS6detail17trampoline_kernelINS0_14default_configENS1_25partition_config_selectorILNS1_17partition_subalgoE6EiNS0_10empty_typeEbEEZZNS1_14partition_implILS5_6ELb0ES3_mN6thrust23THRUST_200600_302600_NS6detail15normal_iteratorINSA_10device_ptrIiEEEEPS6_SG_NS0_5tupleIJSF_S6_EEENSH_IJSG_SG_EEES6_PlJ7is_evenIiEEEE10hipError_tPvRmT3_T4_T5_T6_T7_T9_mT8_P12ihipStream_tbDpT10_ENKUlT_T0_E_clISt17integral_constantIbLb1EES15_IbLb0EEEEDaS11_S12_EUlS11_E_NS1_11comp_targetILNS1_3genE10ELNS1_11target_archE1200ELNS1_3gpuE4ELNS1_3repE0EEENS1_30default_config_static_selectorELNS0_4arch9wavefront6targetE0EEEvT1_,"axG",@progbits,_ZN7rocprim17ROCPRIM_400000_NS6detail17trampoline_kernelINS0_14default_configENS1_25partition_config_selectorILNS1_17partition_subalgoE6EiNS0_10empty_typeEbEEZZNS1_14partition_implILS5_6ELb0ES3_mN6thrust23THRUST_200600_302600_NS6detail15normal_iteratorINSA_10device_ptrIiEEEEPS6_SG_NS0_5tupleIJSF_S6_EEENSH_IJSG_SG_EEES6_PlJ7is_evenIiEEEE10hipError_tPvRmT3_T4_T5_T6_T7_T9_mT8_P12ihipStream_tbDpT10_ENKUlT_T0_E_clISt17integral_constantIbLb1EES15_IbLb0EEEEDaS11_S12_EUlS11_E_NS1_11comp_targetILNS1_3genE10ELNS1_11target_archE1200ELNS1_3gpuE4ELNS1_3repE0EEENS1_30default_config_static_selectorELNS0_4arch9wavefront6targetE0EEEvT1_,comdat
.Lfunc_end413:
	.size	_ZN7rocprim17ROCPRIM_400000_NS6detail17trampoline_kernelINS0_14default_configENS1_25partition_config_selectorILNS1_17partition_subalgoE6EiNS0_10empty_typeEbEEZZNS1_14partition_implILS5_6ELb0ES3_mN6thrust23THRUST_200600_302600_NS6detail15normal_iteratorINSA_10device_ptrIiEEEEPS6_SG_NS0_5tupleIJSF_S6_EEENSH_IJSG_SG_EEES6_PlJ7is_evenIiEEEE10hipError_tPvRmT3_T4_T5_T6_T7_T9_mT8_P12ihipStream_tbDpT10_ENKUlT_T0_E_clISt17integral_constantIbLb1EES15_IbLb0EEEEDaS11_S12_EUlS11_E_NS1_11comp_targetILNS1_3genE10ELNS1_11target_archE1200ELNS1_3gpuE4ELNS1_3repE0EEENS1_30default_config_static_selectorELNS0_4arch9wavefront6targetE0EEEvT1_, .Lfunc_end413-_ZN7rocprim17ROCPRIM_400000_NS6detail17trampoline_kernelINS0_14default_configENS1_25partition_config_selectorILNS1_17partition_subalgoE6EiNS0_10empty_typeEbEEZZNS1_14partition_implILS5_6ELb0ES3_mN6thrust23THRUST_200600_302600_NS6detail15normal_iteratorINSA_10device_ptrIiEEEEPS6_SG_NS0_5tupleIJSF_S6_EEENSH_IJSG_SG_EEES6_PlJ7is_evenIiEEEE10hipError_tPvRmT3_T4_T5_T6_T7_T9_mT8_P12ihipStream_tbDpT10_ENKUlT_T0_E_clISt17integral_constantIbLb1EES15_IbLb0EEEEDaS11_S12_EUlS11_E_NS1_11comp_targetILNS1_3genE10ELNS1_11target_archE1200ELNS1_3gpuE4ELNS1_3repE0EEENS1_30default_config_static_selectorELNS0_4arch9wavefront6targetE0EEEvT1_
                                        ; -- End function
	.section	.AMDGPU.csdata,"",@progbits
; Kernel info:
; codeLenInByte = 0
; NumSgprs: 0
; NumVgprs: 0
; ScratchSize: 0
; MemoryBound: 0
; FloatMode: 240
; IeeeMode: 1
; LDSByteSize: 0 bytes/workgroup (compile time only)
; SGPRBlocks: 0
; VGPRBlocks: 0
; NumSGPRsForWavesPerEU: 1
; NumVGPRsForWavesPerEU: 1
; Occupancy: 15
; WaveLimiterHint : 0
; COMPUTE_PGM_RSRC2:SCRATCH_EN: 0
; COMPUTE_PGM_RSRC2:USER_SGPR: 15
; COMPUTE_PGM_RSRC2:TRAP_HANDLER: 0
; COMPUTE_PGM_RSRC2:TGID_X_EN: 1
; COMPUTE_PGM_RSRC2:TGID_Y_EN: 0
; COMPUTE_PGM_RSRC2:TGID_Z_EN: 0
; COMPUTE_PGM_RSRC2:TIDIG_COMP_CNT: 0
	.section	.text._ZN7rocprim17ROCPRIM_400000_NS6detail17trampoline_kernelINS0_14default_configENS1_25partition_config_selectorILNS1_17partition_subalgoE6EiNS0_10empty_typeEbEEZZNS1_14partition_implILS5_6ELb0ES3_mN6thrust23THRUST_200600_302600_NS6detail15normal_iteratorINSA_10device_ptrIiEEEEPS6_SG_NS0_5tupleIJSF_S6_EEENSH_IJSG_SG_EEES6_PlJ7is_evenIiEEEE10hipError_tPvRmT3_T4_T5_T6_T7_T9_mT8_P12ihipStream_tbDpT10_ENKUlT_T0_E_clISt17integral_constantIbLb1EES15_IbLb0EEEEDaS11_S12_EUlS11_E_NS1_11comp_targetILNS1_3genE9ELNS1_11target_archE1100ELNS1_3gpuE3ELNS1_3repE0EEENS1_30default_config_static_selectorELNS0_4arch9wavefront6targetE0EEEvT1_,"axG",@progbits,_ZN7rocprim17ROCPRIM_400000_NS6detail17trampoline_kernelINS0_14default_configENS1_25partition_config_selectorILNS1_17partition_subalgoE6EiNS0_10empty_typeEbEEZZNS1_14partition_implILS5_6ELb0ES3_mN6thrust23THRUST_200600_302600_NS6detail15normal_iteratorINSA_10device_ptrIiEEEEPS6_SG_NS0_5tupleIJSF_S6_EEENSH_IJSG_SG_EEES6_PlJ7is_evenIiEEEE10hipError_tPvRmT3_T4_T5_T6_T7_T9_mT8_P12ihipStream_tbDpT10_ENKUlT_T0_E_clISt17integral_constantIbLb1EES15_IbLb0EEEEDaS11_S12_EUlS11_E_NS1_11comp_targetILNS1_3genE9ELNS1_11target_archE1100ELNS1_3gpuE3ELNS1_3repE0EEENS1_30default_config_static_selectorELNS0_4arch9wavefront6targetE0EEEvT1_,comdat
	.protected	_ZN7rocprim17ROCPRIM_400000_NS6detail17trampoline_kernelINS0_14default_configENS1_25partition_config_selectorILNS1_17partition_subalgoE6EiNS0_10empty_typeEbEEZZNS1_14partition_implILS5_6ELb0ES3_mN6thrust23THRUST_200600_302600_NS6detail15normal_iteratorINSA_10device_ptrIiEEEEPS6_SG_NS0_5tupleIJSF_S6_EEENSH_IJSG_SG_EEES6_PlJ7is_evenIiEEEE10hipError_tPvRmT3_T4_T5_T6_T7_T9_mT8_P12ihipStream_tbDpT10_ENKUlT_T0_E_clISt17integral_constantIbLb1EES15_IbLb0EEEEDaS11_S12_EUlS11_E_NS1_11comp_targetILNS1_3genE9ELNS1_11target_archE1100ELNS1_3gpuE3ELNS1_3repE0EEENS1_30default_config_static_selectorELNS0_4arch9wavefront6targetE0EEEvT1_ ; -- Begin function _ZN7rocprim17ROCPRIM_400000_NS6detail17trampoline_kernelINS0_14default_configENS1_25partition_config_selectorILNS1_17partition_subalgoE6EiNS0_10empty_typeEbEEZZNS1_14partition_implILS5_6ELb0ES3_mN6thrust23THRUST_200600_302600_NS6detail15normal_iteratorINSA_10device_ptrIiEEEEPS6_SG_NS0_5tupleIJSF_S6_EEENSH_IJSG_SG_EEES6_PlJ7is_evenIiEEEE10hipError_tPvRmT3_T4_T5_T6_T7_T9_mT8_P12ihipStream_tbDpT10_ENKUlT_T0_E_clISt17integral_constantIbLb1EES15_IbLb0EEEEDaS11_S12_EUlS11_E_NS1_11comp_targetILNS1_3genE9ELNS1_11target_archE1100ELNS1_3gpuE3ELNS1_3repE0EEENS1_30default_config_static_selectorELNS0_4arch9wavefront6targetE0EEEvT1_
	.globl	_ZN7rocprim17ROCPRIM_400000_NS6detail17trampoline_kernelINS0_14default_configENS1_25partition_config_selectorILNS1_17partition_subalgoE6EiNS0_10empty_typeEbEEZZNS1_14partition_implILS5_6ELb0ES3_mN6thrust23THRUST_200600_302600_NS6detail15normal_iteratorINSA_10device_ptrIiEEEEPS6_SG_NS0_5tupleIJSF_S6_EEENSH_IJSG_SG_EEES6_PlJ7is_evenIiEEEE10hipError_tPvRmT3_T4_T5_T6_T7_T9_mT8_P12ihipStream_tbDpT10_ENKUlT_T0_E_clISt17integral_constantIbLb1EES15_IbLb0EEEEDaS11_S12_EUlS11_E_NS1_11comp_targetILNS1_3genE9ELNS1_11target_archE1100ELNS1_3gpuE3ELNS1_3repE0EEENS1_30default_config_static_selectorELNS0_4arch9wavefront6targetE0EEEvT1_
	.p2align	8
	.type	_ZN7rocprim17ROCPRIM_400000_NS6detail17trampoline_kernelINS0_14default_configENS1_25partition_config_selectorILNS1_17partition_subalgoE6EiNS0_10empty_typeEbEEZZNS1_14partition_implILS5_6ELb0ES3_mN6thrust23THRUST_200600_302600_NS6detail15normal_iteratorINSA_10device_ptrIiEEEEPS6_SG_NS0_5tupleIJSF_S6_EEENSH_IJSG_SG_EEES6_PlJ7is_evenIiEEEE10hipError_tPvRmT3_T4_T5_T6_T7_T9_mT8_P12ihipStream_tbDpT10_ENKUlT_T0_E_clISt17integral_constantIbLb1EES15_IbLb0EEEEDaS11_S12_EUlS11_E_NS1_11comp_targetILNS1_3genE9ELNS1_11target_archE1100ELNS1_3gpuE3ELNS1_3repE0EEENS1_30default_config_static_selectorELNS0_4arch9wavefront6targetE0EEEvT1_,@function
_ZN7rocprim17ROCPRIM_400000_NS6detail17trampoline_kernelINS0_14default_configENS1_25partition_config_selectorILNS1_17partition_subalgoE6EiNS0_10empty_typeEbEEZZNS1_14partition_implILS5_6ELb0ES3_mN6thrust23THRUST_200600_302600_NS6detail15normal_iteratorINSA_10device_ptrIiEEEEPS6_SG_NS0_5tupleIJSF_S6_EEENSH_IJSG_SG_EEES6_PlJ7is_evenIiEEEE10hipError_tPvRmT3_T4_T5_T6_T7_T9_mT8_P12ihipStream_tbDpT10_ENKUlT_T0_E_clISt17integral_constantIbLb1EES15_IbLb0EEEEDaS11_S12_EUlS11_E_NS1_11comp_targetILNS1_3genE9ELNS1_11target_archE1100ELNS1_3gpuE3ELNS1_3repE0EEENS1_30default_config_static_selectorELNS0_4arch9wavefront6targetE0EEEvT1_: ; @_ZN7rocprim17ROCPRIM_400000_NS6detail17trampoline_kernelINS0_14default_configENS1_25partition_config_selectorILNS1_17partition_subalgoE6EiNS0_10empty_typeEbEEZZNS1_14partition_implILS5_6ELb0ES3_mN6thrust23THRUST_200600_302600_NS6detail15normal_iteratorINSA_10device_ptrIiEEEEPS6_SG_NS0_5tupleIJSF_S6_EEENSH_IJSG_SG_EEES6_PlJ7is_evenIiEEEE10hipError_tPvRmT3_T4_T5_T6_T7_T9_mT8_P12ihipStream_tbDpT10_ENKUlT_T0_E_clISt17integral_constantIbLb1EES15_IbLb0EEEEDaS11_S12_EUlS11_E_NS1_11comp_targetILNS1_3genE9ELNS1_11target_archE1100ELNS1_3gpuE3ELNS1_3repE0EEENS1_30default_config_static_selectorELNS0_4arch9wavefront6targetE0EEEvT1_
; %bb.0:
	s_clause 0x3
	s_load_b128 s[8:11], s[0:1], 0x8
	s_load_b128 s[4:7], s[0:1], 0x40
	s_load_b32 s14, s[0:1], 0x68
	s_load_b64 s[12:13], s[0:1], 0x50
	v_lshlrev_b32_e32 v17, 2, v0
	s_waitcnt lgkmcnt(0)
	s_lshl_b64 s[16:17], s[10:11], 2
	s_load_b64 s[2:3], s[6:7], 0x0
	s_mul_i32 s6, s14, 0x700
	s_add_u32 s8, s8, s16
	s_addc_u32 s9, s9, s17
	s_add_i32 s7, s6, s10
	s_add_i32 s16, s14, -1
	s_sub_i32 s14, s12, s7
	s_add_u32 s6, s10, s6
	s_addc_u32 s7, s11, 0
	s_cmp_eq_u32 s15, s16
	v_cmp_ge_u64_e64 s11, s[6:7], s[12:13]
	s_cselect_b32 s10, -1, 0
	s_mov_b32 s7, 0
	s_mul_i32 s6, s15, 0x700
	s_mov_b32 s16, -1
	s_lshl_b64 s[6:7], s[6:7], 2
	s_and_b32 s11, s10, s11
	s_delay_alu instid0(SALU_CYCLE_1)
	s_xor_b32 s11, s11, -1
	s_add_u32 s12, s8, s6
	s_addc_u32 s13, s9, s7
	s_and_b32 vcc_lo, exec_lo, s11
	s_cbranch_vccz .LBB414_2
; %bb.1:
	v_add_co_u32 v1, s6, s12, v17
	s_delay_alu instid0(VALU_DEP_1) | instskip(SKIP_1) | instid1(VALU_DEP_2)
	v_add_co_ci_u32_e64 v2, null, s13, 0, s6
	s_mov_b32 s16, 0
	v_add_co_u32 v3, vcc_lo, 0x1000, v1
	s_delay_alu instid0(VALU_DEP_2)
	v_add_co_ci_u32_e32 v4, vcc_lo, 0, v2, vcc_lo
	s_clause 0xd
	flat_load_b32 v5, v[1:2]
	flat_load_b32 v6, v[1:2] offset:512
	flat_load_b32 v7, v[1:2] offset:1024
	;; [unrolled: 1-line block ×7, first 2 shown]
	flat_load_b32 v2, v[3:4]
	flat_load_b32 v12, v[3:4] offset:512
	flat_load_b32 v13, v[3:4] offset:1024
	;; [unrolled: 1-line block ×5, first 2 shown]
	s_waitcnt vmcnt(12) lgkmcnt(0)
	ds_store_2addr_stride64_b32 v17, v5, v6 offset1:2
	s_waitcnt vmcnt(10)
	ds_store_2addr_stride64_b32 v17, v7, v8 offset0:4 offset1:6
	s_waitcnt vmcnt(8)
	ds_store_2addr_stride64_b32 v17, v9, v10 offset0:8 offset1:10
	;; [unrolled: 2-line block ×6, first 2 shown]
	s_waitcnt lgkmcnt(0)
	s_barrier
.LBB414_2:
	s_clause 0x1
	s_load_b64 s[6:7], s[0:1], 0x28
	s_load_b64 s[8:9], s[0:1], 0x60
	s_and_not1_b32 vcc_lo, exec_lo, s16
	s_add_i32 s0, s14, 0x700
	s_cbranch_vccnz .LBB414_32
; %bb.3:
	s_mov_b32 s1, exec_lo
                                        ; implicit-def: $vgpr1_vgpr2_vgpr3_vgpr4_vgpr5_vgpr6_vgpr7_vgpr8_vgpr9_vgpr10_vgpr11_vgpr12_vgpr13_vgpr14_vgpr15_vgpr16
	v_cmpx_gt_u32_e64 s0, v0
	s_cbranch_execz .LBB414_5
; %bb.4:
	v_add_co_u32 v1, s14, s12, v17
	s_delay_alu instid0(VALU_DEP_1)
	v_add_co_ci_u32_e64 v2, null, s13, 0, s14
	flat_load_b32 v1, v[1:2]
.LBB414_5:
	s_or_b32 exec_lo, exec_lo, s1
	v_or_b32_e32 v15, 0x80, v0
	s_mov_b32 s1, exec_lo
	s_delay_alu instid0(VALU_DEP_1)
	v_cmpx_gt_u32_e64 s0, v15
	s_cbranch_execz .LBB414_7
; %bb.6:
	v_add_co_u32 v15, s14, s12, v17
	s_delay_alu instid0(VALU_DEP_1)
	v_add_co_ci_u32_e64 v16, null, s13, 0, s14
	flat_load_b32 v2, v[15:16] offset:512
.LBB414_7:
	s_or_b32 exec_lo, exec_lo, s1
	v_or_b32_e32 v15, 0x100, v0
	s_mov_b32 s1, exec_lo
	s_delay_alu instid0(VALU_DEP_1)
	v_cmpx_gt_u32_e64 s0, v15
	s_cbranch_execz .LBB414_9
; %bb.8:
	v_add_co_u32 v15, s14, s12, v17
	s_delay_alu instid0(VALU_DEP_1)
	v_add_co_ci_u32_e64 v16, null, s13, 0, s14
	flat_load_b32 v3, v[15:16] offset:1024
.LBB414_9:
	;; [unrolled: 12-line block ×7, first 2 shown]
	s_or_b32 exec_lo, exec_lo, s1
	v_or_b32_e32 v15, 0x400, v0
	s_mov_b32 s1, exec_lo
	s_delay_alu instid0(VALU_DEP_1)
	v_cmpx_gt_u32_e64 s0, v15
	s_cbranch_execz .LBB414_21
; %bb.20:
	v_lshlrev_b32_e32 v9, 2, v15
	s_delay_alu instid0(VALU_DEP_1) | instskip(NEXT) | instid1(VALU_DEP_1)
	v_add_co_u32 v15, s14, s12, v9
	v_add_co_ci_u32_e64 v16, null, s13, 0, s14
	flat_load_b32 v9, v[15:16]
.LBB414_21:
	s_or_b32 exec_lo, exec_lo, s1
	v_or_b32_e32 v15, 0x480, v0
	s_mov_b32 s1, exec_lo
	s_delay_alu instid0(VALU_DEP_1)
	v_cmpx_gt_u32_e64 s0, v15
	s_cbranch_execz .LBB414_23
; %bb.22:
	v_lshlrev_b32_e32 v10, 2, v15
	s_delay_alu instid0(VALU_DEP_1) | instskip(NEXT) | instid1(VALU_DEP_1)
	v_add_co_u32 v15, s14, s12, v10
	v_add_co_ci_u32_e64 v16, null, s13, 0, s14
	flat_load_b32 v10, v[15:16]
.LBB414_23:
	;; [unrolled: 13-line block ×6, first 2 shown]
	s_or_b32 exec_lo, exec_lo, s1
	s_waitcnt vmcnt(0) lgkmcnt(0)
	ds_store_2addr_stride64_b32 v17, v1, v2 offset1:2
	ds_store_2addr_stride64_b32 v17, v3, v4 offset0:4 offset1:6
	ds_store_2addr_stride64_b32 v17, v5, v6 offset0:8 offset1:10
	;; [unrolled: 1-line block ×6, first 2 shown]
	s_waitcnt lgkmcnt(0)
	s_barrier
.LBB414_32:
	v_mul_u32_u24_e32 v12, 14, v0
	s_waitcnt lgkmcnt(0)
	buffer_gl0_inv
	s_and_not1_b32 vcc_lo, exec_lo, s11
	v_lshlrev_b32_e32 v61, 2, v12
	ds_load_2addr_b64 v[41:44], v61 offset1:1
	ds_load_2addr_b64 v[37:40], v61 offset0:2 offset1:3
	ds_load_2addr_b64 v[33:36], v61 offset0:4 offset1:5
	ds_load_b64 v[49:50], v61 offset:48
	s_waitcnt lgkmcnt(0)
	s_barrier
	buffer_gl0_inv
	v_xor_b32_e32 v13, -1, v41
	v_xor_b32_e32 v14, -1, v42
	;; [unrolled: 1-line block ×14, first 2 shown]
	s_cbranch_vccnz .LBB414_34
; %bb.33:
	v_and_b32_e32 v16, 1, v14
	v_and_b32_e32 v17, 1, v13
	;; [unrolled: 1-line block ×5, first 2 shown]
	v_lshlrev_b16 v16, 8, v16
	v_and_b32_e32 v26, 1, v6
	v_and_b32_e32 v18, 1, v15
	;; [unrolled: 1-line block ×4, first 2 shown]
	v_or_b32_e32 v16, v17, v16
	v_and_b32_e32 v17, 1, v4
	v_and_b32_e32 v24, 1, v3
	;; [unrolled: 1-line block ×3, first 2 shown]
	v_lshlrev_b16 v19, 8, v19
	v_lshlrev_b16 v21, 8, v21
	;; [unrolled: 1-line block ×5, first 2 shown]
	v_or_b32_e32 v18, v18, v19
	v_or_b32_e32 v19, v20, v21
	;; [unrolled: 1-line block ×5, first 2 shown]
	v_and_b32_e32 v16, 0xffff, v16
	v_lshlrev_b32_e32 v18, 16, v18
	v_and_b32_e32 v19, 0xffff, v19
	v_lshlrev_b32_e32 v20, 16, v20
	;; [unrolled: 2-line block ×3, first 2 shown]
	v_and_b32_e32 v54, 1, v1
	v_and_b32_e32 v53, 1, v2
	v_or_b32_e32 v59, v16, v18
	v_or_b32_e32 v56, v19, v20
	;; [unrolled: 1-line block ×3, first 2 shown]
	s_cbranch_execz .LBB414_35
	s_branch .LBB414_36
.LBB414_34:
                                        ; implicit-def: $vgpr53
                                        ; implicit-def: $vgpr54
                                        ; implicit-def: $vgpr55
                                        ; implicit-def: $vgpr56
                                        ; implicit-def: $vgpr59
.LBB414_35:
	v_or_b32_e32 v16, 1, v12
	v_cmp_gt_u32_e32 vcc_lo, s0, v12
	v_add_nc_u32_e32 v17, 2, v12
	v_add_nc_u32_e32 v18, 3, v12
	;; [unrolled: 1-line block ×4, first 2 shown]
	v_cndmask_b32_e64 v27, 0, 1, vcc_lo
	v_cmp_gt_u32_e32 vcc_lo, s0, v16
	v_add_nc_u32_e32 v21, 6, v12
	v_add_nc_u32_e32 v22, 7, v12
	;; [unrolled: 1-line block ×4, first 2 shown]
	v_cndmask_b32_e64 v16, 0, 1, vcc_lo
	v_cmp_gt_u32_e32 vcc_lo, s0, v17
	v_add_nc_u32_e32 v25, 10, v12
	v_add_nc_u32_e32 v26, 11, v12
	;; [unrolled: 1-line block ×3, first 2 shown]
	v_and_b32_e32 v14, v16, v14
	v_cndmask_b32_e64 v17, 0, 1, vcc_lo
	v_cmp_gt_u32_e32 vcc_lo, s0, v18
	v_add_nc_u32_e32 v12, 13, v12
	v_and_b32_e32 v13, v27, v13
	v_lshlrev_b16 v14, 8, v14
	v_and_b32_e32 v15, v17, v15
	v_cndmask_b32_e64 v16, 0, 1, vcc_lo
	v_cmp_gt_u32_e32 vcc_lo, s0, v19
	s_delay_alu instid0(VALU_DEP_4) | instskip(NEXT) | instid1(VALU_DEP_3)
	v_or_b32_e32 v13, v13, v14
	v_and_b32_e32 v7, v16, v7
	v_cndmask_b32_e64 v17, 0, 1, vcc_lo
	v_cmp_gt_u32_e32 vcc_lo, s0, v20
	s_delay_alu instid0(VALU_DEP_4) | instskip(NEXT) | instid1(VALU_DEP_4)
	v_and_b32_e32 v13, 0xffff, v13
	v_lshlrev_b16 v7, 8, v7
	s_delay_alu instid0(VALU_DEP_4) | instskip(SKIP_2) | instid1(VALU_DEP_4)
	v_and_b32_e32 v8, v17, v8
	v_cndmask_b32_e64 v18, 0, 1, vcc_lo
	v_cmp_gt_u32_e32 vcc_lo, s0, v21
	v_or_b32_e32 v7, v15, v7
	s_delay_alu instid0(VALU_DEP_3) | instskip(SKIP_2) | instid1(VALU_DEP_3)
	v_and_b32_e32 v9, v18, v9
	v_cndmask_b32_e64 v19, 0, 1, vcc_lo
	v_cmp_gt_u32_e32 vcc_lo, s0, v22
	v_lshlrev_b16 v9, 8, v9
	s_delay_alu instid0(VALU_DEP_3) | instskip(SKIP_2) | instid1(VALU_DEP_4)
	v_and_b32_e32 v10, v19, v10
	v_cndmask_b32_e64 v20, 0, 1, vcc_lo
	v_cmp_gt_u32_e32 vcc_lo, s0, v23
	v_or_b32_e32 v8, v8, v9
	s_delay_alu instid0(VALU_DEP_3) | instskip(SKIP_2) | instid1(VALU_DEP_3)
	v_and_b32_e32 v11, v20, v11
	v_cndmask_b32_e64 v16, 0, 1, vcc_lo
	v_cmp_gt_u32_e32 vcc_lo, s0, v24
	v_lshlrev_b16 v11, 8, v11
	s_delay_alu instid0(VALU_DEP_3) | instskip(SKIP_2) | instid1(VALU_DEP_4)
	v_and_b32_e32 v3, v16, v3
	v_cndmask_b32_e64 v17, 0, 1, vcc_lo
	v_cmp_gt_u32_e32 vcc_lo, s0, v25
	v_or_b32_e32 v9, v10, v11
	s_delay_alu instid0(VALU_DEP_3) | instskip(SKIP_2) | instid1(VALU_DEP_3)
	v_and_b32_e32 v4, v17, v4
	v_cndmask_b32_e64 v18, 0, 1, vcc_lo
	v_cmp_gt_u32_e32 vcc_lo, s0, v26
	v_lshlrev_b16 v4, 8, v4
	s_delay_alu instid0(VALU_DEP_3) | instskip(SKIP_2) | instid1(VALU_DEP_4)
	v_and_b32_e32 v5, v18, v5
	v_cndmask_b32_e64 v19, 0, 1, vcc_lo
	v_cmp_gt_u32_e32 vcc_lo, s0, v28
	v_or_b32_e32 v3, v3, v4
	s_delay_alu instid0(VALU_DEP_3) | instskip(SKIP_2) | instid1(VALU_DEP_4)
	v_and_b32_e32 v6, v19, v6
	v_cndmask_b32_e64 v14, 0, 1, vcc_lo
	v_cmp_gt_u32_e32 vcc_lo, s0, v12
	v_and_b32_e32 v3, 0xffff, v3
	s_delay_alu instid0(VALU_DEP_4) | instskip(NEXT) | instid1(VALU_DEP_4)
	v_lshlrev_b16 v6, 8, v6
	v_and_b32_e32 v54, v14, v1
	v_cndmask_b32_e64 v12, 0, 1, vcc_lo
	s_delay_alu instid0(VALU_DEP_3)
	v_or_b32_e32 v4, v5, v6
	v_lshlrev_b32_e32 v5, 16, v7
	v_and_b32_e32 v6, 0xffff, v8
	v_lshlrev_b32_e32 v7, 16, v9
	v_and_b32_e32 v53, v12, v2
	v_lshlrev_b32_e32 v4, 16, v4
	v_or_b32_e32 v59, v13, v5
	s_delay_alu instid0(VALU_DEP_4) | instskip(NEXT) | instid1(VALU_DEP_3)
	v_or_b32_e32 v56, v6, v7
	v_or_b32_e32 v55, v3, v4
.LBB414_36:
	s_delay_alu instid0(VALU_DEP_3)
	v_dual_mov_b32 v2, 0 :: v_dual_and_b32 v63, 0xff, v59
	v_bfe_u32 v64, v59, 8, 8
	v_bfe_u32 v65, v59, 16, 8
	v_lshrrev_b32_e32 v60, 24, v59
	v_and_b32_e32 v66, 0xff, v56
	v_bfe_u32 v67, v56, 8, 8
	v_add_co_u32 v1, s0, v64, v63
	s_delay_alu instid0(VALU_DEP_1) | instskip(SKIP_1) | instid1(VALU_DEP_3)
	v_add_co_ci_u32_e64 v3, null, 0, 0, s0
	v_bfe_u32 v68, v56, 16, 8
	v_add_co_u32 v1, vcc_lo, v1, v65
	s_delay_alu instid0(VALU_DEP_3) | instskip(SKIP_1) | instid1(VALU_DEP_3)
	v_add_co_ci_u32_e32 v3, vcc_lo, 0, v3, vcc_lo
	v_lshrrev_b32_e32 v58, 24, v56
	v_add_co_u32 v1, vcc_lo, v1, v60
	s_delay_alu instid0(VALU_DEP_3) | instskip(SKIP_1) | instid1(VALU_DEP_3)
	v_add_co_ci_u32_e32 v3, vcc_lo, 0, v3, vcc_lo
	v_and_b32_e32 v69, 0xff, v55
	v_add_co_u32 v1, vcc_lo, v1, v66
	s_delay_alu instid0(VALU_DEP_3) | instskip(SKIP_1) | instid1(VALU_DEP_3)
	v_add_co_ci_u32_e32 v3, vcc_lo, 0, v3, vcc_lo
	v_bfe_u32 v70, v55, 8, 8
	v_add_co_u32 v1, vcc_lo, v1, v67
	s_delay_alu instid0(VALU_DEP_3) | instskip(SKIP_1) | instid1(VALU_DEP_3)
	v_add_co_ci_u32_e32 v3, vcc_lo, 0, v3, vcc_lo
	v_bfe_u32 v71, v55, 16, 8
	v_add_co_u32 v1, vcc_lo, v1, v68
	s_delay_alu instid0(VALU_DEP_3) | instskip(SKIP_1) | instid1(VALU_DEP_3)
	v_add_co_ci_u32_e32 v3, vcc_lo, 0, v3, vcc_lo
	v_lshrrev_b32_e32 v57, 24, v55
	v_add_co_u32 v1, vcc_lo, v1, v58
	s_delay_alu instid0(VALU_DEP_3) | instskip(SKIP_1) | instid1(VALU_DEP_3)
	v_add_co_ci_u32_e32 v3, vcc_lo, 0, v3, vcc_lo
	v_and_b32_e32 v62, 0xff, v54
	v_add_co_u32 v1, vcc_lo, v1, v69
	s_delay_alu instid0(VALU_DEP_3) | instskip(SKIP_1) | instid1(VALU_DEP_3)
	v_add_co_ci_u32_e32 v3, vcc_lo, 0, v3, vcc_lo
	v_mbcnt_lo_u32_b32 v72, -1, 0
	v_add_co_u32 v1, vcc_lo, v1, v70
	s_delay_alu instid0(VALU_DEP_3) | instskip(SKIP_1) | instid1(VALU_DEP_3)
	v_add_co_ci_u32_e32 v3, vcc_lo, 0, v3, vcc_lo
	v_and_b32_e32 v4, 0xff, v53
	v_add_co_u32 v1, vcc_lo, v1, v71
	s_delay_alu instid0(VALU_DEP_3) | instskip(SKIP_1) | instid1(VALU_DEP_3)
	v_add_co_ci_u32_e32 v3, vcc_lo, 0, v3, vcc_lo
	v_and_b32_e32 v73, 15, v72
	v_add_co_u32 v1, vcc_lo, v1, v57
	s_delay_alu instid0(VALU_DEP_3) | instskip(NEXT) | instid1(VALU_DEP_3)
	v_add_co_ci_u32_e32 v3, vcc_lo, 0, v3, vcc_lo
	v_cmp_ne_u32_e64 s0, 0, v73
	s_delay_alu instid0(VALU_DEP_3) | instskip(NEXT) | instid1(VALU_DEP_3)
	v_add_co_u32 v1, vcc_lo, v1, v62
	v_add_co_ci_u32_e32 v3, vcc_lo, 0, v3, vcc_lo
	s_cmp_lg_u32 s15, 0
	s_delay_alu instid0(VALU_DEP_2) | instskip(NEXT) | instid1(VALU_DEP_2)
	v_add_co_u32 v51, vcc_lo, v1, v4
	v_add_co_ci_u32_e32 v52, vcc_lo, 0, v3, vcc_lo
	s_mov_b32 s1, -1
	s_cbranch_scc0 .LBB414_101
; %bb.37:
	s_delay_alu instid0(VALU_DEP_2)
	v_mov_b32_e32 v3, v51
	v_mov_b32_dpp v1, v51 row_shr:1 row_mask:0xf bank_mask:0xf
	v_mov_b32_dpp v6, v2 row_shr:1 row_mask:0xf bank_mask:0xf
	v_dual_mov_b32 v5, v51 :: v_dual_mov_b32 v4, v52
	s_and_saveexec_b32 s1, s0
; %bb.38:
	s_delay_alu instid0(VALU_DEP_3) | instskip(SKIP_1) | instid1(VALU_DEP_2)
	v_add_co_u32 v5, vcc_lo, v51, v1
	v_add_co_ci_u32_e32 v2, vcc_lo, 0, v52, vcc_lo
	v_add_co_u32 v1, vcc_lo, 0, v5
	s_delay_alu instid0(VALU_DEP_2) | instskip(NEXT) | instid1(VALU_DEP_1)
	v_add_co_ci_u32_e32 v2, vcc_lo, v6, v2, vcc_lo
	v_dual_mov_b32 v4, v2 :: v_dual_mov_b32 v3, v1
; %bb.39:
	s_or_b32 exec_lo, exec_lo, s1
	v_mov_b32_dpp v1, v5 row_shr:2 row_mask:0xf bank_mask:0xf
	v_mov_b32_dpp v6, v2 row_shr:2 row_mask:0xf bank_mask:0xf
	s_mov_b32 s1, exec_lo
	v_cmpx_lt_u32_e32 1, v73
; %bb.40:
	s_delay_alu instid0(VALU_DEP_3) | instskip(SKIP_1) | instid1(VALU_DEP_2)
	v_add_co_u32 v5, vcc_lo, v3, v1
	v_add_co_ci_u32_e32 v2, vcc_lo, 0, v4, vcc_lo
	v_add_co_u32 v1, vcc_lo, 0, v5
	s_delay_alu instid0(VALU_DEP_2) | instskip(NEXT) | instid1(VALU_DEP_1)
	v_add_co_ci_u32_e32 v2, vcc_lo, v6, v2, vcc_lo
	v_dual_mov_b32 v4, v2 :: v_dual_mov_b32 v3, v1
; %bb.41:
	s_or_b32 exec_lo, exec_lo, s1
	v_mov_b32_dpp v1, v5 row_shr:4 row_mask:0xf bank_mask:0xf
	v_mov_b32_dpp v6, v2 row_shr:4 row_mask:0xf bank_mask:0xf
	s_mov_b32 s1, exec_lo
	v_cmpx_lt_u32_e32 3, v73
	;; [unrolled: 14-line block ×3, first 2 shown]
; %bb.44:
	s_delay_alu instid0(VALU_DEP_3) | instskip(SKIP_1) | instid1(VALU_DEP_2)
	v_add_co_u32 v5, vcc_lo, v3, v6
	v_add_co_ci_u32_e32 v2, vcc_lo, 0, v4, vcc_lo
	v_add_co_u32 v3, vcc_lo, 0, v5
	s_delay_alu instid0(VALU_DEP_2) | instskip(NEXT) | instid1(VALU_DEP_1)
	v_add_co_ci_u32_e32 v4, vcc_lo, v1, v2, vcc_lo
	v_mov_b32_e32 v2, v4
; %bb.45:
	s_or_b32 exec_lo, exec_lo, s1
	ds_swizzle_b32 v1, v5 offset:swizzle(BROADCAST,32,15)
	ds_swizzle_b32 v6, v2 offset:swizzle(BROADCAST,32,15)
	v_and_b32_e32 v7, 16, v72
	s_mov_b32 s1, exec_lo
	s_delay_alu instid0(VALU_DEP_1)
	v_cmpx_ne_u32_e32 0, v7
	s_cbranch_execz .LBB414_47
; %bb.46:
	s_waitcnt lgkmcnt(1)
	v_add_co_u32 v5, vcc_lo, v3, v1
	v_add_co_ci_u32_e32 v2, vcc_lo, 0, v4, vcc_lo
	s_delay_alu instid0(VALU_DEP_2) | instskip(SKIP_1) | instid1(VALU_DEP_2)
	v_add_co_u32 v1, vcc_lo, 0, v5
	s_waitcnt lgkmcnt(0)
	v_add_co_ci_u32_e32 v2, vcc_lo, v6, v2, vcc_lo
	s_delay_alu instid0(VALU_DEP_1)
	v_dual_mov_b32 v4, v2 :: v_dual_mov_b32 v3, v1
.LBB414_47:
	s_or_b32 exec_lo, exec_lo, s1
	s_waitcnt lgkmcnt(0)
	v_or_b32_e32 v6, 31, v0
	v_lshrrev_b32_e32 v1, 5, v0
	s_mov_b32 s1, exec_lo
	s_delay_alu instid0(VALU_DEP_2)
	v_cmpx_eq_u32_e64 v6, v0
	s_cbranch_execz .LBB414_49
; %bb.48:
	s_delay_alu instid0(VALU_DEP_2)
	v_lshlrev_b32_e32 v6, 3, v1
	ds_store_b64 v6, v[3:4]
.LBB414_49:
	s_or_b32 exec_lo, exec_lo, s1
	s_delay_alu instid0(SALU_CYCLE_1)
	s_mov_b32 s1, exec_lo
	s_waitcnt lgkmcnt(0)
	s_barrier
	buffer_gl0_inv
	v_cmpx_gt_u32_e32 4, v0
	s_cbranch_execz .LBB414_55
; %bb.50:
	v_lshlrev_b32_e32 v6, 3, v0
	s_mov_b32 s12, exec_lo
	ds_load_b64 v[3:4], v6
	s_waitcnt lgkmcnt(0)
	v_dual_mov_b32 v8, v3 :: v_dual_and_b32 v7, 3, v72
	v_mov_b32_dpp v10, v3 row_shr:1 row_mask:0xf bank_mask:0xf
	v_mov_b32_dpp v9, v4 row_shr:1 row_mask:0xf bank_mask:0xf
	s_delay_alu instid0(VALU_DEP_3)
	v_cmpx_ne_u32_e32 0, v7
; %bb.51:
	s_delay_alu instid0(VALU_DEP_3) | instskip(SKIP_1) | instid1(VALU_DEP_2)
	v_add_co_u32 v8, vcc_lo, v3, v10
	v_add_co_ci_u32_e32 v4, vcc_lo, 0, v4, vcc_lo
	v_add_co_u32 v3, vcc_lo, 0, v8
	s_delay_alu instid0(VALU_DEP_2)
	v_add_co_ci_u32_e32 v4, vcc_lo, v9, v4, vcc_lo
; %bb.52:
	s_or_b32 exec_lo, exec_lo, s12
	v_mov_b32_dpp v9, v8 row_shr:2 row_mask:0xf bank_mask:0xf
	s_delay_alu instid0(VALU_DEP_2)
	v_mov_b32_dpp v8, v4 row_shr:2 row_mask:0xf bank_mask:0xf
	s_mov_b32 s12, exec_lo
	v_cmpx_lt_u32_e32 1, v7
; %bb.53:
	s_delay_alu instid0(VALU_DEP_3) | instskip(SKIP_1) | instid1(VALU_DEP_2)
	v_add_co_u32 v3, vcc_lo, v3, v9
	v_add_co_ci_u32_e32 v4, vcc_lo, 0, v4, vcc_lo
	v_add_co_u32 v3, vcc_lo, v3, 0
	s_delay_alu instid0(VALU_DEP_2)
	v_add_co_ci_u32_e32 v4, vcc_lo, v4, v8, vcc_lo
; %bb.54:
	s_or_b32 exec_lo, exec_lo, s12
	ds_store_b64 v6, v[3:4]
.LBB414_55:
	s_or_b32 exec_lo, exec_lo, s1
	v_cmp_gt_u32_e32 vcc_lo, 32, v0
	s_mov_b32 s12, exec_lo
	s_waitcnt lgkmcnt(0)
	s_barrier
	buffer_gl0_inv
                                        ; implicit-def: $vgpr9_vgpr10
	v_cmpx_lt_u32_e32 31, v0
	s_cbranch_execz .LBB414_57
; %bb.56:
	v_lshl_add_u32 v1, v1, 3, -8
	ds_load_b64 v[9:10], v1
	s_waitcnt lgkmcnt(0)
	v_add_co_u32 v5, s1, v5, v9
	s_delay_alu instid0(VALU_DEP_1)
	v_add_co_ci_u32_e64 v2, s1, v2, v10, s1
.LBB414_57:
	s_or_b32 exec_lo, exec_lo, s12
	v_add_nc_u32_e32 v1, -1, v72
	s_delay_alu instid0(VALU_DEP_1) | instskip(NEXT) | instid1(VALU_DEP_1)
	v_cmp_gt_i32_e64 s1, 0, v1
	v_cndmask_b32_e64 v1, v1, v72, s1
	v_cmp_eq_u32_e64 s1, 0, v72
	s_delay_alu instid0(VALU_DEP_2)
	v_lshlrev_b32_e32 v1, 2, v1
	ds_bpermute_b32 v15, v1, v5
	ds_bpermute_b32 v16, v1, v2
	s_and_saveexec_b32 s12, vcc_lo
	s_cbranch_execz .LBB414_100
; %bb.58:
	v_mov_b32_e32 v4, 0
	ds_load_b64 v[1:2], v4 offset:24
	s_and_saveexec_b32 s13, s1
	s_cbranch_execz .LBB414_60
; %bb.59:
	s_add_i32 s16, s15, 32
	s_mov_b32 s17, 0
	s_delay_alu instid0(SALU_CYCLE_1) | instskip(NEXT) | instid1(SALU_CYCLE_1)
	s_lshl_b64 s[16:17], s[16:17], 4
	s_add_u32 s16, s8, s16
	s_addc_u32 s17, s9, s17
	v_mov_b32_e32 v5, s16
	v_dual_mov_b32 v3, 1 :: v_dual_mov_b32 v6, s17
	s_waitcnt lgkmcnt(0)
	;;#ASMSTART
	global_store_dwordx4 v[5:6], v[1:4] off	
s_waitcnt vmcnt(0)
	;;#ASMEND
.LBB414_60:
	s_or_b32 exec_lo, exec_lo, s13
	v_xad_u32 v11, v72, -1, s15
	s_mov_b32 s14, 0
	s_mov_b32 s13, exec_lo
	s_delay_alu instid0(VALU_DEP_1) | instskip(NEXT) | instid1(VALU_DEP_1)
	v_add_nc_u32_e32 v3, 32, v11
	v_lshlrev_b64 v[3:4], 4, v[3:4]
	s_delay_alu instid0(VALU_DEP_1) | instskip(NEXT) | instid1(VALU_DEP_2)
	v_add_co_u32 v3, vcc_lo, s8, v3
	v_add_co_ci_u32_e32 v4, vcc_lo, s9, v4, vcc_lo
	;;#ASMSTART
	global_load_dwordx4 v[5:8], v[3:4] off glc	
s_waitcnt vmcnt(0)
	;;#ASMEND
	v_and_b32_e32 v8, 0xff, v6
	v_and_b32_e32 v12, 0xff00, v6
	v_or3_b32 v5, v5, 0, 0
	v_and_b32_e32 v13, 0xff000000, v6
	v_and_b32_e32 v6, 0xff0000, v6
	s_delay_alu instid0(VALU_DEP_4) | instskip(SKIP_2) | instid1(VALU_DEP_3)
	v_or3_b32 v8, 0, v8, v12
	v_and_b32_e32 v12, 0xff, v7
	v_or3_b32 v5, v5, 0, 0
	v_or3_b32 v6, v8, v6, v13
	s_delay_alu instid0(VALU_DEP_3)
	v_cmpx_eq_u16_e32 0, v12
	s_cbranch_execz .LBB414_66
; %bb.61:
	s_mov_b32 s16, 1
	.p2align	6
.LBB414_62:                             ; =>This Loop Header: Depth=1
                                        ;     Child Loop BB414_63 Depth 2
	s_delay_alu instid0(SALU_CYCLE_1)
	s_max_u32 s17, s16, 1
.LBB414_63:                             ;   Parent Loop BB414_62 Depth=1
                                        ; =>  This Inner Loop Header: Depth=2
	s_delay_alu instid0(SALU_CYCLE_1)
	s_add_i32 s17, s17, -1
	s_sleep 1
	s_cmp_eq_u32 s17, 0
	s_cbranch_scc0 .LBB414_63
; %bb.64:                               ;   in Loop: Header=BB414_62 Depth=1
	;;#ASMSTART
	global_load_dwordx4 v[5:8], v[3:4] off glc	
s_waitcnt vmcnt(0)
	;;#ASMEND
	v_and_b32_e32 v8, 0xff, v7
	s_cmp_lt_u32 s16, 32
	s_cselect_b32 s17, -1, 0
	s_delay_alu instid0(SALU_CYCLE_1) | instskip(NEXT) | instid1(VALU_DEP_1)
	s_cmp_lg_u32 s17, 0
	v_cmp_ne_u16_e32 vcc_lo, 0, v8
	s_addc_u32 s16, s16, 0
	s_or_b32 s14, vcc_lo, s14
	s_delay_alu instid0(SALU_CYCLE_1)
	s_and_not1_b32 exec_lo, exec_lo, s14
	s_cbranch_execnz .LBB414_62
; %bb.65:
	s_or_b32 exec_lo, exec_lo, s14
.LBB414_66:
	s_delay_alu instid0(SALU_CYCLE_1)
	s_or_b32 exec_lo, exec_lo, s13
	v_cmp_ne_u32_e32 vcc_lo, 31, v72
	v_and_b32_e32 v4, 0xff, v7
	v_lshlrev_b32_e64 v18, v72, -1
	s_mov_b32 s13, exec_lo
	v_add_co_ci_u32_e32 v3, vcc_lo, 0, v72, vcc_lo
	s_delay_alu instid0(VALU_DEP_3) | instskip(NEXT) | instid1(VALU_DEP_2)
	v_cmp_eq_u16_e32 vcc_lo, 2, v4
	v_dual_mov_b32 v4, v5 :: v_dual_lshlrev_b32 v17, 2, v3
	v_and_or_b32 v3, vcc_lo, v18, 0x80000000
	ds_bpermute_b32 v12, v17, v5
	ds_bpermute_b32 v8, v17, v6
	v_ctz_i32_b32_e32 v3, v3
	s_delay_alu instid0(VALU_DEP_1)
	v_cmpx_lt_u32_e64 v72, v3
	s_cbranch_execz .LBB414_68
; %bb.67:
	s_waitcnt lgkmcnt(1)
	v_add_co_u32 v4, vcc_lo, v5, v12
	v_add_co_ci_u32_e32 v6, vcc_lo, 0, v6, vcc_lo
	s_delay_alu instid0(VALU_DEP_2) | instskip(SKIP_1) | instid1(VALU_DEP_2)
	v_add_co_u32 v5, vcc_lo, 0, v4
	s_waitcnt lgkmcnt(0)
	v_add_co_ci_u32_e32 v6, vcc_lo, v8, v6, vcc_lo
.LBB414_68:
	s_or_b32 exec_lo, exec_lo, s13
	v_cmp_gt_u32_e32 vcc_lo, 30, v72
	v_add_nc_u32_e32 v20, 2, v72
	s_mov_b32 s13, exec_lo
	s_waitcnt lgkmcnt(0)
	v_cndmask_b32_e64 v8, 0, 1, vcc_lo
	s_delay_alu instid0(VALU_DEP_1) | instskip(NEXT) | instid1(VALU_DEP_1)
	v_lshlrev_b32_e32 v8, 1, v8
	v_add_lshl_u32 v19, v8, v72, 2
	ds_bpermute_b32 v12, v19, v4
	ds_bpermute_b32 v8, v19, v6
	v_cmpx_le_u32_e64 v20, v3
	s_cbranch_execz .LBB414_70
; %bb.69:
	s_waitcnt lgkmcnt(1)
	v_add_co_u32 v4, vcc_lo, v5, v12
	v_add_co_ci_u32_e32 v6, vcc_lo, 0, v6, vcc_lo
	s_delay_alu instid0(VALU_DEP_2) | instskip(SKIP_1) | instid1(VALU_DEP_2)
	v_add_co_u32 v5, vcc_lo, 0, v4
	s_waitcnt lgkmcnt(0)
	v_add_co_ci_u32_e32 v6, vcc_lo, v8, v6, vcc_lo
.LBB414_70:
	s_or_b32 exec_lo, exec_lo, s13
	v_cmp_gt_u32_e32 vcc_lo, 28, v72
	v_add_nc_u32_e32 v22, 4, v72
	s_mov_b32 s13, exec_lo
	s_waitcnt lgkmcnt(0)
	v_cndmask_b32_e64 v8, 0, 1, vcc_lo
	s_delay_alu instid0(VALU_DEP_1) | instskip(NEXT) | instid1(VALU_DEP_1)
	v_lshlrev_b32_e32 v8, 2, v8
	v_add_lshl_u32 v21, v8, v72, 2
	ds_bpermute_b32 v12, v21, v4
	ds_bpermute_b32 v8, v21, v6
	v_cmpx_le_u32_e64 v22, v3
	;; [unrolled: 22-line block ×4, first 2 shown]
	s_cbranch_execz .LBB414_76
; %bb.75:
	s_waitcnt lgkmcnt(1)
	v_add_co_u32 v3, vcc_lo, v5, v8
	v_add_co_ci_u32_e32 v6, vcc_lo, 0, v6, vcc_lo
	s_delay_alu instid0(VALU_DEP_2) | instskip(SKIP_1) | instid1(VALU_DEP_2)
	v_add_co_u32 v5, vcc_lo, v3, 0
	s_waitcnt lgkmcnt(0)
	v_add_co_ci_u32_e32 v6, vcc_lo, v6, v4, vcc_lo
.LBB414_76:
	s_or_b32 exec_lo, exec_lo, s13
	v_mov_b32_e32 v12, 0
	s_branch .LBB414_78
.LBB414_77:                             ;   in Loop: Header=BB414_78 Depth=1
	s_or_b32 exec_lo, exec_lo, s13
	v_add_co_u32 v5, vcc_lo, v5, v3
	v_subrev_nc_u32_e32 v11, 32, v11
	v_add_co_ci_u32_e32 v6, vcc_lo, v6, v4, vcc_lo
.LBB414_78:                             ; =>This Loop Header: Depth=1
                                        ;     Child Loop BB414_81 Depth 2
                                        ;       Child Loop BB414_82 Depth 3
	v_and_b32_e32 v3, 0xff, v7
	s_delay_alu instid0(VALU_DEP_1) | instskip(SKIP_2) | instid1(VALU_DEP_1)
	v_cmp_ne_u16_e32 vcc_lo, 2, v3
	v_cndmask_b32_e64 v3, 0, 1, vcc_lo
	;;#ASMSTART
	;;#ASMEND
	v_cmp_ne_u32_e32 vcc_lo, 0, v3
	s_waitcnt lgkmcnt(0)
	v_dual_mov_b32 v3, v5 :: v_dual_mov_b32 v4, v6
	s_cmp_lg_u32 vcc_lo, exec_lo
	s_cbranch_scc1 .LBB414_95
; %bb.79:                               ;   in Loop: Header=BB414_78 Depth=1
	v_lshlrev_b64 v[5:6], 4, v[11:12]
	s_mov_b32 s13, exec_lo
	s_delay_alu instid0(VALU_DEP_1) | instskip(NEXT) | instid1(VALU_DEP_2)
	v_add_co_u32 v13, vcc_lo, s8, v5
	v_add_co_ci_u32_e32 v14, vcc_lo, s9, v6, vcc_lo
	;;#ASMSTART
	global_load_dwordx4 v[5:8], v[13:14] off glc	
s_waitcnt vmcnt(0)
	;;#ASMEND
	v_and_b32_e32 v8, 0xff, v6
	v_and_b32_e32 v27, 0xff00, v6
	v_or3_b32 v5, v5, 0, 0
	v_and_b32_e32 v28, 0xff000000, v6
	v_and_b32_e32 v6, 0xff0000, v6
	s_delay_alu instid0(VALU_DEP_4) | instskip(SKIP_2) | instid1(VALU_DEP_3)
	v_or3_b32 v8, 0, v8, v27
	v_and_b32_e32 v27, 0xff, v7
	v_or3_b32 v5, v5, 0, 0
	v_or3_b32 v6, v8, v6, v28
	s_delay_alu instid0(VALU_DEP_3)
	v_cmpx_eq_u16_e32 0, v27
	s_cbranch_execz .LBB414_85
; %bb.80:                               ;   in Loop: Header=BB414_78 Depth=1
	s_mov_b32 s16, 1
	s_mov_b32 s14, 0
	.p2align	6
.LBB414_81:                             ;   Parent Loop BB414_78 Depth=1
                                        ; =>  This Loop Header: Depth=2
                                        ;       Child Loop BB414_82 Depth 3
	s_max_u32 s17, s16, 1
.LBB414_82:                             ;   Parent Loop BB414_78 Depth=1
                                        ;     Parent Loop BB414_81 Depth=2
                                        ; =>    This Inner Loop Header: Depth=3
	s_delay_alu instid0(SALU_CYCLE_1)
	s_add_i32 s17, s17, -1
	s_sleep 1
	s_cmp_eq_u32 s17, 0
	s_cbranch_scc0 .LBB414_82
; %bb.83:                               ;   in Loop: Header=BB414_81 Depth=2
	;;#ASMSTART
	global_load_dwordx4 v[5:8], v[13:14] off glc	
s_waitcnt vmcnt(0)
	;;#ASMEND
	v_and_b32_e32 v8, 0xff, v7
	s_cmp_lt_u32 s16, 32
	s_cselect_b32 s17, -1, 0
	s_delay_alu instid0(SALU_CYCLE_1) | instskip(NEXT) | instid1(VALU_DEP_1)
	s_cmp_lg_u32 s17, 0
	v_cmp_ne_u16_e32 vcc_lo, 0, v8
	s_addc_u32 s16, s16, 0
	s_or_b32 s14, vcc_lo, s14
	s_delay_alu instid0(SALU_CYCLE_1)
	s_and_not1_b32 exec_lo, exec_lo, s14
	s_cbranch_execnz .LBB414_81
; %bb.84:                               ;   in Loop: Header=BB414_78 Depth=1
	s_or_b32 exec_lo, exec_lo, s14
.LBB414_85:                             ;   in Loop: Header=BB414_78 Depth=1
	s_delay_alu instid0(SALU_CYCLE_1)
	s_or_b32 exec_lo, exec_lo, s13
	v_dual_mov_b32 v13, v5 :: v_dual_and_b32 v8, 0xff, v7
	ds_bpermute_b32 v27, v17, v5
	ds_bpermute_b32 v14, v17, v6
	s_mov_b32 s13, exec_lo
	v_cmp_eq_u16_e32 vcc_lo, 2, v8
	v_and_or_b32 v8, vcc_lo, v18, 0x80000000
	s_delay_alu instid0(VALU_DEP_1) | instskip(NEXT) | instid1(VALU_DEP_1)
	v_ctz_i32_b32_e32 v8, v8
	v_cmpx_lt_u32_e64 v72, v8
	s_cbranch_execz .LBB414_87
; %bb.86:                               ;   in Loop: Header=BB414_78 Depth=1
	s_waitcnt lgkmcnt(1)
	v_add_co_u32 v13, vcc_lo, v5, v27
	v_add_co_ci_u32_e32 v6, vcc_lo, 0, v6, vcc_lo
	s_delay_alu instid0(VALU_DEP_2) | instskip(SKIP_1) | instid1(VALU_DEP_2)
	v_add_co_u32 v5, vcc_lo, 0, v13
	s_waitcnt lgkmcnt(0)
	v_add_co_ci_u32_e32 v6, vcc_lo, v14, v6, vcc_lo
.LBB414_87:                             ;   in Loop: Header=BB414_78 Depth=1
	s_or_b32 exec_lo, exec_lo, s13
	s_waitcnt lgkmcnt(1)
	ds_bpermute_b32 v27, v19, v13
	s_waitcnt lgkmcnt(1)
	ds_bpermute_b32 v14, v19, v6
	s_mov_b32 s13, exec_lo
	v_cmpx_le_u32_e64 v20, v8
	s_cbranch_execz .LBB414_89
; %bb.88:                               ;   in Loop: Header=BB414_78 Depth=1
	s_waitcnt lgkmcnt(1)
	v_add_co_u32 v13, vcc_lo, v5, v27
	v_add_co_ci_u32_e32 v6, vcc_lo, 0, v6, vcc_lo
	s_delay_alu instid0(VALU_DEP_2) | instskip(SKIP_1) | instid1(VALU_DEP_2)
	v_add_co_u32 v5, vcc_lo, 0, v13
	s_waitcnt lgkmcnt(0)
	v_add_co_ci_u32_e32 v6, vcc_lo, v14, v6, vcc_lo
.LBB414_89:                             ;   in Loop: Header=BB414_78 Depth=1
	s_or_b32 exec_lo, exec_lo, s13
	s_waitcnt lgkmcnt(1)
	ds_bpermute_b32 v27, v21, v13
	s_waitcnt lgkmcnt(1)
	ds_bpermute_b32 v14, v21, v6
	s_mov_b32 s13, exec_lo
	v_cmpx_le_u32_e64 v22, v8
	;; [unrolled: 17-line block ×3, first 2 shown]
	s_cbranch_execz .LBB414_93
; %bb.92:                               ;   in Loop: Header=BB414_78 Depth=1
	s_waitcnt lgkmcnt(1)
	v_add_co_u32 v13, vcc_lo, v5, v27
	v_add_co_ci_u32_e32 v6, vcc_lo, 0, v6, vcc_lo
	s_delay_alu instid0(VALU_DEP_2) | instskip(SKIP_1) | instid1(VALU_DEP_2)
	v_add_co_u32 v5, vcc_lo, 0, v13
	s_waitcnt lgkmcnt(0)
	v_add_co_ci_u32_e32 v6, vcc_lo, v14, v6, vcc_lo
.LBB414_93:                             ;   in Loop: Header=BB414_78 Depth=1
	s_or_b32 exec_lo, exec_lo, s13
	s_waitcnt lgkmcnt(0)
	ds_bpermute_b32 v14, v25, v13
	ds_bpermute_b32 v13, v25, v6
	s_mov_b32 s13, exec_lo
	v_cmpx_le_u32_e64 v26, v8
	s_cbranch_execz .LBB414_77
; %bb.94:                               ;   in Loop: Header=BB414_78 Depth=1
	s_waitcnt lgkmcnt(1)
	v_add_co_u32 v5, vcc_lo, v5, v14
	v_add_co_ci_u32_e32 v6, vcc_lo, 0, v6, vcc_lo
	s_delay_alu instid0(VALU_DEP_2) | instskip(SKIP_1) | instid1(VALU_DEP_2)
	v_add_co_u32 v5, vcc_lo, v5, 0
	s_waitcnt lgkmcnt(0)
	v_add_co_ci_u32_e32 v6, vcc_lo, v6, v13, vcc_lo
	s_branch .LBB414_77
.LBB414_95:                             ;   in Loop: Header=BB414_78 Depth=1
                                        ; implicit-def: $vgpr5_vgpr6
	s_cbranch_execz .LBB414_78
; %bb.96:
	s_and_saveexec_b32 s13, s1
	s_cbranch_execz .LBB414_98
; %bb.97:
	s_add_i32 s14, s15, 32
	s_mov_b32 s15, 0
	v_add_co_u32 v5, vcc_lo, v3, v1
	s_lshl_b64 s[14:15], s[14:15], 4
	v_dual_mov_b32 v7, 2 :: v_dual_mov_b32 v8, 0
	s_add_u32 s14, s8, s14
	s_addc_u32 s15, s9, s15
	v_add_co_ci_u32_e32 v6, vcc_lo, v4, v2, vcc_lo
	v_dual_mov_b32 v11, s14 :: v_dual_mov_b32 v12, s15
	;;#ASMSTART
	global_store_dwordx4 v[11:12], v[5:8] off	
s_waitcnt vmcnt(0)
	;;#ASMEND
	ds_store_b128 v8, v[1:4] offset:7168
.LBB414_98:
	s_or_b32 exec_lo, exec_lo, s13
	v_cmp_eq_u32_e32 vcc_lo, 0, v0
	s_and_b32 exec_lo, exec_lo, vcc_lo
	s_cbranch_execz .LBB414_100
; %bb.99:
	v_mov_b32_e32 v1, 0
	ds_store_b64 v1, v[3:4] offset:24
.LBB414_100:
	s_or_b32 exec_lo, exec_lo, s12
	s_waitcnt lgkmcnt(0)
	v_cndmask_b32_e64 v4, v16, v10, s1
	v_cmp_ne_u32_e32 vcc_lo, 0, v0
	v_mov_b32_e32 v21, 0
	s_barrier
	buffer_gl0_inv
	v_cndmask_b32_e32 v4, 0, v4, vcc_lo
	ds_load_b64 v[1:2], v21 offset:24
	v_cndmask_b32_e64 v3, v15, v9, s1
	s_waitcnt lgkmcnt(0)
	s_barrier
	buffer_gl0_inv
	ds_load_b128 v[45:48], v21 offset:7168
	v_cndmask_b32_e32 v3, 0, v3, vcc_lo
	s_delay_alu instid0(VALU_DEP_1) | instskip(SKIP_1) | instid1(VALU_DEP_2)
	v_add_co_u32 v1, vcc_lo, v1, v3
	v_add_co_ci_u32_e32 v2, vcc_lo, v2, v4, vcc_lo
	v_add_co_u32 v3, vcc_lo, v1, v63
	s_delay_alu instid0(VALU_DEP_2) | instskip(NEXT) | instid1(VALU_DEP_2)
	v_add_co_ci_u32_e32 v4, vcc_lo, 0, v2, vcc_lo
	v_add_co_u32 v5, vcc_lo, v3, v64
	s_delay_alu instid0(VALU_DEP_2) | instskip(NEXT) | instid1(VALU_DEP_2)
	;; [unrolled: 3-line block ×12, first 2 shown]
	v_add_co_ci_u32_e32 v26, vcc_lo, 0, v24, vcc_lo
	v_add_co_u32 v27, vcc_lo, v25, v62
	s_delay_alu instid0(VALU_DEP_2)
	v_add_co_ci_u32_e32 v28, vcc_lo, 0, v26, vcc_lo
	s_branch .LBB414_125
.LBB414_101:
                                        ; implicit-def: $vgpr47_vgpr48
                                        ; implicit-def: $vgpr1_vgpr2_vgpr3_vgpr4_vgpr5_vgpr6_vgpr7_vgpr8_vgpr9_vgpr10_vgpr11_vgpr12_vgpr13_vgpr14_vgpr15_vgpr16_vgpr17_vgpr18_vgpr19_vgpr20_vgpr21_vgpr22_vgpr23_vgpr24_vgpr25_vgpr26_vgpr27_vgpr28_vgpr29_vgpr30_vgpr31_vgpr32
	s_and_b32 vcc_lo, exec_lo, s1
	s_cbranch_vccz .LBB414_125
; %bb.102:
	v_dual_mov_b32 v2, 0 :: v_dual_mov_b32 v3, v51
	v_mov_b32_dpp v4, v51 row_shr:1 row_mask:0xf bank_mask:0xf
	s_delay_alu instid0(VALU_DEP_2)
	v_mov_b32_dpp v1, v2 row_shr:1 row_mask:0xf bank_mask:0xf
	s_and_saveexec_b32 s1, s0
; %bb.103:
	s_delay_alu instid0(VALU_DEP_2) | instskip(SKIP_1) | instid1(VALU_DEP_2)
	v_add_co_u32 v3, vcc_lo, v51, v4
	v_add_co_ci_u32_e32 v2, vcc_lo, 0, v52, vcc_lo
	v_add_co_u32 v51, vcc_lo, 0, v3
	s_delay_alu instid0(VALU_DEP_2) | instskip(NEXT) | instid1(VALU_DEP_1)
	v_add_co_ci_u32_e32 v52, vcc_lo, v1, v2, vcc_lo
	v_mov_b32_e32 v2, v52
; %bb.104:
	s_or_b32 exec_lo, exec_lo, s1
	v_mov_b32_dpp v1, v3 row_shr:2 row_mask:0xf bank_mask:0xf
	s_delay_alu instid0(VALU_DEP_2)
	v_mov_b32_dpp v4, v2 row_shr:2 row_mask:0xf bank_mask:0xf
	s_mov_b32 s0, exec_lo
	v_cmpx_lt_u32_e32 1, v73
; %bb.105:
	s_delay_alu instid0(VALU_DEP_3) | instskip(SKIP_1) | instid1(VALU_DEP_2)
	v_add_co_u32 v3, vcc_lo, v51, v1
	v_add_co_ci_u32_e32 v2, vcc_lo, 0, v52, vcc_lo
	v_add_co_u32 v1, vcc_lo, 0, v3
	s_delay_alu instid0(VALU_DEP_2) | instskip(NEXT) | instid1(VALU_DEP_1)
	v_add_co_ci_u32_e32 v2, vcc_lo, v4, v2, vcc_lo
	v_dual_mov_b32 v52, v2 :: v_dual_mov_b32 v51, v1
; %bb.106:
	s_or_b32 exec_lo, exec_lo, s0
	v_mov_b32_dpp v1, v3 row_shr:4 row_mask:0xf bank_mask:0xf
	v_mov_b32_dpp v4, v2 row_shr:4 row_mask:0xf bank_mask:0xf
	s_mov_b32 s0, exec_lo
	v_cmpx_lt_u32_e32 3, v73
; %bb.107:
	s_delay_alu instid0(VALU_DEP_3) | instskip(SKIP_1) | instid1(VALU_DEP_2)
	v_add_co_u32 v3, vcc_lo, v51, v1
	v_add_co_ci_u32_e32 v2, vcc_lo, 0, v52, vcc_lo
	v_add_co_u32 v1, vcc_lo, 0, v3
	s_delay_alu instid0(VALU_DEP_2) | instskip(NEXT) | instid1(VALU_DEP_1)
	v_add_co_ci_u32_e32 v2, vcc_lo, v4, v2, vcc_lo
	v_dual_mov_b32 v52, v2 :: v_dual_mov_b32 v51, v1
; %bb.108:
	s_or_b32 exec_lo, exec_lo, s0
	v_mov_b32_dpp v4, v3 row_shr:8 row_mask:0xf bank_mask:0xf
	v_mov_b32_dpp v1, v2 row_shr:8 row_mask:0xf bank_mask:0xf
	s_mov_b32 s0, exec_lo
	v_cmpx_lt_u32_e32 7, v73
; %bb.109:
	s_delay_alu instid0(VALU_DEP_3) | instskip(SKIP_1) | instid1(VALU_DEP_2)
	v_add_co_u32 v3, vcc_lo, v51, v4
	v_add_co_ci_u32_e32 v2, vcc_lo, 0, v52, vcc_lo
	v_add_co_u32 v51, vcc_lo, 0, v3
	s_delay_alu instid0(VALU_DEP_2) | instskip(NEXT) | instid1(VALU_DEP_1)
	v_add_co_ci_u32_e32 v52, vcc_lo, v1, v2, vcc_lo
	v_mov_b32_e32 v2, v52
; %bb.110:
	s_or_b32 exec_lo, exec_lo, s0
	ds_swizzle_b32 v3, v3 offset:swizzle(BROADCAST,32,15)
	ds_swizzle_b32 v1, v2 offset:swizzle(BROADCAST,32,15)
	v_and_b32_e32 v2, 16, v72
	s_mov_b32 s0, exec_lo
	s_delay_alu instid0(VALU_DEP_1)
	v_cmpx_ne_u32_e32 0, v2
	s_cbranch_execz .LBB414_112
; %bb.111:
	s_waitcnt lgkmcnt(1)
	v_add_co_u32 v2, vcc_lo, v51, v3
	v_add_co_ci_u32_e32 v3, vcc_lo, 0, v52, vcc_lo
	s_delay_alu instid0(VALU_DEP_2) | instskip(SKIP_1) | instid1(VALU_DEP_2)
	v_add_co_u32 v51, vcc_lo, v2, 0
	s_waitcnt lgkmcnt(0)
	v_add_co_ci_u32_e32 v52, vcc_lo, v3, v1, vcc_lo
.LBB414_112:
	s_or_b32 exec_lo, exec_lo, s0
	s_waitcnt lgkmcnt(0)
	v_or_b32_e32 v1, 31, v0
	v_lshrrev_b32_e32 v3, 5, v0
	s_mov_b32 s0, exec_lo
	s_delay_alu instid0(VALU_DEP_2)
	v_cmpx_eq_u32_e64 v1, v0
	s_cbranch_execz .LBB414_114
; %bb.113:
	s_delay_alu instid0(VALU_DEP_2)
	v_lshlrev_b32_e32 v1, 3, v3
	ds_store_b64 v1, v[51:52]
.LBB414_114:
	s_or_b32 exec_lo, exec_lo, s0
	s_delay_alu instid0(SALU_CYCLE_1)
	s_mov_b32 s0, exec_lo
	s_waitcnt lgkmcnt(0)
	s_barrier
	buffer_gl0_inv
	v_cmpx_gt_u32_e32 4, v0
	s_cbranch_execz .LBB414_120
; %bb.115:
	v_mad_i32_i24 v1, 0xffffffd0, v0, v61
	s_mov_b32 s1, exec_lo
	ds_load_b64 v[1:2], v1
	s_waitcnt lgkmcnt(0)
	v_dual_mov_b32 v5, v1 :: v_dual_and_b32 v4, 3, v72
	v_mov_b32_dpp v7, v1 row_shr:1 row_mask:0xf bank_mask:0xf
	v_mov_b32_dpp v6, v2 row_shr:1 row_mask:0xf bank_mask:0xf
	s_delay_alu instid0(VALU_DEP_3)
	v_cmpx_ne_u32_e32 0, v4
; %bb.116:
	s_delay_alu instid0(VALU_DEP_3) | instskip(SKIP_1) | instid1(VALU_DEP_2)
	v_add_co_u32 v5, vcc_lo, v1, v7
	v_add_co_ci_u32_e32 v2, vcc_lo, 0, v2, vcc_lo
	v_add_co_u32 v1, vcc_lo, 0, v5
	s_delay_alu instid0(VALU_DEP_2)
	v_add_co_ci_u32_e32 v2, vcc_lo, v6, v2, vcc_lo
; %bb.117:
	s_or_b32 exec_lo, exec_lo, s1
	v_mul_i32_i24_e32 v6, 0xffffffd0, v0
	v_mov_b32_dpp v7, v5 row_shr:2 row_mask:0xf bank_mask:0xf
	s_delay_alu instid0(VALU_DEP_3)
	v_mov_b32_dpp v5, v2 row_shr:2 row_mask:0xf bank_mask:0xf
	s_mov_b32 s1, exec_lo
	v_cmpx_lt_u32_e32 1, v4
; %bb.118:
	s_delay_alu instid0(VALU_DEP_3) | instskip(SKIP_1) | instid1(VALU_DEP_2)
	v_add_co_u32 v1, vcc_lo, v1, v7
	v_add_co_ci_u32_e32 v2, vcc_lo, 0, v2, vcc_lo
	v_add_co_u32 v1, vcc_lo, v1, 0
	s_delay_alu instid0(VALU_DEP_2)
	v_add_co_ci_u32_e32 v2, vcc_lo, v2, v5, vcc_lo
; %bb.119:
	s_or_b32 exec_lo, exec_lo, s1
	v_add_nc_u32_e32 v4, v61, v6
	ds_store_b64 v4, v[1:2]
.LBB414_120:
	s_or_b32 exec_lo, exec_lo, s0
	v_mov_b32_e32 v1, 0
	v_mov_b32_e32 v2, 0
	s_mov_b32 s0, exec_lo
	s_waitcnt lgkmcnt(0)
	s_barrier
	buffer_gl0_inv
	v_cmpx_lt_u32_e32 31, v0
	s_cbranch_execz .LBB414_122
; %bb.121:
	v_lshl_add_u32 v1, v3, 3, -8
	ds_load_b64 v[1:2], v1
.LBB414_122:
	s_or_b32 exec_lo, exec_lo, s0
	v_dual_mov_b32 v48, 0 :: v_dual_add_nc_u32 v3, -1, v72
	s_delay_alu instid0(VALU_DEP_1) | instskip(SKIP_2) | instid1(VALU_DEP_1)
	v_cmp_gt_i32_e32 vcc_lo, 0, v3
	ds_load_b64 v[45:46], v48 offset:24
	v_cndmask_b32_e32 v3, v3, v72, vcc_lo
	v_lshlrev_b32_e32 v4, 2, v3
	s_waitcnt lgkmcnt(1)
	v_add_co_u32 v3, vcc_lo, v1, v51
	v_add_co_ci_u32_e32 v5, vcc_lo, v2, v52, vcc_lo
	v_cmp_eq_u32_e32 vcc_lo, 0, v0
	ds_bpermute_b32 v3, v4, v3
	ds_bpermute_b32 v4, v4, v5
	s_and_saveexec_b32 s0, vcc_lo
	s_cbranch_execz .LBB414_124
; %bb.123:
	s_add_u32 s8, s8, 0x200
	s_addc_u32 s9, s9, 0
	v_mov_b32_e32 v5, s8
	v_dual_mov_b32 v47, 2 :: v_dual_mov_b32 v6, s9
	s_waitcnt lgkmcnt(2)
	;;#ASMSTART
	global_store_dwordx4 v[5:6], v[45:48] off	
s_waitcnt vmcnt(0)
	;;#ASMEND
.LBB414_124:
	s_or_b32 exec_lo, exec_lo, s0
	v_cmp_eq_u32_e64 s0, 0, v72
	v_mov_b32_e32 v47, 0
	v_mov_b32_e32 v48, 0
	s_waitcnt lgkmcnt(0)
	s_barrier
	v_cndmask_b32_e64 v1, v3, v1, s0
	v_cndmask_b32_e64 v2, v4, v2, s0
	buffer_gl0_inv
	v_cndmask_b32_e64 v1, v1, 0, vcc_lo
	v_cndmask_b32_e64 v2, v2, 0, vcc_lo
	s_delay_alu instid0(VALU_DEP_2) | instskip(NEXT) | instid1(VALU_DEP_2)
	v_add_co_u32 v3, vcc_lo, v1, v63
	v_add_co_ci_u32_e32 v4, vcc_lo, 0, v2, vcc_lo
	s_delay_alu instid0(VALU_DEP_2) | instskip(NEXT) | instid1(VALU_DEP_2)
	v_add_co_u32 v5, vcc_lo, v3, v64
	v_add_co_ci_u32_e32 v6, vcc_lo, 0, v4, vcc_lo
	;; [unrolled: 3-line block ×13, first 2 shown]
.LBB414_125:
	s_waitcnt lgkmcnt(0)
	v_cmp_gt_u64_e32 vcc_lo, 0x81, v[45:46]
	v_lshrrev_b32_e32 v51, 16, v56
	v_lshrrev_b32_e32 v52, 8, v56
	;; [unrolled: 1-line block ×6, first 2 shown]
	s_mov_b32 s0, -1
	s_cbranch_vccnz .LBB414_129
; %bb.126:
	s_and_b32 vcc_lo, exec_lo, s0
	s_cbranch_vccnz .LBB414_172
.LBB414_127:
	v_cmp_eq_u32_e32 vcc_lo, 0, v0
	s_and_b32 s0, vcc_lo, s10
	s_delay_alu instid0(SALU_CYCLE_1)
	s_and_saveexec_b32 s1, s0
	s_cbranch_execnz .LBB414_204
.LBB414_128:
	s_nop 0
	s_sendmsg sendmsg(MSG_DEALLOC_VGPRS)
	s_endpgm
.LBB414_129:
	v_add_co_u32 v29, vcc_lo, v47, v45
	v_add_co_ci_u32_e32 v30, vcc_lo, v48, v46, vcc_lo
	s_lshl_b64 s[0:1], s[2:3], 2
	s_delay_alu instid0(SALU_CYCLE_1) | instskip(NEXT) | instid1(VALU_DEP_1)
	s_add_u32 s0, s6, s0
	v_cmp_lt_u64_e32 vcc_lo, v[1:2], v[29:30]
	s_addc_u32 s1, s7, s1
	s_or_b32 s9, s11, vcc_lo
	s_delay_alu instid0(SALU_CYCLE_1)
	s_and_saveexec_b32 s8, s9
	s_cbranch_execz .LBB414_132
; %bb.130:
	v_and_b32_e32 v63, 1, v59
	s_delay_alu instid0(VALU_DEP_1)
	v_cmp_eq_u32_e32 vcc_lo, 1, v63
	s_and_b32 exec_lo, exec_lo, vcc_lo
	s_cbranch_execz .LBB414_132
; %bb.131:
	v_lshlrev_b64 v[63:64], 2, v[1:2]
	s_delay_alu instid0(VALU_DEP_1) | instskip(NEXT) | instid1(VALU_DEP_2)
	v_add_co_u32 v63, vcc_lo, s0, v63
	v_add_co_ci_u32_e32 v64, vcc_lo, s1, v64, vcc_lo
	global_store_b32 v[63:64], v41, off
.LBB414_132:
	s_or_b32 exec_lo, exec_lo, s8
	v_cmp_lt_u64_e32 vcc_lo, v[3:4], v[29:30]
	s_or_b32 s9, s11, vcc_lo
	s_delay_alu instid0(SALU_CYCLE_1)
	s_and_saveexec_b32 s8, s9
	s_cbranch_execz .LBB414_135
; %bb.133:
	v_and_b32_e32 v2, 1, v62
	s_delay_alu instid0(VALU_DEP_1)
	v_cmp_eq_u32_e32 vcc_lo, 1, v2
	s_and_b32 exec_lo, exec_lo, vcc_lo
	s_cbranch_execz .LBB414_135
; %bb.134:
	v_lshlrev_b64 v[63:64], 2, v[3:4]
	s_delay_alu instid0(VALU_DEP_1) | instskip(NEXT) | instid1(VALU_DEP_2)
	v_add_co_u32 v63, vcc_lo, s0, v63
	v_add_co_ci_u32_e32 v64, vcc_lo, s1, v64, vcc_lo
	global_store_b32 v[63:64], v42, off
.LBB414_135:
	s_or_b32 exec_lo, exec_lo, s8
	v_cmp_lt_u64_e32 vcc_lo, v[5:6], v[29:30]
	;; [unrolled: 19-line block ×13, first 2 shown]
	s_or_b32 s9, s11, vcc_lo
	s_delay_alu instid0(SALU_CYCLE_1)
	s_and_saveexec_b32 s8, s9
	s_cbranch_execz .LBB414_171
; %bb.169:
	v_and_b32_e32 v2, 1, v53
	s_delay_alu instid0(VALU_DEP_1)
	v_cmp_eq_u32_e32 vcc_lo, 1, v2
	s_and_b32 exec_lo, exec_lo, vcc_lo
	s_cbranch_execz .LBB414_171
; %bb.170:
	v_lshlrev_b64 v[28:29], 2, v[27:28]
	s_delay_alu instid0(VALU_DEP_1) | instskip(NEXT) | instid1(VALU_DEP_2)
	v_add_co_u32 v28, vcc_lo, s0, v28
	v_add_co_ci_u32_e32 v29, vcc_lo, s1, v29, vcc_lo
	global_store_b32 v[28:29], v50, off
.LBB414_171:
	s_or_b32 exec_lo, exec_lo, s8
	s_branch .LBB414_127
.LBB414_172:
	v_and_b32_e32 v2, 1, v59
	s_mov_b32 s0, exec_lo
	s_delay_alu instid0(VALU_DEP_1)
	v_cmpx_eq_u32_e32 1, v2
	s_cbranch_execz .LBB414_174
; %bb.173:
	v_sub_nc_u32_e32 v1, v1, v47
	s_delay_alu instid0(VALU_DEP_1)
	v_lshlrev_b32_e32 v1, 2, v1
	ds_store_b32 v1, v41
.LBB414_174:
	s_or_b32 exec_lo, exec_lo, s0
	v_and_b32_e32 v1, 1, v62
	s_mov_b32 s0, exec_lo
	s_delay_alu instid0(VALU_DEP_1)
	v_cmpx_eq_u32_e32 1, v1
	s_cbranch_execz .LBB414_176
; %bb.175:
	v_sub_nc_u32_e32 v1, v3, v47
	s_delay_alu instid0(VALU_DEP_1)
	v_lshlrev_b32_e32 v1, 2, v1
	ds_store_b32 v1, v42
.LBB414_176:
	s_or_b32 exec_lo, exec_lo, s0
	;; [unrolled: 12-line block ×14, first 2 shown]
	v_mov_b32_e32 v3, 0
	s_mov_b32 s1, exec_lo
	s_waitcnt lgkmcnt(0)
	s_waitcnt_vscnt null, 0x0
	s_barrier
	buffer_gl0_inv
	v_mov_b32_e32 v1, v3
	s_delay_alu instid0(VALU_DEP_1)
	v_cmpx_gt_u64_e64 v[45:46], v[0:1]
	s_cbranch_execz .LBB414_203
; %bb.201:
	v_lshlrev_b64 v[4:5], 2, v[47:48]
	s_lshl_b64 s[8:9], s[2:3], 2
	v_or_b32_e32 v2, 0x80, v0
	s_delay_alu instid0(VALU_DEP_2) | instskip(NEXT) | instid1(VALU_DEP_3)
	v_add_co_u32 v4, vcc_lo, s6, v4
	v_add_co_ci_u32_e32 v5, vcc_lo, s7, v5, vcc_lo
	s_mov_b32 s6, 0
	s_delay_alu instid0(VALU_DEP_2) | instskip(NEXT) | instid1(VALU_DEP_2)
	v_add_co_u32 v6, vcc_lo, v4, s8
	v_add_co_ci_u32_e32 v7, vcc_lo, s9, v5, vcc_lo
	v_dual_mov_b32 v5, v1 :: v_dual_mov_b32 v4, v0
	.p2align	6
.LBB414_202:                            ; =>This Inner Loop Header: Depth=1
	s_delay_alu instid0(VALU_DEP_1) | instskip(NEXT) | instid1(VALU_DEP_2)
	v_lshlrev_b32_e32 v1, 2, v4
	v_lshlrev_b64 v[8:9], 2, v[4:5]
	v_dual_mov_b32 v5, v3 :: v_dual_mov_b32 v4, v2
	v_cmp_le_u64_e32 vcc_lo, v[45:46], v[2:3]
	v_add_nc_u32_e32 v2, 0x80, v2
	ds_load_b32 v1, v1
	v_add_co_u32 v8, s0, v6, v8
	s_delay_alu instid0(VALU_DEP_1)
	v_add_co_ci_u32_e64 v9, s0, v7, v9, s0
	s_or_b32 s6, vcc_lo, s6
	s_waitcnt lgkmcnt(0)
	global_store_b32 v[8:9], v1, off
	s_and_not1_b32 exec_lo, exec_lo, s6
	s_cbranch_execnz .LBB414_202
.LBB414_203:
	s_or_b32 exec_lo, exec_lo, s1
	v_cmp_eq_u32_e32 vcc_lo, 0, v0
	s_and_b32 s0, vcc_lo, s10
	s_delay_alu instid0(SALU_CYCLE_1)
	s_and_saveexec_b32 s1, s0
	s_cbranch_execz .LBB414_128
.LBB414_204:
	v_add_co_u32 v0, vcc_lo, v47, v45
	v_add_co_ci_u32_e32 v1, vcc_lo, v48, v46, vcc_lo
	v_mov_b32_e32 v2, 0
	s_delay_alu instid0(VALU_DEP_3) | instskip(NEXT) | instid1(VALU_DEP_3)
	v_add_co_u32 v0, vcc_lo, v0, s2
	v_add_co_ci_u32_e32 v1, vcc_lo, s3, v1, vcc_lo
	global_store_b64 v2, v[0:1], s[4:5]
	s_nop 0
	s_sendmsg sendmsg(MSG_DEALLOC_VGPRS)
	s_endpgm
	.section	.rodata,"a",@progbits
	.p2align	6, 0x0
	.amdhsa_kernel _ZN7rocprim17ROCPRIM_400000_NS6detail17trampoline_kernelINS0_14default_configENS1_25partition_config_selectorILNS1_17partition_subalgoE6EiNS0_10empty_typeEbEEZZNS1_14partition_implILS5_6ELb0ES3_mN6thrust23THRUST_200600_302600_NS6detail15normal_iteratorINSA_10device_ptrIiEEEEPS6_SG_NS0_5tupleIJSF_S6_EEENSH_IJSG_SG_EEES6_PlJ7is_evenIiEEEE10hipError_tPvRmT3_T4_T5_T6_T7_T9_mT8_P12ihipStream_tbDpT10_ENKUlT_T0_E_clISt17integral_constantIbLb1EES15_IbLb0EEEEDaS11_S12_EUlS11_E_NS1_11comp_targetILNS1_3genE9ELNS1_11target_archE1100ELNS1_3gpuE3ELNS1_3repE0EEENS1_30default_config_static_selectorELNS0_4arch9wavefront6targetE0EEEvT1_
		.amdhsa_group_segment_fixed_size 7184
		.amdhsa_private_segment_fixed_size 0
		.amdhsa_kernarg_size 112
		.amdhsa_user_sgpr_count 15
		.amdhsa_user_sgpr_dispatch_ptr 0
		.amdhsa_user_sgpr_queue_ptr 0
		.amdhsa_user_sgpr_kernarg_segment_ptr 1
		.amdhsa_user_sgpr_dispatch_id 0
		.amdhsa_user_sgpr_private_segment_size 0
		.amdhsa_wavefront_size32 1
		.amdhsa_uses_dynamic_stack 0
		.amdhsa_enable_private_segment 0
		.amdhsa_system_sgpr_workgroup_id_x 1
		.amdhsa_system_sgpr_workgroup_id_y 0
		.amdhsa_system_sgpr_workgroup_id_z 0
		.amdhsa_system_sgpr_workgroup_info 0
		.amdhsa_system_vgpr_workitem_id 0
		.amdhsa_next_free_vgpr 74
		.amdhsa_next_free_sgpr 18
		.amdhsa_reserve_vcc 1
		.amdhsa_float_round_mode_32 0
		.amdhsa_float_round_mode_16_64 0
		.amdhsa_float_denorm_mode_32 3
		.amdhsa_float_denorm_mode_16_64 3
		.amdhsa_dx10_clamp 1
		.amdhsa_ieee_mode 1
		.amdhsa_fp16_overflow 0
		.amdhsa_workgroup_processor_mode 1
		.amdhsa_memory_ordered 1
		.amdhsa_forward_progress 0
		.amdhsa_shared_vgpr_count 0
		.amdhsa_exception_fp_ieee_invalid_op 0
		.amdhsa_exception_fp_denorm_src 0
		.amdhsa_exception_fp_ieee_div_zero 0
		.amdhsa_exception_fp_ieee_overflow 0
		.amdhsa_exception_fp_ieee_underflow 0
		.amdhsa_exception_fp_ieee_inexact 0
		.amdhsa_exception_int_div_zero 0
	.end_amdhsa_kernel
	.section	.text._ZN7rocprim17ROCPRIM_400000_NS6detail17trampoline_kernelINS0_14default_configENS1_25partition_config_selectorILNS1_17partition_subalgoE6EiNS0_10empty_typeEbEEZZNS1_14partition_implILS5_6ELb0ES3_mN6thrust23THRUST_200600_302600_NS6detail15normal_iteratorINSA_10device_ptrIiEEEEPS6_SG_NS0_5tupleIJSF_S6_EEENSH_IJSG_SG_EEES6_PlJ7is_evenIiEEEE10hipError_tPvRmT3_T4_T5_T6_T7_T9_mT8_P12ihipStream_tbDpT10_ENKUlT_T0_E_clISt17integral_constantIbLb1EES15_IbLb0EEEEDaS11_S12_EUlS11_E_NS1_11comp_targetILNS1_3genE9ELNS1_11target_archE1100ELNS1_3gpuE3ELNS1_3repE0EEENS1_30default_config_static_selectorELNS0_4arch9wavefront6targetE0EEEvT1_,"axG",@progbits,_ZN7rocprim17ROCPRIM_400000_NS6detail17trampoline_kernelINS0_14default_configENS1_25partition_config_selectorILNS1_17partition_subalgoE6EiNS0_10empty_typeEbEEZZNS1_14partition_implILS5_6ELb0ES3_mN6thrust23THRUST_200600_302600_NS6detail15normal_iteratorINSA_10device_ptrIiEEEEPS6_SG_NS0_5tupleIJSF_S6_EEENSH_IJSG_SG_EEES6_PlJ7is_evenIiEEEE10hipError_tPvRmT3_T4_T5_T6_T7_T9_mT8_P12ihipStream_tbDpT10_ENKUlT_T0_E_clISt17integral_constantIbLb1EES15_IbLb0EEEEDaS11_S12_EUlS11_E_NS1_11comp_targetILNS1_3genE9ELNS1_11target_archE1100ELNS1_3gpuE3ELNS1_3repE0EEENS1_30default_config_static_selectorELNS0_4arch9wavefront6targetE0EEEvT1_,comdat
.Lfunc_end414:
	.size	_ZN7rocprim17ROCPRIM_400000_NS6detail17trampoline_kernelINS0_14default_configENS1_25partition_config_selectorILNS1_17partition_subalgoE6EiNS0_10empty_typeEbEEZZNS1_14partition_implILS5_6ELb0ES3_mN6thrust23THRUST_200600_302600_NS6detail15normal_iteratorINSA_10device_ptrIiEEEEPS6_SG_NS0_5tupleIJSF_S6_EEENSH_IJSG_SG_EEES6_PlJ7is_evenIiEEEE10hipError_tPvRmT3_T4_T5_T6_T7_T9_mT8_P12ihipStream_tbDpT10_ENKUlT_T0_E_clISt17integral_constantIbLb1EES15_IbLb0EEEEDaS11_S12_EUlS11_E_NS1_11comp_targetILNS1_3genE9ELNS1_11target_archE1100ELNS1_3gpuE3ELNS1_3repE0EEENS1_30default_config_static_selectorELNS0_4arch9wavefront6targetE0EEEvT1_, .Lfunc_end414-_ZN7rocprim17ROCPRIM_400000_NS6detail17trampoline_kernelINS0_14default_configENS1_25partition_config_selectorILNS1_17partition_subalgoE6EiNS0_10empty_typeEbEEZZNS1_14partition_implILS5_6ELb0ES3_mN6thrust23THRUST_200600_302600_NS6detail15normal_iteratorINSA_10device_ptrIiEEEEPS6_SG_NS0_5tupleIJSF_S6_EEENSH_IJSG_SG_EEES6_PlJ7is_evenIiEEEE10hipError_tPvRmT3_T4_T5_T6_T7_T9_mT8_P12ihipStream_tbDpT10_ENKUlT_T0_E_clISt17integral_constantIbLb1EES15_IbLb0EEEEDaS11_S12_EUlS11_E_NS1_11comp_targetILNS1_3genE9ELNS1_11target_archE1100ELNS1_3gpuE3ELNS1_3repE0EEENS1_30default_config_static_selectorELNS0_4arch9wavefront6targetE0EEEvT1_
                                        ; -- End function
	.section	.AMDGPU.csdata,"",@progbits
; Kernel info:
; codeLenInByte = 8624
; NumSgprs: 20
; NumVgprs: 74
; ScratchSize: 0
; MemoryBound: 0
; FloatMode: 240
; IeeeMode: 1
; LDSByteSize: 7184 bytes/workgroup (compile time only)
; SGPRBlocks: 2
; VGPRBlocks: 9
; NumSGPRsForWavesPerEU: 20
; NumVGPRsForWavesPerEU: 74
; Occupancy: 16
; WaveLimiterHint : 1
; COMPUTE_PGM_RSRC2:SCRATCH_EN: 0
; COMPUTE_PGM_RSRC2:USER_SGPR: 15
; COMPUTE_PGM_RSRC2:TRAP_HANDLER: 0
; COMPUTE_PGM_RSRC2:TGID_X_EN: 1
; COMPUTE_PGM_RSRC2:TGID_Y_EN: 0
; COMPUTE_PGM_RSRC2:TGID_Z_EN: 0
; COMPUTE_PGM_RSRC2:TIDIG_COMP_CNT: 0
	.section	.text._ZN7rocprim17ROCPRIM_400000_NS6detail17trampoline_kernelINS0_14default_configENS1_25partition_config_selectorILNS1_17partition_subalgoE6EiNS0_10empty_typeEbEEZZNS1_14partition_implILS5_6ELb0ES3_mN6thrust23THRUST_200600_302600_NS6detail15normal_iteratorINSA_10device_ptrIiEEEEPS6_SG_NS0_5tupleIJSF_S6_EEENSH_IJSG_SG_EEES6_PlJ7is_evenIiEEEE10hipError_tPvRmT3_T4_T5_T6_T7_T9_mT8_P12ihipStream_tbDpT10_ENKUlT_T0_E_clISt17integral_constantIbLb1EES15_IbLb0EEEEDaS11_S12_EUlS11_E_NS1_11comp_targetILNS1_3genE8ELNS1_11target_archE1030ELNS1_3gpuE2ELNS1_3repE0EEENS1_30default_config_static_selectorELNS0_4arch9wavefront6targetE0EEEvT1_,"axG",@progbits,_ZN7rocprim17ROCPRIM_400000_NS6detail17trampoline_kernelINS0_14default_configENS1_25partition_config_selectorILNS1_17partition_subalgoE6EiNS0_10empty_typeEbEEZZNS1_14partition_implILS5_6ELb0ES3_mN6thrust23THRUST_200600_302600_NS6detail15normal_iteratorINSA_10device_ptrIiEEEEPS6_SG_NS0_5tupleIJSF_S6_EEENSH_IJSG_SG_EEES6_PlJ7is_evenIiEEEE10hipError_tPvRmT3_T4_T5_T6_T7_T9_mT8_P12ihipStream_tbDpT10_ENKUlT_T0_E_clISt17integral_constantIbLb1EES15_IbLb0EEEEDaS11_S12_EUlS11_E_NS1_11comp_targetILNS1_3genE8ELNS1_11target_archE1030ELNS1_3gpuE2ELNS1_3repE0EEENS1_30default_config_static_selectorELNS0_4arch9wavefront6targetE0EEEvT1_,comdat
	.protected	_ZN7rocprim17ROCPRIM_400000_NS6detail17trampoline_kernelINS0_14default_configENS1_25partition_config_selectorILNS1_17partition_subalgoE6EiNS0_10empty_typeEbEEZZNS1_14partition_implILS5_6ELb0ES3_mN6thrust23THRUST_200600_302600_NS6detail15normal_iteratorINSA_10device_ptrIiEEEEPS6_SG_NS0_5tupleIJSF_S6_EEENSH_IJSG_SG_EEES6_PlJ7is_evenIiEEEE10hipError_tPvRmT3_T4_T5_T6_T7_T9_mT8_P12ihipStream_tbDpT10_ENKUlT_T0_E_clISt17integral_constantIbLb1EES15_IbLb0EEEEDaS11_S12_EUlS11_E_NS1_11comp_targetILNS1_3genE8ELNS1_11target_archE1030ELNS1_3gpuE2ELNS1_3repE0EEENS1_30default_config_static_selectorELNS0_4arch9wavefront6targetE0EEEvT1_ ; -- Begin function _ZN7rocprim17ROCPRIM_400000_NS6detail17trampoline_kernelINS0_14default_configENS1_25partition_config_selectorILNS1_17partition_subalgoE6EiNS0_10empty_typeEbEEZZNS1_14partition_implILS5_6ELb0ES3_mN6thrust23THRUST_200600_302600_NS6detail15normal_iteratorINSA_10device_ptrIiEEEEPS6_SG_NS0_5tupleIJSF_S6_EEENSH_IJSG_SG_EEES6_PlJ7is_evenIiEEEE10hipError_tPvRmT3_T4_T5_T6_T7_T9_mT8_P12ihipStream_tbDpT10_ENKUlT_T0_E_clISt17integral_constantIbLb1EES15_IbLb0EEEEDaS11_S12_EUlS11_E_NS1_11comp_targetILNS1_3genE8ELNS1_11target_archE1030ELNS1_3gpuE2ELNS1_3repE0EEENS1_30default_config_static_selectorELNS0_4arch9wavefront6targetE0EEEvT1_
	.globl	_ZN7rocprim17ROCPRIM_400000_NS6detail17trampoline_kernelINS0_14default_configENS1_25partition_config_selectorILNS1_17partition_subalgoE6EiNS0_10empty_typeEbEEZZNS1_14partition_implILS5_6ELb0ES3_mN6thrust23THRUST_200600_302600_NS6detail15normal_iteratorINSA_10device_ptrIiEEEEPS6_SG_NS0_5tupleIJSF_S6_EEENSH_IJSG_SG_EEES6_PlJ7is_evenIiEEEE10hipError_tPvRmT3_T4_T5_T6_T7_T9_mT8_P12ihipStream_tbDpT10_ENKUlT_T0_E_clISt17integral_constantIbLb1EES15_IbLb0EEEEDaS11_S12_EUlS11_E_NS1_11comp_targetILNS1_3genE8ELNS1_11target_archE1030ELNS1_3gpuE2ELNS1_3repE0EEENS1_30default_config_static_selectorELNS0_4arch9wavefront6targetE0EEEvT1_
	.p2align	8
	.type	_ZN7rocprim17ROCPRIM_400000_NS6detail17trampoline_kernelINS0_14default_configENS1_25partition_config_selectorILNS1_17partition_subalgoE6EiNS0_10empty_typeEbEEZZNS1_14partition_implILS5_6ELb0ES3_mN6thrust23THRUST_200600_302600_NS6detail15normal_iteratorINSA_10device_ptrIiEEEEPS6_SG_NS0_5tupleIJSF_S6_EEENSH_IJSG_SG_EEES6_PlJ7is_evenIiEEEE10hipError_tPvRmT3_T4_T5_T6_T7_T9_mT8_P12ihipStream_tbDpT10_ENKUlT_T0_E_clISt17integral_constantIbLb1EES15_IbLb0EEEEDaS11_S12_EUlS11_E_NS1_11comp_targetILNS1_3genE8ELNS1_11target_archE1030ELNS1_3gpuE2ELNS1_3repE0EEENS1_30default_config_static_selectorELNS0_4arch9wavefront6targetE0EEEvT1_,@function
_ZN7rocprim17ROCPRIM_400000_NS6detail17trampoline_kernelINS0_14default_configENS1_25partition_config_selectorILNS1_17partition_subalgoE6EiNS0_10empty_typeEbEEZZNS1_14partition_implILS5_6ELb0ES3_mN6thrust23THRUST_200600_302600_NS6detail15normal_iteratorINSA_10device_ptrIiEEEEPS6_SG_NS0_5tupleIJSF_S6_EEENSH_IJSG_SG_EEES6_PlJ7is_evenIiEEEE10hipError_tPvRmT3_T4_T5_T6_T7_T9_mT8_P12ihipStream_tbDpT10_ENKUlT_T0_E_clISt17integral_constantIbLb1EES15_IbLb0EEEEDaS11_S12_EUlS11_E_NS1_11comp_targetILNS1_3genE8ELNS1_11target_archE1030ELNS1_3gpuE2ELNS1_3repE0EEENS1_30default_config_static_selectorELNS0_4arch9wavefront6targetE0EEEvT1_: ; @_ZN7rocprim17ROCPRIM_400000_NS6detail17trampoline_kernelINS0_14default_configENS1_25partition_config_selectorILNS1_17partition_subalgoE6EiNS0_10empty_typeEbEEZZNS1_14partition_implILS5_6ELb0ES3_mN6thrust23THRUST_200600_302600_NS6detail15normal_iteratorINSA_10device_ptrIiEEEEPS6_SG_NS0_5tupleIJSF_S6_EEENSH_IJSG_SG_EEES6_PlJ7is_evenIiEEEE10hipError_tPvRmT3_T4_T5_T6_T7_T9_mT8_P12ihipStream_tbDpT10_ENKUlT_T0_E_clISt17integral_constantIbLb1EES15_IbLb0EEEEDaS11_S12_EUlS11_E_NS1_11comp_targetILNS1_3genE8ELNS1_11target_archE1030ELNS1_3gpuE2ELNS1_3repE0EEENS1_30default_config_static_selectorELNS0_4arch9wavefront6targetE0EEEvT1_
; %bb.0:
	.section	.rodata,"a",@progbits
	.p2align	6, 0x0
	.amdhsa_kernel _ZN7rocprim17ROCPRIM_400000_NS6detail17trampoline_kernelINS0_14default_configENS1_25partition_config_selectorILNS1_17partition_subalgoE6EiNS0_10empty_typeEbEEZZNS1_14partition_implILS5_6ELb0ES3_mN6thrust23THRUST_200600_302600_NS6detail15normal_iteratorINSA_10device_ptrIiEEEEPS6_SG_NS0_5tupleIJSF_S6_EEENSH_IJSG_SG_EEES6_PlJ7is_evenIiEEEE10hipError_tPvRmT3_T4_T5_T6_T7_T9_mT8_P12ihipStream_tbDpT10_ENKUlT_T0_E_clISt17integral_constantIbLb1EES15_IbLb0EEEEDaS11_S12_EUlS11_E_NS1_11comp_targetILNS1_3genE8ELNS1_11target_archE1030ELNS1_3gpuE2ELNS1_3repE0EEENS1_30default_config_static_selectorELNS0_4arch9wavefront6targetE0EEEvT1_
		.amdhsa_group_segment_fixed_size 0
		.amdhsa_private_segment_fixed_size 0
		.amdhsa_kernarg_size 112
		.amdhsa_user_sgpr_count 15
		.amdhsa_user_sgpr_dispatch_ptr 0
		.amdhsa_user_sgpr_queue_ptr 0
		.amdhsa_user_sgpr_kernarg_segment_ptr 1
		.amdhsa_user_sgpr_dispatch_id 0
		.amdhsa_user_sgpr_private_segment_size 0
		.amdhsa_wavefront_size32 1
		.amdhsa_uses_dynamic_stack 0
		.amdhsa_enable_private_segment 0
		.amdhsa_system_sgpr_workgroup_id_x 1
		.amdhsa_system_sgpr_workgroup_id_y 0
		.amdhsa_system_sgpr_workgroup_id_z 0
		.amdhsa_system_sgpr_workgroup_info 0
		.amdhsa_system_vgpr_workitem_id 0
		.amdhsa_next_free_vgpr 1
		.amdhsa_next_free_sgpr 1
		.amdhsa_reserve_vcc 0
		.amdhsa_float_round_mode_32 0
		.amdhsa_float_round_mode_16_64 0
		.amdhsa_float_denorm_mode_32 3
		.amdhsa_float_denorm_mode_16_64 3
		.amdhsa_dx10_clamp 1
		.amdhsa_ieee_mode 1
		.amdhsa_fp16_overflow 0
		.amdhsa_workgroup_processor_mode 1
		.amdhsa_memory_ordered 1
		.amdhsa_forward_progress 0
		.amdhsa_shared_vgpr_count 0
		.amdhsa_exception_fp_ieee_invalid_op 0
		.amdhsa_exception_fp_denorm_src 0
		.amdhsa_exception_fp_ieee_div_zero 0
		.amdhsa_exception_fp_ieee_overflow 0
		.amdhsa_exception_fp_ieee_underflow 0
		.amdhsa_exception_fp_ieee_inexact 0
		.amdhsa_exception_int_div_zero 0
	.end_amdhsa_kernel
	.section	.text._ZN7rocprim17ROCPRIM_400000_NS6detail17trampoline_kernelINS0_14default_configENS1_25partition_config_selectorILNS1_17partition_subalgoE6EiNS0_10empty_typeEbEEZZNS1_14partition_implILS5_6ELb0ES3_mN6thrust23THRUST_200600_302600_NS6detail15normal_iteratorINSA_10device_ptrIiEEEEPS6_SG_NS0_5tupleIJSF_S6_EEENSH_IJSG_SG_EEES6_PlJ7is_evenIiEEEE10hipError_tPvRmT3_T4_T5_T6_T7_T9_mT8_P12ihipStream_tbDpT10_ENKUlT_T0_E_clISt17integral_constantIbLb1EES15_IbLb0EEEEDaS11_S12_EUlS11_E_NS1_11comp_targetILNS1_3genE8ELNS1_11target_archE1030ELNS1_3gpuE2ELNS1_3repE0EEENS1_30default_config_static_selectorELNS0_4arch9wavefront6targetE0EEEvT1_,"axG",@progbits,_ZN7rocprim17ROCPRIM_400000_NS6detail17trampoline_kernelINS0_14default_configENS1_25partition_config_selectorILNS1_17partition_subalgoE6EiNS0_10empty_typeEbEEZZNS1_14partition_implILS5_6ELb0ES3_mN6thrust23THRUST_200600_302600_NS6detail15normal_iteratorINSA_10device_ptrIiEEEEPS6_SG_NS0_5tupleIJSF_S6_EEENSH_IJSG_SG_EEES6_PlJ7is_evenIiEEEE10hipError_tPvRmT3_T4_T5_T6_T7_T9_mT8_P12ihipStream_tbDpT10_ENKUlT_T0_E_clISt17integral_constantIbLb1EES15_IbLb0EEEEDaS11_S12_EUlS11_E_NS1_11comp_targetILNS1_3genE8ELNS1_11target_archE1030ELNS1_3gpuE2ELNS1_3repE0EEENS1_30default_config_static_selectorELNS0_4arch9wavefront6targetE0EEEvT1_,comdat
.Lfunc_end415:
	.size	_ZN7rocprim17ROCPRIM_400000_NS6detail17trampoline_kernelINS0_14default_configENS1_25partition_config_selectorILNS1_17partition_subalgoE6EiNS0_10empty_typeEbEEZZNS1_14partition_implILS5_6ELb0ES3_mN6thrust23THRUST_200600_302600_NS6detail15normal_iteratorINSA_10device_ptrIiEEEEPS6_SG_NS0_5tupleIJSF_S6_EEENSH_IJSG_SG_EEES6_PlJ7is_evenIiEEEE10hipError_tPvRmT3_T4_T5_T6_T7_T9_mT8_P12ihipStream_tbDpT10_ENKUlT_T0_E_clISt17integral_constantIbLb1EES15_IbLb0EEEEDaS11_S12_EUlS11_E_NS1_11comp_targetILNS1_3genE8ELNS1_11target_archE1030ELNS1_3gpuE2ELNS1_3repE0EEENS1_30default_config_static_selectorELNS0_4arch9wavefront6targetE0EEEvT1_, .Lfunc_end415-_ZN7rocprim17ROCPRIM_400000_NS6detail17trampoline_kernelINS0_14default_configENS1_25partition_config_selectorILNS1_17partition_subalgoE6EiNS0_10empty_typeEbEEZZNS1_14partition_implILS5_6ELb0ES3_mN6thrust23THRUST_200600_302600_NS6detail15normal_iteratorINSA_10device_ptrIiEEEEPS6_SG_NS0_5tupleIJSF_S6_EEENSH_IJSG_SG_EEES6_PlJ7is_evenIiEEEE10hipError_tPvRmT3_T4_T5_T6_T7_T9_mT8_P12ihipStream_tbDpT10_ENKUlT_T0_E_clISt17integral_constantIbLb1EES15_IbLb0EEEEDaS11_S12_EUlS11_E_NS1_11comp_targetILNS1_3genE8ELNS1_11target_archE1030ELNS1_3gpuE2ELNS1_3repE0EEENS1_30default_config_static_selectorELNS0_4arch9wavefront6targetE0EEEvT1_
                                        ; -- End function
	.section	.AMDGPU.csdata,"",@progbits
; Kernel info:
; codeLenInByte = 0
; NumSgprs: 0
; NumVgprs: 0
; ScratchSize: 0
; MemoryBound: 0
; FloatMode: 240
; IeeeMode: 1
; LDSByteSize: 0 bytes/workgroup (compile time only)
; SGPRBlocks: 0
; VGPRBlocks: 0
; NumSGPRsForWavesPerEU: 1
; NumVGPRsForWavesPerEU: 1
; Occupancy: 16
; WaveLimiterHint : 0
; COMPUTE_PGM_RSRC2:SCRATCH_EN: 0
; COMPUTE_PGM_RSRC2:USER_SGPR: 15
; COMPUTE_PGM_RSRC2:TRAP_HANDLER: 0
; COMPUTE_PGM_RSRC2:TGID_X_EN: 1
; COMPUTE_PGM_RSRC2:TGID_Y_EN: 0
; COMPUTE_PGM_RSRC2:TGID_Z_EN: 0
; COMPUTE_PGM_RSRC2:TIDIG_COMP_CNT: 0
	.section	.text._ZN7rocprim17ROCPRIM_400000_NS6detail17trampoline_kernelINS0_14default_configENS1_25partition_config_selectorILNS1_17partition_subalgoE6EiNS0_10empty_typeEbEEZZNS1_14partition_implILS5_6ELb0ES3_mN6thrust23THRUST_200600_302600_NS6detail15normal_iteratorINSA_10device_ptrIiEEEEPS6_SG_NS0_5tupleIJSF_S6_EEENSH_IJSG_SG_EEES6_PlJ7is_evenIiEEEE10hipError_tPvRmT3_T4_T5_T6_T7_T9_mT8_P12ihipStream_tbDpT10_ENKUlT_T0_E_clISt17integral_constantIbLb0EES15_IbLb1EEEEDaS11_S12_EUlS11_E_NS1_11comp_targetILNS1_3genE0ELNS1_11target_archE4294967295ELNS1_3gpuE0ELNS1_3repE0EEENS1_30default_config_static_selectorELNS0_4arch9wavefront6targetE0EEEvT1_,"axG",@progbits,_ZN7rocprim17ROCPRIM_400000_NS6detail17trampoline_kernelINS0_14default_configENS1_25partition_config_selectorILNS1_17partition_subalgoE6EiNS0_10empty_typeEbEEZZNS1_14partition_implILS5_6ELb0ES3_mN6thrust23THRUST_200600_302600_NS6detail15normal_iteratorINSA_10device_ptrIiEEEEPS6_SG_NS0_5tupleIJSF_S6_EEENSH_IJSG_SG_EEES6_PlJ7is_evenIiEEEE10hipError_tPvRmT3_T4_T5_T6_T7_T9_mT8_P12ihipStream_tbDpT10_ENKUlT_T0_E_clISt17integral_constantIbLb0EES15_IbLb1EEEEDaS11_S12_EUlS11_E_NS1_11comp_targetILNS1_3genE0ELNS1_11target_archE4294967295ELNS1_3gpuE0ELNS1_3repE0EEENS1_30default_config_static_selectorELNS0_4arch9wavefront6targetE0EEEvT1_,comdat
	.protected	_ZN7rocprim17ROCPRIM_400000_NS6detail17trampoline_kernelINS0_14default_configENS1_25partition_config_selectorILNS1_17partition_subalgoE6EiNS0_10empty_typeEbEEZZNS1_14partition_implILS5_6ELb0ES3_mN6thrust23THRUST_200600_302600_NS6detail15normal_iteratorINSA_10device_ptrIiEEEEPS6_SG_NS0_5tupleIJSF_S6_EEENSH_IJSG_SG_EEES6_PlJ7is_evenIiEEEE10hipError_tPvRmT3_T4_T5_T6_T7_T9_mT8_P12ihipStream_tbDpT10_ENKUlT_T0_E_clISt17integral_constantIbLb0EES15_IbLb1EEEEDaS11_S12_EUlS11_E_NS1_11comp_targetILNS1_3genE0ELNS1_11target_archE4294967295ELNS1_3gpuE0ELNS1_3repE0EEENS1_30default_config_static_selectorELNS0_4arch9wavefront6targetE0EEEvT1_ ; -- Begin function _ZN7rocprim17ROCPRIM_400000_NS6detail17trampoline_kernelINS0_14default_configENS1_25partition_config_selectorILNS1_17partition_subalgoE6EiNS0_10empty_typeEbEEZZNS1_14partition_implILS5_6ELb0ES3_mN6thrust23THRUST_200600_302600_NS6detail15normal_iteratorINSA_10device_ptrIiEEEEPS6_SG_NS0_5tupleIJSF_S6_EEENSH_IJSG_SG_EEES6_PlJ7is_evenIiEEEE10hipError_tPvRmT3_T4_T5_T6_T7_T9_mT8_P12ihipStream_tbDpT10_ENKUlT_T0_E_clISt17integral_constantIbLb0EES15_IbLb1EEEEDaS11_S12_EUlS11_E_NS1_11comp_targetILNS1_3genE0ELNS1_11target_archE4294967295ELNS1_3gpuE0ELNS1_3repE0EEENS1_30default_config_static_selectorELNS0_4arch9wavefront6targetE0EEEvT1_
	.globl	_ZN7rocprim17ROCPRIM_400000_NS6detail17trampoline_kernelINS0_14default_configENS1_25partition_config_selectorILNS1_17partition_subalgoE6EiNS0_10empty_typeEbEEZZNS1_14partition_implILS5_6ELb0ES3_mN6thrust23THRUST_200600_302600_NS6detail15normal_iteratorINSA_10device_ptrIiEEEEPS6_SG_NS0_5tupleIJSF_S6_EEENSH_IJSG_SG_EEES6_PlJ7is_evenIiEEEE10hipError_tPvRmT3_T4_T5_T6_T7_T9_mT8_P12ihipStream_tbDpT10_ENKUlT_T0_E_clISt17integral_constantIbLb0EES15_IbLb1EEEEDaS11_S12_EUlS11_E_NS1_11comp_targetILNS1_3genE0ELNS1_11target_archE4294967295ELNS1_3gpuE0ELNS1_3repE0EEENS1_30default_config_static_selectorELNS0_4arch9wavefront6targetE0EEEvT1_
	.p2align	8
	.type	_ZN7rocprim17ROCPRIM_400000_NS6detail17trampoline_kernelINS0_14default_configENS1_25partition_config_selectorILNS1_17partition_subalgoE6EiNS0_10empty_typeEbEEZZNS1_14partition_implILS5_6ELb0ES3_mN6thrust23THRUST_200600_302600_NS6detail15normal_iteratorINSA_10device_ptrIiEEEEPS6_SG_NS0_5tupleIJSF_S6_EEENSH_IJSG_SG_EEES6_PlJ7is_evenIiEEEE10hipError_tPvRmT3_T4_T5_T6_T7_T9_mT8_P12ihipStream_tbDpT10_ENKUlT_T0_E_clISt17integral_constantIbLb0EES15_IbLb1EEEEDaS11_S12_EUlS11_E_NS1_11comp_targetILNS1_3genE0ELNS1_11target_archE4294967295ELNS1_3gpuE0ELNS1_3repE0EEENS1_30default_config_static_selectorELNS0_4arch9wavefront6targetE0EEEvT1_,@function
_ZN7rocprim17ROCPRIM_400000_NS6detail17trampoline_kernelINS0_14default_configENS1_25partition_config_selectorILNS1_17partition_subalgoE6EiNS0_10empty_typeEbEEZZNS1_14partition_implILS5_6ELb0ES3_mN6thrust23THRUST_200600_302600_NS6detail15normal_iteratorINSA_10device_ptrIiEEEEPS6_SG_NS0_5tupleIJSF_S6_EEENSH_IJSG_SG_EEES6_PlJ7is_evenIiEEEE10hipError_tPvRmT3_T4_T5_T6_T7_T9_mT8_P12ihipStream_tbDpT10_ENKUlT_T0_E_clISt17integral_constantIbLb0EES15_IbLb1EEEEDaS11_S12_EUlS11_E_NS1_11comp_targetILNS1_3genE0ELNS1_11target_archE4294967295ELNS1_3gpuE0ELNS1_3repE0EEENS1_30default_config_static_selectorELNS0_4arch9wavefront6targetE0EEEvT1_: ; @_ZN7rocprim17ROCPRIM_400000_NS6detail17trampoline_kernelINS0_14default_configENS1_25partition_config_selectorILNS1_17partition_subalgoE6EiNS0_10empty_typeEbEEZZNS1_14partition_implILS5_6ELb0ES3_mN6thrust23THRUST_200600_302600_NS6detail15normal_iteratorINSA_10device_ptrIiEEEEPS6_SG_NS0_5tupleIJSF_S6_EEENSH_IJSG_SG_EEES6_PlJ7is_evenIiEEEE10hipError_tPvRmT3_T4_T5_T6_T7_T9_mT8_P12ihipStream_tbDpT10_ENKUlT_T0_E_clISt17integral_constantIbLb0EES15_IbLb1EEEEDaS11_S12_EUlS11_E_NS1_11comp_targetILNS1_3genE0ELNS1_11target_archE4294967295ELNS1_3gpuE0ELNS1_3repE0EEENS1_30default_config_static_selectorELNS0_4arch9wavefront6targetE0EEEvT1_
; %bb.0:
	.section	.rodata,"a",@progbits
	.p2align	6, 0x0
	.amdhsa_kernel _ZN7rocprim17ROCPRIM_400000_NS6detail17trampoline_kernelINS0_14default_configENS1_25partition_config_selectorILNS1_17partition_subalgoE6EiNS0_10empty_typeEbEEZZNS1_14partition_implILS5_6ELb0ES3_mN6thrust23THRUST_200600_302600_NS6detail15normal_iteratorINSA_10device_ptrIiEEEEPS6_SG_NS0_5tupleIJSF_S6_EEENSH_IJSG_SG_EEES6_PlJ7is_evenIiEEEE10hipError_tPvRmT3_T4_T5_T6_T7_T9_mT8_P12ihipStream_tbDpT10_ENKUlT_T0_E_clISt17integral_constantIbLb0EES15_IbLb1EEEEDaS11_S12_EUlS11_E_NS1_11comp_targetILNS1_3genE0ELNS1_11target_archE4294967295ELNS1_3gpuE0ELNS1_3repE0EEENS1_30default_config_static_selectorELNS0_4arch9wavefront6targetE0EEEvT1_
		.amdhsa_group_segment_fixed_size 0
		.amdhsa_private_segment_fixed_size 0
		.amdhsa_kernarg_size 128
		.amdhsa_user_sgpr_count 15
		.amdhsa_user_sgpr_dispatch_ptr 0
		.amdhsa_user_sgpr_queue_ptr 0
		.amdhsa_user_sgpr_kernarg_segment_ptr 1
		.amdhsa_user_sgpr_dispatch_id 0
		.amdhsa_user_sgpr_private_segment_size 0
		.amdhsa_wavefront_size32 1
		.amdhsa_uses_dynamic_stack 0
		.amdhsa_enable_private_segment 0
		.amdhsa_system_sgpr_workgroup_id_x 1
		.amdhsa_system_sgpr_workgroup_id_y 0
		.amdhsa_system_sgpr_workgroup_id_z 0
		.amdhsa_system_sgpr_workgroup_info 0
		.amdhsa_system_vgpr_workitem_id 0
		.amdhsa_next_free_vgpr 1
		.amdhsa_next_free_sgpr 1
		.amdhsa_reserve_vcc 0
		.amdhsa_float_round_mode_32 0
		.amdhsa_float_round_mode_16_64 0
		.amdhsa_float_denorm_mode_32 3
		.amdhsa_float_denorm_mode_16_64 3
		.amdhsa_dx10_clamp 1
		.amdhsa_ieee_mode 1
		.amdhsa_fp16_overflow 0
		.amdhsa_workgroup_processor_mode 1
		.amdhsa_memory_ordered 1
		.amdhsa_forward_progress 0
		.amdhsa_shared_vgpr_count 0
		.amdhsa_exception_fp_ieee_invalid_op 0
		.amdhsa_exception_fp_denorm_src 0
		.amdhsa_exception_fp_ieee_div_zero 0
		.amdhsa_exception_fp_ieee_overflow 0
		.amdhsa_exception_fp_ieee_underflow 0
		.amdhsa_exception_fp_ieee_inexact 0
		.amdhsa_exception_int_div_zero 0
	.end_amdhsa_kernel
	.section	.text._ZN7rocprim17ROCPRIM_400000_NS6detail17trampoline_kernelINS0_14default_configENS1_25partition_config_selectorILNS1_17partition_subalgoE6EiNS0_10empty_typeEbEEZZNS1_14partition_implILS5_6ELb0ES3_mN6thrust23THRUST_200600_302600_NS6detail15normal_iteratorINSA_10device_ptrIiEEEEPS6_SG_NS0_5tupleIJSF_S6_EEENSH_IJSG_SG_EEES6_PlJ7is_evenIiEEEE10hipError_tPvRmT3_T4_T5_T6_T7_T9_mT8_P12ihipStream_tbDpT10_ENKUlT_T0_E_clISt17integral_constantIbLb0EES15_IbLb1EEEEDaS11_S12_EUlS11_E_NS1_11comp_targetILNS1_3genE0ELNS1_11target_archE4294967295ELNS1_3gpuE0ELNS1_3repE0EEENS1_30default_config_static_selectorELNS0_4arch9wavefront6targetE0EEEvT1_,"axG",@progbits,_ZN7rocprim17ROCPRIM_400000_NS6detail17trampoline_kernelINS0_14default_configENS1_25partition_config_selectorILNS1_17partition_subalgoE6EiNS0_10empty_typeEbEEZZNS1_14partition_implILS5_6ELb0ES3_mN6thrust23THRUST_200600_302600_NS6detail15normal_iteratorINSA_10device_ptrIiEEEEPS6_SG_NS0_5tupleIJSF_S6_EEENSH_IJSG_SG_EEES6_PlJ7is_evenIiEEEE10hipError_tPvRmT3_T4_T5_T6_T7_T9_mT8_P12ihipStream_tbDpT10_ENKUlT_T0_E_clISt17integral_constantIbLb0EES15_IbLb1EEEEDaS11_S12_EUlS11_E_NS1_11comp_targetILNS1_3genE0ELNS1_11target_archE4294967295ELNS1_3gpuE0ELNS1_3repE0EEENS1_30default_config_static_selectorELNS0_4arch9wavefront6targetE0EEEvT1_,comdat
.Lfunc_end416:
	.size	_ZN7rocprim17ROCPRIM_400000_NS6detail17trampoline_kernelINS0_14default_configENS1_25partition_config_selectorILNS1_17partition_subalgoE6EiNS0_10empty_typeEbEEZZNS1_14partition_implILS5_6ELb0ES3_mN6thrust23THRUST_200600_302600_NS6detail15normal_iteratorINSA_10device_ptrIiEEEEPS6_SG_NS0_5tupleIJSF_S6_EEENSH_IJSG_SG_EEES6_PlJ7is_evenIiEEEE10hipError_tPvRmT3_T4_T5_T6_T7_T9_mT8_P12ihipStream_tbDpT10_ENKUlT_T0_E_clISt17integral_constantIbLb0EES15_IbLb1EEEEDaS11_S12_EUlS11_E_NS1_11comp_targetILNS1_3genE0ELNS1_11target_archE4294967295ELNS1_3gpuE0ELNS1_3repE0EEENS1_30default_config_static_selectorELNS0_4arch9wavefront6targetE0EEEvT1_, .Lfunc_end416-_ZN7rocprim17ROCPRIM_400000_NS6detail17trampoline_kernelINS0_14default_configENS1_25partition_config_selectorILNS1_17partition_subalgoE6EiNS0_10empty_typeEbEEZZNS1_14partition_implILS5_6ELb0ES3_mN6thrust23THRUST_200600_302600_NS6detail15normal_iteratorINSA_10device_ptrIiEEEEPS6_SG_NS0_5tupleIJSF_S6_EEENSH_IJSG_SG_EEES6_PlJ7is_evenIiEEEE10hipError_tPvRmT3_T4_T5_T6_T7_T9_mT8_P12ihipStream_tbDpT10_ENKUlT_T0_E_clISt17integral_constantIbLb0EES15_IbLb1EEEEDaS11_S12_EUlS11_E_NS1_11comp_targetILNS1_3genE0ELNS1_11target_archE4294967295ELNS1_3gpuE0ELNS1_3repE0EEENS1_30default_config_static_selectorELNS0_4arch9wavefront6targetE0EEEvT1_
                                        ; -- End function
	.section	.AMDGPU.csdata,"",@progbits
; Kernel info:
; codeLenInByte = 0
; NumSgprs: 0
; NumVgprs: 0
; ScratchSize: 0
; MemoryBound: 0
; FloatMode: 240
; IeeeMode: 1
; LDSByteSize: 0 bytes/workgroup (compile time only)
; SGPRBlocks: 0
; VGPRBlocks: 0
; NumSGPRsForWavesPerEU: 1
; NumVGPRsForWavesPerEU: 1
; Occupancy: 16
; WaveLimiterHint : 0
; COMPUTE_PGM_RSRC2:SCRATCH_EN: 0
; COMPUTE_PGM_RSRC2:USER_SGPR: 15
; COMPUTE_PGM_RSRC2:TRAP_HANDLER: 0
; COMPUTE_PGM_RSRC2:TGID_X_EN: 1
; COMPUTE_PGM_RSRC2:TGID_Y_EN: 0
; COMPUTE_PGM_RSRC2:TGID_Z_EN: 0
; COMPUTE_PGM_RSRC2:TIDIG_COMP_CNT: 0
	.section	.text._ZN7rocprim17ROCPRIM_400000_NS6detail17trampoline_kernelINS0_14default_configENS1_25partition_config_selectorILNS1_17partition_subalgoE6EiNS0_10empty_typeEbEEZZNS1_14partition_implILS5_6ELb0ES3_mN6thrust23THRUST_200600_302600_NS6detail15normal_iteratorINSA_10device_ptrIiEEEEPS6_SG_NS0_5tupleIJSF_S6_EEENSH_IJSG_SG_EEES6_PlJ7is_evenIiEEEE10hipError_tPvRmT3_T4_T5_T6_T7_T9_mT8_P12ihipStream_tbDpT10_ENKUlT_T0_E_clISt17integral_constantIbLb0EES15_IbLb1EEEEDaS11_S12_EUlS11_E_NS1_11comp_targetILNS1_3genE5ELNS1_11target_archE942ELNS1_3gpuE9ELNS1_3repE0EEENS1_30default_config_static_selectorELNS0_4arch9wavefront6targetE0EEEvT1_,"axG",@progbits,_ZN7rocprim17ROCPRIM_400000_NS6detail17trampoline_kernelINS0_14default_configENS1_25partition_config_selectorILNS1_17partition_subalgoE6EiNS0_10empty_typeEbEEZZNS1_14partition_implILS5_6ELb0ES3_mN6thrust23THRUST_200600_302600_NS6detail15normal_iteratorINSA_10device_ptrIiEEEEPS6_SG_NS0_5tupleIJSF_S6_EEENSH_IJSG_SG_EEES6_PlJ7is_evenIiEEEE10hipError_tPvRmT3_T4_T5_T6_T7_T9_mT8_P12ihipStream_tbDpT10_ENKUlT_T0_E_clISt17integral_constantIbLb0EES15_IbLb1EEEEDaS11_S12_EUlS11_E_NS1_11comp_targetILNS1_3genE5ELNS1_11target_archE942ELNS1_3gpuE9ELNS1_3repE0EEENS1_30default_config_static_selectorELNS0_4arch9wavefront6targetE0EEEvT1_,comdat
	.protected	_ZN7rocprim17ROCPRIM_400000_NS6detail17trampoline_kernelINS0_14default_configENS1_25partition_config_selectorILNS1_17partition_subalgoE6EiNS0_10empty_typeEbEEZZNS1_14partition_implILS5_6ELb0ES3_mN6thrust23THRUST_200600_302600_NS6detail15normal_iteratorINSA_10device_ptrIiEEEEPS6_SG_NS0_5tupleIJSF_S6_EEENSH_IJSG_SG_EEES6_PlJ7is_evenIiEEEE10hipError_tPvRmT3_T4_T5_T6_T7_T9_mT8_P12ihipStream_tbDpT10_ENKUlT_T0_E_clISt17integral_constantIbLb0EES15_IbLb1EEEEDaS11_S12_EUlS11_E_NS1_11comp_targetILNS1_3genE5ELNS1_11target_archE942ELNS1_3gpuE9ELNS1_3repE0EEENS1_30default_config_static_selectorELNS0_4arch9wavefront6targetE0EEEvT1_ ; -- Begin function _ZN7rocprim17ROCPRIM_400000_NS6detail17trampoline_kernelINS0_14default_configENS1_25partition_config_selectorILNS1_17partition_subalgoE6EiNS0_10empty_typeEbEEZZNS1_14partition_implILS5_6ELb0ES3_mN6thrust23THRUST_200600_302600_NS6detail15normal_iteratorINSA_10device_ptrIiEEEEPS6_SG_NS0_5tupleIJSF_S6_EEENSH_IJSG_SG_EEES6_PlJ7is_evenIiEEEE10hipError_tPvRmT3_T4_T5_T6_T7_T9_mT8_P12ihipStream_tbDpT10_ENKUlT_T0_E_clISt17integral_constantIbLb0EES15_IbLb1EEEEDaS11_S12_EUlS11_E_NS1_11comp_targetILNS1_3genE5ELNS1_11target_archE942ELNS1_3gpuE9ELNS1_3repE0EEENS1_30default_config_static_selectorELNS0_4arch9wavefront6targetE0EEEvT1_
	.globl	_ZN7rocprim17ROCPRIM_400000_NS6detail17trampoline_kernelINS0_14default_configENS1_25partition_config_selectorILNS1_17partition_subalgoE6EiNS0_10empty_typeEbEEZZNS1_14partition_implILS5_6ELb0ES3_mN6thrust23THRUST_200600_302600_NS6detail15normal_iteratorINSA_10device_ptrIiEEEEPS6_SG_NS0_5tupleIJSF_S6_EEENSH_IJSG_SG_EEES6_PlJ7is_evenIiEEEE10hipError_tPvRmT3_T4_T5_T6_T7_T9_mT8_P12ihipStream_tbDpT10_ENKUlT_T0_E_clISt17integral_constantIbLb0EES15_IbLb1EEEEDaS11_S12_EUlS11_E_NS1_11comp_targetILNS1_3genE5ELNS1_11target_archE942ELNS1_3gpuE9ELNS1_3repE0EEENS1_30default_config_static_selectorELNS0_4arch9wavefront6targetE0EEEvT1_
	.p2align	8
	.type	_ZN7rocprim17ROCPRIM_400000_NS6detail17trampoline_kernelINS0_14default_configENS1_25partition_config_selectorILNS1_17partition_subalgoE6EiNS0_10empty_typeEbEEZZNS1_14partition_implILS5_6ELb0ES3_mN6thrust23THRUST_200600_302600_NS6detail15normal_iteratorINSA_10device_ptrIiEEEEPS6_SG_NS0_5tupleIJSF_S6_EEENSH_IJSG_SG_EEES6_PlJ7is_evenIiEEEE10hipError_tPvRmT3_T4_T5_T6_T7_T9_mT8_P12ihipStream_tbDpT10_ENKUlT_T0_E_clISt17integral_constantIbLb0EES15_IbLb1EEEEDaS11_S12_EUlS11_E_NS1_11comp_targetILNS1_3genE5ELNS1_11target_archE942ELNS1_3gpuE9ELNS1_3repE0EEENS1_30default_config_static_selectorELNS0_4arch9wavefront6targetE0EEEvT1_,@function
_ZN7rocprim17ROCPRIM_400000_NS6detail17trampoline_kernelINS0_14default_configENS1_25partition_config_selectorILNS1_17partition_subalgoE6EiNS0_10empty_typeEbEEZZNS1_14partition_implILS5_6ELb0ES3_mN6thrust23THRUST_200600_302600_NS6detail15normal_iteratorINSA_10device_ptrIiEEEEPS6_SG_NS0_5tupleIJSF_S6_EEENSH_IJSG_SG_EEES6_PlJ7is_evenIiEEEE10hipError_tPvRmT3_T4_T5_T6_T7_T9_mT8_P12ihipStream_tbDpT10_ENKUlT_T0_E_clISt17integral_constantIbLb0EES15_IbLb1EEEEDaS11_S12_EUlS11_E_NS1_11comp_targetILNS1_3genE5ELNS1_11target_archE942ELNS1_3gpuE9ELNS1_3repE0EEENS1_30default_config_static_selectorELNS0_4arch9wavefront6targetE0EEEvT1_: ; @_ZN7rocprim17ROCPRIM_400000_NS6detail17trampoline_kernelINS0_14default_configENS1_25partition_config_selectorILNS1_17partition_subalgoE6EiNS0_10empty_typeEbEEZZNS1_14partition_implILS5_6ELb0ES3_mN6thrust23THRUST_200600_302600_NS6detail15normal_iteratorINSA_10device_ptrIiEEEEPS6_SG_NS0_5tupleIJSF_S6_EEENSH_IJSG_SG_EEES6_PlJ7is_evenIiEEEE10hipError_tPvRmT3_T4_T5_T6_T7_T9_mT8_P12ihipStream_tbDpT10_ENKUlT_T0_E_clISt17integral_constantIbLb0EES15_IbLb1EEEEDaS11_S12_EUlS11_E_NS1_11comp_targetILNS1_3genE5ELNS1_11target_archE942ELNS1_3gpuE9ELNS1_3repE0EEENS1_30default_config_static_selectorELNS0_4arch9wavefront6targetE0EEEvT1_
; %bb.0:
	.section	.rodata,"a",@progbits
	.p2align	6, 0x0
	.amdhsa_kernel _ZN7rocprim17ROCPRIM_400000_NS6detail17trampoline_kernelINS0_14default_configENS1_25partition_config_selectorILNS1_17partition_subalgoE6EiNS0_10empty_typeEbEEZZNS1_14partition_implILS5_6ELb0ES3_mN6thrust23THRUST_200600_302600_NS6detail15normal_iteratorINSA_10device_ptrIiEEEEPS6_SG_NS0_5tupleIJSF_S6_EEENSH_IJSG_SG_EEES6_PlJ7is_evenIiEEEE10hipError_tPvRmT3_T4_T5_T6_T7_T9_mT8_P12ihipStream_tbDpT10_ENKUlT_T0_E_clISt17integral_constantIbLb0EES15_IbLb1EEEEDaS11_S12_EUlS11_E_NS1_11comp_targetILNS1_3genE5ELNS1_11target_archE942ELNS1_3gpuE9ELNS1_3repE0EEENS1_30default_config_static_selectorELNS0_4arch9wavefront6targetE0EEEvT1_
		.amdhsa_group_segment_fixed_size 0
		.amdhsa_private_segment_fixed_size 0
		.amdhsa_kernarg_size 128
		.amdhsa_user_sgpr_count 15
		.amdhsa_user_sgpr_dispatch_ptr 0
		.amdhsa_user_sgpr_queue_ptr 0
		.amdhsa_user_sgpr_kernarg_segment_ptr 1
		.amdhsa_user_sgpr_dispatch_id 0
		.amdhsa_user_sgpr_private_segment_size 0
		.amdhsa_wavefront_size32 1
		.amdhsa_uses_dynamic_stack 0
		.amdhsa_enable_private_segment 0
		.amdhsa_system_sgpr_workgroup_id_x 1
		.amdhsa_system_sgpr_workgroup_id_y 0
		.amdhsa_system_sgpr_workgroup_id_z 0
		.amdhsa_system_sgpr_workgroup_info 0
		.amdhsa_system_vgpr_workitem_id 0
		.amdhsa_next_free_vgpr 1
		.amdhsa_next_free_sgpr 1
		.amdhsa_reserve_vcc 0
		.amdhsa_float_round_mode_32 0
		.amdhsa_float_round_mode_16_64 0
		.amdhsa_float_denorm_mode_32 3
		.amdhsa_float_denorm_mode_16_64 3
		.amdhsa_dx10_clamp 1
		.amdhsa_ieee_mode 1
		.amdhsa_fp16_overflow 0
		.amdhsa_workgroup_processor_mode 1
		.amdhsa_memory_ordered 1
		.amdhsa_forward_progress 0
		.amdhsa_shared_vgpr_count 0
		.amdhsa_exception_fp_ieee_invalid_op 0
		.amdhsa_exception_fp_denorm_src 0
		.amdhsa_exception_fp_ieee_div_zero 0
		.amdhsa_exception_fp_ieee_overflow 0
		.amdhsa_exception_fp_ieee_underflow 0
		.amdhsa_exception_fp_ieee_inexact 0
		.amdhsa_exception_int_div_zero 0
	.end_amdhsa_kernel
	.section	.text._ZN7rocprim17ROCPRIM_400000_NS6detail17trampoline_kernelINS0_14default_configENS1_25partition_config_selectorILNS1_17partition_subalgoE6EiNS0_10empty_typeEbEEZZNS1_14partition_implILS5_6ELb0ES3_mN6thrust23THRUST_200600_302600_NS6detail15normal_iteratorINSA_10device_ptrIiEEEEPS6_SG_NS0_5tupleIJSF_S6_EEENSH_IJSG_SG_EEES6_PlJ7is_evenIiEEEE10hipError_tPvRmT3_T4_T5_T6_T7_T9_mT8_P12ihipStream_tbDpT10_ENKUlT_T0_E_clISt17integral_constantIbLb0EES15_IbLb1EEEEDaS11_S12_EUlS11_E_NS1_11comp_targetILNS1_3genE5ELNS1_11target_archE942ELNS1_3gpuE9ELNS1_3repE0EEENS1_30default_config_static_selectorELNS0_4arch9wavefront6targetE0EEEvT1_,"axG",@progbits,_ZN7rocprim17ROCPRIM_400000_NS6detail17trampoline_kernelINS0_14default_configENS1_25partition_config_selectorILNS1_17partition_subalgoE6EiNS0_10empty_typeEbEEZZNS1_14partition_implILS5_6ELb0ES3_mN6thrust23THRUST_200600_302600_NS6detail15normal_iteratorINSA_10device_ptrIiEEEEPS6_SG_NS0_5tupleIJSF_S6_EEENSH_IJSG_SG_EEES6_PlJ7is_evenIiEEEE10hipError_tPvRmT3_T4_T5_T6_T7_T9_mT8_P12ihipStream_tbDpT10_ENKUlT_T0_E_clISt17integral_constantIbLb0EES15_IbLb1EEEEDaS11_S12_EUlS11_E_NS1_11comp_targetILNS1_3genE5ELNS1_11target_archE942ELNS1_3gpuE9ELNS1_3repE0EEENS1_30default_config_static_selectorELNS0_4arch9wavefront6targetE0EEEvT1_,comdat
.Lfunc_end417:
	.size	_ZN7rocprim17ROCPRIM_400000_NS6detail17trampoline_kernelINS0_14default_configENS1_25partition_config_selectorILNS1_17partition_subalgoE6EiNS0_10empty_typeEbEEZZNS1_14partition_implILS5_6ELb0ES3_mN6thrust23THRUST_200600_302600_NS6detail15normal_iteratorINSA_10device_ptrIiEEEEPS6_SG_NS0_5tupleIJSF_S6_EEENSH_IJSG_SG_EEES6_PlJ7is_evenIiEEEE10hipError_tPvRmT3_T4_T5_T6_T7_T9_mT8_P12ihipStream_tbDpT10_ENKUlT_T0_E_clISt17integral_constantIbLb0EES15_IbLb1EEEEDaS11_S12_EUlS11_E_NS1_11comp_targetILNS1_3genE5ELNS1_11target_archE942ELNS1_3gpuE9ELNS1_3repE0EEENS1_30default_config_static_selectorELNS0_4arch9wavefront6targetE0EEEvT1_, .Lfunc_end417-_ZN7rocprim17ROCPRIM_400000_NS6detail17trampoline_kernelINS0_14default_configENS1_25partition_config_selectorILNS1_17partition_subalgoE6EiNS0_10empty_typeEbEEZZNS1_14partition_implILS5_6ELb0ES3_mN6thrust23THRUST_200600_302600_NS6detail15normal_iteratorINSA_10device_ptrIiEEEEPS6_SG_NS0_5tupleIJSF_S6_EEENSH_IJSG_SG_EEES6_PlJ7is_evenIiEEEE10hipError_tPvRmT3_T4_T5_T6_T7_T9_mT8_P12ihipStream_tbDpT10_ENKUlT_T0_E_clISt17integral_constantIbLb0EES15_IbLb1EEEEDaS11_S12_EUlS11_E_NS1_11comp_targetILNS1_3genE5ELNS1_11target_archE942ELNS1_3gpuE9ELNS1_3repE0EEENS1_30default_config_static_selectorELNS0_4arch9wavefront6targetE0EEEvT1_
                                        ; -- End function
	.section	.AMDGPU.csdata,"",@progbits
; Kernel info:
; codeLenInByte = 0
; NumSgprs: 0
; NumVgprs: 0
; ScratchSize: 0
; MemoryBound: 0
; FloatMode: 240
; IeeeMode: 1
; LDSByteSize: 0 bytes/workgroup (compile time only)
; SGPRBlocks: 0
; VGPRBlocks: 0
; NumSGPRsForWavesPerEU: 1
; NumVGPRsForWavesPerEU: 1
; Occupancy: 16
; WaveLimiterHint : 0
; COMPUTE_PGM_RSRC2:SCRATCH_EN: 0
; COMPUTE_PGM_RSRC2:USER_SGPR: 15
; COMPUTE_PGM_RSRC2:TRAP_HANDLER: 0
; COMPUTE_PGM_RSRC2:TGID_X_EN: 1
; COMPUTE_PGM_RSRC2:TGID_Y_EN: 0
; COMPUTE_PGM_RSRC2:TGID_Z_EN: 0
; COMPUTE_PGM_RSRC2:TIDIG_COMP_CNT: 0
	.section	.text._ZN7rocprim17ROCPRIM_400000_NS6detail17trampoline_kernelINS0_14default_configENS1_25partition_config_selectorILNS1_17partition_subalgoE6EiNS0_10empty_typeEbEEZZNS1_14partition_implILS5_6ELb0ES3_mN6thrust23THRUST_200600_302600_NS6detail15normal_iteratorINSA_10device_ptrIiEEEEPS6_SG_NS0_5tupleIJSF_S6_EEENSH_IJSG_SG_EEES6_PlJ7is_evenIiEEEE10hipError_tPvRmT3_T4_T5_T6_T7_T9_mT8_P12ihipStream_tbDpT10_ENKUlT_T0_E_clISt17integral_constantIbLb0EES15_IbLb1EEEEDaS11_S12_EUlS11_E_NS1_11comp_targetILNS1_3genE4ELNS1_11target_archE910ELNS1_3gpuE8ELNS1_3repE0EEENS1_30default_config_static_selectorELNS0_4arch9wavefront6targetE0EEEvT1_,"axG",@progbits,_ZN7rocprim17ROCPRIM_400000_NS6detail17trampoline_kernelINS0_14default_configENS1_25partition_config_selectorILNS1_17partition_subalgoE6EiNS0_10empty_typeEbEEZZNS1_14partition_implILS5_6ELb0ES3_mN6thrust23THRUST_200600_302600_NS6detail15normal_iteratorINSA_10device_ptrIiEEEEPS6_SG_NS0_5tupleIJSF_S6_EEENSH_IJSG_SG_EEES6_PlJ7is_evenIiEEEE10hipError_tPvRmT3_T4_T5_T6_T7_T9_mT8_P12ihipStream_tbDpT10_ENKUlT_T0_E_clISt17integral_constantIbLb0EES15_IbLb1EEEEDaS11_S12_EUlS11_E_NS1_11comp_targetILNS1_3genE4ELNS1_11target_archE910ELNS1_3gpuE8ELNS1_3repE0EEENS1_30default_config_static_selectorELNS0_4arch9wavefront6targetE0EEEvT1_,comdat
	.protected	_ZN7rocprim17ROCPRIM_400000_NS6detail17trampoline_kernelINS0_14default_configENS1_25partition_config_selectorILNS1_17partition_subalgoE6EiNS0_10empty_typeEbEEZZNS1_14partition_implILS5_6ELb0ES3_mN6thrust23THRUST_200600_302600_NS6detail15normal_iteratorINSA_10device_ptrIiEEEEPS6_SG_NS0_5tupleIJSF_S6_EEENSH_IJSG_SG_EEES6_PlJ7is_evenIiEEEE10hipError_tPvRmT3_T4_T5_T6_T7_T9_mT8_P12ihipStream_tbDpT10_ENKUlT_T0_E_clISt17integral_constantIbLb0EES15_IbLb1EEEEDaS11_S12_EUlS11_E_NS1_11comp_targetILNS1_3genE4ELNS1_11target_archE910ELNS1_3gpuE8ELNS1_3repE0EEENS1_30default_config_static_selectorELNS0_4arch9wavefront6targetE0EEEvT1_ ; -- Begin function _ZN7rocprim17ROCPRIM_400000_NS6detail17trampoline_kernelINS0_14default_configENS1_25partition_config_selectorILNS1_17partition_subalgoE6EiNS0_10empty_typeEbEEZZNS1_14partition_implILS5_6ELb0ES3_mN6thrust23THRUST_200600_302600_NS6detail15normal_iteratorINSA_10device_ptrIiEEEEPS6_SG_NS0_5tupleIJSF_S6_EEENSH_IJSG_SG_EEES6_PlJ7is_evenIiEEEE10hipError_tPvRmT3_T4_T5_T6_T7_T9_mT8_P12ihipStream_tbDpT10_ENKUlT_T0_E_clISt17integral_constantIbLb0EES15_IbLb1EEEEDaS11_S12_EUlS11_E_NS1_11comp_targetILNS1_3genE4ELNS1_11target_archE910ELNS1_3gpuE8ELNS1_3repE0EEENS1_30default_config_static_selectorELNS0_4arch9wavefront6targetE0EEEvT1_
	.globl	_ZN7rocprim17ROCPRIM_400000_NS6detail17trampoline_kernelINS0_14default_configENS1_25partition_config_selectorILNS1_17partition_subalgoE6EiNS0_10empty_typeEbEEZZNS1_14partition_implILS5_6ELb0ES3_mN6thrust23THRUST_200600_302600_NS6detail15normal_iteratorINSA_10device_ptrIiEEEEPS6_SG_NS0_5tupleIJSF_S6_EEENSH_IJSG_SG_EEES6_PlJ7is_evenIiEEEE10hipError_tPvRmT3_T4_T5_T6_T7_T9_mT8_P12ihipStream_tbDpT10_ENKUlT_T0_E_clISt17integral_constantIbLb0EES15_IbLb1EEEEDaS11_S12_EUlS11_E_NS1_11comp_targetILNS1_3genE4ELNS1_11target_archE910ELNS1_3gpuE8ELNS1_3repE0EEENS1_30default_config_static_selectorELNS0_4arch9wavefront6targetE0EEEvT1_
	.p2align	8
	.type	_ZN7rocprim17ROCPRIM_400000_NS6detail17trampoline_kernelINS0_14default_configENS1_25partition_config_selectorILNS1_17partition_subalgoE6EiNS0_10empty_typeEbEEZZNS1_14partition_implILS5_6ELb0ES3_mN6thrust23THRUST_200600_302600_NS6detail15normal_iteratorINSA_10device_ptrIiEEEEPS6_SG_NS0_5tupleIJSF_S6_EEENSH_IJSG_SG_EEES6_PlJ7is_evenIiEEEE10hipError_tPvRmT3_T4_T5_T6_T7_T9_mT8_P12ihipStream_tbDpT10_ENKUlT_T0_E_clISt17integral_constantIbLb0EES15_IbLb1EEEEDaS11_S12_EUlS11_E_NS1_11comp_targetILNS1_3genE4ELNS1_11target_archE910ELNS1_3gpuE8ELNS1_3repE0EEENS1_30default_config_static_selectorELNS0_4arch9wavefront6targetE0EEEvT1_,@function
_ZN7rocprim17ROCPRIM_400000_NS6detail17trampoline_kernelINS0_14default_configENS1_25partition_config_selectorILNS1_17partition_subalgoE6EiNS0_10empty_typeEbEEZZNS1_14partition_implILS5_6ELb0ES3_mN6thrust23THRUST_200600_302600_NS6detail15normal_iteratorINSA_10device_ptrIiEEEEPS6_SG_NS0_5tupleIJSF_S6_EEENSH_IJSG_SG_EEES6_PlJ7is_evenIiEEEE10hipError_tPvRmT3_T4_T5_T6_T7_T9_mT8_P12ihipStream_tbDpT10_ENKUlT_T0_E_clISt17integral_constantIbLb0EES15_IbLb1EEEEDaS11_S12_EUlS11_E_NS1_11comp_targetILNS1_3genE4ELNS1_11target_archE910ELNS1_3gpuE8ELNS1_3repE0EEENS1_30default_config_static_selectorELNS0_4arch9wavefront6targetE0EEEvT1_: ; @_ZN7rocprim17ROCPRIM_400000_NS6detail17trampoline_kernelINS0_14default_configENS1_25partition_config_selectorILNS1_17partition_subalgoE6EiNS0_10empty_typeEbEEZZNS1_14partition_implILS5_6ELb0ES3_mN6thrust23THRUST_200600_302600_NS6detail15normal_iteratorINSA_10device_ptrIiEEEEPS6_SG_NS0_5tupleIJSF_S6_EEENSH_IJSG_SG_EEES6_PlJ7is_evenIiEEEE10hipError_tPvRmT3_T4_T5_T6_T7_T9_mT8_P12ihipStream_tbDpT10_ENKUlT_T0_E_clISt17integral_constantIbLb0EES15_IbLb1EEEEDaS11_S12_EUlS11_E_NS1_11comp_targetILNS1_3genE4ELNS1_11target_archE910ELNS1_3gpuE8ELNS1_3repE0EEENS1_30default_config_static_selectorELNS0_4arch9wavefront6targetE0EEEvT1_
; %bb.0:
	.section	.rodata,"a",@progbits
	.p2align	6, 0x0
	.amdhsa_kernel _ZN7rocprim17ROCPRIM_400000_NS6detail17trampoline_kernelINS0_14default_configENS1_25partition_config_selectorILNS1_17partition_subalgoE6EiNS0_10empty_typeEbEEZZNS1_14partition_implILS5_6ELb0ES3_mN6thrust23THRUST_200600_302600_NS6detail15normal_iteratorINSA_10device_ptrIiEEEEPS6_SG_NS0_5tupleIJSF_S6_EEENSH_IJSG_SG_EEES6_PlJ7is_evenIiEEEE10hipError_tPvRmT3_T4_T5_T6_T7_T9_mT8_P12ihipStream_tbDpT10_ENKUlT_T0_E_clISt17integral_constantIbLb0EES15_IbLb1EEEEDaS11_S12_EUlS11_E_NS1_11comp_targetILNS1_3genE4ELNS1_11target_archE910ELNS1_3gpuE8ELNS1_3repE0EEENS1_30default_config_static_selectorELNS0_4arch9wavefront6targetE0EEEvT1_
		.amdhsa_group_segment_fixed_size 0
		.amdhsa_private_segment_fixed_size 0
		.amdhsa_kernarg_size 128
		.amdhsa_user_sgpr_count 15
		.amdhsa_user_sgpr_dispatch_ptr 0
		.amdhsa_user_sgpr_queue_ptr 0
		.amdhsa_user_sgpr_kernarg_segment_ptr 1
		.amdhsa_user_sgpr_dispatch_id 0
		.amdhsa_user_sgpr_private_segment_size 0
		.amdhsa_wavefront_size32 1
		.amdhsa_uses_dynamic_stack 0
		.amdhsa_enable_private_segment 0
		.amdhsa_system_sgpr_workgroup_id_x 1
		.amdhsa_system_sgpr_workgroup_id_y 0
		.amdhsa_system_sgpr_workgroup_id_z 0
		.amdhsa_system_sgpr_workgroup_info 0
		.amdhsa_system_vgpr_workitem_id 0
		.amdhsa_next_free_vgpr 1
		.amdhsa_next_free_sgpr 1
		.amdhsa_reserve_vcc 0
		.amdhsa_float_round_mode_32 0
		.amdhsa_float_round_mode_16_64 0
		.amdhsa_float_denorm_mode_32 3
		.amdhsa_float_denorm_mode_16_64 3
		.amdhsa_dx10_clamp 1
		.amdhsa_ieee_mode 1
		.amdhsa_fp16_overflow 0
		.amdhsa_workgroup_processor_mode 1
		.amdhsa_memory_ordered 1
		.amdhsa_forward_progress 0
		.amdhsa_shared_vgpr_count 0
		.amdhsa_exception_fp_ieee_invalid_op 0
		.amdhsa_exception_fp_denorm_src 0
		.amdhsa_exception_fp_ieee_div_zero 0
		.amdhsa_exception_fp_ieee_overflow 0
		.amdhsa_exception_fp_ieee_underflow 0
		.amdhsa_exception_fp_ieee_inexact 0
		.amdhsa_exception_int_div_zero 0
	.end_amdhsa_kernel
	.section	.text._ZN7rocprim17ROCPRIM_400000_NS6detail17trampoline_kernelINS0_14default_configENS1_25partition_config_selectorILNS1_17partition_subalgoE6EiNS0_10empty_typeEbEEZZNS1_14partition_implILS5_6ELb0ES3_mN6thrust23THRUST_200600_302600_NS6detail15normal_iteratorINSA_10device_ptrIiEEEEPS6_SG_NS0_5tupleIJSF_S6_EEENSH_IJSG_SG_EEES6_PlJ7is_evenIiEEEE10hipError_tPvRmT3_T4_T5_T6_T7_T9_mT8_P12ihipStream_tbDpT10_ENKUlT_T0_E_clISt17integral_constantIbLb0EES15_IbLb1EEEEDaS11_S12_EUlS11_E_NS1_11comp_targetILNS1_3genE4ELNS1_11target_archE910ELNS1_3gpuE8ELNS1_3repE0EEENS1_30default_config_static_selectorELNS0_4arch9wavefront6targetE0EEEvT1_,"axG",@progbits,_ZN7rocprim17ROCPRIM_400000_NS6detail17trampoline_kernelINS0_14default_configENS1_25partition_config_selectorILNS1_17partition_subalgoE6EiNS0_10empty_typeEbEEZZNS1_14partition_implILS5_6ELb0ES3_mN6thrust23THRUST_200600_302600_NS6detail15normal_iteratorINSA_10device_ptrIiEEEEPS6_SG_NS0_5tupleIJSF_S6_EEENSH_IJSG_SG_EEES6_PlJ7is_evenIiEEEE10hipError_tPvRmT3_T4_T5_T6_T7_T9_mT8_P12ihipStream_tbDpT10_ENKUlT_T0_E_clISt17integral_constantIbLb0EES15_IbLb1EEEEDaS11_S12_EUlS11_E_NS1_11comp_targetILNS1_3genE4ELNS1_11target_archE910ELNS1_3gpuE8ELNS1_3repE0EEENS1_30default_config_static_selectorELNS0_4arch9wavefront6targetE0EEEvT1_,comdat
.Lfunc_end418:
	.size	_ZN7rocprim17ROCPRIM_400000_NS6detail17trampoline_kernelINS0_14default_configENS1_25partition_config_selectorILNS1_17partition_subalgoE6EiNS0_10empty_typeEbEEZZNS1_14partition_implILS5_6ELb0ES3_mN6thrust23THRUST_200600_302600_NS6detail15normal_iteratorINSA_10device_ptrIiEEEEPS6_SG_NS0_5tupleIJSF_S6_EEENSH_IJSG_SG_EEES6_PlJ7is_evenIiEEEE10hipError_tPvRmT3_T4_T5_T6_T7_T9_mT8_P12ihipStream_tbDpT10_ENKUlT_T0_E_clISt17integral_constantIbLb0EES15_IbLb1EEEEDaS11_S12_EUlS11_E_NS1_11comp_targetILNS1_3genE4ELNS1_11target_archE910ELNS1_3gpuE8ELNS1_3repE0EEENS1_30default_config_static_selectorELNS0_4arch9wavefront6targetE0EEEvT1_, .Lfunc_end418-_ZN7rocprim17ROCPRIM_400000_NS6detail17trampoline_kernelINS0_14default_configENS1_25partition_config_selectorILNS1_17partition_subalgoE6EiNS0_10empty_typeEbEEZZNS1_14partition_implILS5_6ELb0ES3_mN6thrust23THRUST_200600_302600_NS6detail15normal_iteratorINSA_10device_ptrIiEEEEPS6_SG_NS0_5tupleIJSF_S6_EEENSH_IJSG_SG_EEES6_PlJ7is_evenIiEEEE10hipError_tPvRmT3_T4_T5_T6_T7_T9_mT8_P12ihipStream_tbDpT10_ENKUlT_T0_E_clISt17integral_constantIbLb0EES15_IbLb1EEEEDaS11_S12_EUlS11_E_NS1_11comp_targetILNS1_3genE4ELNS1_11target_archE910ELNS1_3gpuE8ELNS1_3repE0EEENS1_30default_config_static_selectorELNS0_4arch9wavefront6targetE0EEEvT1_
                                        ; -- End function
	.section	.AMDGPU.csdata,"",@progbits
; Kernel info:
; codeLenInByte = 0
; NumSgprs: 0
; NumVgprs: 0
; ScratchSize: 0
; MemoryBound: 0
; FloatMode: 240
; IeeeMode: 1
; LDSByteSize: 0 bytes/workgroup (compile time only)
; SGPRBlocks: 0
; VGPRBlocks: 0
; NumSGPRsForWavesPerEU: 1
; NumVGPRsForWavesPerEU: 1
; Occupancy: 16
; WaveLimiterHint : 0
; COMPUTE_PGM_RSRC2:SCRATCH_EN: 0
; COMPUTE_PGM_RSRC2:USER_SGPR: 15
; COMPUTE_PGM_RSRC2:TRAP_HANDLER: 0
; COMPUTE_PGM_RSRC2:TGID_X_EN: 1
; COMPUTE_PGM_RSRC2:TGID_Y_EN: 0
; COMPUTE_PGM_RSRC2:TGID_Z_EN: 0
; COMPUTE_PGM_RSRC2:TIDIG_COMP_CNT: 0
	.section	.text._ZN7rocprim17ROCPRIM_400000_NS6detail17trampoline_kernelINS0_14default_configENS1_25partition_config_selectorILNS1_17partition_subalgoE6EiNS0_10empty_typeEbEEZZNS1_14partition_implILS5_6ELb0ES3_mN6thrust23THRUST_200600_302600_NS6detail15normal_iteratorINSA_10device_ptrIiEEEEPS6_SG_NS0_5tupleIJSF_S6_EEENSH_IJSG_SG_EEES6_PlJ7is_evenIiEEEE10hipError_tPvRmT3_T4_T5_T6_T7_T9_mT8_P12ihipStream_tbDpT10_ENKUlT_T0_E_clISt17integral_constantIbLb0EES15_IbLb1EEEEDaS11_S12_EUlS11_E_NS1_11comp_targetILNS1_3genE3ELNS1_11target_archE908ELNS1_3gpuE7ELNS1_3repE0EEENS1_30default_config_static_selectorELNS0_4arch9wavefront6targetE0EEEvT1_,"axG",@progbits,_ZN7rocprim17ROCPRIM_400000_NS6detail17trampoline_kernelINS0_14default_configENS1_25partition_config_selectorILNS1_17partition_subalgoE6EiNS0_10empty_typeEbEEZZNS1_14partition_implILS5_6ELb0ES3_mN6thrust23THRUST_200600_302600_NS6detail15normal_iteratorINSA_10device_ptrIiEEEEPS6_SG_NS0_5tupleIJSF_S6_EEENSH_IJSG_SG_EEES6_PlJ7is_evenIiEEEE10hipError_tPvRmT3_T4_T5_T6_T7_T9_mT8_P12ihipStream_tbDpT10_ENKUlT_T0_E_clISt17integral_constantIbLb0EES15_IbLb1EEEEDaS11_S12_EUlS11_E_NS1_11comp_targetILNS1_3genE3ELNS1_11target_archE908ELNS1_3gpuE7ELNS1_3repE0EEENS1_30default_config_static_selectorELNS0_4arch9wavefront6targetE0EEEvT1_,comdat
	.protected	_ZN7rocprim17ROCPRIM_400000_NS6detail17trampoline_kernelINS0_14default_configENS1_25partition_config_selectorILNS1_17partition_subalgoE6EiNS0_10empty_typeEbEEZZNS1_14partition_implILS5_6ELb0ES3_mN6thrust23THRUST_200600_302600_NS6detail15normal_iteratorINSA_10device_ptrIiEEEEPS6_SG_NS0_5tupleIJSF_S6_EEENSH_IJSG_SG_EEES6_PlJ7is_evenIiEEEE10hipError_tPvRmT3_T4_T5_T6_T7_T9_mT8_P12ihipStream_tbDpT10_ENKUlT_T0_E_clISt17integral_constantIbLb0EES15_IbLb1EEEEDaS11_S12_EUlS11_E_NS1_11comp_targetILNS1_3genE3ELNS1_11target_archE908ELNS1_3gpuE7ELNS1_3repE0EEENS1_30default_config_static_selectorELNS0_4arch9wavefront6targetE0EEEvT1_ ; -- Begin function _ZN7rocprim17ROCPRIM_400000_NS6detail17trampoline_kernelINS0_14default_configENS1_25partition_config_selectorILNS1_17partition_subalgoE6EiNS0_10empty_typeEbEEZZNS1_14partition_implILS5_6ELb0ES3_mN6thrust23THRUST_200600_302600_NS6detail15normal_iteratorINSA_10device_ptrIiEEEEPS6_SG_NS0_5tupleIJSF_S6_EEENSH_IJSG_SG_EEES6_PlJ7is_evenIiEEEE10hipError_tPvRmT3_T4_T5_T6_T7_T9_mT8_P12ihipStream_tbDpT10_ENKUlT_T0_E_clISt17integral_constantIbLb0EES15_IbLb1EEEEDaS11_S12_EUlS11_E_NS1_11comp_targetILNS1_3genE3ELNS1_11target_archE908ELNS1_3gpuE7ELNS1_3repE0EEENS1_30default_config_static_selectorELNS0_4arch9wavefront6targetE0EEEvT1_
	.globl	_ZN7rocprim17ROCPRIM_400000_NS6detail17trampoline_kernelINS0_14default_configENS1_25partition_config_selectorILNS1_17partition_subalgoE6EiNS0_10empty_typeEbEEZZNS1_14partition_implILS5_6ELb0ES3_mN6thrust23THRUST_200600_302600_NS6detail15normal_iteratorINSA_10device_ptrIiEEEEPS6_SG_NS0_5tupleIJSF_S6_EEENSH_IJSG_SG_EEES6_PlJ7is_evenIiEEEE10hipError_tPvRmT3_T4_T5_T6_T7_T9_mT8_P12ihipStream_tbDpT10_ENKUlT_T0_E_clISt17integral_constantIbLb0EES15_IbLb1EEEEDaS11_S12_EUlS11_E_NS1_11comp_targetILNS1_3genE3ELNS1_11target_archE908ELNS1_3gpuE7ELNS1_3repE0EEENS1_30default_config_static_selectorELNS0_4arch9wavefront6targetE0EEEvT1_
	.p2align	8
	.type	_ZN7rocprim17ROCPRIM_400000_NS6detail17trampoline_kernelINS0_14default_configENS1_25partition_config_selectorILNS1_17partition_subalgoE6EiNS0_10empty_typeEbEEZZNS1_14partition_implILS5_6ELb0ES3_mN6thrust23THRUST_200600_302600_NS6detail15normal_iteratorINSA_10device_ptrIiEEEEPS6_SG_NS0_5tupleIJSF_S6_EEENSH_IJSG_SG_EEES6_PlJ7is_evenIiEEEE10hipError_tPvRmT3_T4_T5_T6_T7_T9_mT8_P12ihipStream_tbDpT10_ENKUlT_T0_E_clISt17integral_constantIbLb0EES15_IbLb1EEEEDaS11_S12_EUlS11_E_NS1_11comp_targetILNS1_3genE3ELNS1_11target_archE908ELNS1_3gpuE7ELNS1_3repE0EEENS1_30default_config_static_selectorELNS0_4arch9wavefront6targetE0EEEvT1_,@function
_ZN7rocprim17ROCPRIM_400000_NS6detail17trampoline_kernelINS0_14default_configENS1_25partition_config_selectorILNS1_17partition_subalgoE6EiNS0_10empty_typeEbEEZZNS1_14partition_implILS5_6ELb0ES3_mN6thrust23THRUST_200600_302600_NS6detail15normal_iteratorINSA_10device_ptrIiEEEEPS6_SG_NS0_5tupleIJSF_S6_EEENSH_IJSG_SG_EEES6_PlJ7is_evenIiEEEE10hipError_tPvRmT3_T4_T5_T6_T7_T9_mT8_P12ihipStream_tbDpT10_ENKUlT_T0_E_clISt17integral_constantIbLb0EES15_IbLb1EEEEDaS11_S12_EUlS11_E_NS1_11comp_targetILNS1_3genE3ELNS1_11target_archE908ELNS1_3gpuE7ELNS1_3repE0EEENS1_30default_config_static_selectorELNS0_4arch9wavefront6targetE0EEEvT1_: ; @_ZN7rocprim17ROCPRIM_400000_NS6detail17trampoline_kernelINS0_14default_configENS1_25partition_config_selectorILNS1_17partition_subalgoE6EiNS0_10empty_typeEbEEZZNS1_14partition_implILS5_6ELb0ES3_mN6thrust23THRUST_200600_302600_NS6detail15normal_iteratorINSA_10device_ptrIiEEEEPS6_SG_NS0_5tupleIJSF_S6_EEENSH_IJSG_SG_EEES6_PlJ7is_evenIiEEEE10hipError_tPvRmT3_T4_T5_T6_T7_T9_mT8_P12ihipStream_tbDpT10_ENKUlT_T0_E_clISt17integral_constantIbLb0EES15_IbLb1EEEEDaS11_S12_EUlS11_E_NS1_11comp_targetILNS1_3genE3ELNS1_11target_archE908ELNS1_3gpuE7ELNS1_3repE0EEENS1_30default_config_static_selectorELNS0_4arch9wavefront6targetE0EEEvT1_
; %bb.0:
	.section	.rodata,"a",@progbits
	.p2align	6, 0x0
	.amdhsa_kernel _ZN7rocprim17ROCPRIM_400000_NS6detail17trampoline_kernelINS0_14default_configENS1_25partition_config_selectorILNS1_17partition_subalgoE6EiNS0_10empty_typeEbEEZZNS1_14partition_implILS5_6ELb0ES3_mN6thrust23THRUST_200600_302600_NS6detail15normal_iteratorINSA_10device_ptrIiEEEEPS6_SG_NS0_5tupleIJSF_S6_EEENSH_IJSG_SG_EEES6_PlJ7is_evenIiEEEE10hipError_tPvRmT3_T4_T5_T6_T7_T9_mT8_P12ihipStream_tbDpT10_ENKUlT_T0_E_clISt17integral_constantIbLb0EES15_IbLb1EEEEDaS11_S12_EUlS11_E_NS1_11comp_targetILNS1_3genE3ELNS1_11target_archE908ELNS1_3gpuE7ELNS1_3repE0EEENS1_30default_config_static_selectorELNS0_4arch9wavefront6targetE0EEEvT1_
		.amdhsa_group_segment_fixed_size 0
		.amdhsa_private_segment_fixed_size 0
		.amdhsa_kernarg_size 128
		.amdhsa_user_sgpr_count 15
		.amdhsa_user_sgpr_dispatch_ptr 0
		.amdhsa_user_sgpr_queue_ptr 0
		.amdhsa_user_sgpr_kernarg_segment_ptr 1
		.amdhsa_user_sgpr_dispatch_id 0
		.amdhsa_user_sgpr_private_segment_size 0
		.amdhsa_wavefront_size32 1
		.amdhsa_uses_dynamic_stack 0
		.amdhsa_enable_private_segment 0
		.amdhsa_system_sgpr_workgroup_id_x 1
		.amdhsa_system_sgpr_workgroup_id_y 0
		.amdhsa_system_sgpr_workgroup_id_z 0
		.amdhsa_system_sgpr_workgroup_info 0
		.amdhsa_system_vgpr_workitem_id 0
		.amdhsa_next_free_vgpr 1
		.amdhsa_next_free_sgpr 1
		.amdhsa_reserve_vcc 0
		.amdhsa_float_round_mode_32 0
		.amdhsa_float_round_mode_16_64 0
		.amdhsa_float_denorm_mode_32 3
		.amdhsa_float_denorm_mode_16_64 3
		.amdhsa_dx10_clamp 1
		.amdhsa_ieee_mode 1
		.amdhsa_fp16_overflow 0
		.amdhsa_workgroup_processor_mode 1
		.amdhsa_memory_ordered 1
		.amdhsa_forward_progress 0
		.amdhsa_shared_vgpr_count 0
		.amdhsa_exception_fp_ieee_invalid_op 0
		.amdhsa_exception_fp_denorm_src 0
		.amdhsa_exception_fp_ieee_div_zero 0
		.amdhsa_exception_fp_ieee_overflow 0
		.amdhsa_exception_fp_ieee_underflow 0
		.amdhsa_exception_fp_ieee_inexact 0
		.amdhsa_exception_int_div_zero 0
	.end_amdhsa_kernel
	.section	.text._ZN7rocprim17ROCPRIM_400000_NS6detail17trampoline_kernelINS0_14default_configENS1_25partition_config_selectorILNS1_17partition_subalgoE6EiNS0_10empty_typeEbEEZZNS1_14partition_implILS5_6ELb0ES3_mN6thrust23THRUST_200600_302600_NS6detail15normal_iteratorINSA_10device_ptrIiEEEEPS6_SG_NS0_5tupleIJSF_S6_EEENSH_IJSG_SG_EEES6_PlJ7is_evenIiEEEE10hipError_tPvRmT3_T4_T5_T6_T7_T9_mT8_P12ihipStream_tbDpT10_ENKUlT_T0_E_clISt17integral_constantIbLb0EES15_IbLb1EEEEDaS11_S12_EUlS11_E_NS1_11comp_targetILNS1_3genE3ELNS1_11target_archE908ELNS1_3gpuE7ELNS1_3repE0EEENS1_30default_config_static_selectorELNS0_4arch9wavefront6targetE0EEEvT1_,"axG",@progbits,_ZN7rocprim17ROCPRIM_400000_NS6detail17trampoline_kernelINS0_14default_configENS1_25partition_config_selectorILNS1_17partition_subalgoE6EiNS0_10empty_typeEbEEZZNS1_14partition_implILS5_6ELb0ES3_mN6thrust23THRUST_200600_302600_NS6detail15normal_iteratorINSA_10device_ptrIiEEEEPS6_SG_NS0_5tupleIJSF_S6_EEENSH_IJSG_SG_EEES6_PlJ7is_evenIiEEEE10hipError_tPvRmT3_T4_T5_T6_T7_T9_mT8_P12ihipStream_tbDpT10_ENKUlT_T0_E_clISt17integral_constantIbLb0EES15_IbLb1EEEEDaS11_S12_EUlS11_E_NS1_11comp_targetILNS1_3genE3ELNS1_11target_archE908ELNS1_3gpuE7ELNS1_3repE0EEENS1_30default_config_static_selectorELNS0_4arch9wavefront6targetE0EEEvT1_,comdat
.Lfunc_end419:
	.size	_ZN7rocprim17ROCPRIM_400000_NS6detail17trampoline_kernelINS0_14default_configENS1_25partition_config_selectorILNS1_17partition_subalgoE6EiNS0_10empty_typeEbEEZZNS1_14partition_implILS5_6ELb0ES3_mN6thrust23THRUST_200600_302600_NS6detail15normal_iteratorINSA_10device_ptrIiEEEEPS6_SG_NS0_5tupleIJSF_S6_EEENSH_IJSG_SG_EEES6_PlJ7is_evenIiEEEE10hipError_tPvRmT3_T4_T5_T6_T7_T9_mT8_P12ihipStream_tbDpT10_ENKUlT_T0_E_clISt17integral_constantIbLb0EES15_IbLb1EEEEDaS11_S12_EUlS11_E_NS1_11comp_targetILNS1_3genE3ELNS1_11target_archE908ELNS1_3gpuE7ELNS1_3repE0EEENS1_30default_config_static_selectorELNS0_4arch9wavefront6targetE0EEEvT1_, .Lfunc_end419-_ZN7rocprim17ROCPRIM_400000_NS6detail17trampoline_kernelINS0_14default_configENS1_25partition_config_selectorILNS1_17partition_subalgoE6EiNS0_10empty_typeEbEEZZNS1_14partition_implILS5_6ELb0ES3_mN6thrust23THRUST_200600_302600_NS6detail15normal_iteratorINSA_10device_ptrIiEEEEPS6_SG_NS0_5tupleIJSF_S6_EEENSH_IJSG_SG_EEES6_PlJ7is_evenIiEEEE10hipError_tPvRmT3_T4_T5_T6_T7_T9_mT8_P12ihipStream_tbDpT10_ENKUlT_T0_E_clISt17integral_constantIbLb0EES15_IbLb1EEEEDaS11_S12_EUlS11_E_NS1_11comp_targetILNS1_3genE3ELNS1_11target_archE908ELNS1_3gpuE7ELNS1_3repE0EEENS1_30default_config_static_selectorELNS0_4arch9wavefront6targetE0EEEvT1_
                                        ; -- End function
	.section	.AMDGPU.csdata,"",@progbits
; Kernel info:
; codeLenInByte = 0
; NumSgprs: 0
; NumVgprs: 0
; ScratchSize: 0
; MemoryBound: 0
; FloatMode: 240
; IeeeMode: 1
; LDSByteSize: 0 bytes/workgroup (compile time only)
; SGPRBlocks: 0
; VGPRBlocks: 0
; NumSGPRsForWavesPerEU: 1
; NumVGPRsForWavesPerEU: 1
; Occupancy: 16
; WaveLimiterHint : 0
; COMPUTE_PGM_RSRC2:SCRATCH_EN: 0
; COMPUTE_PGM_RSRC2:USER_SGPR: 15
; COMPUTE_PGM_RSRC2:TRAP_HANDLER: 0
; COMPUTE_PGM_RSRC2:TGID_X_EN: 1
; COMPUTE_PGM_RSRC2:TGID_Y_EN: 0
; COMPUTE_PGM_RSRC2:TGID_Z_EN: 0
; COMPUTE_PGM_RSRC2:TIDIG_COMP_CNT: 0
	.section	.text._ZN7rocprim17ROCPRIM_400000_NS6detail17trampoline_kernelINS0_14default_configENS1_25partition_config_selectorILNS1_17partition_subalgoE6EiNS0_10empty_typeEbEEZZNS1_14partition_implILS5_6ELb0ES3_mN6thrust23THRUST_200600_302600_NS6detail15normal_iteratorINSA_10device_ptrIiEEEEPS6_SG_NS0_5tupleIJSF_S6_EEENSH_IJSG_SG_EEES6_PlJ7is_evenIiEEEE10hipError_tPvRmT3_T4_T5_T6_T7_T9_mT8_P12ihipStream_tbDpT10_ENKUlT_T0_E_clISt17integral_constantIbLb0EES15_IbLb1EEEEDaS11_S12_EUlS11_E_NS1_11comp_targetILNS1_3genE2ELNS1_11target_archE906ELNS1_3gpuE6ELNS1_3repE0EEENS1_30default_config_static_selectorELNS0_4arch9wavefront6targetE0EEEvT1_,"axG",@progbits,_ZN7rocprim17ROCPRIM_400000_NS6detail17trampoline_kernelINS0_14default_configENS1_25partition_config_selectorILNS1_17partition_subalgoE6EiNS0_10empty_typeEbEEZZNS1_14partition_implILS5_6ELb0ES3_mN6thrust23THRUST_200600_302600_NS6detail15normal_iteratorINSA_10device_ptrIiEEEEPS6_SG_NS0_5tupleIJSF_S6_EEENSH_IJSG_SG_EEES6_PlJ7is_evenIiEEEE10hipError_tPvRmT3_T4_T5_T6_T7_T9_mT8_P12ihipStream_tbDpT10_ENKUlT_T0_E_clISt17integral_constantIbLb0EES15_IbLb1EEEEDaS11_S12_EUlS11_E_NS1_11comp_targetILNS1_3genE2ELNS1_11target_archE906ELNS1_3gpuE6ELNS1_3repE0EEENS1_30default_config_static_selectorELNS0_4arch9wavefront6targetE0EEEvT1_,comdat
	.protected	_ZN7rocprim17ROCPRIM_400000_NS6detail17trampoline_kernelINS0_14default_configENS1_25partition_config_selectorILNS1_17partition_subalgoE6EiNS0_10empty_typeEbEEZZNS1_14partition_implILS5_6ELb0ES3_mN6thrust23THRUST_200600_302600_NS6detail15normal_iteratorINSA_10device_ptrIiEEEEPS6_SG_NS0_5tupleIJSF_S6_EEENSH_IJSG_SG_EEES6_PlJ7is_evenIiEEEE10hipError_tPvRmT3_T4_T5_T6_T7_T9_mT8_P12ihipStream_tbDpT10_ENKUlT_T0_E_clISt17integral_constantIbLb0EES15_IbLb1EEEEDaS11_S12_EUlS11_E_NS1_11comp_targetILNS1_3genE2ELNS1_11target_archE906ELNS1_3gpuE6ELNS1_3repE0EEENS1_30default_config_static_selectorELNS0_4arch9wavefront6targetE0EEEvT1_ ; -- Begin function _ZN7rocprim17ROCPRIM_400000_NS6detail17trampoline_kernelINS0_14default_configENS1_25partition_config_selectorILNS1_17partition_subalgoE6EiNS0_10empty_typeEbEEZZNS1_14partition_implILS5_6ELb0ES3_mN6thrust23THRUST_200600_302600_NS6detail15normal_iteratorINSA_10device_ptrIiEEEEPS6_SG_NS0_5tupleIJSF_S6_EEENSH_IJSG_SG_EEES6_PlJ7is_evenIiEEEE10hipError_tPvRmT3_T4_T5_T6_T7_T9_mT8_P12ihipStream_tbDpT10_ENKUlT_T0_E_clISt17integral_constantIbLb0EES15_IbLb1EEEEDaS11_S12_EUlS11_E_NS1_11comp_targetILNS1_3genE2ELNS1_11target_archE906ELNS1_3gpuE6ELNS1_3repE0EEENS1_30default_config_static_selectorELNS0_4arch9wavefront6targetE0EEEvT1_
	.globl	_ZN7rocprim17ROCPRIM_400000_NS6detail17trampoline_kernelINS0_14default_configENS1_25partition_config_selectorILNS1_17partition_subalgoE6EiNS0_10empty_typeEbEEZZNS1_14partition_implILS5_6ELb0ES3_mN6thrust23THRUST_200600_302600_NS6detail15normal_iteratorINSA_10device_ptrIiEEEEPS6_SG_NS0_5tupleIJSF_S6_EEENSH_IJSG_SG_EEES6_PlJ7is_evenIiEEEE10hipError_tPvRmT3_T4_T5_T6_T7_T9_mT8_P12ihipStream_tbDpT10_ENKUlT_T0_E_clISt17integral_constantIbLb0EES15_IbLb1EEEEDaS11_S12_EUlS11_E_NS1_11comp_targetILNS1_3genE2ELNS1_11target_archE906ELNS1_3gpuE6ELNS1_3repE0EEENS1_30default_config_static_selectorELNS0_4arch9wavefront6targetE0EEEvT1_
	.p2align	8
	.type	_ZN7rocprim17ROCPRIM_400000_NS6detail17trampoline_kernelINS0_14default_configENS1_25partition_config_selectorILNS1_17partition_subalgoE6EiNS0_10empty_typeEbEEZZNS1_14partition_implILS5_6ELb0ES3_mN6thrust23THRUST_200600_302600_NS6detail15normal_iteratorINSA_10device_ptrIiEEEEPS6_SG_NS0_5tupleIJSF_S6_EEENSH_IJSG_SG_EEES6_PlJ7is_evenIiEEEE10hipError_tPvRmT3_T4_T5_T6_T7_T9_mT8_P12ihipStream_tbDpT10_ENKUlT_T0_E_clISt17integral_constantIbLb0EES15_IbLb1EEEEDaS11_S12_EUlS11_E_NS1_11comp_targetILNS1_3genE2ELNS1_11target_archE906ELNS1_3gpuE6ELNS1_3repE0EEENS1_30default_config_static_selectorELNS0_4arch9wavefront6targetE0EEEvT1_,@function
_ZN7rocprim17ROCPRIM_400000_NS6detail17trampoline_kernelINS0_14default_configENS1_25partition_config_selectorILNS1_17partition_subalgoE6EiNS0_10empty_typeEbEEZZNS1_14partition_implILS5_6ELb0ES3_mN6thrust23THRUST_200600_302600_NS6detail15normal_iteratorINSA_10device_ptrIiEEEEPS6_SG_NS0_5tupleIJSF_S6_EEENSH_IJSG_SG_EEES6_PlJ7is_evenIiEEEE10hipError_tPvRmT3_T4_T5_T6_T7_T9_mT8_P12ihipStream_tbDpT10_ENKUlT_T0_E_clISt17integral_constantIbLb0EES15_IbLb1EEEEDaS11_S12_EUlS11_E_NS1_11comp_targetILNS1_3genE2ELNS1_11target_archE906ELNS1_3gpuE6ELNS1_3repE0EEENS1_30default_config_static_selectorELNS0_4arch9wavefront6targetE0EEEvT1_: ; @_ZN7rocprim17ROCPRIM_400000_NS6detail17trampoline_kernelINS0_14default_configENS1_25partition_config_selectorILNS1_17partition_subalgoE6EiNS0_10empty_typeEbEEZZNS1_14partition_implILS5_6ELb0ES3_mN6thrust23THRUST_200600_302600_NS6detail15normal_iteratorINSA_10device_ptrIiEEEEPS6_SG_NS0_5tupleIJSF_S6_EEENSH_IJSG_SG_EEES6_PlJ7is_evenIiEEEE10hipError_tPvRmT3_T4_T5_T6_T7_T9_mT8_P12ihipStream_tbDpT10_ENKUlT_T0_E_clISt17integral_constantIbLb0EES15_IbLb1EEEEDaS11_S12_EUlS11_E_NS1_11comp_targetILNS1_3genE2ELNS1_11target_archE906ELNS1_3gpuE6ELNS1_3repE0EEENS1_30default_config_static_selectorELNS0_4arch9wavefront6targetE0EEEvT1_
; %bb.0:
	.section	.rodata,"a",@progbits
	.p2align	6, 0x0
	.amdhsa_kernel _ZN7rocprim17ROCPRIM_400000_NS6detail17trampoline_kernelINS0_14default_configENS1_25partition_config_selectorILNS1_17partition_subalgoE6EiNS0_10empty_typeEbEEZZNS1_14partition_implILS5_6ELb0ES3_mN6thrust23THRUST_200600_302600_NS6detail15normal_iteratorINSA_10device_ptrIiEEEEPS6_SG_NS0_5tupleIJSF_S6_EEENSH_IJSG_SG_EEES6_PlJ7is_evenIiEEEE10hipError_tPvRmT3_T4_T5_T6_T7_T9_mT8_P12ihipStream_tbDpT10_ENKUlT_T0_E_clISt17integral_constantIbLb0EES15_IbLb1EEEEDaS11_S12_EUlS11_E_NS1_11comp_targetILNS1_3genE2ELNS1_11target_archE906ELNS1_3gpuE6ELNS1_3repE0EEENS1_30default_config_static_selectorELNS0_4arch9wavefront6targetE0EEEvT1_
		.amdhsa_group_segment_fixed_size 0
		.amdhsa_private_segment_fixed_size 0
		.amdhsa_kernarg_size 128
		.amdhsa_user_sgpr_count 15
		.amdhsa_user_sgpr_dispatch_ptr 0
		.amdhsa_user_sgpr_queue_ptr 0
		.amdhsa_user_sgpr_kernarg_segment_ptr 1
		.amdhsa_user_sgpr_dispatch_id 0
		.amdhsa_user_sgpr_private_segment_size 0
		.amdhsa_wavefront_size32 1
		.amdhsa_uses_dynamic_stack 0
		.amdhsa_enable_private_segment 0
		.amdhsa_system_sgpr_workgroup_id_x 1
		.amdhsa_system_sgpr_workgroup_id_y 0
		.amdhsa_system_sgpr_workgroup_id_z 0
		.amdhsa_system_sgpr_workgroup_info 0
		.amdhsa_system_vgpr_workitem_id 0
		.amdhsa_next_free_vgpr 1
		.amdhsa_next_free_sgpr 1
		.amdhsa_reserve_vcc 0
		.amdhsa_float_round_mode_32 0
		.amdhsa_float_round_mode_16_64 0
		.amdhsa_float_denorm_mode_32 3
		.amdhsa_float_denorm_mode_16_64 3
		.amdhsa_dx10_clamp 1
		.amdhsa_ieee_mode 1
		.amdhsa_fp16_overflow 0
		.amdhsa_workgroup_processor_mode 1
		.amdhsa_memory_ordered 1
		.amdhsa_forward_progress 0
		.amdhsa_shared_vgpr_count 0
		.amdhsa_exception_fp_ieee_invalid_op 0
		.amdhsa_exception_fp_denorm_src 0
		.amdhsa_exception_fp_ieee_div_zero 0
		.amdhsa_exception_fp_ieee_overflow 0
		.amdhsa_exception_fp_ieee_underflow 0
		.amdhsa_exception_fp_ieee_inexact 0
		.amdhsa_exception_int_div_zero 0
	.end_amdhsa_kernel
	.section	.text._ZN7rocprim17ROCPRIM_400000_NS6detail17trampoline_kernelINS0_14default_configENS1_25partition_config_selectorILNS1_17partition_subalgoE6EiNS0_10empty_typeEbEEZZNS1_14partition_implILS5_6ELb0ES3_mN6thrust23THRUST_200600_302600_NS6detail15normal_iteratorINSA_10device_ptrIiEEEEPS6_SG_NS0_5tupleIJSF_S6_EEENSH_IJSG_SG_EEES6_PlJ7is_evenIiEEEE10hipError_tPvRmT3_T4_T5_T6_T7_T9_mT8_P12ihipStream_tbDpT10_ENKUlT_T0_E_clISt17integral_constantIbLb0EES15_IbLb1EEEEDaS11_S12_EUlS11_E_NS1_11comp_targetILNS1_3genE2ELNS1_11target_archE906ELNS1_3gpuE6ELNS1_3repE0EEENS1_30default_config_static_selectorELNS0_4arch9wavefront6targetE0EEEvT1_,"axG",@progbits,_ZN7rocprim17ROCPRIM_400000_NS6detail17trampoline_kernelINS0_14default_configENS1_25partition_config_selectorILNS1_17partition_subalgoE6EiNS0_10empty_typeEbEEZZNS1_14partition_implILS5_6ELb0ES3_mN6thrust23THRUST_200600_302600_NS6detail15normal_iteratorINSA_10device_ptrIiEEEEPS6_SG_NS0_5tupleIJSF_S6_EEENSH_IJSG_SG_EEES6_PlJ7is_evenIiEEEE10hipError_tPvRmT3_T4_T5_T6_T7_T9_mT8_P12ihipStream_tbDpT10_ENKUlT_T0_E_clISt17integral_constantIbLb0EES15_IbLb1EEEEDaS11_S12_EUlS11_E_NS1_11comp_targetILNS1_3genE2ELNS1_11target_archE906ELNS1_3gpuE6ELNS1_3repE0EEENS1_30default_config_static_selectorELNS0_4arch9wavefront6targetE0EEEvT1_,comdat
.Lfunc_end420:
	.size	_ZN7rocprim17ROCPRIM_400000_NS6detail17trampoline_kernelINS0_14default_configENS1_25partition_config_selectorILNS1_17partition_subalgoE6EiNS0_10empty_typeEbEEZZNS1_14partition_implILS5_6ELb0ES3_mN6thrust23THRUST_200600_302600_NS6detail15normal_iteratorINSA_10device_ptrIiEEEEPS6_SG_NS0_5tupleIJSF_S6_EEENSH_IJSG_SG_EEES6_PlJ7is_evenIiEEEE10hipError_tPvRmT3_T4_T5_T6_T7_T9_mT8_P12ihipStream_tbDpT10_ENKUlT_T0_E_clISt17integral_constantIbLb0EES15_IbLb1EEEEDaS11_S12_EUlS11_E_NS1_11comp_targetILNS1_3genE2ELNS1_11target_archE906ELNS1_3gpuE6ELNS1_3repE0EEENS1_30default_config_static_selectorELNS0_4arch9wavefront6targetE0EEEvT1_, .Lfunc_end420-_ZN7rocprim17ROCPRIM_400000_NS6detail17trampoline_kernelINS0_14default_configENS1_25partition_config_selectorILNS1_17partition_subalgoE6EiNS0_10empty_typeEbEEZZNS1_14partition_implILS5_6ELb0ES3_mN6thrust23THRUST_200600_302600_NS6detail15normal_iteratorINSA_10device_ptrIiEEEEPS6_SG_NS0_5tupleIJSF_S6_EEENSH_IJSG_SG_EEES6_PlJ7is_evenIiEEEE10hipError_tPvRmT3_T4_T5_T6_T7_T9_mT8_P12ihipStream_tbDpT10_ENKUlT_T0_E_clISt17integral_constantIbLb0EES15_IbLb1EEEEDaS11_S12_EUlS11_E_NS1_11comp_targetILNS1_3genE2ELNS1_11target_archE906ELNS1_3gpuE6ELNS1_3repE0EEENS1_30default_config_static_selectorELNS0_4arch9wavefront6targetE0EEEvT1_
                                        ; -- End function
	.section	.AMDGPU.csdata,"",@progbits
; Kernel info:
; codeLenInByte = 0
; NumSgprs: 0
; NumVgprs: 0
; ScratchSize: 0
; MemoryBound: 0
; FloatMode: 240
; IeeeMode: 1
; LDSByteSize: 0 bytes/workgroup (compile time only)
; SGPRBlocks: 0
; VGPRBlocks: 0
; NumSGPRsForWavesPerEU: 1
; NumVGPRsForWavesPerEU: 1
; Occupancy: 15
; WaveLimiterHint : 0
; COMPUTE_PGM_RSRC2:SCRATCH_EN: 0
; COMPUTE_PGM_RSRC2:USER_SGPR: 15
; COMPUTE_PGM_RSRC2:TRAP_HANDLER: 0
; COMPUTE_PGM_RSRC2:TGID_X_EN: 1
; COMPUTE_PGM_RSRC2:TGID_Y_EN: 0
; COMPUTE_PGM_RSRC2:TGID_Z_EN: 0
; COMPUTE_PGM_RSRC2:TIDIG_COMP_CNT: 0
	.section	.text._ZN7rocprim17ROCPRIM_400000_NS6detail17trampoline_kernelINS0_14default_configENS1_25partition_config_selectorILNS1_17partition_subalgoE6EiNS0_10empty_typeEbEEZZNS1_14partition_implILS5_6ELb0ES3_mN6thrust23THRUST_200600_302600_NS6detail15normal_iteratorINSA_10device_ptrIiEEEEPS6_SG_NS0_5tupleIJSF_S6_EEENSH_IJSG_SG_EEES6_PlJ7is_evenIiEEEE10hipError_tPvRmT3_T4_T5_T6_T7_T9_mT8_P12ihipStream_tbDpT10_ENKUlT_T0_E_clISt17integral_constantIbLb0EES15_IbLb1EEEEDaS11_S12_EUlS11_E_NS1_11comp_targetILNS1_3genE10ELNS1_11target_archE1200ELNS1_3gpuE4ELNS1_3repE0EEENS1_30default_config_static_selectorELNS0_4arch9wavefront6targetE0EEEvT1_,"axG",@progbits,_ZN7rocprim17ROCPRIM_400000_NS6detail17trampoline_kernelINS0_14default_configENS1_25partition_config_selectorILNS1_17partition_subalgoE6EiNS0_10empty_typeEbEEZZNS1_14partition_implILS5_6ELb0ES3_mN6thrust23THRUST_200600_302600_NS6detail15normal_iteratorINSA_10device_ptrIiEEEEPS6_SG_NS0_5tupleIJSF_S6_EEENSH_IJSG_SG_EEES6_PlJ7is_evenIiEEEE10hipError_tPvRmT3_T4_T5_T6_T7_T9_mT8_P12ihipStream_tbDpT10_ENKUlT_T0_E_clISt17integral_constantIbLb0EES15_IbLb1EEEEDaS11_S12_EUlS11_E_NS1_11comp_targetILNS1_3genE10ELNS1_11target_archE1200ELNS1_3gpuE4ELNS1_3repE0EEENS1_30default_config_static_selectorELNS0_4arch9wavefront6targetE0EEEvT1_,comdat
	.protected	_ZN7rocprim17ROCPRIM_400000_NS6detail17trampoline_kernelINS0_14default_configENS1_25partition_config_selectorILNS1_17partition_subalgoE6EiNS0_10empty_typeEbEEZZNS1_14partition_implILS5_6ELb0ES3_mN6thrust23THRUST_200600_302600_NS6detail15normal_iteratorINSA_10device_ptrIiEEEEPS6_SG_NS0_5tupleIJSF_S6_EEENSH_IJSG_SG_EEES6_PlJ7is_evenIiEEEE10hipError_tPvRmT3_T4_T5_T6_T7_T9_mT8_P12ihipStream_tbDpT10_ENKUlT_T0_E_clISt17integral_constantIbLb0EES15_IbLb1EEEEDaS11_S12_EUlS11_E_NS1_11comp_targetILNS1_3genE10ELNS1_11target_archE1200ELNS1_3gpuE4ELNS1_3repE0EEENS1_30default_config_static_selectorELNS0_4arch9wavefront6targetE0EEEvT1_ ; -- Begin function _ZN7rocprim17ROCPRIM_400000_NS6detail17trampoline_kernelINS0_14default_configENS1_25partition_config_selectorILNS1_17partition_subalgoE6EiNS0_10empty_typeEbEEZZNS1_14partition_implILS5_6ELb0ES3_mN6thrust23THRUST_200600_302600_NS6detail15normal_iteratorINSA_10device_ptrIiEEEEPS6_SG_NS0_5tupleIJSF_S6_EEENSH_IJSG_SG_EEES6_PlJ7is_evenIiEEEE10hipError_tPvRmT3_T4_T5_T6_T7_T9_mT8_P12ihipStream_tbDpT10_ENKUlT_T0_E_clISt17integral_constantIbLb0EES15_IbLb1EEEEDaS11_S12_EUlS11_E_NS1_11comp_targetILNS1_3genE10ELNS1_11target_archE1200ELNS1_3gpuE4ELNS1_3repE0EEENS1_30default_config_static_selectorELNS0_4arch9wavefront6targetE0EEEvT1_
	.globl	_ZN7rocprim17ROCPRIM_400000_NS6detail17trampoline_kernelINS0_14default_configENS1_25partition_config_selectorILNS1_17partition_subalgoE6EiNS0_10empty_typeEbEEZZNS1_14partition_implILS5_6ELb0ES3_mN6thrust23THRUST_200600_302600_NS6detail15normal_iteratorINSA_10device_ptrIiEEEEPS6_SG_NS0_5tupleIJSF_S6_EEENSH_IJSG_SG_EEES6_PlJ7is_evenIiEEEE10hipError_tPvRmT3_T4_T5_T6_T7_T9_mT8_P12ihipStream_tbDpT10_ENKUlT_T0_E_clISt17integral_constantIbLb0EES15_IbLb1EEEEDaS11_S12_EUlS11_E_NS1_11comp_targetILNS1_3genE10ELNS1_11target_archE1200ELNS1_3gpuE4ELNS1_3repE0EEENS1_30default_config_static_selectorELNS0_4arch9wavefront6targetE0EEEvT1_
	.p2align	8
	.type	_ZN7rocprim17ROCPRIM_400000_NS6detail17trampoline_kernelINS0_14default_configENS1_25partition_config_selectorILNS1_17partition_subalgoE6EiNS0_10empty_typeEbEEZZNS1_14partition_implILS5_6ELb0ES3_mN6thrust23THRUST_200600_302600_NS6detail15normal_iteratorINSA_10device_ptrIiEEEEPS6_SG_NS0_5tupleIJSF_S6_EEENSH_IJSG_SG_EEES6_PlJ7is_evenIiEEEE10hipError_tPvRmT3_T4_T5_T6_T7_T9_mT8_P12ihipStream_tbDpT10_ENKUlT_T0_E_clISt17integral_constantIbLb0EES15_IbLb1EEEEDaS11_S12_EUlS11_E_NS1_11comp_targetILNS1_3genE10ELNS1_11target_archE1200ELNS1_3gpuE4ELNS1_3repE0EEENS1_30default_config_static_selectorELNS0_4arch9wavefront6targetE0EEEvT1_,@function
_ZN7rocprim17ROCPRIM_400000_NS6detail17trampoline_kernelINS0_14default_configENS1_25partition_config_selectorILNS1_17partition_subalgoE6EiNS0_10empty_typeEbEEZZNS1_14partition_implILS5_6ELb0ES3_mN6thrust23THRUST_200600_302600_NS6detail15normal_iteratorINSA_10device_ptrIiEEEEPS6_SG_NS0_5tupleIJSF_S6_EEENSH_IJSG_SG_EEES6_PlJ7is_evenIiEEEE10hipError_tPvRmT3_T4_T5_T6_T7_T9_mT8_P12ihipStream_tbDpT10_ENKUlT_T0_E_clISt17integral_constantIbLb0EES15_IbLb1EEEEDaS11_S12_EUlS11_E_NS1_11comp_targetILNS1_3genE10ELNS1_11target_archE1200ELNS1_3gpuE4ELNS1_3repE0EEENS1_30default_config_static_selectorELNS0_4arch9wavefront6targetE0EEEvT1_: ; @_ZN7rocprim17ROCPRIM_400000_NS6detail17trampoline_kernelINS0_14default_configENS1_25partition_config_selectorILNS1_17partition_subalgoE6EiNS0_10empty_typeEbEEZZNS1_14partition_implILS5_6ELb0ES3_mN6thrust23THRUST_200600_302600_NS6detail15normal_iteratorINSA_10device_ptrIiEEEEPS6_SG_NS0_5tupleIJSF_S6_EEENSH_IJSG_SG_EEES6_PlJ7is_evenIiEEEE10hipError_tPvRmT3_T4_T5_T6_T7_T9_mT8_P12ihipStream_tbDpT10_ENKUlT_T0_E_clISt17integral_constantIbLb0EES15_IbLb1EEEEDaS11_S12_EUlS11_E_NS1_11comp_targetILNS1_3genE10ELNS1_11target_archE1200ELNS1_3gpuE4ELNS1_3repE0EEENS1_30default_config_static_selectorELNS0_4arch9wavefront6targetE0EEEvT1_
; %bb.0:
	.section	.rodata,"a",@progbits
	.p2align	6, 0x0
	.amdhsa_kernel _ZN7rocprim17ROCPRIM_400000_NS6detail17trampoline_kernelINS0_14default_configENS1_25partition_config_selectorILNS1_17partition_subalgoE6EiNS0_10empty_typeEbEEZZNS1_14partition_implILS5_6ELb0ES3_mN6thrust23THRUST_200600_302600_NS6detail15normal_iteratorINSA_10device_ptrIiEEEEPS6_SG_NS0_5tupleIJSF_S6_EEENSH_IJSG_SG_EEES6_PlJ7is_evenIiEEEE10hipError_tPvRmT3_T4_T5_T6_T7_T9_mT8_P12ihipStream_tbDpT10_ENKUlT_T0_E_clISt17integral_constantIbLb0EES15_IbLb1EEEEDaS11_S12_EUlS11_E_NS1_11comp_targetILNS1_3genE10ELNS1_11target_archE1200ELNS1_3gpuE4ELNS1_3repE0EEENS1_30default_config_static_selectorELNS0_4arch9wavefront6targetE0EEEvT1_
		.amdhsa_group_segment_fixed_size 0
		.amdhsa_private_segment_fixed_size 0
		.amdhsa_kernarg_size 128
		.amdhsa_user_sgpr_count 15
		.amdhsa_user_sgpr_dispatch_ptr 0
		.amdhsa_user_sgpr_queue_ptr 0
		.amdhsa_user_sgpr_kernarg_segment_ptr 1
		.amdhsa_user_sgpr_dispatch_id 0
		.amdhsa_user_sgpr_private_segment_size 0
		.amdhsa_wavefront_size32 1
		.amdhsa_uses_dynamic_stack 0
		.amdhsa_enable_private_segment 0
		.amdhsa_system_sgpr_workgroup_id_x 1
		.amdhsa_system_sgpr_workgroup_id_y 0
		.amdhsa_system_sgpr_workgroup_id_z 0
		.amdhsa_system_sgpr_workgroup_info 0
		.amdhsa_system_vgpr_workitem_id 0
		.amdhsa_next_free_vgpr 1
		.amdhsa_next_free_sgpr 1
		.amdhsa_reserve_vcc 0
		.amdhsa_float_round_mode_32 0
		.amdhsa_float_round_mode_16_64 0
		.amdhsa_float_denorm_mode_32 3
		.amdhsa_float_denorm_mode_16_64 3
		.amdhsa_dx10_clamp 1
		.amdhsa_ieee_mode 1
		.amdhsa_fp16_overflow 0
		.amdhsa_workgroup_processor_mode 1
		.amdhsa_memory_ordered 1
		.amdhsa_forward_progress 0
		.amdhsa_shared_vgpr_count 0
		.amdhsa_exception_fp_ieee_invalid_op 0
		.amdhsa_exception_fp_denorm_src 0
		.amdhsa_exception_fp_ieee_div_zero 0
		.amdhsa_exception_fp_ieee_overflow 0
		.amdhsa_exception_fp_ieee_underflow 0
		.amdhsa_exception_fp_ieee_inexact 0
		.amdhsa_exception_int_div_zero 0
	.end_amdhsa_kernel
	.section	.text._ZN7rocprim17ROCPRIM_400000_NS6detail17trampoline_kernelINS0_14default_configENS1_25partition_config_selectorILNS1_17partition_subalgoE6EiNS0_10empty_typeEbEEZZNS1_14partition_implILS5_6ELb0ES3_mN6thrust23THRUST_200600_302600_NS6detail15normal_iteratorINSA_10device_ptrIiEEEEPS6_SG_NS0_5tupleIJSF_S6_EEENSH_IJSG_SG_EEES6_PlJ7is_evenIiEEEE10hipError_tPvRmT3_T4_T5_T6_T7_T9_mT8_P12ihipStream_tbDpT10_ENKUlT_T0_E_clISt17integral_constantIbLb0EES15_IbLb1EEEEDaS11_S12_EUlS11_E_NS1_11comp_targetILNS1_3genE10ELNS1_11target_archE1200ELNS1_3gpuE4ELNS1_3repE0EEENS1_30default_config_static_selectorELNS0_4arch9wavefront6targetE0EEEvT1_,"axG",@progbits,_ZN7rocprim17ROCPRIM_400000_NS6detail17trampoline_kernelINS0_14default_configENS1_25partition_config_selectorILNS1_17partition_subalgoE6EiNS0_10empty_typeEbEEZZNS1_14partition_implILS5_6ELb0ES3_mN6thrust23THRUST_200600_302600_NS6detail15normal_iteratorINSA_10device_ptrIiEEEEPS6_SG_NS0_5tupleIJSF_S6_EEENSH_IJSG_SG_EEES6_PlJ7is_evenIiEEEE10hipError_tPvRmT3_T4_T5_T6_T7_T9_mT8_P12ihipStream_tbDpT10_ENKUlT_T0_E_clISt17integral_constantIbLb0EES15_IbLb1EEEEDaS11_S12_EUlS11_E_NS1_11comp_targetILNS1_3genE10ELNS1_11target_archE1200ELNS1_3gpuE4ELNS1_3repE0EEENS1_30default_config_static_selectorELNS0_4arch9wavefront6targetE0EEEvT1_,comdat
.Lfunc_end421:
	.size	_ZN7rocprim17ROCPRIM_400000_NS6detail17trampoline_kernelINS0_14default_configENS1_25partition_config_selectorILNS1_17partition_subalgoE6EiNS0_10empty_typeEbEEZZNS1_14partition_implILS5_6ELb0ES3_mN6thrust23THRUST_200600_302600_NS6detail15normal_iteratorINSA_10device_ptrIiEEEEPS6_SG_NS0_5tupleIJSF_S6_EEENSH_IJSG_SG_EEES6_PlJ7is_evenIiEEEE10hipError_tPvRmT3_T4_T5_T6_T7_T9_mT8_P12ihipStream_tbDpT10_ENKUlT_T0_E_clISt17integral_constantIbLb0EES15_IbLb1EEEEDaS11_S12_EUlS11_E_NS1_11comp_targetILNS1_3genE10ELNS1_11target_archE1200ELNS1_3gpuE4ELNS1_3repE0EEENS1_30default_config_static_selectorELNS0_4arch9wavefront6targetE0EEEvT1_, .Lfunc_end421-_ZN7rocprim17ROCPRIM_400000_NS6detail17trampoline_kernelINS0_14default_configENS1_25partition_config_selectorILNS1_17partition_subalgoE6EiNS0_10empty_typeEbEEZZNS1_14partition_implILS5_6ELb0ES3_mN6thrust23THRUST_200600_302600_NS6detail15normal_iteratorINSA_10device_ptrIiEEEEPS6_SG_NS0_5tupleIJSF_S6_EEENSH_IJSG_SG_EEES6_PlJ7is_evenIiEEEE10hipError_tPvRmT3_T4_T5_T6_T7_T9_mT8_P12ihipStream_tbDpT10_ENKUlT_T0_E_clISt17integral_constantIbLb0EES15_IbLb1EEEEDaS11_S12_EUlS11_E_NS1_11comp_targetILNS1_3genE10ELNS1_11target_archE1200ELNS1_3gpuE4ELNS1_3repE0EEENS1_30default_config_static_selectorELNS0_4arch9wavefront6targetE0EEEvT1_
                                        ; -- End function
	.section	.AMDGPU.csdata,"",@progbits
; Kernel info:
; codeLenInByte = 0
; NumSgprs: 0
; NumVgprs: 0
; ScratchSize: 0
; MemoryBound: 0
; FloatMode: 240
; IeeeMode: 1
; LDSByteSize: 0 bytes/workgroup (compile time only)
; SGPRBlocks: 0
; VGPRBlocks: 0
; NumSGPRsForWavesPerEU: 1
; NumVGPRsForWavesPerEU: 1
; Occupancy: 15
; WaveLimiterHint : 0
; COMPUTE_PGM_RSRC2:SCRATCH_EN: 0
; COMPUTE_PGM_RSRC2:USER_SGPR: 15
; COMPUTE_PGM_RSRC2:TRAP_HANDLER: 0
; COMPUTE_PGM_RSRC2:TGID_X_EN: 1
; COMPUTE_PGM_RSRC2:TGID_Y_EN: 0
; COMPUTE_PGM_RSRC2:TGID_Z_EN: 0
; COMPUTE_PGM_RSRC2:TIDIG_COMP_CNT: 0
	.section	.text._ZN7rocprim17ROCPRIM_400000_NS6detail17trampoline_kernelINS0_14default_configENS1_25partition_config_selectorILNS1_17partition_subalgoE6EiNS0_10empty_typeEbEEZZNS1_14partition_implILS5_6ELb0ES3_mN6thrust23THRUST_200600_302600_NS6detail15normal_iteratorINSA_10device_ptrIiEEEEPS6_SG_NS0_5tupleIJSF_S6_EEENSH_IJSG_SG_EEES6_PlJ7is_evenIiEEEE10hipError_tPvRmT3_T4_T5_T6_T7_T9_mT8_P12ihipStream_tbDpT10_ENKUlT_T0_E_clISt17integral_constantIbLb0EES15_IbLb1EEEEDaS11_S12_EUlS11_E_NS1_11comp_targetILNS1_3genE9ELNS1_11target_archE1100ELNS1_3gpuE3ELNS1_3repE0EEENS1_30default_config_static_selectorELNS0_4arch9wavefront6targetE0EEEvT1_,"axG",@progbits,_ZN7rocprim17ROCPRIM_400000_NS6detail17trampoline_kernelINS0_14default_configENS1_25partition_config_selectorILNS1_17partition_subalgoE6EiNS0_10empty_typeEbEEZZNS1_14partition_implILS5_6ELb0ES3_mN6thrust23THRUST_200600_302600_NS6detail15normal_iteratorINSA_10device_ptrIiEEEEPS6_SG_NS0_5tupleIJSF_S6_EEENSH_IJSG_SG_EEES6_PlJ7is_evenIiEEEE10hipError_tPvRmT3_T4_T5_T6_T7_T9_mT8_P12ihipStream_tbDpT10_ENKUlT_T0_E_clISt17integral_constantIbLb0EES15_IbLb1EEEEDaS11_S12_EUlS11_E_NS1_11comp_targetILNS1_3genE9ELNS1_11target_archE1100ELNS1_3gpuE3ELNS1_3repE0EEENS1_30default_config_static_selectorELNS0_4arch9wavefront6targetE0EEEvT1_,comdat
	.protected	_ZN7rocprim17ROCPRIM_400000_NS6detail17trampoline_kernelINS0_14default_configENS1_25partition_config_selectorILNS1_17partition_subalgoE6EiNS0_10empty_typeEbEEZZNS1_14partition_implILS5_6ELb0ES3_mN6thrust23THRUST_200600_302600_NS6detail15normal_iteratorINSA_10device_ptrIiEEEEPS6_SG_NS0_5tupleIJSF_S6_EEENSH_IJSG_SG_EEES6_PlJ7is_evenIiEEEE10hipError_tPvRmT3_T4_T5_T6_T7_T9_mT8_P12ihipStream_tbDpT10_ENKUlT_T0_E_clISt17integral_constantIbLb0EES15_IbLb1EEEEDaS11_S12_EUlS11_E_NS1_11comp_targetILNS1_3genE9ELNS1_11target_archE1100ELNS1_3gpuE3ELNS1_3repE0EEENS1_30default_config_static_selectorELNS0_4arch9wavefront6targetE0EEEvT1_ ; -- Begin function _ZN7rocprim17ROCPRIM_400000_NS6detail17trampoline_kernelINS0_14default_configENS1_25partition_config_selectorILNS1_17partition_subalgoE6EiNS0_10empty_typeEbEEZZNS1_14partition_implILS5_6ELb0ES3_mN6thrust23THRUST_200600_302600_NS6detail15normal_iteratorINSA_10device_ptrIiEEEEPS6_SG_NS0_5tupleIJSF_S6_EEENSH_IJSG_SG_EEES6_PlJ7is_evenIiEEEE10hipError_tPvRmT3_T4_T5_T6_T7_T9_mT8_P12ihipStream_tbDpT10_ENKUlT_T0_E_clISt17integral_constantIbLb0EES15_IbLb1EEEEDaS11_S12_EUlS11_E_NS1_11comp_targetILNS1_3genE9ELNS1_11target_archE1100ELNS1_3gpuE3ELNS1_3repE0EEENS1_30default_config_static_selectorELNS0_4arch9wavefront6targetE0EEEvT1_
	.globl	_ZN7rocprim17ROCPRIM_400000_NS6detail17trampoline_kernelINS0_14default_configENS1_25partition_config_selectorILNS1_17partition_subalgoE6EiNS0_10empty_typeEbEEZZNS1_14partition_implILS5_6ELb0ES3_mN6thrust23THRUST_200600_302600_NS6detail15normal_iteratorINSA_10device_ptrIiEEEEPS6_SG_NS0_5tupleIJSF_S6_EEENSH_IJSG_SG_EEES6_PlJ7is_evenIiEEEE10hipError_tPvRmT3_T4_T5_T6_T7_T9_mT8_P12ihipStream_tbDpT10_ENKUlT_T0_E_clISt17integral_constantIbLb0EES15_IbLb1EEEEDaS11_S12_EUlS11_E_NS1_11comp_targetILNS1_3genE9ELNS1_11target_archE1100ELNS1_3gpuE3ELNS1_3repE0EEENS1_30default_config_static_selectorELNS0_4arch9wavefront6targetE0EEEvT1_
	.p2align	8
	.type	_ZN7rocprim17ROCPRIM_400000_NS6detail17trampoline_kernelINS0_14default_configENS1_25partition_config_selectorILNS1_17partition_subalgoE6EiNS0_10empty_typeEbEEZZNS1_14partition_implILS5_6ELb0ES3_mN6thrust23THRUST_200600_302600_NS6detail15normal_iteratorINSA_10device_ptrIiEEEEPS6_SG_NS0_5tupleIJSF_S6_EEENSH_IJSG_SG_EEES6_PlJ7is_evenIiEEEE10hipError_tPvRmT3_T4_T5_T6_T7_T9_mT8_P12ihipStream_tbDpT10_ENKUlT_T0_E_clISt17integral_constantIbLb0EES15_IbLb1EEEEDaS11_S12_EUlS11_E_NS1_11comp_targetILNS1_3genE9ELNS1_11target_archE1100ELNS1_3gpuE3ELNS1_3repE0EEENS1_30default_config_static_selectorELNS0_4arch9wavefront6targetE0EEEvT1_,@function
_ZN7rocprim17ROCPRIM_400000_NS6detail17trampoline_kernelINS0_14default_configENS1_25partition_config_selectorILNS1_17partition_subalgoE6EiNS0_10empty_typeEbEEZZNS1_14partition_implILS5_6ELb0ES3_mN6thrust23THRUST_200600_302600_NS6detail15normal_iteratorINSA_10device_ptrIiEEEEPS6_SG_NS0_5tupleIJSF_S6_EEENSH_IJSG_SG_EEES6_PlJ7is_evenIiEEEE10hipError_tPvRmT3_T4_T5_T6_T7_T9_mT8_P12ihipStream_tbDpT10_ENKUlT_T0_E_clISt17integral_constantIbLb0EES15_IbLb1EEEEDaS11_S12_EUlS11_E_NS1_11comp_targetILNS1_3genE9ELNS1_11target_archE1100ELNS1_3gpuE3ELNS1_3repE0EEENS1_30default_config_static_selectorELNS0_4arch9wavefront6targetE0EEEvT1_: ; @_ZN7rocprim17ROCPRIM_400000_NS6detail17trampoline_kernelINS0_14default_configENS1_25partition_config_selectorILNS1_17partition_subalgoE6EiNS0_10empty_typeEbEEZZNS1_14partition_implILS5_6ELb0ES3_mN6thrust23THRUST_200600_302600_NS6detail15normal_iteratorINSA_10device_ptrIiEEEEPS6_SG_NS0_5tupleIJSF_S6_EEENSH_IJSG_SG_EEES6_PlJ7is_evenIiEEEE10hipError_tPvRmT3_T4_T5_T6_T7_T9_mT8_P12ihipStream_tbDpT10_ENKUlT_T0_E_clISt17integral_constantIbLb0EES15_IbLb1EEEEDaS11_S12_EUlS11_E_NS1_11comp_targetILNS1_3genE9ELNS1_11target_archE1100ELNS1_3gpuE3ELNS1_3repE0EEENS1_30default_config_static_selectorELNS0_4arch9wavefront6targetE0EEEvT1_
; %bb.0:
	s_clause 0x3
	s_load_b64 s[12:13], s[0:1], 0x28
	s_load_b128 s[4:7], s[0:1], 0x40
	s_load_b64 s[16:17], s[0:1], 0x50
	s_load_b64 s[14:15], s[0:1], 0x60
	v_cmp_eq_u32_e64 s2, 0, v0
	s_delay_alu instid0(VALU_DEP_1)
	s_and_saveexec_b32 s3, s2
	s_cbranch_execz .LBB422_4
; %bb.1:
	s_mov_b32 s9, exec_lo
	s_mov_b32 s8, exec_lo
	v_mbcnt_lo_u32_b32 v1, s9, 0
                                        ; implicit-def: $vgpr2
	s_delay_alu instid0(VALU_DEP_1)
	v_cmpx_eq_u32_e32 0, v1
	s_cbranch_execz .LBB422_3
; %bb.2:
	s_load_b64 s[10:11], s[0:1], 0x70
	s_bcnt1_i32_b32 s9, s9
	s_delay_alu instid0(SALU_CYCLE_1)
	v_dual_mov_b32 v2, 0 :: v_dual_mov_b32 v3, s9
	s_waitcnt lgkmcnt(0)
	global_atomic_add_u32 v2, v2, v3, s[10:11] glc
.LBB422_3:
	s_or_b32 exec_lo, exec_lo, s8
	s_waitcnt vmcnt(0)
	v_readfirstlane_b32 s8, v2
	s_delay_alu instid0(VALU_DEP_1)
	v_dual_mov_b32 v2, 0 :: v_dual_add_nc_u32 v1, s8, v1
	ds_store_b32 v2, v1
.LBB422_4:
	s_or_b32 exec_lo, exec_lo, s3
	v_dual_mov_b32 v2, 0 :: v_dual_lshlrev_b32 v17, 2, v0
	s_clause 0x1
	s_load_b128 s[8:11], s[0:1], 0x8
	s_load_b32 s0, s[0:1], 0x68
	s_waitcnt lgkmcnt(0)
	s_barrier
	buffer_gl0_inv
	ds_load_b32 v1, v2
	s_waitcnt lgkmcnt(0)
	s_barrier
	buffer_gl0_inv
	global_load_b64 v[49:50], v2, s[6:7]
	s_lshl_b64 s[6:7], s[10:11], 2
	s_mul_i32 s3, s0, 0x700
	s_add_u32 s1, s8, s6
	s_addc_u32 s18, s9, s7
	s_add_i32 s6, s3, s10
	v_readfirstlane_b32 s7, v1
	v_mul_lo_u32 v1, 0x700, v1
	s_add_i32 s19, s0, -1
	s_sub_i32 s0, s16, s6
	s_add_u32 s8, s10, s3
	s_addc_u32 s9, s11, 0
	s_cmp_eq_u32 s7, s19
	v_cmp_ge_u64_e64 s6, s[8:9], s[16:17]
	s_cselect_b32 s3, -1, 0
	v_lshlrev_b64 v[1:2], 2, v[1:2]
	s_delay_alu instid0(VALU_DEP_2) | instskip(NEXT) | instid1(VALU_DEP_1)
	s_and_b32 s6, s6, s3
	v_add_co_u32 v18, vcc_lo, s1, v1
	s_delay_alu instid0(VALU_DEP_2)
	v_add_co_ci_u32_e32 v19, vcc_lo, s18, v2, vcc_lo
	s_xor_b32 s6, s6, -1
	s_mov_b32 s1, -1
	s_and_b32 vcc_lo, exec_lo, s6
	s_cbranch_vccz .LBB422_6
; %bb.5:
	v_add_co_u32 v1, vcc_lo, v18, v17
	v_add_co_ci_u32_e32 v2, vcc_lo, 0, v19, vcc_lo
	s_mov_b32 s1, 0
	s_delay_alu instid0(VALU_DEP_2) | instskip(NEXT) | instid1(VALU_DEP_2)
	v_add_co_u32 v3, vcc_lo, 0x1000, v1
	v_add_co_ci_u32_e32 v4, vcc_lo, 0, v2, vcc_lo
	s_clause 0xd
	flat_load_b32 v5, v[1:2]
	flat_load_b32 v6, v[1:2] offset:512
	flat_load_b32 v7, v[1:2] offset:1024
	;; [unrolled: 1-line block ×7, first 2 shown]
	flat_load_b32 v2, v[3:4]
	flat_load_b32 v12, v[3:4] offset:512
	flat_load_b32 v13, v[3:4] offset:1024
	flat_load_b32 v14, v[3:4] offset:1536
	flat_load_b32 v15, v[3:4] offset:2048
	flat_load_b32 v3, v[3:4] offset:2560
	s_waitcnt vmcnt(12) lgkmcnt(12)
	ds_store_2addr_stride64_b32 v17, v5, v6 offset1:2
	s_waitcnt vmcnt(10) lgkmcnt(11)
	ds_store_2addr_stride64_b32 v17, v7, v8 offset0:4 offset1:6
	s_waitcnt vmcnt(8) lgkmcnt(10)
	ds_store_2addr_stride64_b32 v17, v9, v10 offset0:8 offset1:10
	;; [unrolled: 2-line block ×6, first 2 shown]
	s_waitcnt lgkmcnt(0)
	s_barrier
.LBB422_6:
	s_and_not1_b32 vcc_lo, exec_lo, s1
	s_addk_i32 s0, 0x700
	s_cbranch_vccnz .LBB422_36
; %bb.7:
	s_mov_b32 s1, exec_lo
                                        ; implicit-def: $vgpr1_vgpr2_vgpr3_vgpr4_vgpr5_vgpr6_vgpr7_vgpr8_vgpr9_vgpr10_vgpr11_vgpr12_vgpr13_vgpr14_vgpr15_vgpr16
	v_cmpx_gt_u32_e64 s0, v0
	s_cbranch_execz .LBB422_9
; %bb.8:
	v_add_co_u32 v1, vcc_lo, v18, v17
	v_add_co_ci_u32_e32 v2, vcc_lo, 0, v19, vcc_lo
	flat_load_b32 v1, v[1:2]
.LBB422_9:
	s_or_b32 exec_lo, exec_lo, s1
	v_or_b32_e32 v15, 0x80, v0
	s_mov_b32 s1, exec_lo
	s_delay_alu instid0(VALU_DEP_1)
	v_cmpx_gt_u32_e64 s0, v15
	s_cbranch_execz .LBB422_11
; %bb.10:
	v_add_co_u32 v15, vcc_lo, v18, v17
	v_add_co_ci_u32_e32 v16, vcc_lo, 0, v19, vcc_lo
	flat_load_b32 v2, v[15:16] offset:512
.LBB422_11:
	s_or_b32 exec_lo, exec_lo, s1
	v_or_b32_e32 v15, 0x100, v0
	s_mov_b32 s1, exec_lo
	s_delay_alu instid0(VALU_DEP_1)
	v_cmpx_gt_u32_e64 s0, v15
	s_cbranch_execz .LBB422_13
; %bb.12:
	v_add_co_u32 v15, vcc_lo, v18, v17
	v_add_co_ci_u32_e32 v16, vcc_lo, 0, v19, vcc_lo
	flat_load_b32 v3, v[15:16] offset:1024
.LBB422_13:
	;; [unrolled: 11-line block ×7, first 2 shown]
	s_or_b32 exec_lo, exec_lo, s1
	v_or_b32_e32 v15, 0x400, v0
	s_mov_b32 s1, exec_lo
	s_delay_alu instid0(VALU_DEP_1)
	v_cmpx_gt_u32_e64 s0, v15
	s_cbranch_execz .LBB422_25
; %bb.24:
	v_lshlrev_b32_e32 v9, 2, v15
	s_delay_alu instid0(VALU_DEP_1)
	v_add_co_u32 v15, vcc_lo, v18, v9
	v_add_co_ci_u32_e32 v16, vcc_lo, 0, v19, vcc_lo
	flat_load_b32 v9, v[15:16]
.LBB422_25:
	s_or_b32 exec_lo, exec_lo, s1
	v_or_b32_e32 v15, 0x480, v0
	s_mov_b32 s1, exec_lo
	s_delay_alu instid0(VALU_DEP_1)
	v_cmpx_gt_u32_e64 s0, v15
	s_cbranch_execz .LBB422_27
; %bb.26:
	v_lshlrev_b32_e32 v10, 2, v15
	s_delay_alu instid0(VALU_DEP_1)
	v_add_co_u32 v15, vcc_lo, v18, v10
	v_add_co_ci_u32_e32 v16, vcc_lo, 0, v19, vcc_lo
	flat_load_b32 v10, v[15:16]
.LBB422_27:
	;; [unrolled: 13-line block ×6, first 2 shown]
	s_or_b32 exec_lo, exec_lo, s1
	s_waitcnt vmcnt(0) lgkmcnt(0)
	ds_store_2addr_stride64_b32 v17, v1, v2 offset1:2
	ds_store_2addr_stride64_b32 v17, v3, v4 offset0:4 offset1:6
	ds_store_2addr_stride64_b32 v17, v5, v6 offset0:8 offset1:10
	;; [unrolled: 1-line block ×6, first 2 shown]
	s_waitcnt lgkmcnt(0)
	s_barrier
.LBB422_36:
	v_mul_u32_u24_e32 v12, 14, v0
	s_waitcnt vmcnt(0)
	buffer_gl0_inv
	s_and_not1_b32 vcc_lo, exec_lo, s6
	v_lshlrev_b32_e32 v63, 2, v12
	ds_load_2addr_b64 v[41:44], v63 offset1:1
	ds_load_2addr_b64 v[37:40], v63 offset0:2 offset1:3
	ds_load_2addr_b64 v[33:36], v63 offset0:4 offset1:5
	ds_load_b64 v[51:52], v63 offset:48
	s_waitcnt lgkmcnt(0)
	s_barrier
	buffer_gl0_inv
	v_xor_b32_e32 v13, -1, v41
	v_xor_b32_e32 v14, -1, v42
	;; [unrolled: 1-line block ×14, first 2 shown]
	s_cbranch_vccnz .LBB422_38
; %bb.37:
	v_and_b32_e32 v16, 1, v14
	v_and_b32_e32 v17, 1, v13
	;; [unrolled: 1-line block ×5, first 2 shown]
	v_lshlrev_b16 v16, 8, v16
	v_and_b32_e32 v26, 1, v6
	v_and_b32_e32 v18, 1, v15
	;; [unrolled: 1-line block ×4, first 2 shown]
	v_or_b32_e32 v16, v17, v16
	v_and_b32_e32 v17, 1, v4
	v_and_b32_e32 v24, 1, v3
	;; [unrolled: 1-line block ×3, first 2 shown]
	v_lshlrev_b16 v19, 8, v19
	v_lshlrev_b16 v21, 8, v21
	;; [unrolled: 1-line block ×5, first 2 shown]
	v_or_b32_e32 v18, v18, v19
	v_or_b32_e32 v19, v20, v21
	;; [unrolled: 1-line block ×5, first 2 shown]
	v_and_b32_e32 v16, 0xffff, v16
	v_lshlrev_b32_e32 v18, 16, v18
	v_and_b32_e32 v19, 0xffff, v19
	v_lshlrev_b32_e32 v20, 16, v20
	;; [unrolled: 2-line block ×3, first 2 shown]
	v_and_b32_e32 v56, 1, v1
	v_and_b32_e32 v55, 1, v2
	v_or_b32_e32 v61, v16, v18
	v_or_b32_e32 v58, v19, v20
	;; [unrolled: 1-line block ×3, first 2 shown]
	s_cbranch_execz .LBB422_39
	s_branch .LBB422_40
.LBB422_38:
                                        ; implicit-def: $vgpr55
                                        ; implicit-def: $vgpr56
                                        ; implicit-def: $vgpr57
                                        ; implicit-def: $vgpr58
                                        ; implicit-def: $vgpr61
.LBB422_39:
	v_or_b32_e32 v16, 1, v12
	v_cmp_gt_u32_e32 vcc_lo, s0, v12
	v_add_nc_u32_e32 v17, 2, v12
	v_add_nc_u32_e32 v18, 3, v12
	v_add_nc_u32_e32 v19, 4, v12
	v_add_nc_u32_e32 v20, 5, v12
	v_cndmask_b32_e64 v27, 0, 1, vcc_lo
	v_cmp_gt_u32_e32 vcc_lo, s0, v16
	v_add_nc_u32_e32 v21, 6, v12
	v_add_nc_u32_e32 v22, 7, v12
	;; [unrolled: 1-line block ×4, first 2 shown]
	v_cndmask_b32_e64 v16, 0, 1, vcc_lo
	v_cmp_gt_u32_e32 vcc_lo, s0, v17
	v_add_nc_u32_e32 v25, 10, v12
	v_add_nc_u32_e32 v26, 11, v12
	;; [unrolled: 1-line block ×3, first 2 shown]
	v_and_b32_e32 v14, v16, v14
	v_cndmask_b32_e64 v17, 0, 1, vcc_lo
	v_cmp_gt_u32_e32 vcc_lo, s0, v18
	v_add_nc_u32_e32 v12, 13, v12
	v_and_b32_e32 v13, v27, v13
	v_lshlrev_b16 v14, 8, v14
	v_and_b32_e32 v15, v17, v15
	v_cndmask_b32_e64 v16, 0, 1, vcc_lo
	v_cmp_gt_u32_e32 vcc_lo, s0, v19
	s_delay_alu instid0(VALU_DEP_4) | instskip(NEXT) | instid1(VALU_DEP_3)
	v_or_b32_e32 v13, v13, v14
	v_and_b32_e32 v7, v16, v7
	v_cndmask_b32_e64 v17, 0, 1, vcc_lo
	v_cmp_gt_u32_e32 vcc_lo, s0, v20
	s_delay_alu instid0(VALU_DEP_4) | instskip(NEXT) | instid1(VALU_DEP_4)
	v_and_b32_e32 v13, 0xffff, v13
	v_lshlrev_b16 v7, 8, v7
	s_delay_alu instid0(VALU_DEP_4) | instskip(SKIP_2) | instid1(VALU_DEP_4)
	v_and_b32_e32 v8, v17, v8
	v_cndmask_b32_e64 v18, 0, 1, vcc_lo
	v_cmp_gt_u32_e32 vcc_lo, s0, v21
	v_or_b32_e32 v7, v15, v7
	s_delay_alu instid0(VALU_DEP_3) | instskip(SKIP_2) | instid1(VALU_DEP_3)
	v_and_b32_e32 v9, v18, v9
	v_cndmask_b32_e64 v19, 0, 1, vcc_lo
	v_cmp_gt_u32_e32 vcc_lo, s0, v22
	v_lshlrev_b16 v9, 8, v9
	s_delay_alu instid0(VALU_DEP_3) | instskip(SKIP_2) | instid1(VALU_DEP_4)
	v_and_b32_e32 v10, v19, v10
	v_cndmask_b32_e64 v20, 0, 1, vcc_lo
	v_cmp_gt_u32_e32 vcc_lo, s0, v23
	v_or_b32_e32 v8, v8, v9
	s_delay_alu instid0(VALU_DEP_3) | instskip(SKIP_2) | instid1(VALU_DEP_3)
	v_and_b32_e32 v11, v20, v11
	v_cndmask_b32_e64 v16, 0, 1, vcc_lo
	v_cmp_gt_u32_e32 vcc_lo, s0, v24
	v_lshlrev_b16 v11, 8, v11
	s_delay_alu instid0(VALU_DEP_3) | instskip(SKIP_2) | instid1(VALU_DEP_4)
	;; [unrolled: 10-line block ×3, first 2 shown]
	v_and_b32_e32 v5, v18, v5
	v_cndmask_b32_e64 v19, 0, 1, vcc_lo
	v_cmp_gt_u32_e32 vcc_lo, s0, v28
	v_or_b32_e32 v3, v3, v4
	s_delay_alu instid0(VALU_DEP_3) | instskip(SKIP_2) | instid1(VALU_DEP_4)
	v_and_b32_e32 v6, v19, v6
	v_cndmask_b32_e64 v14, 0, 1, vcc_lo
	v_cmp_gt_u32_e32 vcc_lo, s0, v12
	v_and_b32_e32 v3, 0xffff, v3
	s_delay_alu instid0(VALU_DEP_4) | instskip(NEXT) | instid1(VALU_DEP_4)
	v_lshlrev_b16 v6, 8, v6
	v_and_b32_e32 v56, v14, v1
	v_cndmask_b32_e64 v12, 0, 1, vcc_lo
	s_delay_alu instid0(VALU_DEP_3)
	v_or_b32_e32 v4, v5, v6
	v_lshlrev_b32_e32 v5, 16, v7
	v_and_b32_e32 v6, 0xffff, v8
	v_lshlrev_b32_e32 v7, 16, v9
	v_and_b32_e32 v55, v12, v2
	v_lshlrev_b32_e32 v4, 16, v4
	v_or_b32_e32 v61, v13, v5
	s_delay_alu instid0(VALU_DEP_4) | instskip(NEXT) | instid1(VALU_DEP_3)
	v_or_b32_e32 v58, v6, v7
	v_or_b32_e32 v57, v3, v4
.LBB422_40:
	s_delay_alu instid0(VALU_DEP_3)
	v_dual_mov_b32 v2, 0 :: v_dual_and_b32 v65, 0xff, v61
	v_bfe_u32 v66, v61, 8, 8
	v_bfe_u32 v67, v61, 16, 8
	v_lshrrev_b32_e32 v62, 24, v61
	v_and_b32_e32 v68, 0xff, v58
	v_bfe_u32 v69, v58, 8, 8
	v_add_co_u32 v1, s0, v66, v65
	s_delay_alu instid0(VALU_DEP_1) | instskip(SKIP_1) | instid1(VALU_DEP_3)
	v_add_co_ci_u32_e64 v3, null, 0, 0, s0
	v_bfe_u32 v70, v58, 16, 8
	v_add_co_u32 v1, vcc_lo, v1, v67
	s_delay_alu instid0(VALU_DEP_3) | instskip(SKIP_1) | instid1(VALU_DEP_3)
	v_add_co_ci_u32_e32 v3, vcc_lo, 0, v3, vcc_lo
	v_lshrrev_b32_e32 v60, 24, v58
	v_add_co_u32 v1, vcc_lo, v1, v62
	s_delay_alu instid0(VALU_DEP_3) | instskip(SKIP_1) | instid1(VALU_DEP_3)
	v_add_co_ci_u32_e32 v3, vcc_lo, 0, v3, vcc_lo
	v_and_b32_e32 v71, 0xff, v57
	v_add_co_u32 v1, vcc_lo, v1, v68
	s_delay_alu instid0(VALU_DEP_3) | instskip(SKIP_1) | instid1(VALU_DEP_3)
	v_add_co_ci_u32_e32 v3, vcc_lo, 0, v3, vcc_lo
	v_bfe_u32 v72, v57, 8, 8
	v_add_co_u32 v1, vcc_lo, v1, v69
	s_delay_alu instid0(VALU_DEP_3) | instskip(SKIP_1) | instid1(VALU_DEP_3)
	v_add_co_ci_u32_e32 v3, vcc_lo, 0, v3, vcc_lo
	v_bfe_u32 v73, v57, 16, 8
	v_add_co_u32 v1, vcc_lo, v1, v70
	s_delay_alu instid0(VALU_DEP_3) | instskip(SKIP_1) | instid1(VALU_DEP_3)
	v_add_co_ci_u32_e32 v3, vcc_lo, 0, v3, vcc_lo
	v_lshrrev_b32_e32 v59, 24, v57
	v_add_co_u32 v1, vcc_lo, v1, v60
	s_delay_alu instid0(VALU_DEP_3) | instskip(SKIP_1) | instid1(VALU_DEP_3)
	v_add_co_ci_u32_e32 v3, vcc_lo, 0, v3, vcc_lo
	v_and_b32_e32 v64, 0xff, v56
	v_add_co_u32 v1, vcc_lo, v1, v71
	s_delay_alu instid0(VALU_DEP_3) | instskip(SKIP_1) | instid1(VALU_DEP_3)
	v_add_co_ci_u32_e32 v3, vcc_lo, 0, v3, vcc_lo
	v_mbcnt_lo_u32_b32 v74, -1, 0
	v_add_co_u32 v1, vcc_lo, v1, v72
	s_delay_alu instid0(VALU_DEP_3) | instskip(SKIP_1) | instid1(VALU_DEP_3)
	v_add_co_ci_u32_e32 v3, vcc_lo, 0, v3, vcc_lo
	v_and_b32_e32 v4, 0xff, v55
	v_add_co_u32 v1, vcc_lo, v1, v73
	s_delay_alu instid0(VALU_DEP_3) | instskip(SKIP_1) | instid1(VALU_DEP_3)
	v_add_co_ci_u32_e32 v3, vcc_lo, 0, v3, vcc_lo
	v_and_b32_e32 v75, 15, v74
	v_add_co_u32 v1, vcc_lo, v1, v59
	s_delay_alu instid0(VALU_DEP_3) | instskip(NEXT) | instid1(VALU_DEP_3)
	v_add_co_ci_u32_e32 v3, vcc_lo, 0, v3, vcc_lo
	v_cmp_ne_u32_e64 s0, 0, v75
	s_delay_alu instid0(VALU_DEP_3) | instskip(NEXT) | instid1(VALU_DEP_3)
	v_add_co_u32 v1, vcc_lo, v1, v64
	v_add_co_ci_u32_e32 v3, vcc_lo, 0, v3, vcc_lo
	s_cmp_lg_u32 s7, 0
	s_delay_alu instid0(VALU_DEP_2) | instskip(NEXT) | instid1(VALU_DEP_2)
	v_add_co_u32 v53, vcc_lo, v1, v4
	v_add_co_ci_u32_e32 v54, vcc_lo, 0, v3, vcc_lo
	s_mov_b32 s1, -1
	s_cbranch_scc0 .LBB422_100
; %bb.41:
	s_delay_alu instid0(VALU_DEP_2)
	v_mov_b32_e32 v3, v53
	v_mov_b32_dpp v1, v53 row_shr:1 row_mask:0xf bank_mask:0xf
	v_mov_b32_dpp v6, v2 row_shr:1 row_mask:0xf bank_mask:0xf
	v_dual_mov_b32 v5, v53 :: v_dual_mov_b32 v4, v54
	s_and_saveexec_b32 s1, s0
; %bb.42:
	s_delay_alu instid0(VALU_DEP_3) | instskip(SKIP_1) | instid1(VALU_DEP_2)
	v_add_co_u32 v5, vcc_lo, v53, v1
	v_add_co_ci_u32_e32 v2, vcc_lo, 0, v54, vcc_lo
	v_add_co_u32 v1, vcc_lo, 0, v5
	s_delay_alu instid0(VALU_DEP_2) | instskip(NEXT) | instid1(VALU_DEP_1)
	v_add_co_ci_u32_e32 v2, vcc_lo, v6, v2, vcc_lo
	v_dual_mov_b32 v4, v2 :: v_dual_mov_b32 v3, v1
; %bb.43:
	s_or_b32 exec_lo, exec_lo, s1
	v_mov_b32_dpp v1, v5 row_shr:2 row_mask:0xf bank_mask:0xf
	v_mov_b32_dpp v6, v2 row_shr:2 row_mask:0xf bank_mask:0xf
	s_mov_b32 s1, exec_lo
	v_cmpx_lt_u32_e32 1, v75
; %bb.44:
	s_delay_alu instid0(VALU_DEP_3) | instskip(SKIP_1) | instid1(VALU_DEP_2)
	v_add_co_u32 v5, vcc_lo, v3, v1
	v_add_co_ci_u32_e32 v2, vcc_lo, 0, v4, vcc_lo
	v_add_co_u32 v1, vcc_lo, 0, v5
	s_delay_alu instid0(VALU_DEP_2) | instskip(NEXT) | instid1(VALU_DEP_1)
	v_add_co_ci_u32_e32 v2, vcc_lo, v6, v2, vcc_lo
	v_dual_mov_b32 v4, v2 :: v_dual_mov_b32 v3, v1
; %bb.45:
	s_or_b32 exec_lo, exec_lo, s1
	v_mov_b32_dpp v1, v5 row_shr:4 row_mask:0xf bank_mask:0xf
	v_mov_b32_dpp v6, v2 row_shr:4 row_mask:0xf bank_mask:0xf
	s_mov_b32 s1, exec_lo
	v_cmpx_lt_u32_e32 3, v75
; %bb.46:
	s_delay_alu instid0(VALU_DEP_3) | instskip(SKIP_1) | instid1(VALU_DEP_2)
	v_add_co_u32 v5, vcc_lo, v3, v1
	v_add_co_ci_u32_e32 v2, vcc_lo, 0, v4, vcc_lo
	v_add_co_u32 v1, vcc_lo, 0, v5
	s_delay_alu instid0(VALU_DEP_2) | instskip(NEXT) | instid1(VALU_DEP_1)
	v_add_co_ci_u32_e32 v2, vcc_lo, v6, v2, vcc_lo
	v_dual_mov_b32 v4, v2 :: v_dual_mov_b32 v3, v1
; %bb.47:
	s_or_b32 exec_lo, exec_lo, s1
	v_mov_b32_dpp v6, v5 row_shr:8 row_mask:0xf bank_mask:0xf
	v_mov_b32_dpp v1, v2 row_shr:8 row_mask:0xf bank_mask:0xf
	s_mov_b32 s1, exec_lo
	v_cmpx_lt_u32_e32 7, v75
; %bb.48:
	s_delay_alu instid0(VALU_DEP_3) | instskip(SKIP_1) | instid1(VALU_DEP_2)
	v_add_co_u32 v5, vcc_lo, v3, v6
	v_add_co_ci_u32_e32 v2, vcc_lo, 0, v4, vcc_lo
	v_add_co_u32 v3, vcc_lo, 0, v5
	s_delay_alu instid0(VALU_DEP_2) | instskip(NEXT) | instid1(VALU_DEP_1)
	v_add_co_ci_u32_e32 v4, vcc_lo, v1, v2, vcc_lo
	v_mov_b32_e32 v2, v4
; %bb.49:
	s_or_b32 exec_lo, exec_lo, s1
	ds_swizzle_b32 v1, v5 offset:swizzle(BROADCAST,32,15)
	ds_swizzle_b32 v6, v2 offset:swizzle(BROADCAST,32,15)
	v_and_b32_e32 v7, 16, v74
	s_mov_b32 s1, exec_lo
	s_delay_alu instid0(VALU_DEP_1)
	v_cmpx_ne_u32_e32 0, v7
	s_cbranch_execz .LBB422_51
; %bb.50:
	s_waitcnt lgkmcnt(1)
	v_add_co_u32 v5, vcc_lo, v3, v1
	v_add_co_ci_u32_e32 v2, vcc_lo, 0, v4, vcc_lo
	s_delay_alu instid0(VALU_DEP_2) | instskip(SKIP_1) | instid1(VALU_DEP_2)
	v_add_co_u32 v1, vcc_lo, 0, v5
	s_waitcnt lgkmcnt(0)
	v_add_co_ci_u32_e32 v2, vcc_lo, v6, v2, vcc_lo
	s_delay_alu instid0(VALU_DEP_1)
	v_dual_mov_b32 v4, v2 :: v_dual_mov_b32 v3, v1
.LBB422_51:
	s_or_b32 exec_lo, exec_lo, s1
	s_waitcnt lgkmcnt(0)
	v_or_b32_e32 v6, 31, v0
	v_lshrrev_b32_e32 v1, 5, v0
	s_mov_b32 s1, exec_lo
	s_delay_alu instid0(VALU_DEP_2)
	v_cmpx_eq_u32_e64 v6, v0
	s_cbranch_execz .LBB422_53
; %bb.52:
	s_delay_alu instid0(VALU_DEP_2)
	v_lshlrev_b32_e32 v6, 3, v1
	ds_store_b64 v6, v[3:4]
.LBB422_53:
	s_or_b32 exec_lo, exec_lo, s1
	s_delay_alu instid0(SALU_CYCLE_1)
	s_mov_b32 s1, exec_lo
	s_waitcnt lgkmcnt(0)
	s_barrier
	buffer_gl0_inv
	v_cmpx_gt_u32_e32 4, v0
	s_cbranch_execz .LBB422_59
; %bb.54:
	v_lshlrev_b32_e32 v6, 3, v0
	s_mov_b32 s8, exec_lo
	ds_load_b64 v[3:4], v6
	s_waitcnt lgkmcnt(0)
	v_dual_mov_b32 v8, v3 :: v_dual_and_b32 v7, 3, v74
	v_mov_b32_dpp v10, v3 row_shr:1 row_mask:0xf bank_mask:0xf
	v_mov_b32_dpp v9, v4 row_shr:1 row_mask:0xf bank_mask:0xf
	s_delay_alu instid0(VALU_DEP_3)
	v_cmpx_ne_u32_e32 0, v7
; %bb.55:
	s_delay_alu instid0(VALU_DEP_3) | instskip(SKIP_1) | instid1(VALU_DEP_2)
	v_add_co_u32 v8, vcc_lo, v3, v10
	v_add_co_ci_u32_e32 v4, vcc_lo, 0, v4, vcc_lo
	v_add_co_u32 v3, vcc_lo, 0, v8
	s_delay_alu instid0(VALU_DEP_2)
	v_add_co_ci_u32_e32 v4, vcc_lo, v9, v4, vcc_lo
; %bb.56:
	s_or_b32 exec_lo, exec_lo, s8
	v_mov_b32_dpp v9, v8 row_shr:2 row_mask:0xf bank_mask:0xf
	s_delay_alu instid0(VALU_DEP_2)
	v_mov_b32_dpp v8, v4 row_shr:2 row_mask:0xf bank_mask:0xf
	s_mov_b32 s8, exec_lo
	v_cmpx_lt_u32_e32 1, v7
; %bb.57:
	s_delay_alu instid0(VALU_DEP_3) | instskip(SKIP_1) | instid1(VALU_DEP_2)
	v_add_co_u32 v3, vcc_lo, v3, v9
	v_add_co_ci_u32_e32 v4, vcc_lo, 0, v4, vcc_lo
	v_add_co_u32 v3, vcc_lo, v3, 0
	s_delay_alu instid0(VALU_DEP_2)
	v_add_co_ci_u32_e32 v4, vcc_lo, v4, v8, vcc_lo
; %bb.58:
	s_or_b32 exec_lo, exec_lo, s8
	ds_store_b64 v6, v[3:4]
.LBB422_59:
	s_or_b32 exec_lo, exec_lo, s1
	v_cmp_gt_u32_e32 vcc_lo, 32, v0
	s_mov_b32 s8, exec_lo
	s_waitcnt lgkmcnt(0)
	s_barrier
	buffer_gl0_inv
                                        ; implicit-def: $vgpr9_vgpr10
	v_cmpx_lt_u32_e32 31, v0
	s_cbranch_execz .LBB422_61
; %bb.60:
	v_lshl_add_u32 v1, v1, 3, -8
	ds_load_b64 v[9:10], v1
	s_waitcnt lgkmcnt(0)
	v_add_co_u32 v5, s1, v5, v9
	s_delay_alu instid0(VALU_DEP_1)
	v_add_co_ci_u32_e64 v2, s1, v2, v10, s1
.LBB422_61:
	s_or_b32 exec_lo, exec_lo, s8
	v_add_nc_u32_e32 v1, -1, v74
	s_delay_alu instid0(VALU_DEP_1) | instskip(NEXT) | instid1(VALU_DEP_1)
	v_cmp_gt_i32_e64 s1, 0, v1
	v_cndmask_b32_e64 v1, v1, v74, s1
	v_cmp_eq_u32_e64 s1, 0, v74
	s_delay_alu instid0(VALU_DEP_2)
	v_lshlrev_b32_e32 v1, 2, v1
	ds_bpermute_b32 v15, v1, v5
	ds_bpermute_b32 v16, v1, v2
	s_and_saveexec_b32 s8, vcc_lo
	s_cbranch_execz .LBB422_99
; %bb.62:
	v_mov_b32_e32 v4, 0
	ds_load_b64 v[1:2], v4 offset:24
	s_and_saveexec_b32 s9, s1
	s_cbranch_execz .LBB422_64
; %bb.63:
	s_add_i32 s10, s7, 32
	s_mov_b32 s11, 0
	s_delay_alu instid0(SALU_CYCLE_1) | instskip(NEXT) | instid1(SALU_CYCLE_1)
	s_lshl_b64 s[10:11], s[10:11], 4
	s_add_u32 s10, s14, s10
	s_addc_u32 s11, s15, s11
	v_mov_b32_e32 v5, s10
	v_dual_mov_b32 v3, 1 :: v_dual_mov_b32 v6, s11
	s_waitcnt lgkmcnt(0)
	;;#ASMSTART
	global_store_dwordx4 v[5:6], v[1:4] off	
s_waitcnt vmcnt(0)
	;;#ASMEND
.LBB422_64:
	s_or_b32 exec_lo, exec_lo, s9
	v_xad_u32 v11, v74, -1, s7
	s_mov_b32 s10, 0
	s_mov_b32 s9, exec_lo
	s_delay_alu instid0(VALU_DEP_1) | instskip(NEXT) | instid1(VALU_DEP_1)
	v_add_nc_u32_e32 v3, 32, v11
	v_lshlrev_b64 v[3:4], 4, v[3:4]
	s_delay_alu instid0(VALU_DEP_1) | instskip(NEXT) | instid1(VALU_DEP_2)
	v_add_co_u32 v3, vcc_lo, s14, v3
	v_add_co_ci_u32_e32 v4, vcc_lo, s15, v4, vcc_lo
	;;#ASMSTART
	global_load_dwordx4 v[5:8], v[3:4] off glc	
s_waitcnt vmcnt(0)
	;;#ASMEND
	v_and_b32_e32 v8, 0xff, v6
	v_and_b32_e32 v12, 0xff00, v6
	v_or3_b32 v5, v5, 0, 0
	v_and_b32_e32 v13, 0xff000000, v6
	v_and_b32_e32 v6, 0xff0000, v6
	s_delay_alu instid0(VALU_DEP_4) | instskip(SKIP_2) | instid1(VALU_DEP_3)
	v_or3_b32 v8, 0, v8, v12
	v_and_b32_e32 v12, 0xff, v7
	v_or3_b32 v5, v5, 0, 0
	v_or3_b32 v6, v8, v6, v13
	s_delay_alu instid0(VALU_DEP_3)
	v_cmpx_eq_u16_e32 0, v12
	s_cbranch_execz .LBB422_67
.LBB422_65:                             ; =>This Inner Loop Header: Depth=1
	;;#ASMSTART
	global_load_dwordx4 v[5:8], v[3:4] off glc	
s_waitcnt vmcnt(0)
	;;#ASMEND
	v_and_b32_e32 v8, 0xff, v7
	s_delay_alu instid0(VALU_DEP_1) | instskip(SKIP_1) | instid1(SALU_CYCLE_1)
	v_cmp_ne_u16_e32 vcc_lo, 0, v8
	s_or_b32 s10, vcc_lo, s10
	s_and_not1_b32 exec_lo, exec_lo, s10
	s_cbranch_execnz .LBB422_65
; %bb.66:
	s_or_b32 exec_lo, exec_lo, s10
.LBB422_67:
	s_delay_alu instid0(SALU_CYCLE_1)
	s_or_b32 exec_lo, exec_lo, s9
	v_cmp_ne_u32_e32 vcc_lo, 31, v74
	v_and_b32_e32 v4, 0xff, v7
	v_lshlrev_b32_e64 v18, v74, -1
	s_mov_b32 s9, exec_lo
	v_add_co_ci_u32_e32 v3, vcc_lo, 0, v74, vcc_lo
	s_delay_alu instid0(VALU_DEP_3) | instskip(NEXT) | instid1(VALU_DEP_2)
	v_cmp_eq_u16_e32 vcc_lo, 2, v4
	v_dual_mov_b32 v4, v5 :: v_dual_lshlrev_b32 v17, 2, v3
	v_and_or_b32 v3, vcc_lo, v18, 0x80000000
	ds_bpermute_b32 v12, v17, v5
	ds_bpermute_b32 v8, v17, v6
	v_ctz_i32_b32_e32 v3, v3
	s_delay_alu instid0(VALU_DEP_1)
	v_cmpx_lt_u32_e64 v74, v3
	s_cbranch_execz .LBB422_69
; %bb.68:
	s_waitcnt lgkmcnt(1)
	v_add_co_u32 v4, vcc_lo, v5, v12
	v_add_co_ci_u32_e32 v6, vcc_lo, 0, v6, vcc_lo
	s_delay_alu instid0(VALU_DEP_2) | instskip(SKIP_1) | instid1(VALU_DEP_2)
	v_add_co_u32 v5, vcc_lo, 0, v4
	s_waitcnt lgkmcnt(0)
	v_add_co_ci_u32_e32 v6, vcc_lo, v8, v6, vcc_lo
.LBB422_69:
	s_or_b32 exec_lo, exec_lo, s9
	v_cmp_gt_u32_e32 vcc_lo, 30, v74
	v_add_nc_u32_e32 v20, 2, v74
	s_mov_b32 s9, exec_lo
	s_waitcnt lgkmcnt(0)
	v_cndmask_b32_e64 v8, 0, 1, vcc_lo
	s_delay_alu instid0(VALU_DEP_1) | instskip(NEXT) | instid1(VALU_DEP_1)
	v_lshlrev_b32_e32 v8, 1, v8
	v_add_lshl_u32 v19, v8, v74, 2
	ds_bpermute_b32 v12, v19, v4
	ds_bpermute_b32 v8, v19, v6
	v_cmpx_le_u32_e64 v20, v3
	s_cbranch_execz .LBB422_71
; %bb.70:
	s_waitcnt lgkmcnt(1)
	v_add_co_u32 v4, vcc_lo, v5, v12
	v_add_co_ci_u32_e32 v6, vcc_lo, 0, v6, vcc_lo
	s_delay_alu instid0(VALU_DEP_2) | instskip(SKIP_1) | instid1(VALU_DEP_2)
	v_add_co_u32 v5, vcc_lo, 0, v4
	s_waitcnt lgkmcnt(0)
	v_add_co_ci_u32_e32 v6, vcc_lo, v8, v6, vcc_lo
.LBB422_71:
	s_or_b32 exec_lo, exec_lo, s9
	v_cmp_gt_u32_e32 vcc_lo, 28, v74
	v_add_nc_u32_e32 v22, 4, v74
	s_mov_b32 s9, exec_lo
	s_waitcnt lgkmcnt(0)
	v_cndmask_b32_e64 v8, 0, 1, vcc_lo
	s_delay_alu instid0(VALU_DEP_1) | instskip(NEXT) | instid1(VALU_DEP_1)
	v_lshlrev_b32_e32 v8, 2, v8
	v_add_lshl_u32 v21, v8, v74, 2
	ds_bpermute_b32 v12, v21, v4
	ds_bpermute_b32 v8, v21, v6
	v_cmpx_le_u32_e64 v22, v3
	;; [unrolled: 22-line block ×4, first 2 shown]
	s_cbranch_execz .LBB422_77
; %bb.76:
	s_waitcnt lgkmcnt(1)
	v_add_co_u32 v3, vcc_lo, v5, v8
	v_add_co_ci_u32_e32 v6, vcc_lo, 0, v6, vcc_lo
	s_delay_alu instid0(VALU_DEP_2) | instskip(SKIP_1) | instid1(VALU_DEP_2)
	v_add_co_u32 v5, vcc_lo, v3, 0
	s_waitcnt lgkmcnt(0)
	v_add_co_ci_u32_e32 v6, vcc_lo, v6, v4, vcc_lo
.LBB422_77:
	s_or_b32 exec_lo, exec_lo, s9
	v_mov_b32_e32 v12, 0
	s_branch .LBB422_79
.LBB422_78:                             ;   in Loop: Header=BB422_79 Depth=1
	s_or_b32 exec_lo, exec_lo, s9
	v_add_co_u32 v5, vcc_lo, v5, v3
	v_subrev_nc_u32_e32 v11, 32, v11
	v_add_co_ci_u32_e32 v6, vcc_lo, v6, v4, vcc_lo
.LBB422_79:                             ; =>This Loop Header: Depth=1
                                        ;     Child Loop BB422_82 Depth 2
	v_and_b32_e32 v3, 0xff, v7
	s_delay_alu instid0(VALU_DEP_1) | instskip(SKIP_2) | instid1(VALU_DEP_1)
	v_cmp_ne_u16_e32 vcc_lo, 2, v3
	v_cndmask_b32_e64 v3, 0, 1, vcc_lo
	;;#ASMSTART
	;;#ASMEND
	v_cmp_ne_u32_e32 vcc_lo, 0, v3
	s_waitcnt lgkmcnt(0)
	v_dual_mov_b32 v3, v5 :: v_dual_mov_b32 v4, v6
	s_cmp_lg_u32 vcc_lo, exec_lo
	s_cbranch_scc1 .LBB422_94
; %bb.80:                               ;   in Loop: Header=BB422_79 Depth=1
	v_lshlrev_b64 v[5:6], 4, v[11:12]
	s_mov_b32 s9, exec_lo
	s_delay_alu instid0(VALU_DEP_1) | instskip(NEXT) | instid1(VALU_DEP_2)
	v_add_co_u32 v13, vcc_lo, s14, v5
	v_add_co_ci_u32_e32 v14, vcc_lo, s15, v6, vcc_lo
	;;#ASMSTART
	global_load_dwordx4 v[5:8], v[13:14] off glc	
s_waitcnt vmcnt(0)
	;;#ASMEND
	v_and_b32_e32 v8, 0xff, v6
	v_and_b32_e32 v27, 0xff00, v6
	v_or3_b32 v5, v5, 0, 0
	v_and_b32_e32 v28, 0xff000000, v6
	v_and_b32_e32 v6, 0xff0000, v6
	s_delay_alu instid0(VALU_DEP_4) | instskip(SKIP_2) | instid1(VALU_DEP_3)
	v_or3_b32 v8, 0, v8, v27
	v_and_b32_e32 v27, 0xff, v7
	v_or3_b32 v5, v5, 0, 0
	v_or3_b32 v6, v8, v6, v28
	s_delay_alu instid0(VALU_DEP_3)
	v_cmpx_eq_u16_e32 0, v27
	s_cbranch_execz .LBB422_84
; %bb.81:                               ;   in Loop: Header=BB422_79 Depth=1
	s_mov_b32 s10, 0
.LBB422_82:                             ;   Parent Loop BB422_79 Depth=1
                                        ; =>  This Inner Loop Header: Depth=2
	;;#ASMSTART
	global_load_dwordx4 v[5:8], v[13:14] off glc	
s_waitcnt vmcnt(0)
	;;#ASMEND
	v_and_b32_e32 v8, 0xff, v7
	s_delay_alu instid0(VALU_DEP_1) | instskip(SKIP_1) | instid1(SALU_CYCLE_1)
	v_cmp_ne_u16_e32 vcc_lo, 0, v8
	s_or_b32 s10, vcc_lo, s10
	s_and_not1_b32 exec_lo, exec_lo, s10
	s_cbranch_execnz .LBB422_82
; %bb.83:                               ;   in Loop: Header=BB422_79 Depth=1
	s_or_b32 exec_lo, exec_lo, s10
.LBB422_84:                             ;   in Loop: Header=BB422_79 Depth=1
	s_delay_alu instid0(SALU_CYCLE_1)
	s_or_b32 exec_lo, exec_lo, s9
	v_dual_mov_b32 v13, v5 :: v_dual_and_b32 v8, 0xff, v7
	ds_bpermute_b32 v27, v17, v5
	ds_bpermute_b32 v14, v17, v6
	s_mov_b32 s9, exec_lo
	v_cmp_eq_u16_e32 vcc_lo, 2, v8
	v_and_or_b32 v8, vcc_lo, v18, 0x80000000
	s_delay_alu instid0(VALU_DEP_1) | instskip(NEXT) | instid1(VALU_DEP_1)
	v_ctz_i32_b32_e32 v8, v8
	v_cmpx_lt_u32_e64 v74, v8
	s_cbranch_execz .LBB422_86
; %bb.85:                               ;   in Loop: Header=BB422_79 Depth=1
	s_waitcnt lgkmcnt(1)
	v_add_co_u32 v13, vcc_lo, v5, v27
	v_add_co_ci_u32_e32 v6, vcc_lo, 0, v6, vcc_lo
	s_delay_alu instid0(VALU_DEP_2) | instskip(SKIP_1) | instid1(VALU_DEP_2)
	v_add_co_u32 v5, vcc_lo, 0, v13
	s_waitcnt lgkmcnt(0)
	v_add_co_ci_u32_e32 v6, vcc_lo, v14, v6, vcc_lo
.LBB422_86:                             ;   in Loop: Header=BB422_79 Depth=1
	s_or_b32 exec_lo, exec_lo, s9
	s_waitcnt lgkmcnt(1)
	ds_bpermute_b32 v27, v19, v13
	s_waitcnt lgkmcnt(1)
	ds_bpermute_b32 v14, v19, v6
	s_mov_b32 s9, exec_lo
	v_cmpx_le_u32_e64 v20, v8
	s_cbranch_execz .LBB422_88
; %bb.87:                               ;   in Loop: Header=BB422_79 Depth=1
	s_waitcnt lgkmcnt(1)
	v_add_co_u32 v13, vcc_lo, v5, v27
	v_add_co_ci_u32_e32 v6, vcc_lo, 0, v6, vcc_lo
	s_delay_alu instid0(VALU_DEP_2) | instskip(SKIP_1) | instid1(VALU_DEP_2)
	v_add_co_u32 v5, vcc_lo, 0, v13
	s_waitcnt lgkmcnt(0)
	v_add_co_ci_u32_e32 v6, vcc_lo, v14, v6, vcc_lo
.LBB422_88:                             ;   in Loop: Header=BB422_79 Depth=1
	s_or_b32 exec_lo, exec_lo, s9
	s_waitcnt lgkmcnt(1)
	ds_bpermute_b32 v27, v21, v13
	s_waitcnt lgkmcnt(1)
	ds_bpermute_b32 v14, v21, v6
	s_mov_b32 s9, exec_lo
	v_cmpx_le_u32_e64 v22, v8
	;; [unrolled: 17-line block ×3, first 2 shown]
	s_cbranch_execz .LBB422_92
; %bb.91:                               ;   in Loop: Header=BB422_79 Depth=1
	s_waitcnt lgkmcnt(1)
	v_add_co_u32 v13, vcc_lo, v5, v27
	v_add_co_ci_u32_e32 v6, vcc_lo, 0, v6, vcc_lo
	s_delay_alu instid0(VALU_DEP_2) | instskip(SKIP_1) | instid1(VALU_DEP_2)
	v_add_co_u32 v5, vcc_lo, 0, v13
	s_waitcnt lgkmcnt(0)
	v_add_co_ci_u32_e32 v6, vcc_lo, v14, v6, vcc_lo
.LBB422_92:                             ;   in Loop: Header=BB422_79 Depth=1
	s_or_b32 exec_lo, exec_lo, s9
	s_waitcnt lgkmcnt(0)
	ds_bpermute_b32 v14, v25, v13
	ds_bpermute_b32 v13, v25, v6
	s_mov_b32 s9, exec_lo
	v_cmpx_le_u32_e64 v26, v8
	s_cbranch_execz .LBB422_78
; %bb.93:                               ;   in Loop: Header=BB422_79 Depth=1
	s_waitcnt lgkmcnt(1)
	v_add_co_u32 v5, vcc_lo, v5, v14
	v_add_co_ci_u32_e32 v6, vcc_lo, 0, v6, vcc_lo
	s_delay_alu instid0(VALU_DEP_2) | instskip(SKIP_1) | instid1(VALU_DEP_2)
	v_add_co_u32 v5, vcc_lo, v5, 0
	s_waitcnt lgkmcnt(0)
	v_add_co_ci_u32_e32 v6, vcc_lo, v6, v13, vcc_lo
	s_branch .LBB422_78
.LBB422_94:                             ;   in Loop: Header=BB422_79 Depth=1
                                        ; implicit-def: $vgpr5_vgpr6
	s_cbranch_execz .LBB422_79
; %bb.95:
	s_and_saveexec_b32 s9, s1
	s_cbranch_execz .LBB422_97
; %bb.96:
	s_add_i32 s10, s7, 32
	s_mov_b32 s11, 0
	v_add_co_u32 v5, vcc_lo, v3, v1
	s_lshl_b64 s[10:11], s[10:11], 4
	v_dual_mov_b32 v7, 2 :: v_dual_mov_b32 v8, 0
	s_add_u32 s10, s14, s10
	s_addc_u32 s11, s15, s11
	v_add_co_ci_u32_e32 v6, vcc_lo, v4, v2, vcc_lo
	v_dual_mov_b32 v12, s11 :: v_dual_mov_b32 v11, s10
	;;#ASMSTART
	global_store_dwordx4 v[11:12], v[5:8] off	
s_waitcnt vmcnt(0)
	;;#ASMEND
	ds_store_b128 v8, v[1:4] offset:7168
.LBB422_97:
	s_or_b32 exec_lo, exec_lo, s9
	s_delay_alu instid0(SALU_CYCLE_1)
	s_and_b32 exec_lo, exec_lo, s2
	s_cbranch_execz .LBB422_99
; %bb.98:
	v_mov_b32_e32 v1, 0
	ds_store_b64 v1, v[3:4] offset:24
.LBB422_99:
	s_or_b32 exec_lo, exec_lo, s8
	v_mov_b32_e32 v21, 0
	s_waitcnt lgkmcnt(0)
	s_barrier
	buffer_gl0_inv
	v_cndmask_b32_e64 v3, v15, v9, s1
	ds_load_b64 v[1:2], v21 offset:24
	v_cndmask_b32_e64 v4, v16, v10, s1
	s_waitcnt lgkmcnt(0)
	s_barrier
	v_cndmask_b32_e64 v3, v3, 0, s2
	buffer_gl0_inv
	v_cndmask_b32_e64 v4, v4, 0, s2
	ds_load_b128 v[45:48], v21 offset:7168
	v_add_co_u32 v1, vcc_lo, v1, v3
	v_add_co_ci_u32_e32 v2, vcc_lo, v2, v4, vcc_lo
	s_delay_alu instid0(VALU_DEP_2) | instskip(NEXT) | instid1(VALU_DEP_2)
	v_add_co_u32 v3, vcc_lo, v1, v65
	v_add_co_ci_u32_e32 v4, vcc_lo, 0, v2, vcc_lo
	s_delay_alu instid0(VALU_DEP_2) | instskip(NEXT) | instid1(VALU_DEP_2)
	;; [unrolled: 3-line block ×13, first 2 shown]
	v_add_co_u32 v27, vcc_lo, v25, v64
	v_add_co_ci_u32_e32 v28, vcc_lo, 0, v26, vcc_lo
	s_branch .LBB422_124
.LBB422_100:
                                        ; implicit-def: $vgpr47_vgpr48
                                        ; implicit-def: $vgpr1_vgpr2_vgpr3_vgpr4_vgpr5_vgpr6_vgpr7_vgpr8_vgpr9_vgpr10_vgpr11_vgpr12_vgpr13_vgpr14_vgpr15_vgpr16_vgpr17_vgpr18_vgpr19_vgpr20_vgpr21_vgpr22_vgpr23_vgpr24_vgpr25_vgpr26_vgpr27_vgpr28_vgpr29_vgpr30_vgpr31_vgpr32
	s_and_b32 vcc_lo, exec_lo, s1
	s_cbranch_vccz .LBB422_124
; %bb.101:
	v_dual_mov_b32 v2, 0 :: v_dual_mov_b32 v3, v53
	v_mov_b32_dpp v4, v53 row_shr:1 row_mask:0xf bank_mask:0xf
	s_delay_alu instid0(VALU_DEP_2)
	v_mov_b32_dpp v1, v2 row_shr:1 row_mask:0xf bank_mask:0xf
	s_and_saveexec_b32 s1, s0
; %bb.102:
	s_delay_alu instid0(VALU_DEP_2) | instskip(SKIP_1) | instid1(VALU_DEP_2)
	v_add_co_u32 v3, vcc_lo, v53, v4
	v_add_co_ci_u32_e32 v2, vcc_lo, 0, v54, vcc_lo
	v_add_co_u32 v53, vcc_lo, 0, v3
	s_delay_alu instid0(VALU_DEP_2) | instskip(NEXT) | instid1(VALU_DEP_1)
	v_add_co_ci_u32_e32 v54, vcc_lo, v1, v2, vcc_lo
	v_mov_b32_e32 v2, v54
; %bb.103:
	s_or_b32 exec_lo, exec_lo, s1
	v_mov_b32_dpp v1, v3 row_shr:2 row_mask:0xf bank_mask:0xf
	s_delay_alu instid0(VALU_DEP_2)
	v_mov_b32_dpp v4, v2 row_shr:2 row_mask:0xf bank_mask:0xf
	s_mov_b32 s0, exec_lo
	v_cmpx_lt_u32_e32 1, v75
; %bb.104:
	s_delay_alu instid0(VALU_DEP_3) | instskip(SKIP_1) | instid1(VALU_DEP_2)
	v_add_co_u32 v3, vcc_lo, v53, v1
	v_add_co_ci_u32_e32 v2, vcc_lo, 0, v54, vcc_lo
	v_add_co_u32 v1, vcc_lo, 0, v3
	s_delay_alu instid0(VALU_DEP_2) | instskip(NEXT) | instid1(VALU_DEP_1)
	v_add_co_ci_u32_e32 v2, vcc_lo, v4, v2, vcc_lo
	v_dual_mov_b32 v54, v2 :: v_dual_mov_b32 v53, v1
; %bb.105:
	s_or_b32 exec_lo, exec_lo, s0
	v_mov_b32_dpp v1, v3 row_shr:4 row_mask:0xf bank_mask:0xf
	v_mov_b32_dpp v4, v2 row_shr:4 row_mask:0xf bank_mask:0xf
	s_mov_b32 s0, exec_lo
	v_cmpx_lt_u32_e32 3, v75
; %bb.106:
	s_delay_alu instid0(VALU_DEP_3) | instskip(SKIP_1) | instid1(VALU_DEP_2)
	v_add_co_u32 v3, vcc_lo, v53, v1
	v_add_co_ci_u32_e32 v2, vcc_lo, 0, v54, vcc_lo
	v_add_co_u32 v1, vcc_lo, 0, v3
	s_delay_alu instid0(VALU_DEP_2) | instskip(NEXT) | instid1(VALU_DEP_1)
	v_add_co_ci_u32_e32 v2, vcc_lo, v4, v2, vcc_lo
	v_dual_mov_b32 v54, v2 :: v_dual_mov_b32 v53, v1
; %bb.107:
	s_or_b32 exec_lo, exec_lo, s0
	v_mov_b32_dpp v4, v3 row_shr:8 row_mask:0xf bank_mask:0xf
	v_mov_b32_dpp v1, v2 row_shr:8 row_mask:0xf bank_mask:0xf
	s_mov_b32 s0, exec_lo
	v_cmpx_lt_u32_e32 7, v75
; %bb.108:
	s_delay_alu instid0(VALU_DEP_3) | instskip(SKIP_1) | instid1(VALU_DEP_2)
	v_add_co_u32 v3, vcc_lo, v53, v4
	v_add_co_ci_u32_e32 v2, vcc_lo, 0, v54, vcc_lo
	v_add_co_u32 v53, vcc_lo, 0, v3
	s_delay_alu instid0(VALU_DEP_2) | instskip(NEXT) | instid1(VALU_DEP_1)
	v_add_co_ci_u32_e32 v54, vcc_lo, v1, v2, vcc_lo
	v_mov_b32_e32 v2, v54
; %bb.109:
	s_or_b32 exec_lo, exec_lo, s0
	ds_swizzle_b32 v3, v3 offset:swizzle(BROADCAST,32,15)
	ds_swizzle_b32 v1, v2 offset:swizzle(BROADCAST,32,15)
	v_and_b32_e32 v2, 16, v74
	s_mov_b32 s0, exec_lo
	s_delay_alu instid0(VALU_DEP_1)
	v_cmpx_ne_u32_e32 0, v2
	s_cbranch_execz .LBB422_111
; %bb.110:
	s_waitcnt lgkmcnt(1)
	v_add_co_u32 v2, vcc_lo, v53, v3
	v_add_co_ci_u32_e32 v3, vcc_lo, 0, v54, vcc_lo
	s_delay_alu instid0(VALU_DEP_2) | instskip(SKIP_1) | instid1(VALU_DEP_2)
	v_add_co_u32 v53, vcc_lo, v2, 0
	s_waitcnt lgkmcnt(0)
	v_add_co_ci_u32_e32 v54, vcc_lo, v3, v1, vcc_lo
.LBB422_111:
	s_or_b32 exec_lo, exec_lo, s0
	s_waitcnt lgkmcnt(0)
	v_or_b32_e32 v1, 31, v0
	v_lshrrev_b32_e32 v3, 5, v0
	s_mov_b32 s0, exec_lo
	s_delay_alu instid0(VALU_DEP_2)
	v_cmpx_eq_u32_e64 v1, v0
	s_cbranch_execz .LBB422_113
; %bb.112:
	s_delay_alu instid0(VALU_DEP_2)
	v_lshlrev_b32_e32 v1, 3, v3
	ds_store_b64 v1, v[53:54]
.LBB422_113:
	s_or_b32 exec_lo, exec_lo, s0
	s_delay_alu instid0(SALU_CYCLE_1)
	s_mov_b32 s0, exec_lo
	s_waitcnt lgkmcnt(0)
	s_barrier
	buffer_gl0_inv
	v_cmpx_gt_u32_e32 4, v0
	s_cbranch_execz .LBB422_119
; %bb.114:
	v_mad_i32_i24 v1, 0xffffffd0, v0, v63
	s_mov_b32 s1, exec_lo
	ds_load_b64 v[1:2], v1
	s_waitcnt lgkmcnt(0)
	v_dual_mov_b32 v5, v1 :: v_dual_and_b32 v4, 3, v74
	v_mov_b32_dpp v7, v1 row_shr:1 row_mask:0xf bank_mask:0xf
	v_mov_b32_dpp v6, v2 row_shr:1 row_mask:0xf bank_mask:0xf
	s_delay_alu instid0(VALU_DEP_3)
	v_cmpx_ne_u32_e32 0, v4
; %bb.115:
	s_delay_alu instid0(VALU_DEP_3) | instskip(SKIP_1) | instid1(VALU_DEP_2)
	v_add_co_u32 v5, vcc_lo, v1, v7
	v_add_co_ci_u32_e32 v2, vcc_lo, 0, v2, vcc_lo
	v_add_co_u32 v1, vcc_lo, 0, v5
	s_delay_alu instid0(VALU_DEP_2)
	v_add_co_ci_u32_e32 v2, vcc_lo, v6, v2, vcc_lo
; %bb.116:
	s_or_b32 exec_lo, exec_lo, s1
	v_mul_i32_i24_e32 v6, 0xffffffd0, v0
	v_mov_b32_dpp v7, v5 row_shr:2 row_mask:0xf bank_mask:0xf
	s_delay_alu instid0(VALU_DEP_3)
	v_mov_b32_dpp v5, v2 row_shr:2 row_mask:0xf bank_mask:0xf
	s_mov_b32 s1, exec_lo
	v_cmpx_lt_u32_e32 1, v4
; %bb.117:
	s_delay_alu instid0(VALU_DEP_3) | instskip(SKIP_1) | instid1(VALU_DEP_2)
	v_add_co_u32 v1, vcc_lo, v1, v7
	v_add_co_ci_u32_e32 v2, vcc_lo, 0, v2, vcc_lo
	v_add_co_u32 v1, vcc_lo, v1, 0
	s_delay_alu instid0(VALU_DEP_2)
	v_add_co_ci_u32_e32 v2, vcc_lo, v2, v5, vcc_lo
; %bb.118:
	s_or_b32 exec_lo, exec_lo, s1
	v_add_nc_u32_e32 v4, v63, v6
	ds_store_b64 v4, v[1:2]
.LBB422_119:
	s_or_b32 exec_lo, exec_lo, s0
	v_mov_b32_e32 v1, 0
	v_mov_b32_e32 v2, 0
	s_mov_b32 s0, exec_lo
	s_waitcnt lgkmcnt(0)
	s_barrier
	buffer_gl0_inv
	v_cmpx_lt_u32_e32 31, v0
	s_cbranch_execz .LBB422_121
; %bb.120:
	v_lshl_add_u32 v1, v3, 3, -8
	ds_load_b64 v[1:2], v1
.LBB422_121:
	s_or_b32 exec_lo, exec_lo, s0
	v_dual_mov_b32 v48, 0 :: v_dual_add_nc_u32 v3, -1, v74
	s_delay_alu instid0(VALU_DEP_1) | instskip(SKIP_2) | instid1(VALU_DEP_1)
	v_cmp_gt_i32_e32 vcc_lo, 0, v3
	ds_load_b64 v[45:46], v48 offset:24
	v_cndmask_b32_e32 v3, v3, v74, vcc_lo
	v_lshlrev_b32_e32 v4, 2, v3
	s_waitcnt lgkmcnt(1)
	v_add_co_u32 v3, vcc_lo, v1, v53
	v_add_co_ci_u32_e32 v5, vcc_lo, v2, v54, vcc_lo
	ds_bpermute_b32 v3, v4, v3
	ds_bpermute_b32 v4, v4, v5
	s_and_saveexec_b32 s0, s2
	s_cbranch_execz .LBB422_123
; %bb.122:
	s_add_u32 s8, s14, 0x200
	s_addc_u32 s9, s15, 0
	v_mov_b32_e32 v5, s8
	v_dual_mov_b32 v47, 2 :: v_dual_mov_b32 v6, s9
	s_waitcnt lgkmcnt(2)
	;;#ASMSTART
	global_store_dwordx4 v[5:6], v[45:48] off	
s_waitcnt vmcnt(0)
	;;#ASMEND
.LBB422_123:
	s_or_b32 exec_lo, exec_lo, s0
	v_cmp_eq_u32_e32 vcc_lo, 0, v74
	v_mov_b32_e32 v47, 0
	v_mov_b32_e32 v48, 0
	s_waitcnt lgkmcnt(0)
	s_barrier
	v_dual_cndmask_b32 v1, v3, v1 :: v_dual_cndmask_b32 v2, v4, v2
	buffer_gl0_inv
	v_cndmask_b32_e64 v1, v1, 0, s2
	v_cndmask_b32_e64 v2, v2, 0, s2
	s_delay_alu instid0(VALU_DEP_2) | instskip(NEXT) | instid1(VALU_DEP_2)
	v_add_co_u32 v3, vcc_lo, v1, v65
	v_add_co_ci_u32_e32 v4, vcc_lo, 0, v2, vcc_lo
	s_delay_alu instid0(VALU_DEP_2) | instskip(NEXT) | instid1(VALU_DEP_2)
	v_add_co_u32 v5, vcc_lo, v3, v66
	v_add_co_ci_u32_e32 v6, vcc_lo, 0, v4, vcc_lo
	;; [unrolled: 3-line block ×13, first 2 shown]
.LBB422_124:
	s_waitcnt lgkmcnt(0)
	v_cmp_gt_u64_e32 vcc_lo, 0x81, v[45:46]
	v_lshrrev_b32_e32 v53, 16, v58
	v_lshrrev_b32_e32 v54, 8, v58
	;; [unrolled: 1-line block ×6, first 2 shown]
	s_mov_b32 s0, -1
	s_cbranch_vccnz .LBB422_128
; %bb.125:
	s_and_b32 vcc_lo, exec_lo, s0
	s_cbranch_vccnz .LBB422_171
.LBB422_126:
	s_and_b32 s0, s2, s3
	s_delay_alu instid0(SALU_CYCLE_1)
	s_and_saveexec_b32 s1, s0
	s_cbranch_execnz .LBB422_203
.LBB422_127:
	s_nop 0
	s_sendmsg sendmsg(MSG_DEALLOC_VGPRS)
	s_endpgm
.LBB422_128:
	v_add_co_u32 v29, vcc_lo, v47, v45
	v_add_co_ci_u32_e32 v30, vcc_lo, v48, v46, vcc_lo
	v_lshlrev_b64 v[65:66], 2, v[49:50]
	s_delay_alu instid0(VALU_DEP_2) | instskip(NEXT) | instid1(VALU_DEP_2)
	v_cmp_lt_u64_e32 vcc_lo, v[1:2], v[29:30]
	v_add_co_u32 v65, s0, s12, v65
	s_delay_alu instid0(VALU_DEP_1) | instskip(SKIP_1) | instid1(SALU_CYCLE_1)
	v_add_co_ci_u32_e64 v66, s0, s13, v66, s0
	s_or_b32 s1, s6, vcc_lo
	s_and_saveexec_b32 s0, s1
	s_cbranch_execz .LBB422_131
; %bb.129:
	v_and_b32_e32 v67, 1, v61
	s_delay_alu instid0(VALU_DEP_1)
	v_cmp_eq_u32_e32 vcc_lo, 1, v67
	s_and_b32 exec_lo, exec_lo, vcc_lo
	s_cbranch_execz .LBB422_131
; %bb.130:
	v_lshlrev_b64 v[67:68], 2, v[1:2]
	s_delay_alu instid0(VALU_DEP_1) | instskip(NEXT) | instid1(VALU_DEP_2)
	v_add_co_u32 v67, vcc_lo, v65, v67
	v_add_co_ci_u32_e32 v68, vcc_lo, v66, v68, vcc_lo
	global_store_b32 v[67:68], v41, off
.LBB422_131:
	s_or_b32 exec_lo, exec_lo, s0
	v_cmp_lt_u64_e32 vcc_lo, v[3:4], v[29:30]
	s_or_b32 s1, s6, vcc_lo
	s_delay_alu instid0(SALU_CYCLE_1)
	s_and_saveexec_b32 s0, s1
	s_cbranch_execz .LBB422_134
; %bb.132:
	v_and_b32_e32 v2, 1, v64
	s_delay_alu instid0(VALU_DEP_1)
	v_cmp_eq_u32_e32 vcc_lo, 1, v2
	s_and_b32 exec_lo, exec_lo, vcc_lo
	s_cbranch_execz .LBB422_134
; %bb.133:
	v_lshlrev_b64 v[67:68], 2, v[3:4]
	s_delay_alu instid0(VALU_DEP_1) | instskip(NEXT) | instid1(VALU_DEP_2)
	v_add_co_u32 v67, vcc_lo, v65, v67
	v_add_co_ci_u32_e32 v68, vcc_lo, v66, v68, vcc_lo
	global_store_b32 v[67:68], v42, off
.LBB422_134:
	s_or_b32 exec_lo, exec_lo, s0
	v_cmp_lt_u64_e32 vcc_lo, v[5:6], v[29:30]
	s_or_b32 s1, s6, vcc_lo
	s_delay_alu instid0(SALU_CYCLE_1)
	;; [unrolled: 19-line block ×13, first 2 shown]
	s_and_saveexec_b32 s0, s1
	s_cbranch_execz .LBB422_170
; %bb.168:
	v_and_b32_e32 v2, 1, v55
	s_delay_alu instid0(VALU_DEP_1)
	v_cmp_eq_u32_e32 vcc_lo, 1, v2
	s_and_b32 exec_lo, exec_lo, vcc_lo
	s_cbranch_execz .LBB422_170
; %bb.169:
	v_lshlrev_b64 v[28:29], 2, v[27:28]
	s_delay_alu instid0(VALU_DEP_1) | instskip(NEXT) | instid1(VALU_DEP_2)
	v_add_co_u32 v28, vcc_lo, v65, v28
	v_add_co_ci_u32_e32 v29, vcc_lo, v66, v29, vcc_lo
	global_store_b32 v[28:29], v52, off
.LBB422_170:
	s_or_b32 exec_lo, exec_lo, s0
	s_branch .LBB422_126
.LBB422_171:
	v_and_b32_e32 v2, 1, v61
	s_mov_b32 s0, exec_lo
	s_delay_alu instid0(VALU_DEP_1)
	v_cmpx_eq_u32_e32 1, v2
	s_cbranch_execz .LBB422_173
; %bb.172:
	v_sub_nc_u32_e32 v1, v1, v47
	s_delay_alu instid0(VALU_DEP_1)
	v_lshlrev_b32_e32 v1, 2, v1
	ds_store_b32 v1, v41
.LBB422_173:
	s_or_b32 exec_lo, exec_lo, s0
	v_and_b32_e32 v1, 1, v64
	s_mov_b32 s0, exec_lo
	s_delay_alu instid0(VALU_DEP_1)
	v_cmpx_eq_u32_e32 1, v1
	s_cbranch_execz .LBB422_175
; %bb.174:
	v_sub_nc_u32_e32 v1, v3, v47
	s_delay_alu instid0(VALU_DEP_1)
	v_lshlrev_b32_e32 v1, 2, v1
	ds_store_b32 v1, v42
.LBB422_175:
	s_or_b32 exec_lo, exec_lo, s0
	;; [unrolled: 12-line block ×14, first 2 shown]
	v_mov_b32_e32 v1, 0
	s_mov_b32 s1, exec_lo
	s_waitcnt lgkmcnt(0)
	s_waitcnt_vscnt null, 0x0
	s_barrier
	buffer_gl0_inv
	v_cmpx_gt_u64_e64 v[45:46], v[0:1]
	s_cbranch_execz .LBB422_202
; %bb.200:
	v_lshlrev_b64 v[2:3], 2, v[47:48]
	v_lshlrev_b64 v[4:5], 2, v[49:50]
	s_mov_b32 s6, 0
	s_delay_alu instid0(VALU_DEP_2) | instskip(NEXT) | instid1(VALU_DEP_3)
	v_add_co_u32 v6, vcc_lo, s12, v2
	v_add_co_ci_u32_e32 v7, vcc_lo, s13, v3, vcc_lo
	v_dual_mov_b32 v3, v1 :: v_dual_mov_b32 v2, v0
	s_delay_alu instid0(VALU_DEP_3) | instskip(NEXT) | instid1(VALU_DEP_3)
	v_add_co_u32 v4, vcc_lo, v6, v4
	v_add_co_ci_u32_e32 v5, vcc_lo, v7, v5, vcc_lo
	v_or_b32_e32 v0, 0x80, v0
	.p2align	6
.LBB422_201:                            ; =>This Inner Loop Header: Depth=1
	s_delay_alu instid0(VALU_DEP_4) | instskip(NEXT) | instid1(VALU_DEP_2)
	v_lshlrev_b32_e32 v6, 2, v2
	v_cmp_le_u64_e32 vcc_lo, v[45:46], v[0:1]
	ds_load_b32 v8, v6
	v_lshlrev_b64 v[6:7], 2, v[2:3]
	v_dual_mov_b32 v3, v1 :: v_dual_mov_b32 v2, v0
	v_add_nc_u32_e32 v0, 0x80, v0
	s_or_b32 s6, vcc_lo, s6
	s_delay_alu instid0(VALU_DEP_3) | instskip(NEXT) | instid1(VALU_DEP_1)
	v_add_co_u32 v6, s0, v4, v6
	v_add_co_ci_u32_e64 v7, s0, v5, v7, s0
	s_waitcnt lgkmcnt(0)
	global_store_b32 v[6:7], v8, off
	s_and_not1_b32 exec_lo, exec_lo, s6
	s_cbranch_execnz .LBB422_201
.LBB422_202:
	s_or_b32 exec_lo, exec_lo, s1
	s_and_b32 s0, s2, s3
	s_delay_alu instid0(SALU_CYCLE_1)
	s_and_saveexec_b32 s1, s0
	s_cbranch_execz .LBB422_127
.LBB422_203:
	v_add_co_u32 v0, vcc_lo, v47, v45
	v_add_co_ci_u32_e32 v1, vcc_lo, v48, v46, vcc_lo
	v_mov_b32_e32 v2, 0
	s_delay_alu instid0(VALU_DEP_3) | instskip(NEXT) | instid1(VALU_DEP_3)
	v_add_co_u32 v0, vcc_lo, v0, v49
	v_add_co_ci_u32_e32 v1, vcc_lo, v1, v50, vcc_lo
	global_store_b64 v2, v[0:1], s[4:5]
	s_nop 0
	s_sendmsg sendmsg(MSG_DEALLOC_VGPRS)
	s_endpgm
	.section	.rodata,"a",@progbits
	.p2align	6, 0x0
	.amdhsa_kernel _ZN7rocprim17ROCPRIM_400000_NS6detail17trampoline_kernelINS0_14default_configENS1_25partition_config_selectorILNS1_17partition_subalgoE6EiNS0_10empty_typeEbEEZZNS1_14partition_implILS5_6ELb0ES3_mN6thrust23THRUST_200600_302600_NS6detail15normal_iteratorINSA_10device_ptrIiEEEEPS6_SG_NS0_5tupleIJSF_S6_EEENSH_IJSG_SG_EEES6_PlJ7is_evenIiEEEE10hipError_tPvRmT3_T4_T5_T6_T7_T9_mT8_P12ihipStream_tbDpT10_ENKUlT_T0_E_clISt17integral_constantIbLb0EES15_IbLb1EEEEDaS11_S12_EUlS11_E_NS1_11comp_targetILNS1_3genE9ELNS1_11target_archE1100ELNS1_3gpuE3ELNS1_3repE0EEENS1_30default_config_static_selectorELNS0_4arch9wavefront6targetE0EEEvT1_
		.amdhsa_group_segment_fixed_size 7184
		.amdhsa_private_segment_fixed_size 0
		.amdhsa_kernarg_size 128
		.amdhsa_user_sgpr_count 15
		.amdhsa_user_sgpr_dispatch_ptr 0
		.amdhsa_user_sgpr_queue_ptr 0
		.amdhsa_user_sgpr_kernarg_segment_ptr 1
		.amdhsa_user_sgpr_dispatch_id 0
		.amdhsa_user_sgpr_private_segment_size 0
		.amdhsa_wavefront_size32 1
		.amdhsa_uses_dynamic_stack 0
		.amdhsa_enable_private_segment 0
		.amdhsa_system_sgpr_workgroup_id_x 1
		.amdhsa_system_sgpr_workgroup_id_y 0
		.amdhsa_system_sgpr_workgroup_id_z 0
		.amdhsa_system_sgpr_workgroup_info 0
		.amdhsa_system_vgpr_workitem_id 0
		.amdhsa_next_free_vgpr 76
		.amdhsa_next_free_sgpr 20
		.amdhsa_reserve_vcc 1
		.amdhsa_float_round_mode_32 0
		.amdhsa_float_round_mode_16_64 0
		.amdhsa_float_denorm_mode_32 3
		.amdhsa_float_denorm_mode_16_64 3
		.amdhsa_dx10_clamp 1
		.amdhsa_ieee_mode 1
		.amdhsa_fp16_overflow 0
		.amdhsa_workgroup_processor_mode 1
		.amdhsa_memory_ordered 1
		.amdhsa_forward_progress 0
		.amdhsa_shared_vgpr_count 0
		.amdhsa_exception_fp_ieee_invalid_op 0
		.amdhsa_exception_fp_denorm_src 0
		.amdhsa_exception_fp_ieee_div_zero 0
		.amdhsa_exception_fp_ieee_overflow 0
		.amdhsa_exception_fp_ieee_underflow 0
		.amdhsa_exception_fp_ieee_inexact 0
		.amdhsa_exception_int_div_zero 0
	.end_amdhsa_kernel
	.section	.text._ZN7rocprim17ROCPRIM_400000_NS6detail17trampoline_kernelINS0_14default_configENS1_25partition_config_selectorILNS1_17partition_subalgoE6EiNS0_10empty_typeEbEEZZNS1_14partition_implILS5_6ELb0ES3_mN6thrust23THRUST_200600_302600_NS6detail15normal_iteratorINSA_10device_ptrIiEEEEPS6_SG_NS0_5tupleIJSF_S6_EEENSH_IJSG_SG_EEES6_PlJ7is_evenIiEEEE10hipError_tPvRmT3_T4_T5_T6_T7_T9_mT8_P12ihipStream_tbDpT10_ENKUlT_T0_E_clISt17integral_constantIbLb0EES15_IbLb1EEEEDaS11_S12_EUlS11_E_NS1_11comp_targetILNS1_3genE9ELNS1_11target_archE1100ELNS1_3gpuE3ELNS1_3repE0EEENS1_30default_config_static_selectorELNS0_4arch9wavefront6targetE0EEEvT1_,"axG",@progbits,_ZN7rocprim17ROCPRIM_400000_NS6detail17trampoline_kernelINS0_14default_configENS1_25partition_config_selectorILNS1_17partition_subalgoE6EiNS0_10empty_typeEbEEZZNS1_14partition_implILS5_6ELb0ES3_mN6thrust23THRUST_200600_302600_NS6detail15normal_iteratorINSA_10device_ptrIiEEEEPS6_SG_NS0_5tupleIJSF_S6_EEENSH_IJSG_SG_EEES6_PlJ7is_evenIiEEEE10hipError_tPvRmT3_T4_T5_T6_T7_T9_mT8_P12ihipStream_tbDpT10_ENKUlT_T0_E_clISt17integral_constantIbLb0EES15_IbLb1EEEEDaS11_S12_EUlS11_E_NS1_11comp_targetILNS1_3genE9ELNS1_11target_archE1100ELNS1_3gpuE3ELNS1_3repE0EEENS1_30default_config_static_selectorELNS0_4arch9wavefront6targetE0EEEvT1_,comdat
.Lfunc_end422:
	.size	_ZN7rocprim17ROCPRIM_400000_NS6detail17trampoline_kernelINS0_14default_configENS1_25partition_config_selectorILNS1_17partition_subalgoE6EiNS0_10empty_typeEbEEZZNS1_14partition_implILS5_6ELb0ES3_mN6thrust23THRUST_200600_302600_NS6detail15normal_iteratorINSA_10device_ptrIiEEEEPS6_SG_NS0_5tupleIJSF_S6_EEENSH_IJSG_SG_EEES6_PlJ7is_evenIiEEEE10hipError_tPvRmT3_T4_T5_T6_T7_T9_mT8_P12ihipStream_tbDpT10_ENKUlT_T0_E_clISt17integral_constantIbLb0EES15_IbLb1EEEEDaS11_S12_EUlS11_E_NS1_11comp_targetILNS1_3genE9ELNS1_11target_archE1100ELNS1_3gpuE3ELNS1_3repE0EEENS1_30default_config_static_selectorELNS0_4arch9wavefront6targetE0EEEvT1_, .Lfunc_end422-_ZN7rocprim17ROCPRIM_400000_NS6detail17trampoline_kernelINS0_14default_configENS1_25partition_config_selectorILNS1_17partition_subalgoE6EiNS0_10empty_typeEbEEZZNS1_14partition_implILS5_6ELb0ES3_mN6thrust23THRUST_200600_302600_NS6detail15normal_iteratorINSA_10device_ptrIiEEEEPS6_SG_NS0_5tupleIJSF_S6_EEENSH_IJSG_SG_EEES6_PlJ7is_evenIiEEEE10hipError_tPvRmT3_T4_T5_T6_T7_T9_mT8_P12ihipStream_tbDpT10_ENKUlT_T0_E_clISt17integral_constantIbLb0EES15_IbLb1EEEEDaS11_S12_EUlS11_E_NS1_11comp_targetILNS1_3genE9ELNS1_11target_archE1100ELNS1_3gpuE3ELNS1_3repE0EEENS1_30default_config_static_selectorELNS0_4arch9wavefront6targetE0EEEvT1_
                                        ; -- End function
	.section	.AMDGPU.csdata,"",@progbits
; Kernel info:
; codeLenInByte = 8584
; NumSgprs: 22
; NumVgprs: 76
; ScratchSize: 0
; MemoryBound: 0
; FloatMode: 240
; IeeeMode: 1
; LDSByteSize: 7184 bytes/workgroup (compile time only)
; SGPRBlocks: 2
; VGPRBlocks: 9
; NumSGPRsForWavesPerEU: 22
; NumVGPRsForWavesPerEU: 76
; Occupancy: 16
; WaveLimiterHint : 1
; COMPUTE_PGM_RSRC2:SCRATCH_EN: 0
; COMPUTE_PGM_RSRC2:USER_SGPR: 15
; COMPUTE_PGM_RSRC2:TRAP_HANDLER: 0
; COMPUTE_PGM_RSRC2:TGID_X_EN: 1
; COMPUTE_PGM_RSRC2:TGID_Y_EN: 0
; COMPUTE_PGM_RSRC2:TGID_Z_EN: 0
; COMPUTE_PGM_RSRC2:TIDIG_COMP_CNT: 0
	.section	.text._ZN7rocprim17ROCPRIM_400000_NS6detail17trampoline_kernelINS0_14default_configENS1_25partition_config_selectorILNS1_17partition_subalgoE6EiNS0_10empty_typeEbEEZZNS1_14partition_implILS5_6ELb0ES3_mN6thrust23THRUST_200600_302600_NS6detail15normal_iteratorINSA_10device_ptrIiEEEEPS6_SG_NS0_5tupleIJSF_S6_EEENSH_IJSG_SG_EEES6_PlJ7is_evenIiEEEE10hipError_tPvRmT3_T4_T5_T6_T7_T9_mT8_P12ihipStream_tbDpT10_ENKUlT_T0_E_clISt17integral_constantIbLb0EES15_IbLb1EEEEDaS11_S12_EUlS11_E_NS1_11comp_targetILNS1_3genE8ELNS1_11target_archE1030ELNS1_3gpuE2ELNS1_3repE0EEENS1_30default_config_static_selectorELNS0_4arch9wavefront6targetE0EEEvT1_,"axG",@progbits,_ZN7rocprim17ROCPRIM_400000_NS6detail17trampoline_kernelINS0_14default_configENS1_25partition_config_selectorILNS1_17partition_subalgoE6EiNS0_10empty_typeEbEEZZNS1_14partition_implILS5_6ELb0ES3_mN6thrust23THRUST_200600_302600_NS6detail15normal_iteratorINSA_10device_ptrIiEEEEPS6_SG_NS0_5tupleIJSF_S6_EEENSH_IJSG_SG_EEES6_PlJ7is_evenIiEEEE10hipError_tPvRmT3_T4_T5_T6_T7_T9_mT8_P12ihipStream_tbDpT10_ENKUlT_T0_E_clISt17integral_constantIbLb0EES15_IbLb1EEEEDaS11_S12_EUlS11_E_NS1_11comp_targetILNS1_3genE8ELNS1_11target_archE1030ELNS1_3gpuE2ELNS1_3repE0EEENS1_30default_config_static_selectorELNS0_4arch9wavefront6targetE0EEEvT1_,comdat
	.protected	_ZN7rocprim17ROCPRIM_400000_NS6detail17trampoline_kernelINS0_14default_configENS1_25partition_config_selectorILNS1_17partition_subalgoE6EiNS0_10empty_typeEbEEZZNS1_14partition_implILS5_6ELb0ES3_mN6thrust23THRUST_200600_302600_NS6detail15normal_iteratorINSA_10device_ptrIiEEEEPS6_SG_NS0_5tupleIJSF_S6_EEENSH_IJSG_SG_EEES6_PlJ7is_evenIiEEEE10hipError_tPvRmT3_T4_T5_T6_T7_T9_mT8_P12ihipStream_tbDpT10_ENKUlT_T0_E_clISt17integral_constantIbLb0EES15_IbLb1EEEEDaS11_S12_EUlS11_E_NS1_11comp_targetILNS1_3genE8ELNS1_11target_archE1030ELNS1_3gpuE2ELNS1_3repE0EEENS1_30default_config_static_selectorELNS0_4arch9wavefront6targetE0EEEvT1_ ; -- Begin function _ZN7rocprim17ROCPRIM_400000_NS6detail17trampoline_kernelINS0_14default_configENS1_25partition_config_selectorILNS1_17partition_subalgoE6EiNS0_10empty_typeEbEEZZNS1_14partition_implILS5_6ELb0ES3_mN6thrust23THRUST_200600_302600_NS6detail15normal_iteratorINSA_10device_ptrIiEEEEPS6_SG_NS0_5tupleIJSF_S6_EEENSH_IJSG_SG_EEES6_PlJ7is_evenIiEEEE10hipError_tPvRmT3_T4_T5_T6_T7_T9_mT8_P12ihipStream_tbDpT10_ENKUlT_T0_E_clISt17integral_constantIbLb0EES15_IbLb1EEEEDaS11_S12_EUlS11_E_NS1_11comp_targetILNS1_3genE8ELNS1_11target_archE1030ELNS1_3gpuE2ELNS1_3repE0EEENS1_30default_config_static_selectorELNS0_4arch9wavefront6targetE0EEEvT1_
	.globl	_ZN7rocprim17ROCPRIM_400000_NS6detail17trampoline_kernelINS0_14default_configENS1_25partition_config_selectorILNS1_17partition_subalgoE6EiNS0_10empty_typeEbEEZZNS1_14partition_implILS5_6ELb0ES3_mN6thrust23THRUST_200600_302600_NS6detail15normal_iteratorINSA_10device_ptrIiEEEEPS6_SG_NS0_5tupleIJSF_S6_EEENSH_IJSG_SG_EEES6_PlJ7is_evenIiEEEE10hipError_tPvRmT3_T4_T5_T6_T7_T9_mT8_P12ihipStream_tbDpT10_ENKUlT_T0_E_clISt17integral_constantIbLb0EES15_IbLb1EEEEDaS11_S12_EUlS11_E_NS1_11comp_targetILNS1_3genE8ELNS1_11target_archE1030ELNS1_3gpuE2ELNS1_3repE0EEENS1_30default_config_static_selectorELNS0_4arch9wavefront6targetE0EEEvT1_
	.p2align	8
	.type	_ZN7rocprim17ROCPRIM_400000_NS6detail17trampoline_kernelINS0_14default_configENS1_25partition_config_selectorILNS1_17partition_subalgoE6EiNS0_10empty_typeEbEEZZNS1_14partition_implILS5_6ELb0ES3_mN6thrust23THRUST_200600_302600_NS6detail15normal_iteratorINSA_10device_ptrIiEEEEPS6_SG_NS0_5tupleIJSF_S6_EEENSH_IJSG_SG_EEES6_PlJ7is_evenIiEEEE10hipError_tPvRmT3_T4_T5_T6_T7_T9_mT8_P12ihipStream_tbDpT10_ENKUlT_T0_E_clISt17integral_constantIbLb0EES15_IbLb1EEEEDaS11_S12_EUlS11_E_NS1_11comp_targetILNS1_3genE8ELNS1_11target_archE1030ELNS1_3gpuE2ELNS1_3repE0EEENS1_30default_config_static_selectorELNS0_4arch9wavefront6targetE0EEEvT1_,@function
_ZN7rocprim17ROCPRIM_400000_NS6detail17trampoline_kernelINS0_14default_configENS1_25partition_config_selectorILNS1_17partition_subalgoE6EiNS0_10empty_typeEbEEZZNS1_14partition_implILS5_6ELb0ES3_mN6thrust23THRUST_200600_302600_NS6detail15normal_iteratorINSA_10device_ptrIiEEEEPS6_SG_NS0_5tupleIJSF_S6_EEENSH_IJSG_SG_EEES6_PlJ7is_evenIiEEEE10hipError_tPvRmT3_T4_T5_T6_T7_T9_mT8_P12ihipStream_tbDpT10_ENKUlT_T0_E_clISt17integral_constantIbLb0EES15_IbLb1EEEEDaS11_S12_EUlS11_E_NS1_11comp_targetILNS1_3genE8ELNS1_11target_archE1030ELNS1_3gpuE2ELNS1_3repE0EEENS1_30default_config_static_selectorELNS0_4arch9wavefront6targetE0EEEvT1_: ; @_ZN7rocprim17ROCPRIM_400000_NS6detail17trampoline_kernelINS0_14default_configENS1_25partition_config_selectorILNS1_17partition_subalgoE6EiNS0_10empty_typeEbEEZZNS1_14partition_implILS5_6ELb0ES3_mN6thrust23THRUST_200600_302600_NS6detail15normal_iteratorINSA_10device_ptrIiEEEEPS6_SG_NS0_5tupleIJSF_S6_EEENSH_IJSG_SG_EEES6_PlJ7is_evenIiEEEE10hipError_tPvRmT3_T4_T5_T6_T7_T9_mT8_P12ihipStream_tbDpT10_ENKUlT_T0_E_clISt17integral_constantIbLb0EES15_IbLb1EEEEDaS11_S12_EUlS11_E_NS1_11comp_targetILNS1_3genE8ELNS1_11target_archE1030ELNS1_3gpuE2ELNS1_3repE0EEENS1_30default_config_static_selectorELNS0_4arch9wavefront6targetE0EEEvT1_
; %bb.0:
	.section	.rodata,"a",@progbits
	.p2align	6, 0x0
	.amdhsa_kernel _ZN7rocprim17ROCPRIM_400000_NS6detail17trampoline_kernelINS0_14default_configENS1_25partition_config_selectorILNS1_17partition_subalgoE6EiNS0_10empty_typeEbEEZZNS1_14partition_implILS5_6ELb0ES3_mN6thrust23THRUST_200600_302600_NS6detail15normal_iteratorINSA_10device_ptrIiEEEEPS6_SG_NS0_5tupleIJSF_S6_EEENSH_IJSG_SG_EEES6_PlJ7is_evenIiEEEE10hipError_tPvRmT3_T4_T5_T6_T7_T9_mT8_P12ihipStream_tbDpT10_ENKUlT_T0_E_clISt17integral_constantIbLb0EES15_IbLb1EEEEDaS11_S12_EUlS11_E_NS1_11comp_targetILNS1_3genE8ELNS1_11target_archE1030ELNS1_3gpuE2ELNS1_3repE0EEENS1_30default_config_static_selectorELNS0_4arch9wavefront6targetE0EEEvT1_
		.amdhsa_group_segment_fixed_size 0
		.amdhsa_private_segment_fixed_size 0
		.amdhsa_kernarg_size 128
		.amdhsa_user_sgpr_count 15
		.amdhsa_user_sgpr_dispatch_ptr 0
		.amdhsa_user_sgpr_queue_ptr 0
		.amdhsa_user_sgpr_kernarg_segment_ptr 1
		.amdhsa_user_sgpr_dispatch_id 0
		.amdhsa_user_sgpr_private_segment_size 0
		.amdhsa_wavefront_size32 1
		.amdhsa_uses_dynamic_stack 0
		.amdhsa_enable_private_segment 0
		.amdhsa_system_sgpr_workgroup_id_x 1
		.amdhsa_system_sgpr_workgroup_id_y 0
		.amdhsa_system_sgpr_workgroup_id_z 0
		.amdhsa_system_sgpr_workgroup_info 0
		.amdhsa_system_vgpr_workitem_id 0
		.amdhsa_next_free_vgpr 1
		.amdhsa_next_free_sgpr 1
		.amdhsa_reserve_vcc 0
		.amdhsa_float_round_mode_32 0
		.amdhsa_float_round_mode_16_64 0
		.amdhsa_float_denorm_mode_32 3
		.amdhsa_float_denorm_mode_16_64 3
		.amdhsa_dx10_clamp 1
		.amdhsa_ieee_mode 1
		.amdhsa_fp16_overflow 0
		.amdhsa_workgroup_processor_mode 1
		.amdhsa_memory_ordered 1
		.amdhsa_forward_progress 0
		.amdhsa_shared_vgpr_count 0
		.amdhsa_exception_fp_ieee_invalid_op 0
		.amdhsa_exception_fp_denorm_src 0
		.amdhsa_exception_fp_ieee_div_zero 0
		.amdhsa_exception_fp_ieee_overflow 0
		.amdhsa_exception_fp_ieee_underflow 0
		.amdhsa_exception_fp_ieee_inexact 0
		.amdhsa_exception_int_div_zero 0
	.end_amdhsa_kernel
	.section	.text._ZN7rocprim17ROCPRIM_400000_NS6detail17trampoline_kernelINS0_14default_configENS1_25partition_config_selectorILNS1_17partition_subalgoE6EiNS0_10empty_typeEbEEZZNS1_14partition_implILS5_6ELb0ES3_mN6thrust23THRUST_200600_302600_NS6detail15normal_iteratorINSA_10device_ptrIiEEEEPS6_SG_NS0_5tupleIJSF_S6_EEENSH_IJSG_SG_EEES6_PlJ7is_evenIiEEEE10hipError_tPvRmT3_T4_T5_T6_T7_T9_mT8_P12ihipStream_tbDpT10_ENKUlT_T0_E_clISt17integral_constantIbLb0EES15_IbLb1EEEEDaS11_S12_EUlS11_E_NS1_11comp_targetILNS1_3genE8ELNS1_11target_archE1030ELNS1_3gpuE2ELNS1_3repE0EEENS1_30default_config_static_selectorELNS0_4arch9wavefront6targetE0EEEvT1_,"axG",@progbits,_ZN7rocprim17ROCPRIM_400000_NS6detail17trampoline_kernelINS0_14default_configENS1_25partition_config_selectorILNS1_17partition_subalgoE6EiNS0_10empty_typeEbEEZZNS1_14partition_implILS5_6ELb0ES3_mN6thrust23THRUST_200600_302600_NS6detail15normal_iteratorINSA_10device_ptrIiEEEEPS6_SG_NS0_5tupleIJSF_S6_EEENSH_IJSG_SG_EEES6_PlJ7is_evenIiEEEE10hipError_tPvRmT3_T4_T5_T6_T7_T9_mT8_P12ihipStream_tbDpT10_ENKUlT_T0_E_clISt17integral_constantIbLb0EES15_IbLb1EEEEDaS11_S12_EUlS11_E_NS1_11comp_targetILNS1_3genE8ELNS1_11target_archE1030ELNS1_3gpuE2ELNS1_3repE0EEENS1_30default_config_static_selectorELNS0_4arch9wavefront6targetE0EEEvT1_,comdat
.Lfunc_end423:
	.size	_ZN7rocprim17ROCPRIM_400000_NS6detail17trampoline_kernelINS0_14default_configENS1_25partition_config_selectorILNS1_17partition_subalgoE6EiNS0_10empty_typeEbEEZZNS1_14partition_implILS5_6ELb0ES3_mN6thrust23THRUST_200600_302600_NS6detail15normal_iteratorINSA_10device_ptrIiEEEEPS6_SG_NS0_5tupleIJSF_S6_EEENSH_IJSG_SG_EEES6_PlJ7is_evenIiEEEE10hipError_tPvRmT3_T4_T5_T6_T7_T9_mT8_P12ihipStream_tbDpT10_ENKUlT_T0_E_clISt17integral_constantIbLb0EES15_IbLb1EEEEDaS11_S12_EUlS11_E_NS1_11comp_targetILNS1_3genE8ELNS1_11target_archE1030ELNS1_3gpuE2ELNS1_3repE0EEENS1_30default_config_static_selectorELNS0_4arch9wavefront6targetE0EEEvT1_, .Lfunc_end423-_ZN7rocprim17ROCPRIM_400000_NS6detail17trampoline_kernelINS0_14default_configENS1_25partition_config_selectorILNS1_17partition_subalgoE6EiNS0_10empty_typeEbEEZZNS1_14partition_implILS5_6ELb0ES3_mN6thrust23THRUST_200600_302600_NS6detail15normal_iteratorINSA_10device_ptrIiEEEEPS6_SG_NS0_5tupleIJSF_S6_EEENSH_IJSG_SG_EEES6_PlJ7is_evenIiEEEE10hipError_tPvRmT3_T4_T5_T6_T7_T9_mT8_P12ihipStream_tbDpT10_ENKUlT_T0_E_clISt17integral_constantIbLb0EES15_IbLb1EEEEDaS11_S12_EUlS11_E_NS1_11comp_targetILNS1_3genE8ELNS1_11target_archE1030ELNS1_3gpuE2ELNS1_3repE0EEENS1_30default_config_static_selectorELNS0_4arch9wavefront6targetE0EEEvT1_
                                        ; -- End function
	.section	.AMDGPU.csdata,"",@progbits
; Kernel info:
; codeLenInByte = 0
; NumSgprs: 0
; NumVgprs: 0
; ScratchSize: 0
; MemoryBound: 0
; FloatMode: 240
; IeeeMode: 1
; LDSByteSize: 0 bytes/workgroup (compile time only)
; SGPRBlocks: 0
; VGPRBlocks: 0
; NumSGPRsForWavesPerEU: 1
; NumVGPRsForWavesPerEU: 1
; Occupancy: 16
; WaveLimiterHint : 0
; COMPUTE_PGM_RSRC2:SCRATCH_EN: 0
; COMPUTE_PGM_RSRC2:USER_SGPR: 15
; COMPUTE_PGM_RSRC2:TRAP_HANDLER: 0
; COMPUTE_PGM_RSRC2:TGID_X_EN: 1
; COMPUTE_PGM_RSRC2:TGID_Y_EN: 0
; COMPUTE_PGM_RSRC2:TGID_Z_EN: 0
; COMPUTE_PGM_RSRC2:TIDIG_COMP_CNT: 0
	.section	.text._ZN7rocprim17ROCPRIM_400000_NS6detail17trampoline_kernelINS0_14default_configENS1_25partition_config_selectorILNS1_17partition_subalgoE6EsNS0_10empty_typeEbEEZZNS1_14partition_implILS5_6ELb0ES3_mN6thrust23THRUST_200600_302600_NS6detail15normal_iteratorINSA_10device_ptrIsEEEEPS6_SG_NS0_5tupleIJSF_S6_EEENSH_IJSG_SG_EEES6_PlJ7is_evenIsEEEE10hipError_tPvRmT3_T4_T5_T6_T7_T9_mT8_P12ihipStream_tbDpT10_ENKUlT_T0_E_clISt17integral_constantIbLb0EES16_EEDaS11_S12_EUlS11_E_NS1_11comp_targetILNS1_3genE0ELNS1_11target_archE4294967295ELNS1_3gpuE0ELNS1_3repE0EEENS1_30default_config_static_selectorELNS0_4arch9wavefront6targetE0EEEvT1_,"axG",@progbits,_ZN7rocprim17ROCPRIM_400000_NS6detail17trampoline_kernelINS0_14default_configENS1_25partition_config_selectorILNS1_17partition_subalgoE6EsNS0_10empty_typeEbEEZZNS1_14partition_implILS5_6ELb0ES3_mN6thrust23THRUST_200600_302600_NS6detail15normal_iteratorINSA_10device_ptrIsEEEEPS6_SG_NS0_5tupleIJSF_S6_EEENSH_IJSG_SG_EEES6_PlJ7is_evenIsEEEE10hipError_tPvRmT3_T4_T5_T6_T7_T9_mT8_P12ihipStream_tbDpT10_ENKUlT_T0_E_clISt17integral_constantIbLb0EES16_EEDaS11_S12_EUlS11_E_NS1_11comp_targetILNS1_3genE0ELNS1_11target_archE4294967295ELNS1_3gpuE0ELNS1_3repE0EEENS1_30default_config_static_selectorELNS0_4arch9wavefront6targetE0EEEvT1_,comdat
	.protected	_ZN7rocprim17ROCPRIM_400000_NS6detail17trampoline_kernelINS0_14default_configENS1_25partition_config_selectorILNS1_17partition_subalgoE6EsNS0_10empty_typeEbEEZZNS1_14partition_implILS5_6ELb0ES3_mN6thrust23THRUST_200600_302600_NS6detail15normal_iteratorINSA_10device_ptrIsEEEEPS6_SG_NS0_5tupleIJSF_S6_EEENSH_IJSG_SG_EEES6_PlJ7is_evenIsEEEE10hipError_tPvRmT3_T4_T5_T6_T7_T9_mT8_P12ihipStream_tbDpT10_ENKUlT_T0_E_clISt17integral_constantIbLb0EES16_EEDaS11_S12_EUlS11_E_NS1_11comp_targetILNS1_3genE0ELNS1_11target_archE4294967295ELNS1_3gpuE0ELNS1_3repE0EEENS1_30default_config_static_selectorELNS0_4arch9wavefront6targetE0EEEvT1_ ; -- Begin function _ZN7rocprim17ROCPRIM_400000_NS6detail17trampoline_kernelINS0_14default_configENS1_25partition_config_selectorILNS1_17partition_subalgoE6EsNS0_10empty_typeEbEEZZNS1_14partition_implILS5_6ELb0ES3_mN6thrust23THRUST_200600_302600_NS6detail15normal_iteratorINSA_10device_ptrIsEEEEPS6_SG_NS0_5tupleIJSF_S6_EEENSH_IJSG_SG_EEES6_PlJ7is_evenIsEEEE10hipError_tPvRmT3_T4_T5_T6_T7_T9_mT8_P12ihipStream_tbDpT10_ENKUlT_T0_E_clISt17integral_constantIbLb0EES16_EEDaS11_S12_EUlS11_E_NS1_11comp_targetILNS1_3genE0ELNS1_11target_archE4294967295ELNS1_3gpuE0ELNS1_3repE0EEENS1_30default_config_static_selectorELNS0_4arch9wavefront6targetE0EEEvT1_
	.globl	_ZN7rocprim17ROCPRIM_400000_NS6detail17trampoline_kernelINS0_14default_configENS1_25partition_config_selectorILNS1_17partition_subalgoE6EsNS0_10empty_typeEbEEZZNS1_14partition_implILS5_6ELb0ES3_mN6thrust23THRUST_200600_302600_NS6detail15normal_iteratorINSA_10device_ptrIsEEEEPS6_SG_NS0_5tupleIJSF_S6_EEENSH_IJSG_SG_EEES6_PlJ7is_evenIsEEEE10hipError_tPvRmT3_T4_T5_T6_T7_T9_mT8_P12ihipStream_tbDpT10_ENKUlT_T0_E_clISt17integral_constantIbLb0EES16_EEDaS11_S12_EUlS11_E_NS1_11comp_targetILNS1_3genE0ELNS1_11target_archE4294967295ELNS1_3gpuE0ELNS1_3repE0EEENS1_30default_config_static_selectorELNS0_4arch9wavefront6targetE0EEEvT1_
	.p2align	8
	.type	_ZN7rocprim17ROCPRIM_400000_NS6detail17trampoline_kernelINS0_14default_configENS1_25partition_config_selectorILNS1_17partition_subalgoE6EsNS0_10empty_typeEbEEZZNS1_14partition_implILS5_6ELb0ES3_mN6thrust23THRUST_200600_302600_NS6detail15normal_iteratorINSA_10device_ptrIsEEEEPS6_SG_NS0_5tupleIJSF_S6_EEENSH_IJSG_SG_EEES6_PlJ7is_evenIsEEEE10hipError_tPvRmT3_T4_T5_T6_T7_T9_mT8_P12ihipStream_tbDpT10_ENKUlT_T0_E_clISt17integral_constantIbLb0EES16_EEDaS11_S12_EUlS11_E_NS1_11comp_targetILNS1_3genE0ELNS1_11target_archE4294967295ELNS1_3gpuE0ELNS1_3repE0EEENS1_30default_config_static_selectorELNS0_4arch9wavefront6targetE0EEEvT1_,@function
_ZN7rocprim17ROCPRIM_400000_NS6detail17trampoline_kernelINS0_14default_configENS1_25partition_config_selectorILNS1_17partition_subalgoE6EsNS0_10empty_typeEbEEZZNS1_14partition_implILS5_6ELb0ES3_mN6thrust23THRUST_200600_302600_NS6detail15normal_iteratorINSA_10device_ptrIsEEEEPS6_SG_NS0_5tupleIJSF_S6_EEENSH_IJSG_SG_EEES6_PlJ7is_evenIsEEEE10hipError_tPvRmT3_T4_T5_T6_T7_T9_mT8_P12ihipStream_tbDpT10_ENKUlT_T0_E_clISt17integral_constantIbLb0EES16_EEDaS11_S12_EUlS11_E_NS1_11comp_targetILNS1_3genE0ELNS1_11target_archE4294967295ELNS1_3gpuE0ELNS1_3repE0EEENS1_30default_config_static_selectorELNS0_4arch9wavefront6targetE0EEEvT1_: ; @_ZN7rocprim17ROCPRIM_400000_NS6detail17trampoline_kernelINS0_14default_configENS1_25partition_config_selectorILNS1_17partition_subalgoE6EsNS0_10empty_typeEbEEZZNS1_14partition_implILS5_6ELb0ES3_mN6thrust23THRUST_200600_302600_NS6detail15normal_iteratorINSA_10device_ptrIsEEEEPS6_SG_NS0_5tupleIJSF_S6_EEENSH_IJSG_SG_EEES6_PlJ7is_evenIsEEEE10hipError_tPvRmT3_T4_T5_T6_T7_T9_mT8_P12ihipStream_tbDpT10_ENKUlT_T0_E_clISt17integral_constantIbLb0EES16_EEDaS11_S12_EUlS11_E_NS1_11comp_targetILNS1_3genE0ELNS1_11target_archE4294967295ELNS1_3gpuE0ELNS1_3repE0EEENS1_30default_config_static_selectorELNS0_4arch9wavefront6targetE0EEEvT1_
; %bb.0:
	.section	.rodata,"a",@progbits
	.p2align	6, 0x0
	.amdhsa_kernel _ZN7rocprim17ROCPRIM_400000_NS6detail17trampoline_kernelINS0_14default_configENS1_25partition_config_selectorILNS1_17partition_subalgoE6EsNS0_10empty_typeEbEEZZNS1_14partition_implILS5_6ELb0ES3_mN6thrust23THRUST_200600_302600_NS6detail15normal_iteratorINSA_10device_ptrIsEEEEPS6_SG_NS0_5tupleIJSF_S6_EEENSH_IJSG_SG_EEES6_PlJ7is_evenIsEEEE10hipError_tPvRmT3_T4_T5_T6_T7_T9_mT8_P12ihipStream_tbDpT10_ENKUlT_T0_E_clISt17integral_constantIbLb0EES16_EEDaS11_S12_EUlS11_E_NS1_11comp_targetILNS1_3genE0ELNS1_11target_archE4294967295ELNS1_3gpuE0ELNS1_3repE0EEENS1_30default_config_static_selectorELNS0_4arch9wavefront6targetE0EEEvT1_
		.amdhsa_group_segment_fixed_size 0
		.amdhsa_private_segment_fixed_size 0
		.amdhsa_kernarg_size 112
		.amdhsa_user_sgpr_count 15
		.amdhsa_user_sgpr_dispatch_ptr 0
		.amdhsa_user_sgpr_queue_ptr 0
		.amdhsa_user_sgpr_kernarg_segment_ptr 1
		.amdhsa_user_sgpr_dispatch_id 0
		.amdhsa_user_sgpr_private_segment_size 0
		.amdhsa_wavefront_size32 1
		.amdhsa_uses_dynamic_stack 0
		.amdhsa_enable_private_segment 0
		.amdhsa_system_sgpr_workgroup_id_x 1
		.amdhsa_system_sgpr_workgroup_id_y 0
		.amdhsa_system_sgpr_workgroup_id_z 0
		.amdhsa_system_sgpr_workgroup_info 0
		.amdhsa_system_vgpr_workitem_id 0
		.amdhsa_next_free_vgpr 1
		.amdhsa_next_free_sgpr 1
		.amdhsa_reserve_vcc 0
		.amdhsa_float_round_mode_32 0
		.amdhsa_float_round_mode_16_64 0
		.amdhsa_float_denorm_mode_32 3
		.amdhsa_float_denorm_mode_16_64 3
		.amdhsa_dx10_clamp 1
		.amdhsa_ieee_mode 1
		.amdhsa_fp16_overflow 0
		.amdhsa_workgroup_processor_mode 1
		.amdhsa_memory_ordered 1
		.amdhsa_forward_progress 0
		.amdhsa_shared_vgpr_count 0
		.amdhsa_exception_fp_ieee_invalid_op 0
		.amdhsa_exception_fp_denorm_src 0
		.amdhsa_exception_fp_ieee_div_zero 0
		.amdhsa_exception_fp_ieee_overflow 0
		.amdhsa_exception_fp_ieee_underflow 0
		.amdhsa_exception_fp_ieee_inexact 0
		.amdhsa_exception_int_div_zero 0
	.end_amdhsa_kernel
	.section	.text._ZN7rocprim17ROCPRIM_400000_NS6detail17trampoline_kernelINS0_14default_configENS1_25partition_config_selectorILNS1_17partition_subalgoE6EsNS0_10empty_typeEbEEZZNS1_14partition_implILS5_6ELb0ES3_mN6thrust23THRUST_200600_302600_NS6detail15normal_iteratorINSA_10device_ptrIsEEEEPS6_SG_NS0_5tupleIJSF_S6_EEENSH_IJSG_SG_EEES6_PlJ7is_evenIsEEEE10hipError_tPvRmT3_T4_T5_T6_T7_T9_mT8_P12ihipStream_tbDpT10_ENKUlT_T0_E_clISt17integral_constantIbLb0EES16_EEDaS11_S12_EUlS11_E_NS1_11comp_targetILNS1_3genE0ELNS1_11target_archE4294967295ELNS1_3gpuE0ELNS1_3repE0EEENS1_30default_config_static_selectorELNS0_4arch9wavefront6targetE0EEEvT1_,"axG",@progbits,_ZN7rocprim17ROCPRIM_400000_NS6detail17trampoline_kernelINS0_14default_configENS1_25partition_config_selectorILNS1_17partition_subalgoE6EsNS0_10empty_typeEbEEZZNS1_14partition_implILS5_6ELb0ES3_mN6thrust23THRUST_200600_302600_NS6detail15normal_iteratorINSA_10device_ptrIsEEEEPS6_SG_NS0_5tupleIJSF_S6_EEENSH_IJSG_SG_EEES6_PlJ7is_evenIsEEEE10hipError_tPvRmT3_T4_T5_T6_T7_T9_mT8_P12ihipStream_tbDpT10_ENKUlT_T0_E_clISt17integral_constantIbLb0EES16_EEDaS11_S12_EUlS11_E_NS1_11comp_targetILNS1_3genE0ELNS1_11target_archE4294967295ELNS1_3gpuE0ELNS1_3repE0EEENS1_30default_config_static_selectorELNS0_4arch9wavefront6targetE0EEEvT1_,comdat
.Lfunc_end424:
	.size	_ZN7rocprim17ROCPRIM_400000_NS6detail17trampoline_kernelINS0_14default_configENS1_25partition_config_selectorILNS1_17partition_subalgoE6EsNS0_10empty_typeEbEEZZNS1_14partition_implILS5_6ELb0ES3_mN6thrust23THRUST_200600_302600_NS6detail15normal_iteratorINSA_10device_ptrIsEEEEPS6_SG_NS0_5tupleIJSF_S6_EEENSH_IJSG_SG_EEES6_PlJ7is_evenIsEEEE10hipError_tPvRmT3_T4_T5_T6_T7_T9_mT8_P12ihipStream_tbDpT10_ENKUlT_T0_E_clISt17integral_constantIbLb0EES16_EEDaS11_S12_EUlS11_E_NS1_11comp_targetILNS1_3genE0ELNS1_11target_archE4294967295ELNS1_3gpuE0ELNS1_3repE0EEENS1_30default_config_static_selectorELNS0_4arch9wavefront6targetE0EEEvT1_, .Lfunc_end424-_ZN7rocprim17ROCPRIM_400000_NS6detail17trampoline_kernelINS0_14default_configENS1_25partition_config_selectorILNS1_17partition_subalgoE6EsNS0_10empty_typeEbEEZZNS1_14partition_implILS5_6ELb0ES3_mN6thrust23THRUST_200600_302600_NS6detail15normal_iteratorINSA_10device_ptrIsEEEEPS6_SG_NS0_5tupleIJSF_S6_EEENSH_IJSG_SG_EEES6_PlJ7is_evenIsEEEE10hipError_tPvRmT3_T4_T5_T6_T7_T9_mT8_P12ihipStream_tbDpT10_ENKUlT_T0_E_clISt17integral_constantIbLb0EES16_EEDaS11_S12_EUlS11_E_NS1_11comp_targetILNS1_3genE0ELNS1_11target_archE4294967295ELNS1_3gpuE0ELNS1_3repE0EEENS1_30default_config_static_selectorELNS0_4arch9wavefront6targetE0EEEvT1_
                                        ; -- End function
	.section	.AMDGPU.csdata,"",@progbits
; Kernel info:
; codeLenInByte = 0
; NumSgprs: 0
; NumVgprs: 0
; ScratchSize: 0
; MemoryBound: 0
; FloatMode: 240
; IeeeMode: 1
; LDSByteSize: 0 bytes/workgroup (compile time only)
; SGPRBlocks: 0
; VGPRBlocks: 0
; NumSGPRsForWavesPerEU: 1
; NumVGPRsForWavesPerEU: 1
; Occupancy: 16
; WaveLimiterHint : 0
; COMPUTE_PGM_RSRC2:SCRATCH_EN: 0
; COMPUTE_PGM_RSRC2:USER_SGPR: 15
; COMPUTE_PGM_RSRC2:TRAP_HANDLER: 0
; COMPUTE_PGM_RSRC2:TGID_X_EN: 1
; COMPUTE_PGM_RSRC2:TGID_Y_EN: 0
; COMPUTE_PGM_RSRC2:TGID_Z_EN: 0
; COMPUTE_PGM_RSRC2:TIDIG_COMP_CNT: 0
	.section	.text._ZN7rocprim17ROCPRIM_400000_NS6detail17trampoline_kernelINS0_14default_configENS1_25partition_config_selectorILNS1_17partition_subalgoE6EsNS0_10empty_typeEbEEZZNS1_14partition_implILS5_6ELb0ES3_mN6thrust23THRUST_200600_302600_NS6detail15normal_iteratorINSA_10device_ptrIsEEEEPS6_SG_NS0_5tupleIJSF_S6_EEENSH_IJSG_SG_EEES6_PlJ7is_evenIsEEEE10hipError_tPvRmT3_T4_T5_T6_T7_T9_mT8_P12ihipStream_tbDpT10_ENKUlT_T0_E_clISt17integral_constantIbLb0EES16_EEDaS11_S12_EUlS11_E_NS1_11comp_targetILNS1_3genE5ELNS1_11target_archE942ELNS1_3gpuE9ELNS1_3repE0EEENS1_30default_config_static_selectorELNS0_4arch9wavefront6targetE0EEEvT1_,"axG",@progbits,_ZN7rocprim17ROCPRIM_400000_NS6detail17trampoline_kernelINS0_14default_configENS1_25partition_config_selectorILNS1_17partition_subalgoE6EsNS0_10empty_typeEbEEZZNS1_14partition_implILS5_6ELb0ES3_mN6thrust23THRUST_200600_302600_NS6detail15normal_iteratorINSA_10device_ptrIsEEEEPS6_SG_NS0_5tupleIJSF_S6_EEENSH_IJSG_SG_EEES6_PlJ7is_evenIsEEEE10hipError_tPvRmT3_T4_T5_T6_T7_T9_mT8_P12ihipStream_tbDpT10_ENKUlT_T0_E_clISt17integral_constantIbLb0EES16_EEDaS11_S12_EUlS11_E_NS1_11comp_targetILNS1_3genE5ELNS1_11target_archE942ELNS1_3gpuE9ELNS1_3repE0EEENS1_30default_config_static_selectorELNS0_4arch9wavefront6targetE0EEEvT1_,comdat
	.protected	_ZN7rocprim17ROCPRIM_400000_NS6detail17trampoline_kernelINS0_14default_configENS1_25partition_config_selectorILNS1_17partition_subalgoE6EsNS0_10empty_typeEbEEZZNS1_14partition_implILS5_6ELb0ES3_mN6thrust23THRUST_200600_302600_NS6detail15normal_iteratorINSA_10device_ptrIsEEEEPS6_SG_NS0_5tupleIJSF_S6_EEENSH_IJSG_SG_EEES6_PlJ7is_evenIsEEEE10hipError_tPvRmT3_T4_T5_T6_T7_T9_mT8_P12ihipStream_tbDpT10_ENKUlT_T0_E_clISt17integral_constantIbLb0EES16_EEDaS11_S12_EUlS11_E_NS1_11comp_targetILNS1_3genE5ELNS1_11target_archE942ELNS1_3gpuE9ELNS1_3repE0EEENS1_30default_config_static_selectorELNS0_4arch9wavefront6targetE0EEEvT1_ ; -- Begin function _ZN7rocprim17ROCPRIM_400000_NS6detail17trampoline_kernelINS0_14default_configENS1_25partition_config_selectorILNS1_17partition_subalgoE6EsNS0_10empty_typeEbEEZZNS1_14partition_implILS5_6ELb0ES3_mN6thrust23THRUST_200600_302600_NS6detail15normal_iteratorINSA_10device_ptrIsEEEEPS6_SG_NS0_5tupleIJSF_S6_EEENSH_IJSG_SG_EEES6_PlJ7is_evenIsEEEE10hipError_tPvRmT3_T4_T5_T6_T7_T9_mT8_P12ihipStream_tbDpT10_ENKUlT_T0_E_clISt17integral_constantIbLb0EES16_EEDaS11_S12_EUlS11_E_NS1_11comp_targetILNS1_3genE5ELNS1_11target_archE942ELNS1_3gpuE9ELNS1_3repE0EEENS1_30default_config_static_selectorELNS0_4arch9wavefront6targetE0EEEvT1_
	.globl	_ZN7rocprim17ROCPRIM_400000_NS6detail17trampoline_kernelINS0_14default_configENS1_25partition_config_selectorILNS1_17partition_subalgoE6EsNS0_10empty_typeEbEEZZNS1_14partition_implILS5_6ELb0ES3_mN6thrust23THRUST_200600_302600_NS6detail15normal_iteratorINSA_10device_ptrIsEEEEPS6_SG_NS0_5tupleIJSF_S6_EEENSH_IJSG_SG_EEES6_PlJ7is_evenIsEEEE10hipError_tPvRmT3_T4_T5_T6_T7_T9_mT8_P12ihipStream_tbDpT10_ENKUlT_T0_E_clISt17integral_constantIbLb0EES16_EEDaS11_S12_EUlS11_E_NS1_11comp_targetILNS1_3genE5ELNS1_11target_archE942ELNS1_3gpuE9ELNS1_3repE0EEENS1_30default_config_static_selectorELNS0_4arch9wavefront6targetE0EEEvT1_
	.p2align	8
	.type	_ZN7rocprim17ROCPRIM_400000_NS6detail17trampoline_kernelINS0_14default_configENS1_25partition_config_selectorILNS1_17partition_subalgoE6EsNS0_10empty_typeEbEEZZNS1_14partition_implILS5_6ELb0ES3_mN6thrust23THRUST_200600_302600_NS6detail15normal_iteratorINSA_10device_ptrIsEEEEPS6_SG_NS0_5tupleIJSF_S6_EEENSH_IJSG_SG_EEES6_PlJ7is_evenIsEEEE10hipError_tPvRmT3_T4_T5_T6_T7_T9_mT8_P12ihipStream_tbDpT10_ENKUlT_T0_E_clISt17integral_constantIbLb0EES16_EEDaS11_S12_EUlS11_E_NS1_11comp_targetILNS1_3genE5ELNS1_11target_archE942ELNS1_3gpuE9ELNS1_3repE0EEENS1_30default_config_static_selectorELNS0_4arch9wavefront6targetE0EEEvT1_,@function
_ZN7rocprim17ROCPRIM_400000_NS6detail17trampoline_kernelINS0_14default_configENS1_25partition_config_selectorILNS1_17partition_subalgoE6EsNS0_10empty_typeEbEEZZNS1_14partition_implILS5_6ELb0ES3_mN6thrust23THRUST_200600_302600_NS6detail15normal_iteratorINSA_10device_ptrIsEEEEPS6_SG_NS0_5tupleIJSF_S6_EEENSH_IJSG_SG_EEES6_PlJ7is_evenIsEEEE10hipError_tPvRmT3_T4_T5_T6_T7_T9_mT8_P12ihipStream_tbDpT10_ENKUlT_T0_E_clISt17integral_constantIbLb0EES16_EEDaS11_S12_EUlS11_E_NS1_11comp_targetILNS1_3genE5ELNS1_11target_archE942ELNS1_3gpuE9ELNS1_3repE0EEENS1_30default_config_static_selectorELNS0_4arch9wavefront6targetE0EEEvT1_: ; @_ZN7rocprim17ROCPRIM_400000_NS6detail17trampoline_kernelINS0_14default_configENS1_25partition_config_selectorILNS1_17partition_subalgoE6EsNS0_10empty_typeEbEEZZNS1_14partition_implILS5_6ELb0ES3_mN6thrust23THRUST_200600_302600_NS6detail15normal_iteratorINSA_10device_ptrIsEEEEPS6_SG_NS0_5tupleIJSF_S6_EEENSH_IJSG_SG_EEES6_PlJ7is_evenIsEEEE10hipError_tPvRmT3_T4_T5_T6_T7_T9_mT8_P12ihipStream_tbDpT10_ENKUlT_T0_E_clISt17integral_constantIbLb0EES16_EEDaS11_S12_EUlS11_E_NS1_11comp_targetILNS1_3genE5ELNS1_11target_archE942ELNS1_3gpuE9ELNS1_3repE0EEENS1_30default_config_static_selectorELNS0_4arch9wavefront6targetE0EEEvT1_
; %bb.0:
	.section	.rodata,"a",@progbits
	.p2align	6, 0x0
	.amdhsa_kernel _ZN7rocprim17ROCPRIM_400000_NS6detail17trampoline_kernelINS0_14default_configENS1_25partition_config_selectorILNS1_17partition_subalgoE6EsNS0_10empty_typeEbEEZZNS1_14partition_implILS5_6ELb0ES3_mN6thrust23THRUST_200600_302600_NS6detail15normal_iteratorINSA_10device_ptrIsEEEEPS6_SG_NS0_5tupleIJSF_S6_EEENSH_IJSG_SG_EEES6_PlJ7is_evenIsEEEE10hipError_tPvRmT3_T4_T5_T6_T7_T9_mT8_P12ihipStream_tbDpT10_ENKUlT_T0_E_clISt17integral_constantIbLb0EES16_EEDaS11_S12_EUlS11_E_NS1_11comp_targetILNS1_3genE5ELNS1_11target_archE942ELNS1_3gpuE9ELNS1_3repE0EEENS1_30default_config_static_selectorELNS0_4arch9wavefront6targetE0EEEvT1_
		.amdhsa_group_segment_fixed_size 0
		.amdhsa_private_segment_fixed_size 0
		.amdhsa_kernarg_size 112
		.amdhsa_user_sgpr_count 15
		.amdhsa_user_sgpr_dispatch_ptr 0
		.amdhsa_user_sgpr_queue_ptr 0
		.amdhsa_user_sgpr_kernarg_segment_ptr 1
		.amdhsa_user_sgpr_dispatch_id 0
		.amdhsa_user_sgpr_private_segment_size 0
		.amdhsa_wavefront_size32 1
		.amdhsa_uses_dynamic_stack 0
		.amdhsa_enable_private_segment 0
		.amdhsa_system_sgpr_workgroup_id_x 1
		.amdhsa_system_sgpr_workgroup_id_y 0
		.amdhsa_system_sgpr_workgroup_id_z 0
		.amdhsa_system_sgpr_workgroup_info 0
		.amdhsa_system_vgpr_workitem_id 0
		.amdhsa_next_free_vgpr 1
		.amdhsa_next_free_sgpr 1
		.amdhsa_reserve_vcc 0
		.amdhsa_float_round_mode_32 0
		.amdhsa_float_round_mode_16_64 0
		.amdhsa_float_denorm_mode_32 3
		.amdhsa_float_denorm_mode_16_64 3
		.amdhsa_dx10_clamp 1
		.amdhsa_ieee_mode 1
		.amdhsa_fp16_overflow 0
		.amdhsa_workgroup_processor_mode 1
		.amdhsa_memory_ordered 1
		.amdhsa_forward_progress 0
		.amdhsa_shared_vgpr_count 0
		.amdhsa_exception_fp_ieee_invalid_op 0
		.amdhsa_exception_fp_denorm_src 0
		.amdhsa_exception_fp_ieee_div_zero 0
		.amdhsa_exception_fp_ieee_overflow 0
		.amdhsa_exception_fp_ieee_underflow 0
		.amdhsa_exception_fp_ieee_inexact 0
		.amdhsa_exception_int_div_zero 0
	.end_amdhsa_kernel
	.section	.text._ZN7rocprim17ROCPRIM_400000_NS6detail17trampoline_kernelINS0_14default_configENS1_25partition_config_selectorILNS1_17partition_subalgoE6EsNS0_10empty_typeEbEEZZNS1_14partition_implILS5_6ELb0ES3_mN6thrust23THRUST_200600_302600_NS6detail15normal_iteratorINSA_10device_ptrIsEEEEPS6_SG_NS0_5tupleIJSF_S6_EEENSH_IJSG_SG_EEES6_PlJ7is_evenIsEEEE10hipError_tPvRmT3_T4_T5_T6_T7_T9_mT8_P12ihipStream_tbDpT10_ENKUlT_T0_E_clISt17integral_constantIbLb0EES16_EEDaS11_S12_EUlS11_E_NS1_11comp_targetILNS1_3genE5ELNS1_11target_archE942ELNS1_3gpuE9ELNS1_3repE0EEENS1_30default_config_static_selectorELNS0_4arch9wavefront6targetE0EEEvT1_,"axG",@progbits,_ZN7rocprim17ROCPRIM_400000_NS6detail17trampoline_kernelINS0_14default_configENS1_25partition_config_selectorILNS1_17partition_subalgoE6EsNS0_10empty_typeEbEEZZNS1_14partition_implILS5_6ELb0ES3_mN6thrust23THRUST_200600_302600_NS6detail15normal_iteratorINSA_10device_ptrIsEEEEPS6_SG_NS0_5tupleIJSF_S6_EEENSH_IJSG_SG_EEES6_PlJ7is_evenIsEEEE10hipError_tPvRmT3_T4_T5_T6_T7_T9_mT8_P12ihipStream_tbDpT10_ENKUlT_T0_E_clISt17integral_constantIbLb0EES16_EEDaS11_S12_EUlS11_E_NS1_11comp_targetILNS1_3genE5ELNS1_11target_archE942ELNS1_3gpuE9ELNS1_3repE0EEENS1_30default_config_static_selectorELNS0_4arch9wavefront6targetE0EEEvT1_,comdat
.Lfunc_end425:
	.size	_ZN7rocprim17ROCPRIM_400000_NS6detail17trampoline_kernelINS0_14default_configENS1_25partition_config_selectorILNS1_17partition_subalgoE6EsNS0_10empty_typeEbEEZZNS1_14partition_implILS5_6ELb0ES3_mN6thrust23THRUST_200600_302600_NS6detail15normal_iteratorINSA_10device_ptrIsEEEEPS6_SG_NS0_5tupleIJSF_S6_EEENSH_IJSG_SG_EEES6_PlJ7is_evenIsEEEE10hipError_tPvRmT3_T4_T5_T6_T7_T9_mT8_P12ihipStream_tbDpT10_ENKUlT_T0_E_clISt17integral_constantIbLb0EES16_EEDaS11_S12_EUlS11_E_NS1_11comp_targetILNS1_3genE5ELNS1_11target_archE942ELNS1_3gpuE9ELNS1_3repE0EEENS1_30default_config_static_selectorELNS0_4arch9wavefront6targetE0EEEvT1_, .Lfunc_end425-_ZN7rocprim17ROCPRIM_400000_NS6detail17trampoline_kernelINS0_14default_configENS1_25partition_config_selectorILNS1_17partition_subalgoE6EsNS0_10empty_typeEbEEZZNS1_14partition_implILS5_6ELb0ES3_mN6thrust23THRUST_200600_302600_NS6detail15normal_iteratorINSA_10device_ptrIsEEEEPS6_SG_NS0_5tupleIJSF_S6_EEENSH_IJSG_SG_EEES6_PlJ7is_evenIsEEEE10hipError_tPvRmT3_T4_T5_T6_T7_T9_mT8_P12ihipStream_tbDpT10_ENKUlT_T0_E_clISt17integral_constantIbLb0EES16_EEDaS11_S12_EUlS11_E_NS1_11comp_targetILNS1_3genE5ELNS1_11target_archE942ELNS1_3gpuE9ELNS1_3repE0EEENS1_30default_config_static_selectorELNS0_4arch9wavefront6targetE0EEEvT1_
                                        ; -- End function
	.section	.AMDGPU.csdata,"",@progbits
; Kernel info:
; codeLenInByte = 0
; NumSgprs: 0
; NumVgprs: 0
; ScratchSize: 0
; MemoryBound: 0
; FloatMode: 240
; IeeeMode: 1
; LDSByteSize: 0 bytes/workgroup (compile time only)
; SGPRBlocks: 0
; VGPRBlocks: 0
; NumSGPRsForWavesPerEU: 1
; NumVGPRsForWavesPerEU: 1
; Occupancy: 16
; WaveLimiterHint : 0
; COMPUTE_PGM_RSRC2:SCRATCH_EN: 0
; COMPUTE_PGM_RSRC2:USER_SGPR: 15
; COMPUTE_PGM_RSRC2:TRAP_HANDLER: 0
; COMPUTE_PGM_RSRC2:TGID_X_EN: 1
; COMPUTE_PGM_RSRC2:TGID_Y_EN: 0
; COMPUTE_PGM_RSRC2:TGID_Z_EN: 0
; COMPUTE_PGM_RSRC2:TIDIG_COMP_CNT: 0
	.section	.text._ZN7rocprim17ROCPRIM_400000_NS6detail17trampoline_kernelINS0_14default_configENS1_25partition_config_selectorILNS1_17partition_subalgoE6EsNS0_10empty_typeEbEEZZNS1_14partition_implILS5_6ELb0ES3_mN6thrust23THRUST_200600_302600_NS6detail15normal_iteratorINSA_10device_ptrIsEEEEPS6_SG_NS0_5tupleIJSF_S6_EEENSH_IJSG_SG_EEES6_PlJ7is_evenIsEEEE10hipError_tPvRmT3_T4_T5_T6_T7_T9_mT8_P12ihipStream_tbDpT10_ENKUlT_T0_E_clISt17integral_constantIbLb0EES16_EEDaS11_S12_EUlS11_E_NS1_11comp_targetILNS1_3genE4ELNS1_11target_archE910ELNS1_3gpuE8ELNS1_3repE0EEENS1_30default_config_static_selectorELNS0_4arch9wavefront6targetE0EEEvT1_,"axG",@progbits,_ZN7rocprim17ROCPRIM_400000_NS6detail17trampoline_kernelINS0_14default_configENS1_25partition_config_selectorILNS1_17partition_subalgoE6EsNS0_10empty_typeEbEEZZNS1_14partition_implILS5_6ELb0ES3_mN6thrust23THRUST_200600_302600_NS6detail15normal_iteratorINSA_10device_ptrIsEEEEPS6_SG_NS0_5tupleIJSF_S6_EEENSH_IJSG_SG_EEES6_PlJ7is_evenIsEEEE10hipError_tPvRmT3_T4_T5_T6_T7_T9_mT8_P12ihipStream_tbDpT10_ENKUlT_T0_E_clISt17integral_constantIbLb0EES16_EEDaS11_S12_EUlS11_E_NS1_11comp_targetILNS1_3genE4ELNS1_11target_archE910ELNS1_3gpuE8ELNS1_3repE0EEENS1_30default_config_static_selectorELNS0_4arch9wavefront6targetE0EEEvT1_,comdat
	.protected	_ZN7rocprim17ROCPRIM_400000_NS6detail17trampoline_kernelINS0_14default_configENS1_25partition_config_selectorILNS1_17partition_subalgoE6EsNS0_10empty_typeEbEEZZNS1_14partition_implILS5_6ELb0ES3_mN6thrust23THRUST_200600_302600_NS6detail15normal_iteratorINSA_10device_ptrIsEEEEPS6_SG_NS0_5tupleIJSF_S6_EEENSH_IJSG_SG_EEES6_PlJ7is_evenIsEEEE10hipError_tPvRmT3_T4_T5_T6_T7_T9_mT8_P12ihipStream_tbDpT10_ENKUlT_T0_E_clISt17integral_constantIbLb0EES16_EEDaS11_S12_EUlS11_E_NS1_11comp_targetILNS1_3genE4ELNS1_11target_archE910ELNS1_3gpuE8ELNS1_3repE0EEENS1_30default_config_static_selectorELNS0_4arch9wavefront6targetE0EEEvT1_ ; -- Begin function _ZN7rocprim17ROCPRIM_400000_NS6detail17trampoline_kernelINS0_14default_configENS1_25partition_config_selectorILNS1_17partition_subalgoE6EsNS0_10empty_typeEbEEZZNS1_14partition_implILS5_6ELb0ES3_mN6thrust23THRUST_200600_302600_NS6detail15normal_iteratorINSA_10device_ptrIsEEEEPS6_SG_NS0_5tupleIJSF_S6_EEENSH_IJSG_SG_EEES6_PlJ7is_evenIsEEEE10hipError_tPvRmT3_T4_T5_T6_T7_T9_mT8_P12ihipStream_tbDpT10_ENKUlT_T0_E_clISt17integral_constantIbLb0EES16_EEDaS11_S12_EUlS11_E_NS1_11comp_targetILNS1_3genE4ELNS1_11target_archE910ELNS1_3gpuE8ELNS1_3repE0EEENS1_30default_config_static_selectorELNS0_4arch9wavefront6targetE0EEEvT1_
	.globl	_ZN7rocprim17ROCPRIM_400000_NS6detail17trampoline_kernelINS0_14default_configENS1_25partition_config_selectorILNS1_17partition_subalgoE6EsNS0_10empty_typeEbEEZZNS1_14partition_implILS5_6ELb0ES3_mN6thrust23THRUST_200600_302600_NS6detail15normal_iteratorINSA_10device_ptrIsEEEEPS6_SG_NS0_5tupleIJSF_S6_EEENSH_IJSG_SG_EEES6_PlJ7is_evenIsEEEE10hipError_tPvRmT3_T4_T5_T6_T7_T9_mT8_P12ihipStream_tbDpT10_ENKUlT_T0_E_clISt17integral_constantIbLb0EES16_EEDaS11_S12_EUlS11_E_NS1_11comp_targetILNS1_3genE4ELNS1_11target_archE910ELNS1_3gpuE8ELNS1_3repE0EEENS1_30default_config_static_selectorELNS0_4arch9wavefront6targetE0EEEvT1_
	.p2align	8
	.type	_ZN7rocprim17ROCPRIM_400000_NS6detail17trampoline_kernelINS0_14default_configENS1_25partition_config_selectorILNS1_17partition_subalgoE6EsNS0_10empty_typeEbEEZZNS1_14partition_implILS5_6ELb0ES3_mN6thrust23THRUST_200600_302600_NS6detail15normal_iteratorINSA_10device_ptrIsEEEEPS6_SG_NS0_5tupleIJSF_S6_EEENSH_IJSG_SG_EEES6_PlJ7is_evenIsEEEE10hipError_tPvRmT3_T4_T5_T6_T7_T9_mT8_P12ihipStream_tbDpT10_ENKUlT_T0_E_clISt17integral_constantIbLb0EES16_EEDaS11_S12_EUlS11_E_NS1_11comp_targetILNS1_3genE4ELNS1_11target_archE910ELNS1_3gpuE8ELNS1_3repE0EEENS1_30default_config_static_selectorELNS0_4arch9wavefront6targetE0EEEvT1_,@function
_ZN7rocprim17ROCPRIM_400000_NS6detail17trampoline_kernelINS0_14default_configENS1_25partition_config_selectorILNS1_17partition_subalgoE6EsNS0_10empty_typeEbEEZZNS1_14partition_implILS5_6ELb0ES3_mN6thrust23THRUST_200600_302600_NS6detail15normal_iteratorINSA_10device_ptrIsEEEEPS6_SG_NS0_5tupleIJSF_S6_EEENSH_IJSG_SG_EEES6_PlJ7is_evenIsEEEE10hipError_tPvRmT3_T4_T5_T6_T7_T9_mT8_P12ihipStream_tbDpT10_ENKUlT_T0_E_clISt17integral_constantIbLb0EES16_EEDaS11_S12_EUlS11_E_NS1_11comp_targetILNS1_3genE4ELNS1_11target_archE910ELNS1_3gpuE8ELNS1_3repE0EEENS1_30default_config_static_selectorELNS0_4arch9wavefront6targetE0EEEvT1_: ; @_ZN7rocprim17ROCPRIM_400000_NS6detail17trampoline_kernelINS0_14default_configENS1_25partition_config_selectorILNS1_17partition_subalgoE6EsNS0_10empty_typeEbEEZZNS1_14partition_implILS5_6ELb0ES3_mN6thrust23THRUST_200600_302600_NS6detail15normal_iteratorINSA_10device_ptrIsEEEEPS6_SG_NS0_5tupleIJSF_S6_EEENSH_IJSG_SG_EEES6_PlJ7is_evenIsEEEE10hipError_tPvRmT3_T4_T5_T6_T7_T9_mT8_P12ihipStream_tbDpT10_ENKUlT_T0_E_clISt17integral_constantIbLb0EES16_EEDaS11_S12_EUlS11_E_NS1_11comp_targetILNS1_3genE4ELNS1_11target_archE910ELNS1_3gpuE8ELNS1_3repE0EEENS1_30default_config_static_selectorELNS0_4arch9wavefront6targetE0EEEvT1_
; %bb.0:
	.section	.rodata,"a",@progbits
	.p2align	6, 0x0
	.amdhsa_kernel _ZN7rocprim17ROCPRIM_400000_NS6detail17trampoline_kernelINS0_14default_configENS1_25partition_config_selectorILNS1_17partition_subalgoE6EsNS0_10empty_typeEbEEZZNS1_14partition_implILS5_6ELb0ES3_mN6thrust23THRUST_200600_302600_NS6detail15normal_iteratorINSA_10device_ptrIsEEEEPS6_SG_NS0_5tupleIJSF_S6_EEENSH_IJSG_SG_EEES6_PlJ7is_evenIsEEEE10hipError_tPvRmT3_T4_T5_T6_T7_T9_mT8_P12ihipStream_tbDpT10_ENKUlT_T0_E_clISt17integral_constantIbLb0EES16_EEDaS11_S12_EUlS11_E_NS1_11comp_targetILNS1_3genE4ELNS1_11target_archE910ELNS1_3gpuE8ELNS1_3repE0EEENS1_30default_config_static_selectorELNS0_4arch9wavefront6targetE0EEEvT1_
		.amdhsa_group_segment_fixed_size 0
		.amdhsa_private_segment_fixed_size 0
		.amdhsa_kernarg_size 112
		.amdhsa_user_sgpr_count 15
		.amdhsa_user_sgpr_dispatch_ptr 0
		.amdhsa_user_sgpr_queue_ptr 0
		.amdhsa_user_sgpr_kernarg_segment_ptr 1
		.amdhsa_user_sgpr_dispatch_id 0
		.amdhsa_user_sgpr_private_segment_size 0
		.amdhsa_wavefront_size32 1
		.amdhsa_uses_dynamic_stack 0
		.amdhsa_enable_private_segment 0
		.amdhsa_system_sgpr_workgroup_id_x 1
		.amdhsa_system_sgpr_workgroup_id_y 0
		.amdhsa_system_sgpr_workgroup_id_z 0
		.amdhsa_system_sgpr_workgroup_info 0
		.amdhsa_system_vgpr_workitem_id 0
		.amdhsa_next_free_vgpr 1
		.amdhsa_next_free_sgpr 1
		.amdhsa_reserve_vcc 0
		.amdhsa_float_round_mode_32 0
		.amdhsa_float_round_mode_16_64 0
		.amdhsa_float_denorm_mode_32 3
		.amdhsa_float_denorm_mode_16_64 3
		.amdhsa_dx10_clamp 1
		.amdhsa_ieee_mode 1
		.amdhsa_fp16_overflow 0
		.amdhsa_workgroup_processor_mode 1
		.amdhsa_memory_ordered 1
		.amdhsa_forward_progress 0
		.amdhsa_shared_vgpr_count 0
		.amdhsa_exception_fp_ieee_invalid_op 0
		.amdhsa_exception_fp_denorm_src 0
		.amdhsa_exception_fp_ieee_div_zero 0
		.amdhsa_exception_fp_ieee_overflow 0
		.amdhsa_exception_fp_ieee_underflow 0
		.amdhsa_exception_fp_ieee_inexact 0
		.amdhsa_exception_int_div_zero 0
	.end_amdhsa_kernel
	.section	.text._ZN7rocprim17ROCPRIM_400000_NS6detail17trampoline_kernelINS0_14default_configENS1_25partition_config_selectorILNS1_17partition_subalgoE6EsNS0_10empty_typeEbEEZZNS1_14partition_implILS5_6ELb0ES3_mN6thrust23THRUST_200600_302600_NS6detail15normal_iteratorINSA_10device_ptrIsEEEEPS6_SG_NS0_5tupleIJSF_S6_EEENSH_IJSG_SG_EEES6_PlJ7is_evenIsEEEE10hipError_tPvRmT3_T4_T5_T6_T7_T9_mT8_P12ihipStream_tbDpT10_ENKUlT_T0_E_clISt17integral_constantIbLb0EES16_EEDaS11_S12_EUlS11_E_NS1_11comp_targetILNS1_3genE4ELNS1_11target_archE910ELNS1_3gpuE8ELNS1_3repE0EEENS1_30default_config_static_selectorELNS0_4arch9wavefront6targetE0EEEvT1_,"axG",@progbits,_ZN7rocprim17ROCPRIM_400000_NS6detail17trampoline_kernelINS0_14default_configENS1_25partition_config_selectorILNS1_17partition_subalgoE6EsNS0_10empty_typeEbEEZZNS1_14partition_implILS5_6ELb0ES3_mN6thrust23THRUST_200600_302600_NS6detail15normal_iteratorINSA_10device_ptrIsEEEEPS6_SG_NS0_5tupleIJSF_S6_EEENSH_IJSG_SG_EEES6_PlJ7is_evenIsEEEE10hipError_tPvRmT3_T4_T5_T6_T7_T9_mT8_P12ihipStream_tbDpT10_ENKUlT_T0_E_clISt17integral_constantIbLb0EES16_EEDaS11_S12_EUlS11_E_NS1_11comp_targetILNS1_3genE4ELNS1_11target_archE910ELNS1_3gpuE8ELNS1_3repE0EEENS1_30default_config_static_selectorELNS0_4arch9wavefront6targetE0EEEvT1_,comdat
.Lfunc_end426:
	.size	_ZN7rocprim17ROCPRIM_400000_NS6detail17trampoline_kernelINS0_14default_configENS1_25partition_config_selectorILNS1_17partition_subalgoE6EsNS0_10empty_typeEbEEZZNS1_14partition_implILS5_6ELb0ES3_mN6thrust23THRUST_200600_302600_NS6detail15normal_iteratorINSA_10device_ptrIsEEEEPS6_SG_NS0_5tupleIJSF_S6_EEENSH_IJSG_SG_EEES6_PlJ7is_evenIsEEEE10hipError_tPvRmT3_T4_T5_T6_T7_T9_mT8_P12ihipStream_tbDpT10_ENKUlT_T0_E_clISt17integral_constantIbLb0EES16_EEDaS11_S12_EUlS11_E_NS1_11comp_targetILNS1_3genE4ELNS1_11target_archE910ELNS1_3gpuE8ELNS1_3repE0EEENS1_30default_config_static_selectorELNS0_4arch9wavefront6targetE0EEEvT1_, .Lfunc_end426-_ZN7rocprim17ROCPRIM_400000_NS6detail17trampoline_kernelINS0_14default_configENS1_25partition_config_selectorILNS1_17partition_subalgoE6EsNS0_10empty_typeEbEEZZNS1_14partition_implILS5_6ELb0ES3_mN6thrust23THRUST_200600_302600_NS6detail15normal_iteratorINSA_10device_ptrIsEEEEPS6_SG_NS0_5tupleIJSF_S6_EEENSH_IJSG_SG_EEES6_PlJ7is_evenIsEEEE10hipError_tPvRmT3_T4_T5_T6_T7_T9_mT8_P12ihipStream_tbDpT10_ENKUlT_T0_E_clISt17integral_constantIbLb0EES16_EEDaS11_S12_EUlS11_E_NS1_11comp_targetILNS1_3genE4ELNS1_11target_archE910ELNS1_3gpuE8ELNS1_3repE0EEENS1_30default_config_static_selectorELNS0_4arch9wavefront6targetE0EEEvT1_
                                        ; -- End function
	.section	.AMDGPU.csdata,"",@progbits
; Kernel info:
; codeLenInByte = 0
; NumSgprs: 0
; NumVgprs: 0
; ScratchSize: 0
; MemoryBound: 0
; FloatMode: 240
; IeeeMode: 1
; LDSByteSize: 0 bytes/workgroup (compile time only)
; SGPRBlocks: 0
; VGPRBlocks: 0
; NumSGPRsForWavesPerEU: 1
; NumVGPRsForWavesPerEU: 1
; Occupancy: 16
; WaveLimiterHint : 0
; COMPUTE_PGM_RSRC2:SCRATCH_EN: 0
; COMPUTE_PGM_RSRC2:USER_SGPR: 15
; COMPUTE_PGM_RSRC2:TRAP_HANDLER: 0
; COMPUTE_PGM_RSRC2:TGID_X_EN: 1
; COMPUTE_PGM_RSRC2:TGID_Y_EN: 0
; COMPUTE_PGM_RSRC2:TGID_Z_EN: 0
; COMPUTE_PGM_RSRC2:TIDIG_COMP_CNT: 0
	.section	.text._ZN7rocprim17ROCPRIM_400000_NS6detail17trampoline_kernelINS0_14default_configENS1_25partition_config_selectorILNS1_17partition_subalgoE6EsNS0_10empty_typeEbEEZZNS1_14partition_implILS5_6ELb0ES3_mN6thrust23THRUST_200600_302600_NS6detail15normal_iteratorINSA_10device_ptrIsEEEEPS6_SG_NS0_5tupleIJSF_S6_EEENSH_IJSG_SG_EEES6_PlJ7is_evenIsEEEE10hipError_tPvRmT3_T4_T5_T6_T7_T9_mT8_P12ihipStream_tbDpT10_ENKUlT_T0_E_clISt17integral_constantIbLb0EES16_EEDaS11_S12_EUlS11_E_NS1_11comp_targetILNS1_3genE3ELNS1_11target_archE908ELNS1_3gpuE7ELNS1_3repE0EEENS1_30default_config_static_selectorELNS0_4arch9wavefront6targetE0EEEvT1_,"axG",@progbits,_ZN7rocprim17ROCPRIM_400000_NS6detail17trampoline_kernelINS0_14default_configENS1_25partition_config_selectorILNS1_17partition_subalgoE6EsNS0_10empty_typeEbEEZZNS1_14partition_implILS5_6ELb0ES3_mN6thrust23THRUST_200600_302600_NS6detail15normal_iteratorINSA_10device_ptrIsEEEEPS6_SG_NS0_5tupleIJSF_S6_EEENSH_IJSG_SG_EEES6_PlJ7is_evenIsEEEE10hipError_tPvRmT3_T4_T5_T6_T7_T9_mT8_P12ihipStream_tbDpT10_ENKUlT_T0_E_clISt17integral_constantIbLb0EES16_EEDaS11_S12_EUlS11_E_NS1_11comp_targetILNS1_3genE3ELNS1_11target_archE908ELNS1_3gpuE7ELNS1_3repE0EEENS1_30default_config_static_selectorELNS0_4arch9wavefront6targetE0EEEvT1_,comdat
	.protected	_ZN7rocprim17ROCPRIM_400000_NS6detail17trampoline_kernelINS0_14default_configENS1_25partition_config_selectorILNS1_17partition_subalgoE6EsNS0_10empty_typeEbEEZZNS1_14partition_implILS5_6ELb0ES3_mN6thrust23THRUST_200600_302600_NS6detail15normal_iteratorINSA_10device_ptrIsEEEEPS6_SG_NS0_5tupleIJSF_S6_EEENSH_IJSG_SG_EEES6_PlJ7is_evenIsEEEE10hipError_tPvRmT3_T4_T5_T6_T7_T9_mT8_P12ihipStream_tbDpT10_ENKUlT_T0_E_clISt17integral_constantIbLb0EES16_EEDaS11_S12_EUlS11_E_NS1_11comp_targetILNS1_3genE3ELNS1_11target_archE908ELNS1_3gpuE7ELNS1_3repE0EEENS1_30default_config_static_selectorELNS0_4arch9wavefront6targetE0EEEvT1_ ; -- Begin function _ZN7rocprim17ROCPRIM_400000_NS6detail17trampoline_kernelINS0_14default_configENS1_25partition_config_selectorILNS1_17partition_subalgoE6EsNS0_10empty_typeEbEEZZNS1_14partition_implILS5_6ELb0ES3_mN6thrust23THRUST_200600_302600_NS6detail15normal_iteratorINSA_10device_ptrIsEEEEPS6_SG_NS0_5tupleIJSF_S6_EEENSH_IJSG_SG_EEES6_PlJ7is_evenIsEEEE10hipError_tPvRmT3_T4_T5_T6_T7_T9_mT8_P12ihipStream_tbDpT10_ENKUlT_T0_E_clISt17integral_constantIbLb0EES16_EEDaS11_S12_EUlS11_E_NS1_11comp_targetILNS1_3genE3ELNS1_11target_archE908ELNS1_3gpuE7ELNS1_3repE0EEENS1_30default_config_static_selectorELNS0_4arch9wavefront6targetE0EEEvT1_
	.globl	_ZN7rocprim17ROCPRIM_400000_NS6detail17trampoline_kernelINS0_14default_configENS1_25partition_config_selectorILNS1_17partition_subalgoE6EsNS0_10empty_typeEbEEZZNS1_14partition_implILS5_6ELb0ES3_mN6thrust23THRUST_200600_302600_NS6detail15normal_iteratorINSA_10device_ptrIsEEEEPS6_SG_NS0_5tupleIJSF_S6_EEENSH_IJSG_SG_EEES6_PlJ7is_evenIsEEEE10hipError_tPvRmT3_T4_T5_T6_T7_T9_mT8_P12ihipStream_tbDpT10_ENKUlT_T0_E_clISt17integral_constantIbLb0EES16_EEDaS11_S12_EUlS11_E_NS1_11comp_targetILNS1_3genE3ELNS1_11target_archE908ELNS1_3gpuE7ELNS1_3repE0EEENS1_30default_config_static_selectorELNS0_4arch9wavefront6targetE0EEEvT1_
	.p2align	8
	.type	_ZN7rocprim17ROCPRIM_400000_NS6detail17trampoline_kernelINS0_14default_configENS1_25partition_config_selectorILNS1_17partition_subalgoE6EsNS0_10empty_typeEbEEZZNS1_14partition_implILS5_6ELb0ES3_mN6thrust23THRUST_200600_302600_NS6detail15normal_iteratorINSA_10device_ptrIsEEEEPS6_SG_NS0_5tupleIJSF_S6_EEENSH_IJSG_SG_EEES6_PlJ7is_evenIsEEEE10hipError_tPvRmT3_T4_T5_T6_T7_T9_mT8_P12ihipStream_tbDpT10_ENKUlT_T0_E_clISt17integral_constantIbLb0EES16_EEDaS11_S12_EUlS11_E_NS1_11comp_targetILNS1_3genE3ELNS1_11target_archE908ELNS1_3gpuE7ELNS1_3repE0EEENS1_30default_config_static_selectorELNS0_4arch9wavefront6targetE0EEEvT1_,@function
_ZN7rocprim17ROCPRIM_400000_NS6detail17trampoline_kernelINS0_14default_configENS1_25partition_config_selectorILNS1_17partition_subalgoE6EsNS0_10empty_typeEbEEZZNS1_14partition_implILS5_6ELb0ES3_mN6thrust23THRUST_200600_302600_NS6detail15normal_iteratorINSA_10device_ptrIsEEEEPS6_SG_NS0_5tupleIJSF_S6_EEENSH_IJSG_SG_EEES6_PlJ7is_evenIsEEEE10hipError_tPvRmT3_T4_T5_T6_T7_T9_mT8_P12ihipStream_tbDpT10_ENKUlT_T0_E_clISt17integral_constantIbLb0EES16_EEDaS11_S12_EUlS11_E_NS1_11comp_targetILNS1_3genE3ELNS1_11target_archE908ELNS1_3gpuE7ELNS1_3repE0EEENS1_30default_config_static_selectorELNS0_4arch9wavefront6targetE0EEEvT1_: ; @_ZN7rocprim17ROCPRIM_400000_NS6detail17trampoline_kernelINS0_14default_configENS1_25partition_config_selectorILNS1_17partition_subalgoE6EsNS0_10empty_typeEbEEZZNS1_14partition_implILS5_6ELb0ES3_mN6thrust23THRUST_200600_302600_NS6detail15normal_iteratorINSA_10device_ptrIsEEEEPS6_SG_NS0_5tupleIJSF_S6_EEENSH_IJSG_SG_EEES6_PlJ7is_evenIsEEEE10hipError_tPvRmT3_T4_T5_T6_T7_T9_mT8_P12ihipStream_tbDpT10_ENKUlT_T0_E_clISt17integral_constantIbLb0EES16_EEDaS11_S12_EUlS11_E_NS1_11comp_targetILNS1_3genE3ELNS1_11target_archE908ELNS1_3gpuE7ELNS1_3repE0EEENS1_30default_config_static_selectorELNS0_4arch9wavefront6targetE0EEEvT1_
; %bb.0:
	.section	.rodata,"a",@progbits
	.p2align	6, 0x0
	.amdhsa_kernel _ZN7rocprim17ROCPRIM_400000_NS6detail17trampoline_kernelINS0_14default_configENS1_25partition_config_selectorILNS1_17partition_subalgoE6EsNS0_10empty_typeEbEEZZNS1_14partition_implILS5_6ELb0ES3_mN6thrust23THRUST_200600_302600_NS6detail15normal_iteratorINSA_10device_ptrIsEEEEPS6_SG_NS0_5tupleIJSF_S6_EEENSH_IJSG_SG_EEES6_PlJ7is_evenIsEEEE10hipError_tPvRmT3_T4_T5_T6_T7_T9_mT8_P12ihipStream_tbDpT10_ENKUlT_T0_E_clISt17integral_constantIbLb0EES16_EEDaS11_S12_EUlS11_E_NS1_11comp_targetILNS1_3genE3ELNS1_11target_archE908ELNS1_3gpuE7ELNS1_3repE0EEENS1_30default_config_static_selectorELNS0_4arch9wavefront6targetE0EEEvT1_
		.amdhsa_group_segment_fixed_size 0
		.amdhsa_private_segment_fixed_size 0
		.amdhsa_kernarg_size 112
		.amdhsa_user_sgpr_count 15
		.amdhsa_user_sgpr_dispatch_ptr 0
		.amdhsa_user_sgpr_queue_ptr 0
		.amdhsa_user_sgpr_kernarg_segment_ptr 1
		.amdhsa_user_sgpr_dispatch_id 0
		.amdhsa_user_sgpr_private_segment_size 0
		.amdhsa_wavefront_size32 1
		.amdhsa_uses_dynamic_stack 0
		.amdhsa_enable_private_segment 0
		.amdhsa_system_sgpr_workgroup_id_x 1
		.amdhsa_system_sgpr_workgroup_id_y 0
		.amdhsa_system_sgpr_workgroup_id_z 0
		.amdhsa_system_sgpr_workgroup_info 0
		.amdhsa_system_vgpr_workitem_id 0
		.amdhsa_next_free_vgpr 1
		.amdhsa_next_free_sgpr 1
		.amdhsa_reserve_vcc 0
		.amdhsa_float_round_mode_32 0
		.amdhsa_float_round_mode_16_64 0
		.amdhsa_float_denorm_mode_32 3
		.amdhsa_float_denorm_mode_16_64 3
		.amdhsa_dx10_clamp 1
		.amdhsa_ieee_mode 1
		.amdhsa_fp16_overflow 0
		.amdhsa_workgroup_processor_mode 1
		.amdhsa_memory_ordered 1
		.amdhsa_forward_progress 0
		.amdhsa_shared_vgpr_count 0
		.amdhsa_exception_fp_ieee_invalid_op 0
		.amdhsa_exception_fp_denorm_src 0
		.amdhsa_exception_fp_ieee_div_zero 0
		.amdhsa_exception_fp_ieee_overflow 0
		.amdhsa_exception_fp_ieee_underflow 0
		.amdhsa_exception_fp_ieee_inexact 0
		.amdhsa_exception_int_div_zero 0
	.end_amdhsa_kernel
	.section	.text._ZN7rocprim17ROCPRIM_400000_NS6detail17trampoline_kernelINS0_14default_configENS1_25partition_config_selectorILNS1_17partition_subalgoE6EsNS0_10empty_typeEbEEZZNS1_14partition_implILS5_6ELb0ES3_mN6thrust23THRUST_200600_302600_NS6detail15normal_iteratorINSA_10device_ptrIsEEEEPS6_SG_NS0_5tupleIJSF_S6_EEENSH_IJSG_SG_EEES6_PlJ7is_evenIsEEEE10hipError_tPvRmT3_T4_T5_T6_T7_T9_mT8_P12ihipStream_tbDpT10_ENKUlT_T0_E_clISt17integral_constantIbLb0EES16_EEDaS11_S12_EUlS11_E_NS1_11comp_targetILNS1_3genE3ELNS1_11target_archE908ELNS1_3gpuE7ELNS1_3repE0EEENS1_30default_config_static_selectorELNS0_4arch9wavefront6targetE0EEEvT1_,"axG",@progbits,_ZN7rocprim17ROCPRIM_400000_NS6detail17trampoline_kernelINS0_14default_configENS1_25partition_config_selectorILNS1_17partition_subalgoE6EsNS0_10empty_typeEbEEZZNS1_14partition_implILS5_6ELb0ES3_mN6thrust23THRUST_200600_302600_NS6detail15normal_iteratorINSA_10device_ptrIsEEEEPS6_SG_NS0_5tupleIJSF_S6_EEENSH_IJSG_SG_EEES6_PlJ7is_evenIsEEEE10hipError_tPvRmT3_T4_T5_T6_T7_T9_mT8_P12ihipStream_tbDpT10_ENKUlT_T0_E_clISt17integral_constantIbLb0EES16_EEDaS11_S12_EUlS11_E_NS1_11comp_targetILNS1_3genE3ELNS1_11target_archE908ELNS1_3gpuE7ELNS1_3repE0EEENS1_30default_config_static_selectorELNS0_4arch9wavefront6targetE0EEEvT1_,comdat
.Lfunc_end427:
	.size	_ZN7rocprim17ROCPRIM_400000_NS6detail17trampoline_kernelINS0_14default_configENS1_25partition_config_selectorILNS1_17partition_subalgoE6EsNS0_10empty_typeEbEEZZNS1_14partition_implILS5_6ELb0ES3_mN6thrust23THRUST_200600_302600_NS6detail15normal_iteratorINSA_10device_ptrIsEEEEPS6_SG_NS0_5tupleIJSF_S6_EEENSH_IJSG_SG_EEES6_PlJ7is_evenIsEEEE10hipError_tPvRmT3_T4_T5_T6_T7_T9_mT8_P12ihipStream_tbDpT10_ENKUlT_T0_E_clISt17integral_constantIbLb0EES16_EEDaS11_S12_EUlS11_E_NS1_11comp_targetILNS1_3genE3ELNS1_11target_archE908ELNS1_3gpuE7ELNS1_3repE0EEENS1_30default_config_static_selectorELNS0_4arch9wavefront6targetE0EEEvT1_, .Lfunc_end427-_ZN7rocprim17ROCPRIM_400000_NS6detail17trampoline_kernelINS0_14default_configENS1_25partition_config_selectorILNS1_17partition_subalgoE6EsNS0_10empty_typeEbEEZZNS1_14partition_implILS5_6ELb0ES3_mN6thrust23THRUST_200600_302600_NS6detail15normal_iteratorINSA_10device_ptrIsEEEEPS6_SG_NS0_5tupleIJSF_S6_EEENSH_IJSG_SG_EEES6_PlJ7is_evenIsEEEE10hipError_tPvRmT3_T4_T5_T6_T7_T9_mT8_P12ihipStream_tbDpT10_ENKUlT_T0_E_clISt17integral_constantIbLb0EES16_EEDaS11_S12_EUlS11_E_NS1_11comp_targetILNS1_3genE3ELNS1_11target_archE908ELNS1_3gpuE7ELNS1_3repE0EEENS1_30default_config_static_selectorELNS0_4arch9wavefront6targetE0EEEvT1_
                                        ; -- End function
	.section	.AMDGPU.csdata,"",@progbits
; Kernel info:
; codeLenInByte = 0
; NumSgprs: 0
; NumVgprs: 0
; ScratchSize: 0
; MemoryBound: 0
; FloatMode: 240
; IeeeMode: 1
; LDSByteSize: 0 bytes/workgroup (compile time only)
; SGPRBlocks: 0
; VGPRBlocks: 0
; NumSGPRsForWavesPerEU: 1
; NumVGPRsForWavesPerEU: 1
; Occupancy: 16
; WaveLimiterHint : 0
; COMPUTE_PGM_RSRC2:SCRATCH_EN: 0
; COMPUTE_PGM_RSRC2:USER_SGPR: 15
; COMPUTE_PGM_RSRC2:TRAP_HANDLER: 0
; COMPUTE_PGM_RSRC2:TGID_X_EN: 1
; COMPUTE_PGM_RSRC2:TGID_Y_EN: 0
; COMPUTE_PGM_RSRC2:TGID_Z_EN: 0
; COMPUTE_PGM_RSRC2:TIDIG_COMP_CNT: 0
	.section	.text._ZN7rocprim17ROCPRIM_400000_NS6detail17trampoline_kernelINS0_14default_configENS1_25partition_config_selectorILNS1_17partition_subalgoE6EsNS0_10empty_typeEbEEZZNS1_14partition_implILS5_6ELb0ES3_mN6thrust23THRUST_200600_302600_NS6detail15normal_iteratorINSA_10device_ptrIsEEEEPS6_SG_NS0_5tupleIJSF_S6_EEENSH_IJSG_SG_EEES6_PlJ7is_evenIsEEEE10hipError_tPvRmT3_T4_T5_T6_T7_T9_mT8_P12ihipStream_tbDpT10_ENKUlT_T0_E_clISt17integral_constantIbLb0EES16_EEDaS11_S12_EUlS11_E_NS1_11comp_targetILNS1_3genE2ELNS1_11target_archE906ELNS1_3gpuE6ELNS1_3repE0EEENS1_30default_config_static_selectorELNS0_4arch9wavefront6targetE0EEEvT1_,"axG",@progbits,_ZN7rocprim17ROCPRIM_400000_NS6detail17trampoline_kernelINS0_14default_configENS1_25partition_config_selectorILNS1_17partition_subalgoE6EsNS0_10empty_typeEbEEZZNS1_14partition_implILS5_6ELb0ES3_mN6thrust23THRUST_200600_302600_NS6detail15normal_iteratorINSA_10device_ptrIsEEEEPS6_SG_NS0_5tupleIJSF_S6_EEENSH_IJSG_SG_EEES6_PlJ7is_evenIsEEEE10hipError_tPvRmT3_T4_T5_T6_T7_T9_mT8_P12ihipStream_tbDpT10_ENKUlT_T0_E_clISt17integral_constantIbLb0EES16_EEDaS11_S12_EUlS11_E_NS1_11comp_targetILNS1_3genE2ELNS1_11target_archE906ELNS1_3gpuE6ELNS1_3repE0EEENS1_30default_config_static_selectorELNS0_4arch9wavefront6targetE0EEEvT1_,comdat
	.protected	_ZN7rocprim17ROCPRIM_400000_NS6detail17trampoline_kernelINS0_14default_configENS1_25partition_config_selectorILNS1_17partition_subalgoE6EsNS0_10empty_typeEbEEZZNS1_14partition_implILS5_6ELb0ES3_mN6thrust23THRUST_200600_302600_NS6detail15normal_iteratorINSA_10device_ptrIsEEEEPS6_SG_NS0_5tupleIJSF_S6_EEENSH_IJSG_SG_EEES6_PlJ7is_evenIsEEEE10hipError_tPvRmT3_T4_T5_T6_T7_T9_mT8_P12ihipStream_tbDpT10_ENKUlT_T0_E_clISt17integral_constantIbLb0EES16_EEDaS11_S12_EUlS11_E_NS1_11comp_targetILNS1_3genE2ELNS1_11target_archE906ELNS1_3gpuE6ELNS1_3repE0EEENS1_30default_config_static_selectorELNS0_4arch9wavefront6targetE0EEEvT1_ ; -- Begin function _ZN7rocprim17ROCPRIM_400000_NS6detail17trampoline_kernelINS0_14default_configENS1_25partition_config_selectorILNS1_17partition_subalgoE6EsNS0_10empty_typeEbEEZZNS1_14partition_implILS5_6ELb0ES3_mN6thrust23THRUST_200600_302600_NS6detail15normal_iteratorINSA_10device_ptrIsEEEEPS6_SG_NS0_5tupleIJSF_S6_EEENSH_IJSG_SG_EEES6_PlJ7is_evenIsEEEE10hipError_tPvRmT3_T4_T5_T6_T7_T9_mT8_P12ihipStream_tbDpT10_ENKUlT_T0_E_clISt17integral_constantIbLb0EES16_EEDaS11_S12_EUlS11_E_NS1_11comp_targetILNS1_3genE2ELNS1_11target_archE906ELNS1_3gpuE6ELNS1_3repE0EEENS1_30default_config_static_selectorELNS0_4arch9wavefront6targetE0EEEvT1_
	.globl	_ZN7rocprim17ROCPRIM_400000_NS6detail17trampoline_kernelINS0_14default_configENS1_25partition_config_selectorILNS1_17partition_subalgoE6EsNS0_10empty_typeEbEEZZNS1_14partition_implILS5_6ELb0ES3_mN6thrust23THRUST_200600_302600_NS6detail15normal_iteratorINSA_10device_ptrIsEEEEPS6_SG_NS0_5tupleIJSF_S6_EEENSH_IJSG_SG_EEES6_PlJ7is_evenIsEEEE10hipError_tPvRmT3_T4_T5_T6_T7_T9_mT8_P12ihipStream_tbDpT10_ENKUlT_T0_E_clISt17integral_constantIbLb0EES16_EEDaS11_S12_EUlS11_E_NS1_11comp_targetILNS1_3genE2ELNS1_11target_archE906ELNS1_3gpuE6ELNS1_3repE0EEENS1_30default_config_static_selectorELNS0_4arch9wavefront6targetE0EEEvT1_
	.p2align	8
	.type	_ZN7rocprim17ROCPRIM_400000_NS6detail17trampoline_kernelINS0_14default_configENS1_25partition_config_selectorILNS1_17partition_subalgoE6EsNS0_10empty_typeEbEEZZNS1_14partition_implILS5_6ELb0ES3_mN6thrust23THRUST_200600_302600_NS6detail15normal_iteratorINSA_10device_ptrIsEEEEPS6_SG_NS0_5tupleIJSF_S6_EEENSH_IJSG_SG_EEES6_PlJ7is_evenIsEEEE10hipError_tPvRmT3_T4_T5_T6_T7_T9_mT8_P12ihipStream_tbDpT10_ENKUlT_T0_E_clISt17integral_constantIbLb0EES16_EEDaS11_S12_EUlS11_E_NS1_11comp_targetILNS1_3genE2ELNS1_11target_archE906ELNS1_3gpuE6ELNS1_3repE0EEENS1_30default_config_static_selectorELNS0_4arch9wavefront6targetE0EEEvT1_,@function
_ZN7rocprim17ROCPRIM_400000_NS6detail17trampoline_kernelINS0_14default_configENS1_25partition_config_selectorILNS1_17partition_subalgoE6EsNS0_10empty_typeEbEEZZNS1_14partition_implILS5_6ELb0ES3_mN6thrust23THRUST_200600_302600_NS6detail15normal_iteratorINSA_10device_ptrIsEEEEPS6_SG_NS0_5tupleIJSF_S6_EEENSH_IJSG_SG_EEES6_PlJ7is_evenIsEEEE10hipError_tPvRmT3_T4_T5_T6_T7_T9_mT8_P12ihipStream_tbDpT10_ENKUlT_T0_E_clISt17integral_constantIbLb0EES16_EEDaS11_S12_EUlS11_E_NS1_11comp_targetILNS1_3genE2ELNS1_11target_archE906ELNS1_3gpuE6ELNS1_3repE0EEENS1_30default_config_static_selectorELNS0_4arch9wavefront6targetE0EEEvT1_: ; @_ZN7rocprim17ROCPRIM_400000_NS6detail17trampoline_kernelINS0_14default_configENS1_25partition_config_selectorILNS1_17partition_subalgoE6EsNS0_10empty_typeEbEEZZNS1_14partition_implILS5_6ELb0ES3_mN6thrust23THRUST_200600_302600_NS6detail15normal_iteratorINSA_10device_ptrIsEEEEPS6_SG_NS0_5tupleIJSF_S6_EEENSH_IJSG_SG_EEES6_PlJ7is_evenIsEEEE10hipError_tPvRmT3_T4_T5_T6_T7_T9_mT8_P12ihipStream_tbDpT10_ENKUlT_T0_E_clISt17integral_constantIbLb0EES16_EEDaS11_S12_EUlS11_E_NS1_11comp_targetILNS1_3genE2ELNS1_11target_archE906ELNS1_3gpuE6ELNS1_3repE0EEENS1_30default_config_static_selectorELNS0_4arch9wavefront6targetE0EEEvT1_
; %bb.0:
	.section	.rodata,"a",@progbits
	.p2align	6, 0x0
	.amdhsa_kernel _ZN7rocprim17ROCPRIM_400000_NS6detail17trampoline_kernelINS0_14default_configENS1_25partition_config_selectorILNS1_17partition_subalgoE6EsNS0_10empty_typeEbEEZZNS1_14partition_implILS5_6ELb0ES3_mN6thrust23THRUST_200600_302600_NS6detail15normal_iteratorINSA_10device_ptrIsEEEEPS6_SG_NS0_5tupleIJSF_S6_EEENSH_IJSG_SG_EEES6_PlJ7is_evenIsEEEE10hipError_tPvRmT3_T4_T5_T6_T7_T9_mT8_P12ihipStream_tbDpT10_ENKUlT_T0_E_clISt17integral_constantIbLb0EES16_EEDaS11_S12_EUlS11_E_NS1_11comp_targetILNS1_3genE2ELNS1_11target_archE906ELNS1_3gpuE6ELNS1_3repE0EEENS1_30default_config_static_selectorELNS0_4arch9wavefront6targetE0EEEvT1_
		.amdhsa_group_segment_fixed_size 0
		.amdhsa_private_segment_fixed_size 0
		.amdhsa_kernarg_size 112
		.amdhsa_user_sgpr_count 15
		.amdhsa_user_sgpr_dispatch_ptr 0
		.amdhsa_user_sgpr_queue_ptr 0
		.amdhsa_user_sgpr_kernarg_segment_ptr 1
		.amdhsa_user_sgpr_dispatch_id 0
		.amdhsa_user_sgpr_private_segment_size 0
		.amdhsa_wavefront_size32 1
		.amdhsa_uses_dynamic_stack 0
		.amdhsa_enable_private_segment 0
		.amdhsa_system_sgpr_workgroup_id_x 1
		.amdhsa_system_sgpr_workgroup_id_y 0
		.amdhsa_system_sgpr_workgroup_id_z 0
		.amdhsa_system_sgpr_workgroup_info 0
		.amdhsa_system_vgpr_workitem_id 0
		.amdhsa_next_free_vgpr 1
		.amdhsa_next_free_sgpr 1
		.amdhsa_reserve_vcc 0
		.amdhsa_float_round_mode_32 0
		.amdhsa_float_round_mode_16_64 0
		.amdhsa_float_denorm_mode_32 3
		.amdhsa_float_denorm_mode_16_64 3
		.amdhsa_dx10_clamp 1
		.amdhsa_ieee_mode 1
		.amdhsa_fp16_overflow 0
		.amdhsa_workgroup_processor_mode 1
		.amdhsa_memory_ordered 1
		.amdhsa_forward_progress 0
		.amdhsa_shared_vgpr_count 0
		.amdhsa_exception_fp_ieee_invalid_op 0
		.amdhsa_exception_fp_denorm_src 0
		.amdhsa_exception_fp_ieee_div_zero 0
		.amdhsa_exception_fp_ieee_overflow 0
		.amdhsa_exception_fp_ieee_underflow 0
		.amdhsa_exception_fp_ieee_inexact 0
		.amdhsa_exception_int_div_zero 0
	.end_amdhsa_kernel
	.section	.text._ZN7rocprim17ROCPRIM_400000_NS6detail17trampoline_kernelINS0_14default_configENS1_25partition_config_selectorILNS1_17partition_subalgoE6EsNS0_10empty_typeEbEEZZNS1_14partition_implILS5_6ELb0ES3_mN6thrust23THRUST_200600_302600_NS6detail15normal_iteratorINSA_10device_ptrIsEEEEPS6_SG_NS0_5tupleIJSF_S6_EEENSH_IJSG_SG_EEES6_PlJ7is_evenIsEEEE10hipError_tPvRmT3_T4_T5_T6_T7_T9_mT8_P12ihipStream_tbDpT10_ENKUlT_T0_E_clISt17integral_constantIbLb0EES16_EEDaS11_S12_EUlS11_E_NS1_11comp_targetILNS1_3genE2ELNS1_11target_archE906ELNS1_3gpuE6ELNS1_3repE0EEENS1_30default_config_static_selectorELNS0_4arch9wavefront6targetE0EEEvT1_,"axG",@progbits,_ZN7rocprim17ROCPRIM_400000_NS6detail17trampoline_kernelINS0_14default_configENS1_25partition_config_selectorILNS1_17partition_subalgoE6EsNS0_10empty_typeEbEEZZNS1_14partition_implILS5_6ELb0ES3_mN6thrust23THRUST_200600_302600_NS6detail15normal_iteratorINSA_10device_ptrIsEEEEPS6_SG_NS0_5tupleIJSF_S6_EEENSH_IJSG_SG_EEES6_PlJ7is_evenIsEEEE10hipError_tPvRmT3_T4_T5_T6_T7_T9_mT8_P12ihipStream_tbDpT10_ENKUlT_T0_E_clISt17integral_constantIbLb0EES16_EEDaS11_S12_EUlS11_E_NS1_11comp_targetILNS1_3genE2ELNS1_11target_archE906ELNS1_3gpuE6ELNS1_3repE0EEENS1_30default_config_static_selectorELNS0_4arch9wavefront6targetE0EEEvT1_,comdat
.Lfunc_end428:
	.size	_ZN7rocprim17ROCPRIM_400000_NS6detail17trampoline_kernelINS0_14default_configENS1_25partition_config_selectorILNS1_17partition_subalgoE6EsNS0_10empty_typeEbEEZZNS1_14partition_implILS5_6ELb0ES3_mN6thrust23THRUST_200600_302600_NS6detail15normal_iteratorINSA_10device_ptrIsEEEEPS6_SG_NS0_5tupleIJSF_S6_EEENSH_IJSG_SG_EEES6_PlJ7is_evenIsEEEE10hipError_tPvRmT3_T4_T5_T6_T7_T9_mT8_P12ihipStream_tbDpT10_ENKUlT_T0_E_clISt17integral_constantIbLb0EES16_EEDaS11_S12_EUlS11_E_NS1_11comp_targetILNS1_3genE2ELNS1_11target_archE906ELNS1_3gpuE6ELNS1_3repE0EEENS1_30default_config_static_selectorELNS0_4arch9wavefront6targetE0EEEvT1_, .Lfunc_end428-_ZN7rocprim17ROCPRIM_400000_NS6detail17trampoline_kernelINS0_14default_configENS1_25partition_config_selectorILNS1_17partition_subalgoE6EsNS0_10empty_typeEbEEZZNS1_14partition_implILS5_6ELb0ES3_mN6thrust23THRUST_200600_302600_NS6detail15normal_iteratorINSA_10device_ptrIsEEEEPS6_SG_NS0_5tupleIJSF_S6_EEENSH_IJSG_SG_EEES6_PlJ7is_evenIsEEEE10hipError_tPvRmT3_T4_T5_T6_T7_T9_mT8_P12ihipStream_tbDpT10_ENKUlT_T0_E_clISt17integral_constantIbLb0EES16_EEDaS11_S12_EUlS11_E_NS1_11comp_targetILNS1_3genE2ELNS1_11target_archE906ELNS1_3gpuE6ELNS1_3repE0EEENS1_30default_config_static_selectorELNS0_4arch9wavefront6targetE0EEEvT1_
                                        ; -- End function
	.section	.AMDGPU.csdata,"",@progbits
; Kernel info:
; codeLenInByte = 0
; NumSgprs: 0
; NumVgprs: 0
; ScratchSize: 0
; MemoryBound: 0
; FloatMode: 240
; IeeeMode: 1
; LDSByteSize: 0 bytes/workgroup (compile time only)
; SGPRBlocks: 0
; VGPRBlocks: 0
; NumSGPRsForWavesPerEU: 1
; NumVGPRsForWavesPerEU: 1
; Occupancy: 16
; WaveLimiterHint : 0
; COMPUTE_PGM_RSRC2:SCRATCH_EN: 0
; COMPUTE_PGM_RSRC2:USER_SGPR: 15
; COMPUTE_PGM_RSRC2:TRAP_HANDLER: 0
; COMPUTE_PGM_RSRC2:TGID_X_EN: 1
; COMPUTE_PGM_RSRC2:TGID_Y_EN: 0
; COMPUTE_PGM_RSRC2:TGID_Z_EN: 0
; COMPUTE_PGM_RSRC2:TIDIG_COMP_CNT: 0
	.section	.text._ZN7rocprim17ROCPRIM_400000_NS6detail17trampoline_kernelINS0_14default_configENS1_25partition_config_selectorILNS1_17partition_subalgoE6EsNS0_10empty_typeEbEEZZNS1_14partition_implILS5_6ELb0ES3_mN6thrust23THRUST_200600_302600_NS6detail15normal_iteratorINSA_10device_ptrIsEEEEPS6_SG_NS0_5tupleIJSF_S6_EEENSH_IJSG_SG_EEES6_PlJ7is_evenIsEEEE10hipError_tPvRmT3_T4_T5_T6_T7_T9_mT8_P12ihipStream_tbDpT10_ENKUlT_T0_E_clISt17integral_constantIbLb0EES16_EEDaS11_S12_EUlS11_E_NS1_11comp_targetILNS1_3genE10ELNS1_11target_archE1200ELNS1_3gpuE4ELNS1_3repE0EEENS1_30default_config_static_selectorELNS0_4arch9wavefront6targetE0EEEvT1_,"axG",@progbits,_ZN7rocprim17ROCPRIM_400000_NS6detail17trampoline_kernelINS0_14default_configENS1_25partition_config_selectorILNS1_17partition_subalgoE6EsNS0_10empty_typeEbEEZZNS1_14partition_implILS5_6ELb0ES3_mN6thrust23THRUST_200600_302600_NS6detail15normal_iteratorINSA_10device_ptrIsEEEEPS6_SG_NS0_5tupleIJSF_S6_EEENSH_IJSG_SG_EEES6_PlJ7is_evenIsEEEE10hipError_tPvRmT3_T4_T5_T6_T7_T9_mT8_P12ihipStream_tbDpT10_ENKUlT_T0_E_clISt17integral_constantIbLb0EES16_EEDaS11_S12_EUlS11_E_NS1_11comp_targetILNS1_3genE10ELNS1_11target_archE1200ELNS1_3gpuE4ELNS1_3repE0EEENS1_30default_config_static_selectorELNS0_4arch9wavefront6targetE0EEEvT1_,comdat
	.protected	_ZN7rocprim17ROCPRIM_400000_NS6detail17trampoline_kernelINS0_14default_configENS1_25partition_config_selectorILNS1_17partition_subalgoE6EsNS0_10empty_typeEbEEZZNS1_14partition_implILS5_6ELb0ES3_mN6thrust23THRUST_200600_302600_NS6detail15normal_iteratorINSA_10device_ptrIsEEEEPS6_SG_NS0_5tupleIJSF_S6_EEENSH_IJSG_SG_EEES6_PlJ7is_evenIsEEEE10hipError_tPvRmT3_T4_T5_T6_T7_T9_mT8_P12ihipStream_tbDpT10_ENKUlT_T0_E_clISt17integral_constantIbLb0EES16_EEDaS11_S12_EUlS11_E_NS1_11comp_targetILNS1_3genE10ELNS1_11target_archE1200ELNS1_3gpuE4ELNS1_3repE0EEENS1_30default_config_static_selectorELNS0_4arch9wavefront6targetE0EEEvT1_ ; -- Begin function _ZN7rocprim17ROCPRIM_400000_NS6detail17trampoline_kernelINS0_14default_configENS1_25partition_config_selectorILNS1_17partition_subalgoE6EsNS0_10empty_typeEbEEZZNS1_14partition_implILS5_6ELb0ES3_mN6thrust23THRUST_200600_302600_NS6detail15normal_iteratorINSA_10device_ptrIsEEEEPS6_SG_NS0_5tupleIJSF_S6_EEENSH_IJSG_SG_EEES6_PlJ7is_evenIsEEEE10hipError_tPvRmT3_T4_T5_T6_T7_T9_mT8_P12ihipStream_tbDpT10_ENKUlT_T0_E_clISt17integral_constantIbLb0EES16_EEDaS11_S12_EUlS11_E_NS1_11comp_targetILNS1_3genE10ELNS1_11target_archE1200ELNS1_3gpuE4ELNS1_3repE0EEENS1_30default_config_static_selectorELNS0_4arch9wavefront6targetE0EEEvT1_
	.globl	_ZN7rocprim17ROCPRIM_400000_NS6detail17trampoline_kernelINS0_14default_configENS1_25partition_config_selectorILNS1_17partition_subalgoE6EsNS0_10empty_typeEbEEZZNS1_14partition_implILS5_6ELb0ES3_mN6thrust23THRUST_200600_302600_NS6detail15normal_iteratorINSA_10device_ptrIsEEEEPS6_SG_NS0_5tupleIJSF_S6_EEENSH_IJSG_SG_EEES6_PlJ7is_evenIsEEEE10hipError_tPvRmT3_T4_T5_T6_T7_T9_mT8_P12ihipStream_tbDpT10_ENKUlT_T0_E_clISt17integral_constantIbLb0EES16_EEDaS11_S12_EUlS11_E_NS1_11comp_targetILNS1_3genE10ELNS1_11target_archE1200ELNS1_3gpuE4ELNS1_3repE0EEENS1_30default_config_static_selectorELNS0_4arch9wavefront6targetE0EEEvT1_
	.p2align	8
	.type	_ZN7rocprim17ROCPRIM_400000_NS6detail17trampoline_kernelINS0_14default_configENS1_25partition_config_selectorILNS1_17partition_subalgoE6EsNS0_10empty_typeEbEEZZNS1_14partition_implILS5_6ELb0ES3_mN6thrust23THRUST_200600_302600_NS6detail15normal_iteratorINSA_10device_ptrIsEEEEPS6_SG_NS0_5tupleIJSF_S6_EEENSH_IJSG_SG_EEES6_PlJ7is_evenIsEEEE10hipError_tPvRmT3_T4_T5_T6_T7_T9_mT8_P12ihipStream_tbDpT10_ENKUlT_T0_E_clISt17integral_constantIbLb0EES16_EEDaS11_S12_EUlS11_E_NS1_11comp_targetILNS1_3genE10ELNS1_11target_archE1200ELNS1_3gpuE4ELNS1_3repE0EEENS1_30default_config_static_selectorELNS0_4arch9wavefront6targetE0EEEvT1_,@function
_ZN7rocprim17ROCPRIM_400000_NS6detail17trampoline_kernelINS0_14default_configENS1_25partition_config_selectorILNS1_17partition_subalgoE6EsNS0_10empty_typeEbEEZZNS1_14partition_implILS5_6ELb0ES3_mN6thrust23THRUST_200600_302600_NS6detail15normal_iteratorINSA_10device_ptrIsEEEEPS6_SG_NS0_5tupleIJSF_S6_EEENSH_IJSG_SG_EEES6_PlJ7is_evenIsEEEE10hipError_tPvRmT3_T4_T5_T6_T7_T9_mT8_P12ihipStream_tbDpT10_ENKUlT_T0_E_clISt17integral_constantIbLb0EES16_EEDaS11_S12_EUlS11_E_NS1_11comp_targetILNS1_3genE10ELNS1_11target_archE1200ELNS1_3gpuE4ELNS1_3repE0EEENS1_30default_config_static_selectorELNS0_4arch9wavefront6targetE0EEEvT1_: ; @_ZN7rocprim17ROCPRIM_400000_NS6detail17trampoline_kernelINS0_14default_configENS1_25partition_config_selectorILNS1_17partition_subalgoE6EsNS0_10empty_typeEbEEZZNS1_14partition_implILS5_6ELb0ES3_mN6thrust23THRUST_200600_302600_NS6detail15normal_iteratorINSA_10device_ptrIsEEEEPS6_SG_NS0_5tupleIJSF_S6_EEENSH_IJSG_SG_EEES6_PlJ7is_evenIsEEEE10hipError_tPvRmT3_T4_T5_T6_T7_T9_mT8_P12ihipStream_tbDpT10_ENKUlT_T0_E_clISt17integral_constantIbLb0EES16_EEDaS11_S12_EUlS11_E_NS1_11comp_targetILNS1_3genE10ELNS1_11target_archE1200ELNS1_3gpuE4ELNS1_3repE0EEENS1_30default_config_static_selectorELNS0_4arch9wavefront6targetE0EEEvT1_
; %bb.0:
	.section	.rodata,"a",@progbits
	.p2align	6, 0x0
	.amdhsa_kernel _ZN7rocprim17ROCPRIM_400000_NS6detail17trampoline_kernelINS0_14default_configENS1_25partition_config_selectorILNS1_17partition_subalgoE6EsNS0_10empty_typeEbEEZZNS1_14partition_implILS5_6ELb0ES3_mN6thrust23THRUST_200600_302600_NS6detail15normal_iteratorINSA_10device_ptrIsEEEEPS6_SG_NS0_5tupleIJSF_S6_EEENSH_IJSG_SG_EEES6_PlJ7is_evenIsEEEE10hipError_tPvRmT3_T4_T5_T6_T7_T9_mT8_P12ihipStream_tbDpT10_ENKUlT_T0_E_clISt17integral_constantIbLb0EES16_EEDaS11_S12_EUlS11_E_NS1_11comp_targetILNS1_3genE10ELNS1_11target_archE1200ELNS1_3gpuE4ELNS1_3repE0EEENS1_30default_config_static_selectorELNS0_4arch9wavefront6targetE0EEEvT1_
		.amdhsa_group_segment_fixed_size 0
		.amdhsa_private_segment_fixed_size 0
		.amdhsa_kernarg_size 112
		.amdhsa_user_sgpr_count 15
		.amdhsa_user_sgpr_dispatch_ptr 0
		.amdhsa_user_sgpr_queue_ptr 0
		.amdhsa_user_sgpr_kernarg_segment_ptr 1
		.amdhsa_user_sgpr_dispatch_id 0
		.amdhsa_user_sgpr_private_segment_size 0
		.amdhsa_wavefront_size32 1
		.amdhsa_uses_dynamic_stack 0
		.amdhsa_enable_private_segment 0
		.amdhsa_system_sgpr_workgroup_id_x 1
		.amdhsa_system_sgpr_workgroup_id_y 0
		.amdhsa_system_sgpr_workgroup_id_z 0
		.amdhsa_system_sgpr_workgroup_info 0
		.amdhsa_system_vgpr_workitem_id 0
		.amdhsa_next_free_vgpr 1
		.amdhsa_next_free_sgpr 1
		.amdhsa_reserve_vcc 0
		.amdhsa_float_round_mode_32 0
		.amdhsa_float_round_mode_16_64 0
		.amdhsa_float_denorm_mode_32 3
		.amdhsa_float_denorm_mode_16_64 3
		.amdhsa_dx10_clamp 1
		.amdhsa_ieee_mode 1
		.amdhsa_fp16_overflow 0
		.amdhsa_workgroup_processor_mode 1
		.amdhsa_memory_ordered 1
		.amdhsa_forward_progress 0
		.amdhsa_shared_vgpr_count 0
		.amdhsa_exception_fp_ieee_invalid_op 0
		.amdhsa_exception_fp_denorm_src 0
		.amdhsa_exception_fp_ieee_div_zero 0
		.amdhsa_exception_fp_ieee_overflow 0
		.amdhsa_exception_fp_ieee_underflow 0
		.amdhsa_exception_fp_ieee_inexact 0
		.amdhsa_exception_int_div_zero 0
	.end_amdhsa_kernel
	.section	.text._ZN7rocprim17ROCPRIM_400000_NS6detail17trampoline_kernelINS0_14default_configENS1_25partition_config_selectorILNS1_17partition_subalgoE6EsNS0_10empty_typeEbEEZZNS1_14partition_implILS5_6ELb0ES3_mN6thrust23THRUST_200600_302600_NS6detail15normal_iteratorINSA_10device_ptrIsEEEEPS6_SG_NS0_5tupleIJSF_S6_EEENSH_IJSG_SG_EEES6_PlJ7is_evenIsEEEE10hipError_tPvRmT3_T4_T5_T6_T7_T9_mT8_P12ihipStream_tbDpT10_ENKUlT_T0_E_clISt17integral_constantIbLb0EES16_EEDaS11_S12_EUlS11_E_NS1_11comp_targetILNS1_3genE10ELNS1_11target_archE1200ELNS1_3gpuE4ELNS1_3repE0EEENS1_30default_config_static_selectorELNS0_4arch9wavefront6targetE0EEEvT1_,"axG",@progbits,_ZN7rocprim17ROCPRIM_400000_NS6detail17trampoline_kernelINS0_14default_configENS1_25partition_config_selectorILNS1_17partition_subalgoE6EsNS0_10empty_typeEbEEZZNS1_14partition_implILS5_6ELb0ES3_mN6thrust23THRUST_200600_302600_NS6detail15normal_iteratorINSA_10device_ptrIsEEEEPS6_SG_NS0_5tupleIJSF_S6_EEENSH_IJSG_SG_EEES6_PlJ7is_evenIsEEEE10hipError_tPvRmT3_T4_T5_T6_T7_T9_mT8_P12ihipStream_tbDpT10_ENKUlT_T0_E_clISt17integral_constantIbLb0EES16_EEDaS11_S12_EUlS11_E_NS1_11comp_targetILNS1_3genE10ELNS1_11target_archE1200ELNS1_3gpuE4ELNS1_3repE0EEENS1_30default_config_static_selectorELNS0_4arch9wavefront6targetE0EEEvT1_,comdat
.Lfunc_end429:
	.size	_ZN7rocprim17ROCPRIM_400000_NS6detail17trampoline_kernelINS0_14default_configENS1_25partition_config_selectorILNS1_17partition_subalgoE6EsNS0_10empty_typeEbEEZZNS1_14partition_implILS5_6ELb0ES3_mN6thrust23THRUST_200600_302600_NS6detail15normal_iteratorINSA_10device_ptrIsEEEEPS6_SG_NS0_5tupleIJSF_S6_EEENSH_IJSG_SG_EEES6_PlJ7is_evenIsEEEE10hipError_tPvRmT3_T4_T5_T6_T7_T9_mT8_P12ihipStream_tbDpT10_ENKUlT_T0_E_clISt17integral_constantIbLb0EES16_EEDaS11_S12_EUlS11_E_NS1_11comp_targetILNS1_3genE10ELNS1_11target_archE1200ELNS1_3gpuE4ELNS1_3repE0EEENS1_30default_config_static_selectorELNS0_4arch9wavefront6targetE0EEEvT1_, .Lfunc_end429-_ZN7rocprim17ROCPRIM_400000_NS6detail17trampoline_kernelINS0_14default_configENS1_25partition_config_selectorILNS1_17partition_subalgoE6EsNS0_10empty_typeEbEEZZNS1_14partition_implILS5_6ELb0ES3_mN6thrust23THRUST_200600_302600_NS6detail15normal_iteratorINSA_10device_ptrIsEEEEPS6_SG_NS0_5tupleIJSF_S6_EEENSH_IJSG_SG_EEES6_PlJ7is_evenIsEEEE10hipError_tPvRmT3_T4_T5_T6_T7_T9_mT8_P12ihipStream_tbDpT10_ENKUlT_T0_E_clISt17integral_constantIbLb0EES16_EEDaS11_S12_EUlS11_E_NS1_11comp_targetILNS1_3genE10ELNS1_11target_archE1200ELNS1_3gpuE4ELNS1_3repE0EEENS1_30default_config_static_selectorELNS0_4arch9wavefront6targetE0EEEvT1_
                                        ; -- End function
	.section	.AMDGPU.csdata,"",@progbits
; Kernel info:
; codeLenInByte = 0
; NumSgprs: 0
; NumVgprs: 0
; ScratchSize: 0
; MemoryBound: 0
; FloatMode: 240
; IeeeMode: 1
; LDSByteSize: 0 bytes/workgroup (compile time only)
; SGPRBlocks: 0
; VGPRBlocks: 0
; NumSGPRsForWavesPerEU: 1
; NumVGPRsForWavesPerEU: 1
; Occupancy: 15
; WaveLimiterHint : 0
; COMPUTE_PGM_RSRC2:SCRATCH_EN: 0
; COMPUTE_PGM_RSRC2:USER_SGPR: 15
; COMPUTE_PGM_RSRC2:TRAP_HANDLER: 0
; COMPUTE_PGM_RSRC2:TGID_X_EN: 1
; COMPUTE_PGM_RSRC2:TGID_Y_EN: 0
; COMPUTE_PGM_RSRC2:TGID_Z_EN: 0
; COMPUTE_PGM_RSRC2:TIDIG_COMP_CNT: 0
	.section	.text._ZN7rocprim17ROCPRIM_400000_NS6detail17trampoline_kernelINS0_14default_configENS1_25partition_config_selectorILNS1_17partition_subalgoE6EsNS0_10empty_typeEbEEZZNS1_14partition_implILS5_6ELb0ES3_mN6thrust23THRUST_200600_302600_NS6detail15normal_iteratorINSA_10device_ptrIsEEEEPS6_SG_NS0_5tupleIJSF_S6_EEENSH_IJSG_SG_EEES6_PlJ7is_evenIsEEEE10hipError_tPvRmT3_T4_T5_T6_T7_T9_mT8_P12ihipStream_tbDpT10_ENKUlT_T0_E_clISt17integral_constantIbLb0EES16_EEDaS11_S12_EUlS11_E_NS1_11comp_targetILNS1_3genE9ELNS1_11target_archE1100ELNS1_3gpuE3ELNS1_3repE0EEENS1_30default_config_static_selectorELNS0_4arch9wavefront6targetE0EEEvT1_,"axG",@progbits,_ZN7rocprim17ROCPRIM_400000_NS6detail17trampoline_kernelINS0_14default_configENS1_25partition_config_selectorILNS1_17partition_subalgoE6EsNS0_10empty_typeEbEEZZNS1_14partition_implILS5_6ELb0ES3_mN6thrust23THRUST_200600_302600_NS6detail15normal_iteratorINSA_10device_ptrIsEEEEPS6_SG_NS0_5tupleIJSF_S6_EEENSH_IJSG_SG_EEES6_PlJ7is_evenIsEEEE10hipError_tPvRmT3_T4_T5_T6_T7_T9_mT8_P12ihipStream_tbDpT10_ENKUlT_T0_E_clISt17integral_constantIbLb0EES16_EEDaS11_S12_EUlS11_E_NS1_11comp_targetILNS1_3genE9ELNS1_11target_archE1100ELNS1_3gpuE3ELNS1_3repE0EEENS1_30default_config_static_selectorELNS0_4arch9wavefront6targetE0EEEvT1_,comdat
	.protected	_ZN7rocprim17ROCPRIM_400000_NS6detail17trampoline_kernelINS0_14default_configENS1_25partition_config_selectorILNS1_17partition_subalgoE6EsNS0_10empty_typeEbEEZZNS1_14partition_implILS5_6ELb0ES3_mN6thrust23THRUST_200600_302600_NS6detail15normal_iteratorINSA_10device_ptrIsEEEEPS6_SG_NS0_5tupleIJSF_S6_EEENSH_IJSG_SG_EEES6_PlJ7is_evenIsEEEE10hipError_tPvRmT3_T4_T5_T6_T7_T9_mT8_P12ihipStream_tbDpT10_ENKUlT_T0_E_clISt17integral_constantIbLb0EES16_EEDaS11_S12_EUlS11_E_NS1_11comp_targetILNS1_3genE9ELNS1_11target_archE1100ELNS1_3gpuE3ELNS1_3repE0EEENS1_30default_config_static_selectorELNS0_4arch9wavefront6targetE0EEEvT1_ ; -- Begin function _ZN7rocprim17ROCPRIM_400000_NS6detail17trampoline_kernelINS0_14default_configENS1_25partition_config_selectorILNS1_17partition_subalgoE6EsNS0_10empty_typeEbEEZZNS1_14partition_implILS5_6ELb0ES3_mN6thrust23THRUST_200600_302600_NS6detail15normal_iteratorINSA_10device_ptrIsEEEEPS6_SG_NS0_5tupleIJSF_S6_EEENSH_IJSG_SG_EEES6_PlJ7is_evenIsEEEE10hipError_tPvRmT3_T4_T5_T6_T7_T9_mT8_P12ihipStream_tbDpT10_ENKUlT_T0_E_clISt17integral_constantIbLb0EES16_EEDaS11_S12_EUlS11_E_NS1_11comp_targetILNS1_3genE9ELNS1_11target_archE1100ELNS1_3gpuE3ELNS1_3repE0EEENS1_30default_config_static_selectorELNS0_4arch9wavefront6targetE0EEEvT1_
	.globl	_ZN7rocprim17ROCPRIM_400000_NS6detail17trampoline_kernelINS0_14default_configENS1_25partition_config_selectorILNS1_17partition_subalgoE6EsNS0_10empty_typeEbEEZZNS1_14partition_implILS5_6ELb0ES3_mN6thrust23THRUST_200600_302600_NS6detail15normal_iteratorINSA_10device_ptrIsEEEEPS6_SG_NS0_5tupleIJSF_S6_EEENSH_IJSG_SG_EEES6_PlJ7is_evenIsEEEE10hipError_tPvRmT3_T4_T5_T6_T7_T9_mT8_P12ihipStream_tbDpT10_ENKUlT_T0_E_clISt17integral_constantIbLb0EES16_EEDaS11_S12_EUlS11_E_NS1_11comp_targetILNS1_3genE9ELNS1_11target_archE1100ELNS1_3gpuE3ELNS1_3repE0EEENS1_30default_config_static_selectorELNS0_4arch9wavefront6targetE0EEEvT1_
	.p2align	8
	.type	_ZN7rocprim17ROCPRIM_400000_NS6detail17trampoline_kernelINS0_14default_configENS1_25partition_config_selectorILNS1_17partition_subalgoE6EsNS0_10empty_typeEbEEZZNS1_14partition_implILS5_6ELb0ES3_mN6thrust23THRUST_200600_302600_NS6detail15normal_iteratorINSA_10device_ptrIsEEEEPS6_SG_NS0_5tupleIJSF_S6_EEENSH_IJSG_SG_EEES6_PlJ7is_evenIsEEEE10hipError_tPvRmT3_T4_T5_T6_T7_T9_mT8_P12ihipStream_tbDpT10_ENKUlT_T0_E_clISt17integral_constantIbLb0EES16_EEDaS11_S12_EUlS11_E_NS1_11comp_targetILNS1_3genE9ELNS1_11target_archE1100ELNS1_3gpuE3ELNS1_3repE0EEENS1_30default_config_static_selectorELNS0_4arch9wavefront6targetE0EEEvT1_,@function
_ZN7rocprim17ROCPRIM_400000_NS6detail17trampoline_kernelINS0_14default_configENS1_25partition_config_selectorILNS1_17partition_subalgoE6EsNS0_10empty_typeEbEEZZNS1_14partition_implILS5_6ELb0ES3_mN6thrust23THRUST_200600_302600_NS6detail15normal_iteratorINSA_10device_ptrIsEEEEPS6_SG_NS0_5tupleIJSF_S6_EEENSH_IJSG_SG_EEES6_PlJ7is_evenIsEEEE10hipError_tPvRmT3_T4_T5_T6_T7_T9_mT8_P12ihipStream_tbDpT10_ENKUlT_T0_E_clISt17integral_constantIbLb0EES16_EEDaS11_S12_EUlS11_E_NS1_11comp_targetILNS1_3genE9ELNS1_11target_archE1100ELNS1_3gpuE3ELNS1_3repE0EEENS1_30default_config_static_selectorELNS0_4arch9wavefront6targetE0EEEvT1_: ; @_ZN7rocprim17ROCPRIM_400000_NS6detail17trampoline_kernelINS0_14default_configENS1_25partition_config_selectorILNS1_17partition_subalgoE6EsNS0_10empty_typeEbEEZZNS1_14partition_implILS5_6ELb0ES3_mN6thrust23THRUST_200600_302600_NS6detail15normal_iteratorINSA_10device_ptrIsEEEEPS6_SG_NS0_5tupleIJSF_S6_EEENSH_IJSG_SG_EEES6_PlJ7is_evenIsEEEE10hipError_tPvRmT3_T4_T5_T6_T7_T9_mT8_P12ihipStream_tbDpT10_ENKUlT_T0_E_clISt17integral_constantIbLb0EES16_EEDaS11_S12_EUlS11_E_NS1_11comp_targetILNS1_3genE9ELNS1_11target_archE1100ELNS1_3gpuE3ELNS1_3repE0EEENS1_30default_config_static_selectorELNS0_4arch9wavefront6targetE0EEEvT1_
; %bb.0:
	s_clause 0x3
	s_load_b128 s[8:11], s[0:1], 0x8
	s_load_b128 s[4:7], s[0:1], 0x40
	s_load_b32 s14, s[0:1], 0x68
	s_load_b64 s[12:13], s[0:1], 0x50
	v_lshlrev_b32_e32 v1, 1, v0
	s_waitcnt lgkmcnt(0)
	s_lshl_b64 s[2:3], s[10:11], 1
	s_load_b64 s[6:7], s[6:7], 0x0
	s_mul_i32 s16, s14, 0xf00
	s_add_u32 s17, s8, s2
	s_addc_u32 s18, s9, s3
	s_add_i32 s2, s16, s10
	s_add_i32 s14, s14, -1
	s_sub_i32 s2, s12, s2
	s_add_u32 s8, s10, s16
	s_addc_u32 s9, s11, 0
	s_cmp_eq_u32 s15, s14
	v_cmp_ge_u64_e64 s3, s[8:9], s[12:13]
	s_cselect_b32 s14, -1, 0
	s_mov_b32 s9, 0
	s_mul_i32 s8, s15, 0xf00
	s_delay_alu instid0(SALU_CYCLE_1) | instskip(NEXT) | instid1(VALU_DEP_1)
	s_lshl_b64 s[8:9], s[8:9], 1
	s_and_b32 s3, s14, s3
	s_delay_alu instid0(SALU_CYCLE_1)
	s_xor_b32 s16, s3, -1
	s_add_u32 s3, s17, s8
	s_addc_u32 s8, s18, s9
	s_and_b32 vcc_lo, exec_lo, s16
	s_mov_b32 s9, -1
	s_cbranch_vccz .LBB430_2
; %bb.1:
	v_add_co_u32 v2, s9, s3, v1
	s_delay_alu instid0(VALU_DEP_1) | instskip(SKIP_1) | instid1(VALU_DEP_2)
	v_add_co_ci_u32_e64 v3, null, s8, 0, s9
	s_mov_b32 s9, 0
	v_add_co_u32 v4, vcc_lo, 0x1000, v2
	s_clause 0x7
	flat_load_u16 v6, v[2:3]
	flat_load_u16 v7, v[2:3] offset:256
	flat_load_u16 v8, v[2:3] offset:512
	;; [unrolled: 1-line block ×7, first 2 shown]
	v_add_co_ci_u32_e32 v5, vcc_lo, 0, v3, vcc_lo
	s_clause 0x15
	flat_load_u16 v14, v[2:3] offset:2048
	flat_load_u16 v15, v[2:3] offset:2304
	;; [unrolled: 1-line block ×8, first 2 shown]
	flat_load_u16 v3, v[4:5]
	flat_load_u16 v21, v[4:5] offset:256
	flat_load_u16 v22, v[4:5] offset:512
	;; [unrolled: 1-line block ×13, first 2 shown]
	s_waitcnt vmcnt(29) lgkmcnt(0)
	ds_store_b16 v1, v6
	s_waitcnt vmcnt(28)
	ds_store_b16 v1, v7 offset:256
	s_waitcnt vmcnt(27)
	ds_store_b16 v1, v8 offset:512
	s_waitcnt vmcnt(26)
	ds_store_b16 v1, v9 offset:768
	s_waitcnt vmcnt(25)
	ds_store_b16 v1, v10 offset:1024
	s_waitcnt vmcnt(24)
	ds_store_b16 v1, v11 offset:1280
	s_waitcnt vmcnt(23)
	ds_store_b16 v1, v12 offset:1536
	s_waitcnt vmcnt(22)
	ds_store_b16 v1, v13 offset:1792
	s_waitcnt vmcnt(21)
	ds_store_b16 v1, v14 offset:2048
	s_waitcnt vmcnt(20)
	ds_store_b16 v1, v15 offset:2304
	s_waitcnt vmcnt(19)
	ds_store_b16 v1, v16 offset:2560
	s_waitcnt vmcnt(18)
	ds_store_b16 v1, v17 offset:2816
	s_waitcnt vmcnt(17)
	ds_store_b16 v1, v18 offset:3072
	s_waitcnt vmcnt(16)
	ds_store_b16 v1, v19 offset:3328
	s_waitcnt vmcnt(15)
	ds_store_b16 v1, v20 offset:3584
	s_waitcnt vmcnt(14)
	ds_store_b16 v1, v2 offset:3840
	s_waitcnt vmcnt(13)
	ds_store_b16 v1, v3 offset:4096
	s_waitcnt vmcnt(12)
	ds_store_b16 v1, v21 offset:4352
	s_waitcnt vmcnt(11)
	ds_store_b16 v1, v22 offset:4608
	s_waitcnt vmcnt(10)
	ds_store_b16 v1, v23 offset:4864
	s_waitcnt vmcnt(9)
	ds_store_b16 v1, v24 offset:5120
	s_waitcnt vmcnt(8)
	ds_store_b16 v1, v25 offset:5376
	s_waitcnt vmcnt(7)
	ds_store_b16 v1, v26 offset:5632
	s_waitcnt vmcnt(6)
	ds_store_b16 v1, v27 offset:5888
	s_waitcnt vmcnt(5)
	ds_store_b16 v1, v28 offset:6144
	s_waitcnt vmcnt(4)
	ds_store_b16 v1, v29 offset:6400
	s_waitcnt vmcnt(3)
	ds_store_b16 v1, v30 offset:6656
	s_waitcnt vmcnt(2)
	ds_store_b16 v1, v31 offset:6912
	s_waitcnt vmcnt(1)
	ds_store_b16 v1, v32 offset:7168
	s_waitcnt vmcnt(0)
	ds_store_b16 v1, v4 offset:7424
	s_waitcnt lgkmcnt(0)
	s_barrier
.LBB430_2:
	s_and_not1_b32 vcc_lo, exec_lo, s9
	s_addk_i32 s2, 0xf00
	s_cbranch_vccnz .LBB430_64
; %bb.3:
	s_mov_b32 s9, exec_lo
                                        ; implicit-def: $vgpr2
	v_cmpx_gt_u32_e64 s2, v0
	s_cbranch_execz .LBB430_5
; %bb.4:
	v_add_co_u32 v2, s10, s3, v1
	s_delay_alu instid0(VALU_DEP_1)
	v_add_co_ci_u32_e64 v3, null, s8, 0, s10
	flat_load_u16 v2, v[2:3]
.LBB430_5:
	s_or_b32 exec_lo, exec_lo, s9
	v_or_b32_e32 v3, 0x80, v0
	s_delay_alu instid0(VALU_DEP_1)
	v_cmp_gt_u32_e32 vcc_lo, s2, v3
                                        ; implicit-def: $vgpr3
	s_and_saveexec_b32 s9, vcc_lo
	s_cbranch_execz .LBB430_7
; %bb.6:
	v_add_co_u32 v3, s10, s3, v1
	s_delay_alu instid0(VALU_DEP_1)
	v_add_co_ci_u32_e64 v4, null, s8, 0, s10
	flat_load_u16 v3, v[3:4] offset:256
.LBB430_7:
	s_or_b32 exec_lo, exec_lo, s9
	v_or_b32_e32 v4, 0x100, v0
	s_delay_alu instid0(VALU_DEP_1)
	v_cmp_gt_u32_e32 vcc_lo, s2, v4
                                        ; implicit-def: $vgpr4
	s_and_saveexec_b32 s9, vcc_lo
	s_cbranch_execz .LBB430_9
; %bb.8:
	v_add_co_u32 v4, s10, s3, v1
	s_delay_alu instid0(VALU_DEP_1)
	v_add_co_ci_u32_e64 v5, null, s8, 0, s10
	flat_load_u16 v4, v[4:5] offset:512
.LBB430_9:
	s_or_b32 exec_lo, exec_lo, s9
	v_or_b32_e32 v5, 0x180, v0
	s_delay_alu instid0(VALU_DEP_1)
	v_cmp_gt_u32_e32 vcc_lo, s2, v5
                                        ; implicit-def: $vgpr5
	s_and_saveexec_b32 s9, vcc_lo
	s_cbranch_execz .LBB430_11
; %bb.10:
	v_add_co_u32 v5, s10, s3, v1
	s_delay_alu instid0(VALU_DEP_1)
	v_add_co_ci_u32_e64 v6, null, s8, 0, s10
	flat_load_u16 v5, v[5:6] offset:768
.LBB430_11:
	s_or_b32 exec_lo, exec_lo, s9
	v_or_b32_e32 v6, 0x200, v0
	s_delay_alu instid0(VALU_DEP_1)
	v_cmp_gt_u32_e32 vcc_lo, s2, v6
                                        ; implicit-def: $vgpr6
	s_and_saveexec_b32 s9, vcc_lo
	s_cbranch_execz .LBB430_13
; %bb.12:
	v_add_co_u32 v6, s10, s3, v1
	s_delay_alu instid0(VALU_DEP_1)
	v_add_co_ci_u32_e64 v7, null, s8, 0, s10
	flat_load_u16 v6, v[6:7] offset:1024
.LBB430_13:
	s_or_b32 exec_lo, exec_lo, s9
	v_or_b32_e32 v7, 0x280, v0
	s_delay_alu instid0(VALU_DEP_1)
	v_cmp_gt_u32_e32 vcc_lo, s2, v7
                                        ; implicit-def: $vgpr7
	s_and_saveexec_b32 s9, vcc_lo
	s_cbranch_execz .LBB430_15
; %bb.14:
	v_add_co_u32 v7, s10, s3, v1
	s_delay_alu instid0(VALU_DEP_1)
	v_add_co_ci_u32_e64 v8, null, s8, 0, s10
	flat_load_u16 v7, v[7:8] offset:1280
.LBB430_15:
	s_or_b32 exec_lo, exec_lo, s9
	v_or_b32_e32 v8, 0x300, v0
	s_delay_alu instid0(VALU_DEP_1)
	v_cmp_gt_u32_e32 vcc_lo, s2, v8
                                        ; implicit-def: $vgpr8
	s_and_saveexec_b32 s9, vcc_lo
	s_cbranch_execz .LBB430_17
; %bb.16:
	v_add_co_u32 v8, s10, s3, v1
	s_delay_alu instid0(VALU_DEP_1)
	v_add_co_ci_u32_e64 v9, null, s8, 0, s10
	flat_load_u16 v8, v[8:9] offset:1536
.LBB430_17:
	s_or_b32 exec_lo, exec_lo, s9
	v_or_b32_e32 v9, 0x380, v0
	s_delay_alu instid0(VALU_DEP_1)
	v_cmp_gt_u32_e32 vcc_lo, s2, v9
                                        ; implicit-def: $vgpr9
	s_and_saveexec_b32 s9, vcc_lo
	s_cbranch_execz .LBB430_19
; %bb.18:
	v_add_co_u32 v9, s10, s3, v1
	s_delay_alu instid0(VALU_DEP_1)
	v_add_co_ci_u32_e64 v10, null, s8, 0, s10
	flat_load_u16 v9, v[9:10] offset:1792
.LBB430_19:
	s_or_b32 exec_lo, exec_lo, s9
	v_or_b32_e32 v10, 0x400, v0
	s_delay_alu instid0(VALU_DEP_1)
	v_cmp_gt_u32_e32 vcc_lo, s2, v10
                                        ; implicit-def: $vgpr10
	s_and_saveexec_b32 s9, vcc_lo
	s_cbranch_execz .LBB430_21
; %bb.20:
	v_add_co_u32 v10, s10, s3, v1
	s_delay_alu instid0(VALU_DEP_1)
	v_add_co_ci_u32_e64 v11, null, s8, 0, s10
	flat_load_u16 v10, v[10:11] offset:2048
.LBB430_21:
	s_or_b32 exec_lo, exec_lo, s9
	v_or_b32_e32 v11, 0x480, v0
	s_delay_alu instid0(VALU_DEP_1)
	v_cmp_gt_u32_e32 vcc_lo, s2, v11
                                        ; implicit-def: $vgpr11
	s_and_saveexec_b32 s9, vcc_lo
	s_cbranch_execz .LBB430_23
; %bb.22:
	v_add_co_u32 v11, s10, s3, v1
	s_delay_alu instid0(VALU_DEP_1)
	v_add_co_ci_u32_e64 v12, null, s8, 0, s10
	flat_load_u16 v11, v[11:12] offset:2304
.LBB430_23:
	s_or_b32 exec_lo, exec_lo, s9
	v_or_b32_e32 v12, 0x500, v0
	s_delay_alu instid0(VALU_DEP_1)
	v_cmp_gt_u32_e32 vcc_lo, s2, v12
                                        ; implicit-def: $vgpr12
	s_and_saveexec_b32 s9, vcc_lo
	s_cbranch_execz .LBB430_25
; %bb.24:
	v_add_co_u32 v12, s10, s3, v1
	s_delay_alu instid0(VALU_DEP_1)
	v_add_co_ci_u32_e64 v13, null, s8, 0, s10
	flat_load_u16 v12, v[12:13] offset:2560
.LBB430_25:
	s_or_b32 exec_lo, exec_lo, s9
	v_or_b32_e32 v13, 0x580, v0
	s_delay_alu instid0(VALU_DEP_1)
	v_cmp_gt_u32_e32 vcc_lo, s2, v13
                                        ; implicit-def: $vgpr13
	s_and_saveexec_b32 s9, vcc_lo
	s_cbranch_execz .LBB430_27
; %bb.26:
	v_add_co_u32 v13, s10, s3, v1
	s_delay_alu instid0(VALU_DEP_1)
	v_add_co_ci_u32_e64 v14, null, s8, 0, s10
	flat_load_u16 v13, v[13:14] offset:2816
.LBB430_27:
	s_or_b32 exec_lo, exec_lo, s9
	v_or_b32_e32 v14, 0x600, v0
	s_delay_alu instid0(VALU_DEP_1)
	v_cmp_gt_u32_e32 vcc_lo, s2, v14
                                        ; implicit-def: $vgpr14
	s_and_saveexec_b32 s9, vcc_lo
	s_cbranch_execz .LBB430_29
; %bb.28:
	v_add_co_u32 v14, s10, s3, v1
	s_delay_alu instid0(VALU_DEP_1)
	v_add_co_ci_u32_e64 v15, null, s8, 0, s10
	flat_load_u16 v14, v[14:15] offset:3072
.LBB430_29:
	s_or_b32 exec_lo, exec_lo, s9
	v_or_b32_e32 v15, 0x680, v0
	s_delay_alu instid0(VALU_DEP_1)
	v_cmp_gt_u32_e32 vcc_lo, s2, v15
                                        ; implicit-def: $vgpr15
	s_and_saveexec_b32 s9, vcc_lo
	s_cbranch_execz .LBB430_31
; %bb.30:
	v_add_co_u32 v15, s10, s3, v1
	s_delay_alu instid0(VALU_DEP_1)
	v_add_co_ci_u32_e64 v16, null, s8, 0, s10
	flat_load_u16 v15, v[15:16] offset:3328
.LBB430_31:
	s_or_b32 exec_lo, exec_lo, s9
	v_or_b32_e32 v16, 0x700, v0
	s_delay_alu instid0(VALU_DEP_1)
	v_cmp_gt_u32_e32 vcc_lo, s2, v16
                                        ; implicit-def: $vgpr16
	s_and_saveexec_b32 s9, vcc_lo
	s_cbranch_execz .LBB430_33
; %bb.32:
	v_add_co_u32 v16, s10, s3, v1
	s_delay_alu instid0(VALU_DEP_1)
	v_add_co_ci_u32_e64 v17, null, s8, 0, s10
	flat_load_u16 v16, v[16:17] offset:3584
.LBB430_33:
	s_or_b32 exec_lo, exec_lo, s9
	v_or_b32_e32 v17, 0x780, v0
	s_delay_alu instid0(VALU_DEP_1)
	v_cmp_gt_u32_e32 vcc_lo, s2, v17
                                        ; implicit-def: $vgpr17
	s_and_saveexec_b32 s9, vcc_lo
	s_cbranch_execz .LBB430_35
; %bb.34:
	v_add_co_u32 v17, s10, s3, v1
	s_delay_alu instid0(VALU_DEP_1)
	v_add_co_ci_u32_e64 v18, null, s8, 0, s10
	flat_load_u16 v17, v[17:18] offset:3840
.LBB430_35:
	s_or_b32 exec_lo, exec_lo, s9
	v_or_b32_e32 v19, 0x800, v0
	s_mov_b32 s9, exec_lo
                                        ; implicit-def: $vgpr18
	s_delay_alu instid0(VALU_DEP_1)
	v_cmpx_gt_u32_e64 s2, v19
	s_cbranch_execz .LBB430_37
; %bb.36:
	v_lshlrev_b32_e32 v18, 1, v19
	s_delay_alu instid0(VALU_DEP_1) | instskip(NEXT) | instid1(VALU_DEP_1)
	v_add_co_u32 v18, s10, s3, v18
	v_add_co_ci_u32_e64 v19, null, s8, 0, s10
	flat_load_u16 v18, v[18:19]
.LBB430_37:
	s_or_b32 exec_lo, exec_lo, s9
	v_or_b32_e32 v20, 0x880, v0
	s_mov_b32 s9, exec_lo
                                        ; implicit-def: $vgpr19
	s_delay_alu instid0(VALU_DEP_1)
	v_cmpx_gt_u32_e64 s2, v20
	s_cbranch_execz .LBB430_39
; %bb.38:
	v_lshlrev_b32_e32 v19, 1, v20
	s_delay_alu instid0(VALU_DEP_1) | instskip(NEXT) | instid1(VALU_DEP_1)
	v_add_co_u32 v19, s10, s3, v19
	v_add_co_ci_u32_e64 v20, null, s8, 0, s10
	flat_load_u16 v19, v[19:20]
.LBB430_39:
	s_or_b32 exec_lo, exec_lo, s9
	v_or_b32_e32 v21, 0x900, v0
	s_mov_b32 s9, exec_lo
                                        ; implicit-def: $vgpr20
	s_delay_alu instid0(VALU_DEP_1)
	v_cmpx_gt_u32_e64 s2, v21
	s_cbranch_execz .LBB430_41
; %bb.40:
	v_lshlrev_b32_e32 v20, 1, v21
	s_delay_alu instid0(VALU_DEP_1) | instskip(NEXT) | instid1(VALU_DEP_1)
	v_add_co_u32 v20, s10, s3, v20
	v_add_co_ci_u32_e64 v21, null, s8, 0, s10
	flat_load_u16 v20, v[20:21]
.LBB430_41:
	s_or_b32 exec_lo, exec_lo, s9
	v_or_b32_e32 v22, 0x980, v0
	s_mov_b32 s9, exec_lo
                                        ; implicit-def: $vgpr21
	s_delay_alu instid0(VALU_DEP_1)
	v_cmpx_gt_u32_e64 s2, v22
	s_cbranch_execz .LBB430_43
; %bb.42:
	v_lshlrev_b32_e32 v21, 1, v22
	s_delay_alu instid0(VALU_DEP_1) | instskip(NEXT) | instid1(VALU_DEP_1)
	v_add_co_u32 v21, s10, s3, v21
	v_add_co_ci_u32_e64 v22, null, s8, 0, s10
	flat_load_u16 v21, v[21:22]
.LBB430_43:
	s_or_b32 exec_lo, exec_lo, s9
	v_or_b32_e32 v23, 0xa00, v0
	s_mov_b32 s9, exec_lo
                                        ; implicit-def: $vgpr22
	s_delay_alu instid0(VALU_DEP_1)
	v_cmpx_gt_u32_e64 s2, v23
	s_cbranch_execz .LBB430_45
; %bb.44:
	v_lshlrev_b32_e32 v22, 1, v23
	s_delay_alu instid0(VALU_DEP_1) | instskip(NEXT) | instid1(VALU_DEP_1)
	v_add_co_u32 v22, s10, s3, v22
	v_add_co_ci_u32_e64 v23, null, s8, 0, s10
	flat_load_u16 v22, v[22:23]
.LBB430_45:
	s_or_b32 exec_lo, exec_lo, s9
	v_or_b32_e32 v24, 0xa80, v0
	s_mov_b32 s9, exec_lo
                                        ; implicit-def: $vgpr23
	s_delay_alu instid0(VALU_DEP_1)
	v_cmpx_gt_u32_e64 s2, v24
	s_cbranch_execz .LBB430_47
; %bb.46:
	v_lshlrev_b32_e32 v23, 1, v24
	s_delay_alu instid0(VALU_DEP_1) | instskip(NEXT) | instid1(VALU_DEP_1)
	v_add_co_u32 v23, s10, s3, v23
	v_add_co_ci_u32_e64 v24, null, s8, 0, s10
	flat_load_u16 v23, v[23:24]
.LBB430_47:
	s_or_b32 exec_lo, exec_lo, s9
	v_or_b32_e32 v25, 0xb00, v0
	s_mov_b32 s9, exec_lo
                                        ; implicit-def: $vgpr24
	s_delay_alu instid0(VALU_DEP_1)
	v_cmpx_gt_u32_e64 s2, v25
	s_cbranch_execz .LBB430_49
; %bb.48:
	v_lshlrev_b32_e32 v24, 1, v25
	s_delay_alu instid0(VALU_DEP_1) | instskip(NEXT) | instid1(VALU_DEP_1)
	v_add_co_u32 v24, s10, s3, v24
	v_add_co_ci_u32_e64 v25, null, s8, 0, s10
	flat_load_u16 v24, v[24:25]
.LBB430_49:
	s_or_b32 exec_lo, exec_lo, s9
	v_or_b32_e32 v26, 0xb80, v0
	s_mov_b32 s9, exec_lo
                                        ; implicit-def: $vgpr25
	s_delay_alu instid0(VALU_DEP_1)
	v_cmpx_gt_u32_e64 s2, v26
	s_cbranch_execz .LBB430_51
; %bb.50:
	v_lshlrev_b32_e32 v25, 1, v26
	s_delay_alu instid0(VALU_DEP_1) | instskip(NEXT) | instid1(VALU_DEP_1)
	v_add_co_u32 v25, s10, s3, v25
	v_add_co_ci_u32_e64 v26, null, s8, 0, s10
	flat_load_u16 v25, v[25:26]
.LBB430_51:
	s_or_b32 exec_lo, exec_lo, s9
	v_or_b32_e32 v27, 0xc00, v0
	s_mov_b32 s9, exec_lo
                                        ; implicit-def: $vgpr26
	s_delay_alu instid0(VALU_DEP_1)
	v_cmpx_gt_u32_e64 s2, v27
	s_cbranch_execz .LBB430_53
; %bb.52:
	v_lshlrev_b32_e32 v26, 1, v27
	s_delay_alu instid0(VALU_DEP_1) | instskip(NEXT) | instid1(VALU_DEP_1)
	v_add_co_u32 v26, s10, s3, v26
	v_add_co_ci_u32_e64 v27, null, s8, 0, s10
	flat_load_u16 v26, v[26:27]
.LBB430_53:
	s_or_b32 exec_lo, exec_lo, s9
	v_or_b32_e32 v28, 0xc80, v0
	s_mov_b32 s9, exec_lo
                                        ; implicit-def: $vgpr27
	s_delay_alu instid0(VALU_DEP_1)
	v_cmpx_gt_u32_e64 s2, v28
	s_cbranch_execz .LBB430_55
; %bb.54:
	v_lshlrev_b32_e32 v27, 1, v28
	s_delay_alu instid0(VALU_DEP_1) | instskip(NEXT) | instid1(VALU_DEP_1)
	v_add_co_u32 v27, s10, s3, v27
	v_add_co_ci_u32_e64 v28, null, s8, 0, s10
	flat_load_u16 v27, v[27:28]
.LBB430_55:
	s_or_b32 exec_lo, exec_lo, s9
	v_or_b32_e32 v29, 0xd00, v0
	s_mov_b32 s9, exec_lo
                                        ; implicit-def: $vgpr28
	s_delay_alu instid0(VALU_DEP_1)
	v_cmpx_gt_u32_e64 s2, v29
	s_cbranch_execz .LBB430_57
; %bb.56:
	v_lshlrev_b32_e32 v28, 1, v29
	s_delay_alu instid0(VALU_DEP_1) | instskip(NEXT) | instid1(VALU_DEP_1)
	v_add_co_u32 v28, s10, s3, v28
	v_add_co_ci_u32_e64 v29, null, s8, 0, s10
	flat_load_u16 v28, v[28:29]
.LBB430_57:
	s_or_b32 exec_lo, exec_lo, s9
	v_or_b32_e32 v30, 0xd80, v0
	s_mov_b32 s9, exec_lo
                                        ; implicit-def: $vgpr29
	s_delay_alu instid0(VALU_DEP_1)
	v_cmpx_gt_u32_e64 s2, v30
	s_cbranch_execz .LBB430_59
; %bb.58:
	v_lshlrev_b32_e32 v29, 1, v30
	s_delay_alu instid0(VALU_DEP_1) | instskip(NEXT) | instid1(VALU_DEP_1)
	v_add_co_u32 v29, s10, s3, v29
	v_add_co_ci_u32_e64 v30, null, s8, 0, s10
	flat_load_u16 v29, v[29:30]
.LBB430_59:
	s_or_b32 exec_lo, exec_lo, s9
	v_or_b32_e32 v31, 0xe00, v0
	s_mov_b32 s9, exec_lo
                                        ; implicit-def: $vgpr30
	s_delay_alu instid0(VALU_DEP_1)
	v_cmpx_gt_u32_e64 s2, v31
	s_cbranch_execz .LBB430_61
; %bb.60:
	v_lshlrev_b32_e32 v30, 1, v31
	s_delay_alu instid0(VALU_DEP_1) | instskip(NEXT) | instid1(VALU_DEP_1)
	v_add_co_u32 v30, s10, s3, v30
	v_add_co_ci_u32_e64 v31, null, s8, 0, s10
	flat_load_u16 v30, v[30:31]
.LBB430_61:
	s_or_b32 exec_lo, exec_lo, s9
	v_or_b32_e32 v32, 0xe80, v0
	s_mov_b32 s9, exec_lo
                                        ; implicit-def: $vgpr31
	s_delay_alu instid0(VALU_DEP_1)
	v_cmpx_gt_u32_e64 s2, v32
	s_cbranch_execz .LBB430_63
; %bb.62:
	v_lshlrev_b32_e32 v31, 1, v32
	s_delay_alu instid0(VALU_DEP_1) | instskip(NEXT) | instid1(VALU_DEP_1)
	v_add_co_u32 v31, s3, s3, v31
	v_add_co_ci_u32_e64 v32, null, s8, 0, s3
	flat_load_u16 v31, v[31:32]
.LBB430_63:
	s_or_b32 exec_lo, exec_lo, s9
	s_waitcnt vmcnt(0) lgkmcnt(0)
	ds_store_b16 v1, v2
	ds_store_b16 v1, v3 offset:256
	ds_store_b16 v1, v4 offset:512
	;; [unrolled: 1-line block ×29, first 2 shown]
	s_waitcnt lgkmcnt(0)
	s_barrier
.LBB430_64:
	v_mul_u32_u24_e32 v30, 30, v0
	s_waitcnt lgkmcnt(0)
	buffer_gl0_inv
	s_and_not1_b32 vcc_lo, exec_lo, s16
	v_lshlrev_b32_e32 v1, 1, v30
	ds_load_b32 v81, v1 offset:56
	ds_load_2addr_b32 v[9:10], v1 offset0:12 offset1:13
	ds_load_2addr_b32 v[11:12], v1 offset0:10 offset1:11
	ds_load_2addr_b32 v[21:22], v1 offset1:1
	ds_load_2addr_b32 v[19:20], v1 offset0:2 offset1:3
	ds_load_2addr_b32 v[17:18], v1 offset0:4 offset1:5
	;; [unrolled: 1-line block ×4, first 2 shown]
	s_waitcnt lgkmcnt(0)
	s_barrier
	buffer_gl0_inv
	v_lshrrev_b32_e32 v82, 16, v81
	v_lshrrev_b32_e32 v84, 16, v9
	;; [unrolled: 1-line block ×15, first 2 shown]
	v_xor_b32_e32 v41, -1, v21
	v_xor_b32_e32 v42, -1, v22
	v_xor_b32_e32 v43, -1, v19
	v_xor_b32_e32 v36, -1, v20
	v_xor_b32_e32 v45, -1, v109
	v_xor_b32_e32 v44, -1, v105
	v_xor_b32_e32 v40, -1, v101
	v_xor_b32_e32 v37, -1, v96
	v_xor_b32_e32 v38, -1, v17
	v_xor_b32_e32 v39, -1, v93
	v_xor_b32_e32 v31, -1, v18
	v_xor_b32_e32 v32, -1, v91
	v_xor_b32_e32 v33, -1, v15
	v_xor_b32_e32 v34, -1, v90
	v_xor_b32_e32 v35, -1, v16
	v_xor_b32_e32 v25, -1, v89
	v_xor_b32_e32 v26, -1, v13
	v_xor_b32_e32 v27, -1, v88
	v_xor_b32_e32 v28, -1, v14
	v_xor_b32_e32 v29, -1, v87
	v_xor_b32_e32 v6, -1, v11
	v_xor_b32_e32 v7, -1, v86
	v_xor_b32_e32 v8, -1, v12
	v_xor_b32_e32 v23, -1, v85
	v_xor_b32_e32 v24, -1, v9
	v_xor_b32_e32 v1, -1, v84
	v_xor_b32_e32 v2, -1, v10
	v_xor_b32_e32 v3, -1, v83
	v_xor_b32_e32 v4, -1, v81
	v_xor_b32_e32 v5, -1, v82
	s_cbranch_vccnz .LBB430_66
; %bb.65:
	v_and_b32_e32 v126, 1, v41
	v_and_b32_e32 v125, 1, v45
	;; [unrolled: 1-line block ×30, first 2 shown]
	s_load_b64 s[10:11], s[0:1], 0x60
	s_cbranch_execz .LBB430_67
	s_branch .LBB430_68
.LBB430_66:
                                        ; implicit-def: $vgpr126
                                        ; implicit-def: $vgpr125
                                        ; implicit-def: $vgpr124
                                        ; implicit-def: $vgpr123
                                        ; implicit-def: $vgpr121
                                        ; implicit-def: $vgpr122
                                        ; implicit-def: $vgpr120
                                        ; implicit-def: $vgpr119
                                        ; implicit-def: $vgpr118
                                        ; implicit-def: $vgpr116
                                        ; implicit-def: $vgpr117
                                        ; implicit-def: $vgpr115
                                        ; implicit-def: $vgpr114
                                        ; implicit-def: $vgpr113
                                        ; implicit-def: $vgpr111
                                        ; implicit-def: $vgpr112
                                        ; implicit-def: $vgpr110
                                        ; implicit-def: $vgpr108
                                        ; implicit-def: $vgpr107
                                        ; implicit-def: $vgpr104
                                        ; implicit-def: $vgpr106
                                        ; implicit-def: $vgpr103
                                        ; implicit-def: $vgpr102
                                        ; implicit-def: $vgpr100
                                        ; implicit-def: $vgpr98
                                        ; implicit-def: $vgpr99
                                        ; implicit-def: $vgpr97
                                        ; implicit-def: $vgpr95
                                        ; implicit-def: $vgpr94
                                        ; implicit-def: $vgpr92
	s_load_b64 s[10:11], s[0:1], 0x60
.LBB430_67:
	v_or_b32_e32 v55, 1, v30
	v_cmp_gt_u32_e32 vcc_lo, s2, v30
	v_add_nc_u32_e32 v46, 29, v30
	v_add_nc_u32_e32 v47, 28, v30
	;; [unrolled: 1-line block ×28, first 2 shown]
	v_cndmask_b32_e64 v30, 0, 1, vcc_lo
	v_cmp_gt_u32_e32 vcc_lo, s2, v55
	s_delay_alu instid0(VALU_DEP_2) | instskip(SKIP_2) | instid1(VALU_DEP_2)
	v_and_b32_e32 v126, v30, v41
	v_cndmask_b32_e64 v55, 0, 1, vcc_lo
	v_cmp_gt_u32_e32 vcc_lo, s2, v56
	v_and_b32_e32 v125, v55, v45
	v_cndmask_b32_e64 v56, 0, 1, vcc_lo
	v_cmp_gt_u32_e32 vcc_lo, s2, v57
	s_delay_alu instid0(VALU_DEP_2) | instskip(SKIP_2) | instid1(VALU_DEP_2)
	v_and_b32_e32 v124, v56, v42
	v_cndmask_b32_e64 v57, 0, 1, vcc_lo
	v_cmp_gt_u32_e32 vcc_lo, s2, v58
	v_and_b32_e32 v123, v57, v44
	;; [unrolled: 7-line block ×14, first 2 shown]
	v_cndmask_b32_e64 v23, 0, 1, vcc_lo
	v_cmp_gt_u32_e32 vcc_lo, s2, v46
	s_delay_alu instid0(VALU_DEP_2) | instskip(SKIP_1) | instid1(VALU_DEP_1)
	v_and_b32_e32 v94, v23, v4
	v_cndmask_b32_e64 v24, 0, 1, vcc_lo
	v_and_b32_e32 v92, v24, v5
.LBB430_68:
	s_delay_alu instid0(VALU_DEP_3) | instskip(NEXT) | instid1(VALU_DEP_2)
	v_dual_mov_b32 v2, 0 :: v_dual_and_b32 v79, 0xff, v94
	v_and_b32_e32 v1, 0xff, v92
	v_and_b32_e32 v80, 0xff, v95
	;; [unrolled: 1-line block ×5, first 2 shown]
	v_add_co_u32 v1, s2, v79, v1
	s_delay_alu instid0(VALU_DEP_1) | instskip(SKIP_1) | instid1(VALU_DEP_3)
	v_add_co_ci_u32_e64 v3, null, 0, 0, s2
	v_and_b32_e32 v130, 0xff, v100
	v_add_co_u32 v1, vcc_lo, v1, v80
	s_delay_alu instid0(VALU_DEP_3) | instskip(SKIP_1) | instid1(VALU_DEP_3)
	v_add_co_ci_u32_e32 v3, vcc_lo, 0, v3, vcc_lo
	v_and_b32_e32 v31, 0xff, v102
	v_add_co_u32 v1, vcc_lo, v1, v127
	s_delay_alu instid0(VALU_DEP_3) | instskip(SKIP_1) | instid1(VALU_DEP_3)
	v_add_co_ci_u32_e32 v3, vcc_lo, 0, v3, vcc_lo
	;; [unrolled: 4-line block ×23, first 2 shown]
	v_mbcnt_lo_u32_b32 v54, -1, 0
	v_add_co_u32 v1, vcc_lo, v1, v50
	s_delay_alu instid0(VALU_DEP_3) | instskip(SKIP_1) | instid1(VALU_DEP_3)
	v_add_co_ci_u32_e32 v3, vcc_lo, 0, v3, vcc_lo
	v_and_b32_e32 v42, 0xff, v126
	v_add_co_u32 v1, vcc_lo, v1, v51
	s_delay_alu instid0(VALU_DEP_3) | instskip(SKIP_1) | instid1(VALU_DEP_3)
	v_add_co_ci_u32_e32 v3, vcc_lo, 0, v3, vcc_lo
	v_and_b32_e32 v55, 15, v54
	v_add_co_u32 v1, vcc_lo, v1, v52
	s_delay_alu instid0(VALU_DEP_3) | instskip(NEXT) | instid1(VALU_DEP_3)
	v_add_co_ci_u32_e32 v3, vcc_lo, 0, v3, vcc_lo
	v_cmp_ne_u32_e64 s2, 0, v55
	s_delay_alu instid0(VALU_DEP_3) | instskip(NEXT) | instid1(VALU_DEP_3)
	v_add_co_u32 v1, vcc_lo, v1, v53
	v_add_co_ci_u32_e32 v3, vcc_lo, 0, v3, vcc_lo
	s_cmp_lg_u32 s15, 0
	s_delay_alu instid0(VALU_DEP_2) | instskip(NEXT) | instid1(VALU_DEP_2)
	v_add_co_u32 v23, vcc_lo, v1, v42
	v_add_co_ci_u32_e32 v24, vcc_lo, 0, v3, vcc_lo
	s_mov_b32 s3, -1
	s_cbranch_scc0 .LBB430_128
; %bb.69:
	s_delay_alu instid0(VALU_DEP_2)
	v_mov_b32_e32 v3, v23
	v_mov_b32_dpp v1, v23 row_shr:1 row_mask:0xf bank_mask:0xf
	v_mov_b32_dpp v6, v2 row_shr:1 row_mask:0xf bank_mask:0xf
	v_dual_mov_b32 v5, v23 :: v_dual_mov_b32 v4, v24
	s_and_saveexec_b32 s3, s2
; %bb.70:
	s_delay_alu instid0(VALU_DEP_3) | instskip(SKIP_1) | instid1(VALU_DEP_2)
	v_add_co_u32 v5, vcc_lo, v23, v1
	v_add_co_ci_u32_e32 v2, vcc_lo, 0, v24, vcc_lo
	v_add_co_u32 v1, vcc_lo, 0, v5
	s_delay_alu instid0(VALU_DEP_2) | instskip(NEXT) | instid1(VALU_DEP_1)
	v_add_co_ci_u32_e32 v2, vcc_lo, v6, v2, vcc_lo
	v_dual_mov_b32 v4, v2 :: v_dual_mov_b32 v3, v1
; %bb.71:
	s_or_b32 exec_lo, exec_lo, s3
	v_mov_b32_dpp v1, v5 row_shr:2 row_mask:0xf bank_mask:0xf
	v_mov_b32_dpp v6, v2 row_shr:2 row_mask:0xf bank_mask:0xf
	s_mov_b32 s3, exec_lo
	v_cmpx_lt_u32_e32 1, v55
; %bb.72:
	s_delay_alu instid0(VALU_DEP_3) | instskip(SKIP_1) | instid1(VALU_DEP_2)
	v_add_co_u32 v5, vcc_lo, v3, v1
	v_add_co_ci_u32_e32 v2, vcc_lo, 0, v4, vcc_lo
	v_add_co_u32 v1, vcc_lo, 0, v5
	s_delay_alu instid0(VALU_DEP_2) | instskip(NEXT) | instid1(VALU_DEP_1)
	v_add_co_ci_u32_e32 v2, vcc_lo, v6, v2, vcc_lo
	v_dual_mov_b32 v4, v2 :: v_dual_mov_b32 v3, v1
; %bb.73:
	s_or_b32 exec_lo, exec_lo, s3
	v_mov_b32_dpp v1, v5 row_shr:4 row_mask:0xf bank_mask:0xf
	v_mov_b32_dpp v6, v2 row_shr:4 row_mask:0xf bank_mask:0xf
	s_mov_b32 s3, exec_lo
	v_cmpx_lt_u32_e32 3, v55
	;; [unrolled: 14-line block ×3, first 2 shown]
; %bb.76:
	s_delay_alu instid0(VALU_DEP_3) | instskip(SKIP_1) | instid1(VALU_DEP_2)
	v_add_co_u32 v5, vcc_lo, v3, v6
	v_add_co_ci_u32_e32 v2, vcc_lo, 0, v4, vcc_lo
	v_add_co_u32 v3, vcc_lo, 0, v5
	s_delay_alu instid0(VALU_DEP_2) | instskip(NEXT) | instid1(VALU_DEP_1)
	v_add_co_ci_u32_e32 v4, vcc_lo, v1, v2, vcc_lo
	v_mov_b32_e32 v2, v4
; %bb.77:
	s_or_b32 exec_lo, exec_lo, s3
	ds_swizzle_b32 v1, v5 offset:swizzle(BROADCAST,32,15)
	ds_swizzle_b32 v6, v2 offset:swizzle(BROADCAST,32,15)
	v_and_b32_e32 v7, 16, v54
	s_mov_b32 s3, exec_lo
	s_delay_alu instid0(VALU_DEP_1)
	v_cmpx_ne_u32_e32 0, v7
	s_cbranch_execz .LBB430_79
; %bb.78:
	s_waitcnt lgkmcnt(0)
	v_add_co_u32 v5, vcc_lo, v3, v1
	v_add_co_ci_u32_e32 v2, vcc_lo, 0, v4, vcc_lo
	s_delay_alu instid0(VALU_DEP_2) | instskip(NEXT) | instid1(VALU_DEP_2)
	v_add_co_u32 v1, vcc_lo, 0, v5
	v_add_co_ci_u32_e32 v2, vcc_lo, v6, v2, vcc_lo
	s_delay_alu instid0(VALU_DEP_1)
	v_dual_mov_b32 v4, v2 :: v_dual_mov_b32 v3, v1
.LBB430_79:
	s_or_b32 exec_lo, exec_lo, s3
	s_waitcnt lgkmcnt(0)
	v_or_b32_e32 v6, 31, v0
	v_lshrrev_b32_e32 v1, 5, v0
	s_mov_b32 s3, exec_lo
	s_delay_alu instid0(VALU_DEP_2)
	v_cmpx_eq_u32_e64 v6, v0
	s_cbranch_execz .LBB430_81
; %bb.80:
	s_delay_alu instid0(VALU_DEP_2)
	v_lshlrev_b32_e32 v6, 3, v1
	ds_store_b64 v6, v[3:4]
.LBB430_81:
	s_or_b32 exec_lo, exec_lo, s3
	s_delay_alu instid0(SALU_CYCLE_1)
	s_mov_b32 s3, exec_lo
	s_waitcnt lgkmcnt(0)
	s_barrier
	buffer_gl0_inv
	v_cmpx_gt_u32_e32 4, v0
	s_cbranch_execz .LBB430_87
; %bb.82:
	v_lshlrev_b32_e32 v6, 3, v0
	s_mov_b32 s8, exec_lo
	ds_load_b64 v[3:4], v6
	s_waitcnt lgkmcnt(0)
	v_dual_mov_b32 v8, v3 :: v_dual_and_b32 v7, 3, v54
	v_mov_b32_dpp v26, v3 row_shr:1 row_mask:0xf bank_mask:0xf
	v_mov_b32_dpp v25, v4 row_shr:1 row_mask:0xf bank_mask:0xf
	s_delay_alu instid0(VALU_DEP_3)
	v_cmpx_ne_u32_e32 0, v7
; %bb.83:
	s_delay_alu instid0(VALU_DEP_3) | instskip(SKIP_1) | instid1(VALU_DEP_2)
	v_add_co_u32 v8, vcc_lo, v3, v26
	v_add_co_ci_u32_e32 v4, vcc_lo, 0, v4, vcc_lo
	v_add_co_u32 v3, vcc_lo, 0, v8
	s_delay_alu instid0(VALU_DEP_2)
	v_add_co_ci_u32_e32 v4, vcc_lo, v25, v4, vcc_lo
; %bb.84:
	s_or_b32 exec_lo, exec_lo, s8
	v_mov_b32_dpp v25, v8 row_shr:2 row_mask:0xf bank_mask:0xf
	s_delay_alu instid0(VALU_DEP_2)
	v_mov_b32_dpp v8, v4 row_shr:2 row_mask:0xf bank_mask:0xf
	s_mov_b32 s8, exec_lo
	v_cmpx_lt_u32_e32 1, v7
; %bb.85:
	s_delay_alu instid0(VALU_DEP_3) | instskip(SKIP_1) | instid1(VALU_DEP_2)
	v_add_co_u32 v3, vcc_lo, v3, v25
	v_add_co_ci_u32_e32 v4, vcc_lo, 0, v4, vcc_lo
	v_add_co_u32 v3, vcc_lo, v3, 0
	s_delay_alu instid0(VALU_DEP_2)
	v_add_co_ci_u32_e32 v4, vcc_lo, v4, v8, vcc_lo
; %bb.86:
	s_or_b32 exec_lo, exec_lo, s8
	ds_store_b64 v6, v[3:4]
.LBB430_87:
	s_or_b32 exec_lo, exec_lo, s3
	v_cmp_gt_u32_e32 vcc_lo, 32, v0
	s_mov_b32 s8, exec_lo
	s_waitcnt lgkmcnt(0)
	s_barrier
	buffer_gl0_inv
                                        ; implicit-def: $vgpr25_vgpr26
	v_cmpx_lt_u32_e32 31, v0
	s_cbranch_execz .LBB430_89
; %bb.88:
	v_lshl_add_u32 v1, v1, 3, -8
	ds_load_b64 v[25:26], v1
	s_waitcnt lgkmcnt(0)
	v_add_co_u32 v5, s3, v5, v25
	s_delay_alu instid0(VALU_DEP_1)
	v_add_co_ci_u32_e64 v2, s3, v2, v26, s3
.LBB430_89:
	s_or_b32 exec_lo, exec_lo, s8
	v_add_nc_u32_e32 v1, -1, v54
	s_delay_alu instid0(VALU_DEP_1) | instskip(NEXT) | instid1(VALU_DEP_1)
	v_cmp_gt_i32_e64 s3, 0, v1
	v_cndmask_b32_e64 v1, v1, v54, s3
	v_cmp_eq_u32_e64 s3, 0, v54
	s_delay_alu instid0(VALU_DEP_2)
	v_lshlrev_b32_e32 v1, 2, v1
	ds_bpermute_b32 v56, v1, v5
	ds_bpermute_b32 v57, v1, v2
	s_and_saveexec_b32 s8, vcc_lo
	s_cbranch_execz .LBB430_127
; %bb.90:
	v_mov_b32_e32 v4, 0
	ds_load_b64 v[1:2], v4 offset:24
	s_and_saveexec_b32 s9, s3
	s_cbranch_execz .LBB430_92
; %bb.91:
	s_add_i32 s12, s15, 32
	s_mov_b32 s13, 0
	s_delay_alu instid0(SALU_CYCLE_1) | instskip(NEXT) | instid1(SALU_CYCLE_1)
	s_lshl_b64 s[12:13], s[12:13], 4
	s_add_u32 s12, s10, s12
	s_addc_u32 s13, s11, s13
	v_mov_b32_e32 v5, s12
	v_dual_mov_b32 v3, 1 :: v_dual_mov_b32 v6, s13
	s_waitcnt lgkmcnt(0)
	;;#ASMSTART
	global_store_dwordx4 v[5:6], v[1:4] off	
s_waitcnt vmcnt(0)
	;;#ASMEND
.LBB430_92:
	s_or_b32 exec_lo, exec_lo, s9
	v_xad_u32 v27, v54, -1, s15
	s_mov_b32 s12, 0
	s_mov_b32 s9, exec_lo
	s_delay_alu instid0(VALU_DEP_1) | instskip(NEXT) | instid1(VALU_DEP_1)
	v_add_nc_u32_e32 v3, 32, v27
	v_lshlrev_b64 v[3:4], 4, v[3:4]
	s_delay_alu instid0(VALU_DEP_1) | instskip(NEXT) | instid1(VALU_DEP_2)
	v_add_co_u32 v3, vcc_lo, s10, v3
	v_add_co_ci_u32_e32 v4, vcc_lo, s11, v4, vcc_lo
	;;#ASMSTART
	global_load_dwordx4 v[5:8], v[3:4] off glc	
s_waitcnt vmcnt(0)
	;;#ASMEND
	v_and_b32_e32 v8, 0xff, v6
	v_and_b32_e32 v28, 0xff00, v6
	v_or3_b32 v5, v5, 0, 0
	v_and_b32_e32 v29, 0xff000000, v6
	v_and_b32_e32 v6, 0xff0000, v6
	s_delay_alu instid0(VALU_DEP_4) | instskip(SKIP_2) | instid1(VALU_DEP_3)
	v_or3_b32 v8, 0, v8, v28
	v_and_b32_e32 v28, 0xff, v7
	v_or3_b32 v5, v5, 0, 0
	v_or3_b32 v6, v8, v6, v29
	s_delay_alu instid0(VALU_DEP_3)
	v_cmpx_eq_u16_e32 0, v28
	s_cbranch_execz .LBB430_95
.LBB430_93:                             ; =>This Inner Loop Header: Depth=1
	;;#ASMSTART
	global_load_dwordx4 v[5:8], v[3:4] off glc	
s_waitcnt vmcnt(0)
	;;#ASMEND
	v_and_b32_e32 v8, 0xff, v7
	s_delay_alu instid0(VALU_DEP_1) | instskip(SKIP_1) | instid1(SALU_CYCLE_1)
	v_cmp_ne_u16_e32 vcc_lo, 0, v8
	s_or_b32 s12, vcc_lo, s12
	s_and_not1_b32 exec_lo, exec_lo, s12
	s_cbranch_execnz .LBB430_93
; %bb.94:
	s_or_b32 exec_lo, exec_lo, s12
.LBB430_95:
	s_delay_alu instid0(SALU_CYCLE_1)
	s_or_b32 exec_lo, exec_lo, s9
	v_cmp_ne_u32_e32 vcc_lo, 31, v54
	v_and_b32_e32 v4, 0xff, v7
	v_lshlrev_b32_e64 v59, v54, -1
	s_mov_b32 s9, exec_lo
	v_add_co_ci_u32_e32 v3, vcc_lo, 0, v54, vcc_lo
	s_delay_alu instid0(VALU_DEP_3) | instskip(SKIP_1) | instid1(VALU_DEP_3)
	v_cmp_eq_u16_e32 vcc_lo, 2, v4
	v_mov_b32_e32 v4, v5
	v_lshlrev_b32_e32 v58, 2, v3
	v_and_or_b32 v3, vcc_lo, v59, 0x80000000
	ds_bpermute_b32 v28, v58, v5
	ds_bpermute_b32 v8, v58, v6
	v_ctz_i32_b32_e32 v3, v3
	s_delay_alu instid0(VALU_DEP_1)
	v_cmpx_lt_u32_e64 v54, v3
	s_cbranch_execz .LBB430_97
; %bb.96:
	s_waitcnt lgkmcnt(1)
	v_add_co_u32 v4, vcc_lo, v5, v28
	v_add_co_ci_u32_e32 v6, vcc_lo, 0, v6, vcc_lo
	s_delay_alu instid0(VALU_DEP_2) | instskip(SKIP_1) | instid1(VALU_DEP_2)
	v_add_co_u32 v5, vcc_lo, 0, v4
	s_waitcnt lgkmcnt(0)
	v_add_co_ci_u32_e32 v6, vcc_lo, v8, v6, vcc_lo
.LBB430_97:
	s_or_b32 exec_lo, exec_lo, s9
	v_cmp_gt_u32_e32 vcc_lo, 30, v54
	v_add_nc_u32_e32 v61, 2, v54
	s_mov_b32 s9, exec_lo
	s_waitcnt lgkmcnt(0)
	v_cndmask_b32_e64 v8, 0, 1, vcc_lo
	s_delay_alu instid0(VALU_DEP_1) | instskip(NEXT) | instid1(VALU_DEP_1)
	v_lshlrev_b32_e32 v8, 1, v8
	v_add_lshl_u32 v60, v8, v54, 2
	ds_bpermute_b32 v28, v60, v4
	ds_bpermute_b32 v8, v60, v6
	v_cmpx_le_u32_e64 v61, v3
	s_cbranch_execz .LBB430_99
; %bb.98:
	s_waitcnt lgkmcnt(1)
	v_add_co_u32 v4, vcc_lo, v5, v28
	v_add_co_ci_u32_e32 v6, vcc_lo, 0, v6, vcc_lo
	s_delay_alu instid0(VALU_DEP_2) | instskip(SKIP_1) | instid1(VALU_DEP_2)
	v_add_co_u32 v5, vcc_lo, 0, v4
	s_waitcnt lgkmcnt(0)
	v_add_co_ci_u32_e32 v6, vcc_lo, v8, v6, vcc_lo
.LBB430_99:
	s_or_b32 exec_lo, exec_lo, s9
	v_cmp_gt_u32_e32 vcc_lo, 28, v54
	v_add_nc_u32_e32 v63, 4, v54
	s_mov_b32 s9, exec_lo
	s_waitcnt lgkmcnt(0)
	v_cndmask_b32_e64 v8, 0, 1, vcc_lo
	s_delay_alu instid0(VALU_DEP_1) | instskip(NEXT) | instid1(VALU_DEP_1)
	v_lshlrev_b32_e32 v8, 2, v8
	v_add_lshl_u32 v62, v8, v54, 2
	ds_bpermute_b32 v28, v62, v4
	ds_bpermute_b32 v8, v62, v6
	v_cmpx_le_u32_e64 v63, v3
	;; [unrolled: 22-line block ×4, first 2 shown]
	s_cbranch_execz .LBB430_105
; %bb.104:
	s_waitcnt lgkmcnt(1)
	v_add_co_u32 v3, vcc_lo, v5, v8
	v_add_co_ci_u32_e32 v6, vcc_lo, 0, v6, vcc_lo
	s_delay_alu instid0(VALU_DEP_2) | instskip(SKIP_1) | instid1(VALU_DEP_2)
	v_add_co_u32 v5, vcc_lo, v3, 0
	s_waitcnt lgkmcnt(0)
	v_add_co_ci_u32_e32 v6, vcc_lo, v6, v4, vcc_lo
.LBB430_105:
	s_or_b32 exec_lo, exec_lo, s9
	v_mov_b32_e32 v28, 0
	s_branch .LBB430_107
.LBB430_106:                            ;   in Loop: Header=BB430_107 Depth=1
	s_or_b32 exec_lo, exec_lo, s9
	v_add_co_u32 v5, vcc_lo, v5, v3
	v_subrev_nc_u32_e32 v27, 32, v27
	v_add_co_ci_u32_e32 v6, vcc_lo, v6, v4, vcc_lo
.LBB430_107:                            ; =>This Loop Header: Depth=1
                                        ;     Child Loop BB430_110 Depth 2
	v_and_b32_e32 v3, 0xff, v7
	s_delay_alu instid0(VALU_DEP_1) | instskip(SKIP_2) | instid1(VALU_DEP_1)
	v_cmp_ne_u16_e32 vcc_lo, 2, v3
	v_cndmask_b32_e64 v3, 0, 1, vcc_lo
	;;#ASMSTART
	;;#ASMEND
	v_cmp_ne_u32_e32 vcc_lo, 0, v3
	s_waitcnt lgkmcnt(0)
	v_dual_mov_b32 v3, v5 :: v_dual_mov_b32 v4, v6
	s_cmp_lg_u32 vcc_lo, exec_lo
	s_cbranch_scc1 .LBB430_122
; %bb.108:                              ;   in Loop: Header=BB430_107 Depth=1
	v_lshlrev_b64 v[5:6], 4, v[27:28]
	s_mov_b32 s9, exec_lo
	s_delay_alu instid0(VALU_DEP_1) | instskip(NEXT) | instid1(VALU_DEP_2)
	v_add_co_u32 v29, vcc_lo, s10, v5
	v_add_co_ci_u32_e32 v30, vcc_lo, s11, v6, vcc_lo
	;;#ASMSTART
	global_load_dwordx4 v[5:8], v[29:30] off glc	
s_waitcnt vmcnt(0)
	;;#ASMEND
	v_and_b32_e32 v8, 0xff, v6
	v_and_b32_e32 v68, 0xff00, v6
	v_or3_b32 v5, v5, 0, 0
	v_and_b32_e32 v69, 0xff000000, v6
	v_and_b32_e32 v6, 0xff0000, v6
	s_delay_alu instid0(VALU_DEP_4) | instskip(SKIP_2) | instid1(VALU_DEP_3)
	v_or3_b32 v8, 0, v8, v68
	v_and_b32_e32 v68, 0xff, v7
	v_or3_b32 v5, v5, 0, 0
	v_or3_b32 v6, v8, v6, v69
	s_delay_alu instid0(VALU_DEP_3)
	v_cmpx_eq_u16_e32 0, v68
	s_cbranch_execz .LBB430_112
; %bb.109:                              ;   in Loop: Header=BB430_107 Depth=1
	s_mov_b32 s12, 0
.LBB430_110:                            ;   Parent Loop BB430_107 Depth=1
                                        ; =>  This Inner Loop Header: Depth=2
	;;#ASMSTART
	global_load_dwordx4 v[5:8], v[29:30] off glc	
s_waitcnt vmcnt(0)
	;;#ASMEND
	v_and_b32_e32 v8, 0xff, v7
	s_delay_alu instid0(VALU_DEP_1) | instskip(SKIP_1) | instid1(SALU_CYCLE_1)
	v_cmp_ne_u16_e32 vcc_lo, 0, v8
	s_or_b32 s12, vcc_lo, s12
	s_and_not1_b32 exec_lo, exec_lo, s12
	s_cbranch_execnz .LBB430_110
; %bb.111:                              ;   in Loop: Header=BB430_107 Depth=1
	s_or_b32 exec_lo, exec_lo, s12
.LBB430_112:                            ;   in Loop: Header=BB430_107 Depth=1
	s_delay_alu instid0(SALU_CYCLE_1)
	s_or_b32 exec_lo, exec_lo, s9
	v_dual_mov_b32 v29, v5 :: v_dual_and_b32 v8, 0xff, v7
	ds_bpermute_b32 v68, v58, v5
	ds_bpermute_b32 v30, v58, v6
	s_mov_b32 s9, exec_lo
	v_cmp_eq_u16_e32 vcc_lo, 2, v8
	v_and_or_b32 v8, vcc_lo, v59, 0x80000000
	s_delay_alu instid0(VALU_DEP_1) | instskip(NEXT) | instid1(VALU_DEP_1)
	v_ctz_i32_b32_e32 v8, v8
	v_cmpx_lt_u32_e64 v54, v8
	s_cbranch_execz .LBB430_114
; %bb.113:                              ;   in Loop: Header=BB430_107 Depth=1
	s_waitcnt lgkmcnt(1)
	v_add_co_u32 v29, vcc_lo, v5, v68
	v_add_co_ci_u32_e32 v6, vcc_lo, 0, v6, vcc_lo
	s_delay_alu instid0(VALU_DEP_2) | instskip(SKIP_1) | instid1(VALU_DEP_2)
	v_add_co_u32 v5, vcc_lo, 0, v29
	s_waitcnt lgkmcnt(0)
	v_add_co_ci_u32_e32 v6, vcc_lo, v30, v6, vcc_lo
.LBB430_114:                            ;   in Loop: Header=BB430_107 Depth=1
	s_or_b32 exec_lo, exec_lo, s9
	s_waitcnt lgkmcnt(1)
	ds_bpermute_b32 v68, v60, v29
	s_waitcnt lgkmcnt(1)
	ds_bpermute_b32 v30, v60, v6
	s_mov_b32 s9, exec_lo
	v_cmpx_le_u32_e64 v61, v8
	s_cbranch_execz .LBB430_116
; %bb.115:                              ;   in Loop: Header=BB430_107 Depth=1
	s_waitcnt lgkmcnt(1)
	v_add_co_u32 v29, vcc_lo, v5, v68
	v_add_co_ci_u32_e32 v6, vcc_lo, 0, v6, vcc_lo
	s_delay_alu instid0(VALU_DEP_2) | instskip(SKIP_1) | instid1(VALU_DEP_2)
	v_add_co_u32 v5, vcc_lo, 0, v29
	s_waitcnt lgkmcnt(0)
	v_add_co_ci_u32_e32 v6, vcc_lo, v30, v6, vcc_lo
.LBB430_116:                            ;   in Loop: Header=BB430_107 Depth=1
	s_or_b32 exec_lo, exec_lo, s9
	s_waitcnt lgkmcnt(1)
	ds_bpermute_b32 v68, v62, v29
	s_waitcnt lgkmcnt(1)
	ds_bpermute_b32 v30, v62, v6
	s_mov_b32 s9, exec_lo
	v_cmpx_le_u32_e64 v63, v8
	;; [unrolled: 17-line block ×3, first 2 shown]
	s_cbranch_execz .LBB430_120
; %bb.119:                              ;   in Loop: Header=BB430_107 Depth=1
	s_waitcnt lgkmcnt(1)
	v_add_co_u32 v29, vcc_lo, v5, v68
	v_add_co_ci_u32_e32 v6, vcc_lo, 0, v6, vcc_lo
	s_delay_alu instid0(VALU_DEP_2) | instskip(SKIP_1) | instid1(VALU_DEP_2)
	v_add_co_u32 v5, vcc_lo, 0, v29
	s_waitcnt lgkmcnt(0)
	v_add_co_ci_u32_e32 v6, vcc_lo, v30, v6, vcc_lo
.LBB430_120:                            ;   in Loop: Header=BB430_107 Depth=1
	s_or_b32 exec_lo, exec_lo, s9
	s_waitcnt lgkmcnt(0)
	ds_bpermute_b32 v30, v66, v29
	ds_bpermute_b32 v29, v66, v6
	s_mov_b32 s9, exec_lo
	v_cmpx_le_u32_e64 v67, v8
	s_cbranch_execz .LBB430_106
; %bb.121:                              ;   in Loop: Header=BB430_107 Depth=1
	s_waitcnt lgkmcnt(1)
	v_add_co_u32 v5, vcc_lo, v5, v30
	v_add_co_ci_u32_e32 v6, vcc_lo, 0, v6, vcc_lo
	s_delay_alu instid0(VALU_DEP_2) | instskip(SKIP_1) | instid1(VALU_DEP_2)
	v_add_co_u32 v5, vcc_lo, v5, 0
	s_waitcnt lgkmcnt(0)
	v_add_co_ci_u32_e32 v6, vcc_lo, v6, v29, vcc_lo
	s_branch .LBB430_106
.LBB430_122:                            ;   in Loop: Header=BB430_107 Depth=1
                                        ; implicit-def: $vgpr5_vgpr6
	s_cbranch_execz .LBB430_107
; %bb.123:
	s_and_saveexec_b32 s9, s3
	s_cbranch_execz .LBB430_125
; %bb.124:
	s_add_i32 s12, s15, 32
	s_mov_b32 s13, 0
	v_add_co_u32 v5, vcc_lo, v3, v1
	s_lshl_b64 s[12:13], s[12:13], 4
	v_dual_mov_b32 v7, 2 :: v_dual_mov_b32 v8, 0
	s_add_u32 s12, s10, s12
	s_addc_u32 s13, s11, s13
	v_add_co_ci_u32_e32 v6, vcc_lo, v4, v2, vcc_lo
	v_dual_mov_b32 v28, s13 :: v_dual_mov_b32 v27, s12
	;;#ASMSTART
	global_store_dwordx4 v[27:28], v[5:8] off	
s_waitcnt vmcnt(0)
	;;#ASMEND
	ds_store_b128 v8, v[1:4] offset:7680
.LBB430_125:
	s_or_b32 exec_lo, exec_lo, s9
	v_cmp_eq_u32_e32 vcc_lo, 0, v0
	s_and_b32 exec_lo, exec_lo, vcc_lo
	s_cbranch_execz .LBB430_127
; %bb.126:
	v_mov_b32_e32 v1, 0
	ds_store_b64 v1, v[3:4] offset:24
.LBB430_127:
	s_or_b32 exec_lo, exec_lo, s8
	s_waitcnt lgkmcnt(0)
	v_cndmask_b32_e64 v8, v57, v26, s3
	v_cmp_ne_u32_e32 vcc_lo, 0, v0
	v_mov_b32_e32 v3, 0
	s_barrier
	buffer_gl0_inv
	v_cndmask_b32_e32 v8, 0, v8, vcc_lo
	ds_load_b64 v[1:2], v3 offset:24
	s_waitcnt lgkmcnt(0)
	s_barrier
	buffer_gl0_inv
	ds_load_b128 v[4:7], v3 offset:7680
	v_cndmask_b32_e64 v3, v56, v25, s3
	s_delay_alu instid0(VALU_DEP_1) | instskip(NEXT) | instid1(VALU_DEP_1)
	v_cndmask_b32_e32 v3, 0, v3, vcc_lo
	v_add_co_u32 v67, vcc_lo, v1, v3
	v_add_co_ci_u32_e32 v68, vcc_lo, v2, v8, vcc_lo
	s_waitcnt lgkmcnt(0)
	v_readfirstlane_b32 s13, v7
	v_readfirstlane_b32 s12, v6
	s_load_b64 s[8:9], s[0:1], 0x28
	s_branch .LBB430_152
.LBB430_128:
                                        ; implicit-def: $sgpr12_sgpr13
                                        ; implicit-def: $vgpr4_vgpr5
                                        ; implicit-def: $vgpr67_vgpr68
	s_load_b64 s[8:9], s[0:1], 0x28
	s_and_b32 vcc_lo, exec_lo, s3
	s_cbranch_vccz .LBB430_152
; %bb.129:
	v_dual_mov_b32 v2, 0 :: v_dual_mov_b32 v3, v23
	v_mov_b32_dpp v4, v23 row_shr:1 row_mask:0xf bank_mask:0xf
	s_delay_alu instid0(VALU_DEP_2)
	v_mov_b32_dpp v1, v2 row_shr:1 row_mask:0xf bank_mask:0xf
	s_and_saveexec_b32 s0, s2
; %bb.130:
	s_delay_alu instid0(VALU_DEP_2) | instskip(SKIP_1) | instid1(VALU_DEP_2)
	v_add_co_u32 v3, vcc_lo, v23, v4
	v_add_co_ci_u32_e32 v2, vcc_lo, 0, v24, vcc_lo
	v_add_co_u32 v23, vcc_lo, 0, v3
	s_delay_alu instid0(VALU_DEP_2) | instskip(NEXT) | instid1(VALU_DEP_1)
	v_add_co_ci_u32_e32 v24, vcc_lo, v1, v2, vcc_lo
	v_mov_b32_e32 v2, v24
; %bb.131:
	s_or_b32 exec_lo, exec_lo, s0
	v_mov_b32_dpp v1, v3 row_shr:2 row_mask:0xf bank_mask:0xf
	s_delay_alu instid0(VALU_DEP_2)
	v_mov_b32_dpp v4, v2 row_shr:2 row_mask:0xf bank_mask:0xf
	s_mov_b32 s0, exec_lo
	v_cmpx_lt_u32_e32 1, v55
; %bb.132:
	s_delay_alu instid0(VALU_DEP_3) | instskip(SKIP_1) | instid1(VALU_DEP_2)
	v_add_co_u32 v3, vcc_lo, v23, v1
	v_add_co_ci_u32_e32 v2, vcc_lo, 0, v24, vcc_lo
	v_add_co_u32 v1, vcc_lo, 0, v3
	s_delay_alu instid0(VALU_DEP_2) | instskip(NEXT) | instid1(VALU_DEP_1)
	v_add_co_ci_u32_e32 v2, vcc_lo, v4, v2, vcc_lo
	v_dual_mov_b32 v24, v2 :: v_dual_mov_b32 v23, v1
; %bb.133:
	s_or_b32 exec_lo, exec_lo, s0
	v_mov_b32_dpp v1, v3 row_shr:4 row_mask:0xf bank_mask:0xf
	v_mov_b32_dpp v4, v2 row_shr:4 row_mask:0xf bank_mask:0xf
	s_mov_b32 s0, exec_lo
	v_cmpx_lt_u32_e32 3, v55
; %bb.134:
	s_delay_alu instid0(VALU_DEP_3) | instskip(SKIP_1) | instid1(VALU_DEP_2)
	v_add_co_u32 v3, vcc_lo, v23, v1
	v_add_co_ci_u32_e32 v2, vcc_lo, 0, v24, vcc_lo
	v_add_co_u32 v1, vcc_lo, 0, v3
	s_delay_alu instid0(VALU_DEP_2) | instskip(NEXT) | instid1(VALU_DEP_1)
	v_add_co_ci_u32_e32 v2, vcc_lo, v4, v2, vcc_lo
	v_dual_mov_b32 v24, v2 :: v_dual_mov_b32 v23, v1
; %bb.135:
	s_or_b32 exec_lo, exec_lo, s0
	v_mov_b32_dpp v4, v3 row_shr:8 row_mask:0xf bank_mask:0xf
	v_mov_b32_dpp v1, v2 row_shr:8 row_mask:0xf bank_mask:0xf
	s_mov_b32 s0, exec_lo
	v_cmpx_lt_u32_e32 7, v55
; %bb.136:
	s_delay_alu instid0(VALU_DEP_3) | instskip(SKIP_1) | instid1(VALU_DEP_2)
	v_add_co_u32 v3, vcc_lo, v23, v4
	v_add_co_ci_u32_e32 v2, vcc_lo, 0, v24, vcc_lo
	v_add_co_u32 v23, vcc_lo, 0, v3
	s_delay_alu instid0(VALU_DEP_2) | instskip(NEXT) | instid1(VALU_DEP_1)
	v_add_co_ci_u32_e32 v24, vcc_lo, v1, v2, vcc_lo
	v_mov_b32_e32 v2, v24
; %bb.137:
	s_or_b32 exec_lo, exec_lo, s0
	ds_swizzle_b32 v3, v3 offset:swizzle(BROADCAST,32,15)
	ds_swizzle_b32 v1, v2 offset:swizzle(BROADCAST,32,15)
	v_and_b32_e32 v2, 16, v54
	s_mov_b32 s0, exec_lo
	s_delay_alu instid0(VALU_DEP_1)
	v_cmpx_ne_u32_e32 0, v2
	s_cbranch_execz .LBB430_139
; %bb.138:
	s_waitcnt lgkmcnt(0)
	v_add_co_u32 v2, vcc_lo, v23, v3
	v_add_co_ci_u32_e32 v3, vcc_lo, 0, v24, vcc_lo
	s_delay_alu instid0(VALU_DEP_2) | instskip(NEXT) | instid1(VALU_DEP_2)
	v_add_co_u32 v23, vcc_lo, v2, 0
	v_add_co_ci_u32_e32 v24, vcc_lo, v3, v1, vcc_lo
.LBB430_139:
	s_or_b32 exec_lo, exec_lo, s0
	s_waitcnt lgkmcnt(0)
	v_or_b32_e32 v1, 31, v0
	v_lshrrev_b32_e32 v3, 5, v0
	s_mov_b32 s0, exec_lo
	s_delay_alu instid0(VALU_DEP_2)
	v_cmpx_eq_u32_e64 v1, v0
	s_cbranch_execz .LBB430_141
; %bb.140:
	s_delay_alu instid0(VALU_DEP_2)
	v_lshlrev_b32_e32 v1, 3, v3
	ds_store_b64 v1, v[23:24]
.LBB430_141:
	s_or_b32 exec_lo, exec_lo, s0
	s_delay_alu instid0(SALU_CYCLE_1)
	s_mov_b32 s0, exec_lo
	s_waitcnt lgkmcnt(0)
	s_barrier
	buffer_gl0_inv
	v_cmpx_gt_u32_e32 4, v0
	s_cbranch_execz .LBB430_147
; %bb.142:
	v_lshlrev_b32_e32 v4, 3, v0
	s_mov_b32 s1, exec_lo
	ds_load_b64 v[1:2], v4
	s_waitcnt lgkmcnt(0)
	v_dual_mov_b32 v6, v1 :: v_dual_and_b32 v5, 3, v54
	v_mov_b32_dpp v8, v1 row_shr:1 row_mask:0xf bank_mask:0xf
	v_mov_b32_dpp v7, v2 row_shr:1 row_mask:0xf bank_mask:0xf
	s_delay_alu instid0(VALU_DEP_3)
	v_cmpx_ne_u32_e32 0, v5
; %bb.143:
	s_delay_alu instid0(VALU_DEP_3) | instskip(SKIP_1) | instid1(VALU_DEP_2)
	v_add_co_u32 v6, vcc_lo, v1, v8
	v_add_co_ci_u32_e32 v2, vcc_lo, 0, v2, vcc_lo
	v_add_co_u32 v1, vcc_lo, 0, v6
	s_delay_alu instid0(VALU_DEP_2)
	v_add_co_ci_u32_e32 v2, vcc_lo, v7, v2, vcc_lo
; %bb.144:
	s_or_b32 exec_lo, exec_lo, s1
	v_mov_b32_dpp v7, v6 row_shr:2 row_mask:0xf bank_mask:0xf
	s_delay_alu instid0(VALU_DEP_2)
	v_mov_b32_dpp v6, v2 row_shr:2 row_mask:0xf bank_mask:0xf
	s_mov_b32 s1, exec_lo
	v_cmpx_lt_u32_e32 1, v5
; %bb.145:
	s_delay_alu instid0(VALU_DEP_3) | instskip(SKIP_1) | instid1(VALU_DEP_2)
	v_add_co_u32 v1, vcc_lo, v1, v7
	v_add_co_ci_u32_e32 v2, vcc_lo, 0, v2, vcc_lo
	v_add_co_u32 v1, vcc_lo, v1, 0
	s_delay_alu instid0(VALU_DEP_2)
	v_add_co_ci_u32_e32 v2, vcc_lo, v2, v6, vcc_lo
; %bb.146:
	s_or_b32 exec_lo, exec_lo, s1
	ds_store_b64 v4, v[1:2]
.LBB430_147:
	s_or_b32 exec_lo, exec_lo, s0
	v_mov_b32_e32 v1, 0
	v_mov_b32_e32 v2, 0
	s_mov_b32 s0, exec_lo
	s_waitcnt lgkmcnt(0)
	s_barrier
	buffer_gl0_inv
	v_cmpx_lt_u32_e32 31, v0
	s_cbranch_execz .LBB430_149
; %bb.148:
	v_lshl_add_u32 v1, v3, 3, -8
	ds_load_b64 v[1:2], v1
.LBB430_149:
	s_or_b32 exec_lo, exec_lo, s0
	v_add_nc_u32_e32 v3, -1, v54
	v_mov_b32_e32 v7, 0
	s_delay_alu instid0(VALU_DEP_2) | instskip(SKIP_1) | instid1(VALU_DEP_1)
	v_cmp_gt_i32_e32 vcc_lo, 0, v3
	v_cndmask_b32_e32 v3, v3, v54, vcc_lo
	v_lshlrev_b32_e32 v4, 2, v3
	s_waitcnt lgkmcnt(0)
	v_add_co_u32 v3, vcc_lo, v1, v23
	v_add_co_ci_u32_e32 v5, vcc_lo, v2, v24, vcc_lo
	v_cmp_eq_u32_e32 vcc_lo, 0, v0
	ds_bpermute_b32 v3, v4, v3
	ds_bpermute_b32 v8, v4, v5
	ds_load_b64 v[4:5], v7 offset:24
	s_and_saveexec_b32 s0, vcc_lo
	s_cbranch_execz .LBB430_151
; %bb.150:
	s_add_u32 s2, s10, 0x200
	s_addc_u32 s3, s11, 0
	v_mov_b32_e32 v6, 2
	v_dual_mov_b32 v24, s3 :: v_dual_mov_b32 v23, s2
	s_waitcnt lgkmcnt(0)
	;;#ASMSTART
	global_store_dwordx4 v[23:24], v[4:7] off	
s_waitcnt vmcnt(0)
	;;#ASMEND
.LBB430_151:
	s_or_b32 exec_lo, exec_lo, s0
	v_cmp_eq_u32_e64 s0, 0, v54
	s_waitcnt lgkmcnt(0)
	s_barrier
	s_mov_b64 s[12:13], 0
	buffer_gl0_inv
	v_cndmask_b32_e64 v1, v3, v1, s0
	v_cndmask_b32_e64 v2, v8, v2, s0
	s_delay_alu instid0(VALU_DEP_2) | instskip(NEXT) | instid1(VALU_DEP_2)
	v_cndmask_b32_e64 v67, v1, 0, vcc_lo
	v_cndmask_b32_e64 v68, v2, 0, vcc_lo
.LBB430_152:
	s_delay_alu instid0(VALU_DEP_2) | instskip(NEXT) | instid1(VALU_DEP_2)
	v_add_co_u32 v77, vcc_lo, v67, v42
	v_add_co_ci_u32_e32 v78, vcc_lo, 0, v68, vcc_lo
	s_delay_alu instid0(VALU_DEP_2) | instskip(NEXT) | instid1(VALU_DEP_2)
	v_add_co_u32 v75, vcc_lo, v77, v53
	v_add_co_ci_u32_e32 v76, vcc_lo, 0, v78, vcc_lo
	s_delay_alu instid0(VALU_DEP_2) | instskip(NEXT) | instid1(VALU_DEP_2)
	v_add_co_u32 v73, vcc_lo, v75, v52
	v_add_co_ci_u32_e32 v74, vcc_lo, 0, v76, vcc_lo
	s_delay_alu instid0(VALU_DEP_2) | instskip(NEXT) | instid1(VALU_DEP_2)
	v_add_co_u32 v71, vcc_lo, v73, v51
	v_add_co_ci_u32_e32 v72, vcc_lo, 0, v74, vcc_lo
	s_delay_alu instid0(VALU_DEP_2) | instskip(NEXT) | instid1(VALU_DEP_2)
	v_add_co_u32 v69, vcc_lo, v71, v50
	v_add_co_ci_u32_e32 v70, vcc_lo, 0, v72, vcc_lo
	s_delay_alu instid0(VALU_DEP_2) | instskip(NEXT) | instid1(VALU_DEP_2)
	v_add_co_u32 v65, vcc_lo, v69, v49
	v_add_co_ci_u32_e32 v66, vcc_lo, 0, v70, vcc_lo
	s_delay_alu instid0(VALU_DEP_2) | instskip(NEXT) | instid1(VALU_DEP_2)
	v_add_co_u32 v63, vcc_lo, v65, v48
	v_add_co_ci_u32_e32 v64, vcc_lo, 0, v66, vcc_lo
	s_delay_alu instid0(VALU_DEP_2) | instskip(NEXT) | instid1(VALU_DEP_2)
	v_add_co_u32 v61, vcc_lo, v63, v47
	v_add_co_ci_u32_e32 v62, vcc_lo, 0, v64, vcc_lo
	s_delay_alu instid0(VALU_DEP_2) | instskip(NEXT) | instid1(VALU_DEP_2)
	v_add_co_u32 v59, vcc_lo, v61, v46
	v_add_co_ci_u32_e32 v60, vcc_lo, 0, v62, vcc_lo
	s_delay_alu instid0(VALU_DEP_2) | instskip(NEXT) | instid1(VALU_DEP_2)
	v_add_co_u32 v57, vcc_lo, v59, v45
	v_add_co_ci_u32_e32 v58, vcc_lo, 0, v60, vcc_lo
	s_delay_alu instid0(VALU_DEP_2) | instskip(NEXT) | instid1(VALU_DEP_2)
	v_add_co_u32 v55, vcc_lo, v57, v44
	v_add_co_ci_u32_e32 v56, vcc_lo, 0, v58, vcc_lo
	s_delay_alu instid0(VALU_DEP_2) | instskip(NEXT) | instid1(VALU_DEP_2)
	v_add_co_u32 v53, vcc_lo, v55, v43
	v_add_co_ci_u32_e32 v54, vcc_lo, 0, v56, vcc_lo
	s_delay_alu instid0(VALU_DEP_2) | instskip(NEXT) | instid1(VALU_DEP_2)
	v_add_co_u32 v51, vcc_lo, v53, v41
	v_add_co_ci_u32_e32 v52, vcc_lo, 0, v54, vcc_lo
	s_delay_alu instid0(VALU_DEP_2) | instskip(NEXT) | instid1(VALU_DEP_2)
	v_add_co_u32 v49, vcc_lo, v51, v40
	v_add_co_ci_u32_e32 v50, vcc_lo, 0, v52, vcc_lo
	s_delay_alu instid0(VALU_DEP_2) | instskip(NEXT) | instid1(VALU_DEP_2)
	v_add_co_u32 v47, vcc_lo, v49, v39
	v_add_co_ci_u32_e32 v48, vcc_lo, 0, v50, vcc_lo
	s_delay_alu instid0(VALU_DEP_2) | instskip(NEXT) | instid1(VALU_DEP_2)
	v_add_co_u32 v45, vcc_lo, v47, v38
	v_add_co_ci_u32_e32 v46, vcc_lo, 0, v48, vcc_lo
	s_delay_alu instid0(VALU_DEP_2) | instskip(NEXT) | instid1(VALU_DEP_2)
	v_add_co_u32 v43, vcc_lo, v45, v37
	v_add_co_ci_u32_e32 v44, vcc_lo, 0, v46, vcc_lo
	s_delay_alu instid0(VALU_DEP_2) | instskip(NEXT) | instid1(VALU_DEP_2)
	v_add_co_u32 v41, vcc_lo, v43, v36
	v_add_co_ci_u32_e32 v42, vcc_lo, 0, v44, vcc_lo
	s_delay_alu instid0(VALU_DEP_2) | instskip(NEXT) | instid1(VALU_DEP_2)
	v_add_co_u32 v39, vcc_lo, v41, v35
	v_add_co_ci_u32_e32 v40, vcc_lo, 0, v42, vcc_lo
	s_delay_alu instid0(VALU_DEP_2) | instskip(NEXT) | instid1(VALU_DEP_2)
	v_add_co_u32 v37, vcc_lo, v39, v34
	v_add_co_ci_u32_e32 v38, vcc_lo, 0, v40, vcc_lo
	s_delay_alu instid0(VALU_DEP_2) | instskip(NEXT) | instid1(VALU_DEP_2)
	v_add_co_u32 v35, vcc_lo, v37, v33
	v_add_co_ci_u32_e32 v36, vcc_lo, 0, v38, vcc_lo
	s_delay_alu instid0(VALU_DEP_2) | instskip(NEXT) | instid1(VALU_DEP_2)
	v_add_co_u32 v33, vcc_lo, v35, v32
	v_add_co_ci_u32_e32 v34, vcc_lo, 0, v36, vcc_lo
	s_delay_alu instid0(VALU_DEP_2) | instskip(NEXT) | instid1(VALU_DEP_2)
	v_add_co_u32 v31, vcc_lo, v33, v31
	v_add_co_ci_u32_e32 v32, vcc_lo, 0, v34, vcc_lo
	s_delay_alu instid0(VALU_DEP_2) | instskip(NEXT) | instid1(VALU_DEP_2)
	v_add_co_u32 v29, vcc_lo, v31, v130
	v_add_co_ci_u32_e32 v30, vcc_lo, 0, v32, vcc_lo
	s_delay_alu instid0(VALU_DEP_2) | instskip(NEXT) | instid1(VALU_DEP_2)
	v_add_co_u32 v27, vcc_lo, v29, v129
	v_add_co_ci_u32_e32 v28, vcc_lo, 0, v30, vcc_lo
	s_delay_alu instid0(VALU_DEP_2) | instskip(NEXT) | instid1(VALU_DEP_2)
	v_add_co_u32 v25, vcc_lo, v27, v128
	v_add_co_ci_u32_e32 v26, vcc_lo, 0, v28, vcc_lo
	s_delay_alu instid0(VALU_DEP_2) | instskip(NEXT) | instid1(VALU_DEP_2)
	v_add_co_u32 v6, vcc_lo, v25, v127
	v_add_co_ci_u32_e32 v7, vcc_lo, 0, v26, vcc_lo
	v_cmp_gt_u64_e32 vcc_lo, 0x81, v[4:5]
	s_delay_alu instid0(VALU_DEP_3) | instskip(NEXT) | instid1(VALU_DEP_1)
	v_add_co_u32 v23, s0, v6, v80
	v_add_co_ci_u32_e64 v24, s0, 0, v7, s0
	s_delay_alu instid0(VALU_DEP_2) | instskip(NEXT) | instid1(VALU_DEP_1)
	v_add_co_u32 v1, s0, v23, v79
	v_add_co_ci_u32_e64 v2, s0, 0, v24, s0
	s_mov_b32 s0, -1
	s_cbranch_vccnz .LBB430_156
; %bb.153:
	s_and_b32 vcc_lo, exec_lo, s0
	s_cbranch_vccnz .LBB430_247
.LBB430_154:
	v_cmp_eq_u32_e32 vcc_lo, 0, v0
	s_and_b32 s0, vcc_lo, s14
	s_delay_alu instid0(SALU_CYCLE_1)
	s_and_saveexec_b32 s1, s0
	s_cbranch_execnz .LBB430_318
.LBB430_155:
	s_nop 0
	s_sendmsg sendmsg(MSG_DEALLOC_VGPRS)
	s_endpgm
.LBB430_156:
	v_add_co_u32 v79, vcc_lo, s12, v4
	v_add_co_ci_u32_e32 v80, vcc_lo, s13, v5, vcc_lo
	s_lshl_b64 s[0:1], s[6:7], 1
	s_waitcnt lgkmcnt(0)
	s_add_u32 s0, s8, s0
	s_delay_alu instid0(VALU_DEP_1) | instskip(SKIP_2) | instid1(SALU_CYCLE_1)
	v_cmp_lt_u64_e32 vcc_lo, v[67:68], v[79:80]
	s_addc_u32 s1, s9, s1
	s_or_b32 s3, s16, vcc_lo
	s_and_saveexec_b32 s2, s3
	s_cbranch_execz .LBB430_159
; %bb.157:
	v_and_b32_e32 v3, 1, v126
	s_delay_alu instid0(VALU_DEP_1)
	v_cmp_eq_u32_e32 vcc_lo, 1, v3
	s_and_b32 exec_lo, exec_lo, vcc_lo
	s_cbranch_execz .LBB430_159
; %bb.158:
	v_lshlrev_b64 v[127:128], 1, v[67:68]
	s_delay_alu instid0(VALU_DEP_1) | instskip(NEXT) | instid1(VALU_DEP_2)
	v_add_co_u32 v127, vcc_lo, s0, v127
	v_add_co_ci_u32_e32 v128, vcc_lo, s1, v128, vcc_lo
	global_store_b16 v[127:128], v21, off
.LBB430_159:
	s_or_b32 exec_lo, exec_lo, s2
	v_cmp_lt_u64_e32 vcc_lo, v[77:78], v[79:80]
	s_or_b32 s3, s16, vcc_lo
	s_delay_alu instid0(SALU_CYCLE_1)
	s_and_saveexec_b32 s2, s3
	s_cbranch_execz .LBB430_162
; %bb.160:
	v_and_b32_e32 v3, 1, v125
	s_delay_alu instid0(VALU_DEP_1)
	v_cmp_eq_u32_e32 vcc_lo, 1, v3
	s_and_b32 exec_lo, exec_lo, vcc_lo
	s_cbranch_execz .LBB430_162
; %bb.161:
	v_lshlrev_b64 v[127:128], 1, v[77:78]
	s_delay_alu instid0(VALU_DEP_1) | instskip(NEXT) | instid1(VALU_DEP_2)
	v_add_co_u32 v127, vcc_lo, s0, v127
	v_add_co_ci_u32_e32 v128, vcc_lo, s1, v128, vcc_lo
	global_store_b16 v[127:128], v109, off
.LBB430_162:
	s_or_b32 exec_lo, exec_lo, s2
	v_cmp_lt_u64_e32 vcc_lo, v[75:76], v[79:80]
	s_or_b32 s3, s16, vcc_lo
	s_delay_alu instid0(SALU_CYCLE_1)
	;; [unrolled: 19-line block ×29, first 2 shown]
	s_and_saveexec_b32 s2, s3
	s_cbranch_execz .LBB430_246
; %bb.244:
	v_and_b32_e32 v3, 1, v92
	s_delay_alu instid0(VALU_DEP_1)
	v_cmp_eq_u32_e32 vcc_lo, 1, v3
	s_and_b32 exec_lo, exec_lo, vcc_lo
	s_cbranch_execz .LBB430_246
; %bb.245:
	v_lshlrev_b64 v[2:3], 1, v[1:2]
	s_delay_alu instid0(VALU_DEP_1) | instskip(NEXT) | instid1(VALU_DEP_2)
	v_add_co_u32 v2, vcc_lo, s0, v2
	v_add_co_ci_u32_e32 v3, vcc_lo, s1, v3, vcc_lo
	global_store_b16 v[2:3], v82, off
.LBB430_246:
	s_or_b32 exec_lo, exec_lo, s2
	s_branch .LBB430_154
.LBB430_247:
	v_and_b32_e32 v2, 1, v126
	s_mov_b32 s0, exec_lo
	s_delay_alu instid0(VALU_DEP_1)
	v_cmpx_eq_u32_e32 1, v2
	s_cbranch_execz .LBB430_249
; %bb.248:
	v_subrev_nc_u32_e32 v2, s12, v67
	s_delay_alu instid0(VALU_DEP_1)
	v_lshlrev_b32_e32 v2, 1, v2
	ds_store_b16 v2, v21
.LBB430_249:
	s_or_b32 exec_lo, exec_lo, s0
	v_and_b32_e32 v2, 1, v125
	s_mov_b32 s0, exec_lo
	s_delay_alu instid0(VALU_DEP_1)
	v_cmpx_eq_u32_e32 1, v2
	s_cbranch_execz .LBB430_251
; %bb.250:
	v_subrev_nc_u32_e32 v2, s12, v77
	s_delay_alu instid0(VALU_DEP_1)
	v_lshlrev_b32_e32 v2, 1, v2
	ds_store_b16 v2, v109
.LBB430_251:
	s_or_b32 exec_lo, exec_lo, s0
	;; [unrolled: 12-line block ×30, first 2 shown]
	v_mov_b32_e32 v1, 0
	s_mov_b32 s15, exec_lo
	s_waitcnt lgkmcnt(0)
	s_waitcnt_vscnt null, 0x0
	s_barrier
	buffer_gl0_inv
	v_cmpx_gt_u64_e64 v[4:5], v[0:1]
	s_cbranch_execz .LBB430_317
; %bb.308:
	v_not_b32_e32 v2, v0
	v_not_b32_e32 v3, 0
	v_mov_b32_e32 v8, v0
	s_mov_b32 s16, exec_lo
	s_delay_alu instid0(VALU_DEP_3) | instskip(NEXT) | instid1(VALU_DEP_3)
	v_add_co_u32 v6, vcc_lo, v4, v2
	v_add_co_ci_u32_e32 v7, vcc_lo, v5, v3, vcc_lo
	v_dual_mov_b32 v3, v1 :: v_dual_mov_b32 v2, v0
	s_delay_alu instid0(VALU_DEP_2)
	v_cmp_gt_u64_e32 vcc_lo, 0x1a80, v[6:7]
	v_cmpx_lt_u64_e32 0x1a7f, v[6:7]
	s_cbranch_execz .LBB430_314
; %bb.309:
	v_alignbit_b32 v2, v7, v6, 7
	v_not_b32_e32 v3, v0
	v_xor_b32_e32 v8, 0xffffff7f, v0
	s_movk_i32 s11, 0x7f
	s_mov_b32 s10, -1
	v_lshlrev_b32_e32 v9, 7, v2
	v_cmp_lt_u64_e64 s0, s[10:11], v[6:7]
	v_cmp_lt_u32_e64 s1, 0x1ffffff, v2
	s_delay_alu instid0(VALU_DEP_3) | instskip(SKIP_2) | instid1(VALU_DEP_4)
	v_cmp_lt_u32_e64 s3, v8, v9
	v_mov_b32_e32 v8, v0
	v_cmp_gt_u32_e64 s2, v9, v3
	s_or_b32 s0, s1, s0
	v_dual_mov_b32 v3, v1 :: v_dual_mov_b32 v2, v0
	s_or_b32 s0, s0, s3
	s_delay_alu instid0(VALU_DEP_2) | instskip(NEXT) | instid1(SALU_CYCLE_1)
	s_or_b32 s1, s2, s1
	s_or_b32 s0, s1, s0
	s_delay_alu instid0(SALU_CYCLE_1) | instskip(NEXT) | instid1(SALU_CYCLE_1)
	s_xor_b32 s0, s0, -1
	s_and_saveexec_b32 s2, s0
	s_cbranch_execz .LBB430_313
; %bb.310:
	v_lshrrev_b64 v[6:7], 7, v[6:7]
	s_lshl_b64 s[10:11], s[12:13], 1
	v_or_b32_e32 v2, 0x80, v0
	s_mov_b32 s3, 0
	s_delay_alu instid0(VALU_DEP_2) | instskip(NEXT) | instid1(VALU_DEP_1)
	v_add_co_u32 v10, s0, v6, 1
	v_add_co_ci_u32_e64 v11, s0, 0, v7, s0
	s_lshl_b64 s[0:1], s[6:7], 1
	s_delay_alu instid0(VALU_DEP_2) | instskip(SKIP_1) | instid1(VALU_DEP_2)
	v_and_b32_e32 v12, -2, v10
	s_add_u32 s0, s10, s0
	v_mov_b32_e32 v13, v11
	v_lshlrev_b32_e32 v3, 1, v0
	s_addc_u32 s1, s11, s1
	s_add_u32 s0, s8, s0
	s_addc_u32 s1, s9, s1
	v_dual_mov_b32 v17, v13 :: v_dual_mov_b32 v16, v12
	v_add_co_u32 v6, s0, s0, v3
	s_delay_alu instid0(VALU_DEP_1) | instskip(SKIP_1) | instid1(VALU_DEP_3)
	v_add_co_ci_u32_e64 v7, null, s1, 0, s0
	v_mov_b32_e32 v3, v1
	v_add_co_u32 v14, s0, 0x100, v6
	s_delay_alu instid0(VALU_DEP_1) | instskip(NEXT) | instid1(VALU_DEP_3)
	v_add_co_ci_u32_e64 v15, s0, 0, v7, s0
	v_dual_mov_b32 v9, v3 :: v_dual_mov_b32 v6, v0
	v_dual_mov_b32 v8, v2 :: v_dual_mov_b32 v7, v1
	s_set_inst_prefetch_distance 0x1
	.p2align	6
.LBB430_311:                            ; =>This Inner Loop Header: Depth=1
	s_delay_alu instid0(VALU_DEP_2) | instskip(NEXT) | instid1(VALU_DEP_2)
	v_lshlrev_b32_e32 v1, 1, v6
	v_lshlrev_b32_e32 v2, 1, v8
	v_add_co_u32 v8, s0, 0x100, v8
	s_delay_alu instid0(VALU_DEP_1) | instskip(SKIP_3) | instid1(VALU_DEP_1)
	v_add_co_ci_u32_e64 v9, s0, 0, v9, s0
	ds_load_u16 v1, v1
	ds_load_u16 v2, v2
	v_add_co_u32 v16, s0, v16, -2
	v_add_co_ci_u32_e64 v17, s0, -1, v17, s0
	v_add_co_u32 v6, s0, 0x100, v6
	s_delay_alu instid0(VALU_DEP_1) | instskip(NEXT) | instid1(VALU_DEP_3)
	v_add_co_ci_u32_e64 v7, s0, 0, v7, s0
	v_cmp_eq_u64_e64 s0, 0, v[16:17]
	s_waitcnt lgkmcnt(1)
	global_store_b16 v[14:15], v1, off offset:-256
	s_waitcnt lgkmcnt(0)
	global_store_b16 v[14:15], v2, off
	v_add_co_u32 v14, s1, 0x200, v14
	s_delay_alu instid0(VALU_DEP_1) | instskip(SKIP_1) | instid1(SALU_CYCLE_1)
	v_add_co_ci_u32_e64 v15, s1, 0, v15, s1
	s_or_b32 s3, s0, s3
	s_and_not1_b32 exec_lo, exec_lo, s3
	s_cbranch_execnz .LBB430_311
; %bb.312:
	s_set_inst_prefetch_distance 0x2
	s_or_b32 exec_lo, exec_lo, s3
	v_lshlrev_b64 v[1:2], 7, v[12:13]
	v_cmp_ne_u64_e64 s0, v[10:11], v[12:13]
	v_lshl_or_b32 v8, v12, 7, v0
	s_delay_alu instid0(VALU_DEP_3) | instskip(NEXT) | instid1(VALU_DEP_4)
	v_or_b32_e32 v3, 0, v2
	v_or_b32_e32 v2, v1, v0
	s_delay_alu instid0(VALU_DEP_4)
	s_or_not1_b32 s10, s0, exec_lo
.LBB430_313:
	s_or_b32 exec_lo, exec_lo, s2
	s_delay_alu instid0(SALU_CYCLE_1) | instskip(SKIP_1) | instid1(SALU_CYCLE_1)
	s_and_not1_b32 s0, vcc_lo, exec_lo
	s_and_b32 s1, s10, exec_lo
	s_or_b32 vcc_lo, s0, s1
.LBB430_314:
	s_or_b32 exec_lo, exec_lo, s16
	s_delay_alu instid0(SALU_CYCLE_1)
	s_and_b32 exec_lo, exec_lo, vcc_lo
	s_cbranch_execz .LBB430_317
; %bb.315:
	s_lshl_b64 s[0:1], s[12:13], 1
	v_dual_mov_b32 v7, 0 :: v_dual_add_nc_u32 v6, 0x80, v8
	s_add_u32 s0, s8, s0
	s_addc_u32 s8, s9, s1
	s_lshl_b64 s[2:3], s[6:7], 1
	s_delay_alu instid0(SALU_CYCLE_1)
	s_add_u32 s1, s0, s2
	s_addc_u32 s2, s8, s3
	s_mov_b32 s3, 0
	.p2align	6
.LBB430_316:                            ; =>This Inner Loop Header: Depth=1
	v_lshlrev_b32_e32 v1, 1, v2
	v_lshlrev_b64 v[8:9], 1, v[2:3]
	v_mov_b32_e32 v2, v6
	v_cmp_le_u64_e32 vcc_lo, v[4:5], v[6:7]
	v_dual_mov_b32 v3, v7 :: v_dual_add_nc_u32 v6, 0x80, v6
	ds_load_u16 v1, v1
	v_add_co_u32 v8, s0, s1, v8
	s_delay_alu instid0(VALU_DEP_1)
	v_add_co_ci_u32_e64 v9, s0, s2, v9, s0
	s_or_b32 s3, vcc_lo, s3
	s_waitcnt lgkmcnt(0)
	global_store_b16 v[8:9], v1, off
	s_and_not1_b32 exec_lo, exec_lo, s3
	s_cbranch_execnz .LBB430_316
.LBB430_317:
	s_or_b32 exec_lo, exec_lo, s15
	v_cmp_eq_u32_e32 vcc_lo, 0, v0
	s_and_b32 s0, vcc_lo, s14
	s_delay_alu instid0(SALU_CYCLE_1)
	s_and_saveexec_b32 s1, s0
	s_cbranch_execz .LBB430_155
.LBB430_318:
	v_add_co_u32 v0, vcc_lo, s12, v4
	v_add_co_ci_u32_e32 v1, vcc_lo, s13, v5, vcc_lo
	v_mov_b32_e32 v2, 0
	s_delay_alu instid0(VALU_DEP_3) | instskip(NEXT) | instid1(VALU_DEP_3)
	v_add_co_u32 v0, vcc_lo, v0, s6
	v_add_co_ci_u32_e32 v1, vcc_lo, s7, v1, vcc_lo
	global_store_b64 v2, v[0:1], s[4:5]
	s_nop 0
	s_sendmsg sendmsg(MSG_DEALLOC_VGPRS)
	s_endpgm
	.section	.rodata,"a",@progbits
	.p2align	6, 0x0
	.amdhsa_kernel _ZN7rocprim17ROCPRIM_400000_NS6detail17trampoline_kernelINS0_14default_configENS1_25partition_config_selectorILNS1_17partition_subalgoE6EsNS0_10empty_typeEbEEZZNS1_14partition_implILS5_6ELb0ES3_mN6thrust23THRUST_200600_302600_NS6detail15normal_iteratorINSA_10device_ptrIsEEEEPS6_SG_NS0_5tupleIJSF_S6_EEENSH_IJSG_SG_EEES6_PlJ7is_evenIsEEEE10hipError_tPvRmT3_T4_T5_T6_T7_T9_mT8_P12ihipStream_tbDpT10_ENKUlT_T0_E_clISt17integral_constantIbLb0EES16_EEDaS11_S12_EUlS11_E_NS1_11comp_targetILNS1_3genE9ELNS1_11target_archE1100ELNS1_3gpuE3ELNS1_3repE0EEENS1_30default_config_static_selectorELNS0_4arch9wavefront6targetE0EEEvT1_
		.amdhsa_group_segment_fixed_size 7696
		.amdhsa_private_segment_fixed_size 0
		.amdhsa_kernarg_size 112
		.amdhsa_user_sgpr_count 15
		.amdhsa_user_sgpr_dispatch_ptr 0
		.amdhsa_user_sgpr_queue_ptr 0
		.amdhsa_user_sgpr_kernarg_segment_ptr 1
		.amdhsa_user_sgpr_dispatch_id 0
		.amdhsa_user_sgpr_private_segment_size 0
		.amdhsa_wavefront_size32 1
		.amdhsa_uses_dynamic_stack 0
		.amdhsa_enable_private_segment 0
		.amdhsa_system_sgpr_workgroup_id_x 1
		.amdhsa_system_sgpr_workgroup_id_y 0
		.amdhsa_system_sgpr_workgroup_id_z 0
		.amdhsa_system_sgpr_workgroup_info 0
		.amdhsa_system_vgpr_workitem_id 0
		.amdhsa_next_free_vgpr 131
		.amdhsa_next_free_sgpr 19
		.amdhsa_reserve_vcc 1
		.amdhsa_float_round_mode_32 0
		.amdhsa_float_round_mode_16_64 0
		.amdhsa_float_denorm_mode_32 3
		.amdhsa_float_denorm_mode_16_64 3
		.amdhsa_dx10_clamp 1
		.amdhsa_ieee_mode 1
		.amdhsa_fp16_overflow 0
		.amdhsa_workgroup_processor_mode 1
		.amdhsa_memory_ordered 1
		.amdhsa_forward_progress 0
		.amdhsa_shared_vgpr_count 0
		.amdhsa_exception_fp_ieee_invalid_op 0
		.amdhsa_exception_fp_denorm_src 0
		.amdhsa_exception_fp_ieee_div_zero 0
		.amdhsa_exception_fp_ieee_overflow 0
		.amdhsa_exception_fp_ieee_underflow 0
		.amdhsa_exception_fp_ieee_inexact 0
		.amdhsa_exception_int_div_zero 0
	.end_amdhsa_kernel
	.section	.text._ZN7rocprim17ROCPRIM_400000_NS6detail17trampoline_kernelINS0_14default_configENS1_25partition_config_selectorILNS1_17partition_subalgoE6EsNS0_10empty_typeEbEEZZNS1_14partition_implILS5_6ELb0ES3_mN6thrust23THRUST_200600_302600_NS6detail15normal_iteratorINSA_10device_ptrIsEEEEPS6_SG_NS0_5tupleIJSF_S6_EEENSH_IJSG_SG_EEES6_PlJ7is_evenIsEEEE10hipError_tPvRmT3_T4_T5_T6_T7_T9_mT8_P12ihipStream_tbDpT10_ENKUlT_T0_E_clISt17integral_constantIbLb0EES16_EEDaS11_S12_EUlS11_E_NS1_11comp_targetILNS1_3genE9ELNS1_11target_archE1100ELNS1_3gpuE3ELNS1_3repE0EEENS1_30default_config_static_selectorELNS0_4arch9wavefront6targetE0EEEvT1_,"axG",@progbits,_ZN7rocprim17ROCPRIM_400000_NS6detail17trampoline_kernelINS0_14default_configENS1_25partition_config_selectorILNS1_17partition_subalgoE6EsNS0_10empty_typeEbEEZZNS1_14partition_implILS5_6ELb0ES3_mN6thrust23THRUST_200600_302600_NS6detail15normal_iteratorINSA_10device_ptrIsEEEEPS6_SG_NS0_5tupleIJSF_S6_EEENSH_IJSG_SG_EEES6_PlJ7is_evenIsEEEE10hipError_tPvRmT3_T4_T5_T6_T7_T9_mT8_P12ihipStream_tbDpT10_ENKUlT_T0_E_clISt17integral_constantIbLb0EES16_EEDaS11_S12_EUlS11_E_NS1_11comp_targetILNS1_3genE9ELNS1_11target_archE1100ELNS1_3gpuE3ELNS1_3repE0EEENS1_30default_config_static_selectorELNS0_4arch9wavefront6targetE0EEEvT1_,comdat
.Lfunc_end430:
	.size	_ZN7rocprim17ROCPRIM_400000_NS6detail17trampoline_kernelINS0_14default_configENS1_25partition_config_selectorILNS1_17partition_subalgoE6EsNS0_10empty_typeEbEEZZNS1_14partition_implILS5_6ELb0ES3_mN6thrust23THRUST_200600_302600_NS6detail15normal_iteratorINSA_10device_ptrIsEEEEPS6_SG_NS0_5tupleIJSF_S6_EEENSH_IJSG_SG_EEES6_PlJ7is_evenIsEEEE10hipError_tPvRmT3_T4_T5_T6_T7_T9_mT8_P12ihipStream_tbDpT10_ENKUlT_T0_E_clISt17integral_constantIbLb0EES16_EEDaS11_S12_EUlS11_E_NS1_11comp_targetILNS1_3genE9ELNS1_11target_archE1100ELNS1_3gpuE3ELNS1_3repE0EEENS1_30default_config_static_selectorELNS0_4arch9wavefront6targetE0EEEvT1_, .Lfunc_end430-_ZN7rocprim17ROCPRIM_400000_NS6detail17trampoline_kernelINS0_14default_configENS1_25partition_config_selectorILNS1_17partition_subalgoE6EsNS0_10empty_typeEbEEZZNS1_14partition_implILS5_6ELb0ES3_mN6thrust23THRUST_200600_302600_NS6detail15normal_iteratorINSA_10device_ptrIsEEEEPS6_SG_NS0_5tupleIJSF_S6_EEENSH_IJSG_SG_EEES6_PlJ7is_evenIsEEEE10hipError_tPvRmT3_T4_T5_T6_T7_T9_mT8_P12ihipStream_tbDpT10_ENKUlT_T0_E_clISt17integral_constantIbLb0EES16_EEDaS11_S12_EUlS11_E_NS1_11comp_targetILNS1_3genE9ELNS1_11target_archE1100ELNS1_3gpuE3ELNS1_3repE0EEENS1_30default_config_static_selectorELNS0_4arch9wavefront6targetE0EEEvT1_
                                        ; -- End function
	.section	.AMDGPU.csdata,"",@progbits
; Kernel info:
; codeLenInByte = 13248
; NumSgprs: 21
; NumVgprs: 131
; ScratchSize: 0
; MemoryBound: 0
; FloatMode: 240
; IeeeMode: 1
; LDSByteSize: 7696 bytes/workgroup (compile time only)
; SGPRBlocks: 2
; VGPRBlocks: 16
; NumSGPRsForWavesPerEU: 21
; NumVGPRsForWavesPerEU: 131
; Occupancy: 10
; WaveLimiterHint : 1
; COMPUTE_PGM_RSRC2:SCRATCH_EN: 0
; COMPUTE_PGM_RSRC2:USER_SGPR: 15
; COMPUTE_PGM_RSRC2:TRAP_HANDLER: 0
; COMPUTE_PGM_RSRC2:TGID_X_EN: 1
; COMPUTE_PGM_RSRC2:TGID_Y_EN: 0
; COMPUTE_PGM_RSRC2:TGID_Z_EN: 0
; COMPUTE_PGM_RSRC2:TIDIG_COMP_CNT: 0
	.section	.text._ZN7rocprim17ROCPRIM_400000_NS6detail17trampoline_kernelINS0_14default_configENS1_25partition_config_selectorILNS1_17partition_subalgoE6EsNS0_10empty_typeEbEEZZNS1_14partition_implILS5_6ELb0ES3_mN6thrust23THRUST_200600_302600_NS6detail15normal_iteratorINSA_10device_ptrIsEEEEPS6_SG_NS0_5tupleIJSF_S6_EEENSH_IJSG_SG_EEES6_PlJ7is_evenIsEEEE10hipError_tPvRmT3_T4_T5_T6_T7_T9_mT8_P12ihipStream_tbDpT10_ENKUlT_T0_E_clISt17integral_constantIbLb0EES16_EEDaS11_S12_EUlS11_E_NS1_11comp_targetILNS1_3genE8ELNS1_11target_archE1030ELNS1_3gpuE2ELNS1_3repE0EEENS1_30default_config_static_selectorELNS0_4arch9wavefront6targetE0EEEvT1_,"axG",@progbits,_ZN7rocprim17ROCPRIM_400000_NS6detail17trampoline_kernelINS0_14default_configENS1_25partition_config_selectorILNS1_17partition_subalgoE6EsNS0_10empty_typeEbEEZZNS1_14partition_implILS5_6ELb0ES3_mN6thrust23THRUST_200600_302600_NS6detail15normal_iteratorINSA_10device_ptrIsEEEEPS6_SG_NS0_5tupleIJSF_S6_EEENSH_IJSG_SG_EEES6_PlJ7is_evenIsEEEE10hipError_tPvRmT3_T4_T5_T6_T7_T9_mT8_P12ihipStream_tbDpT10_ENKUlT_T0_E_clISt17integral_constantIbLb0EES16_EEDaS11_S12_EUlS11_E_NS1_11comp_targetILNS1_3genE8ELNS1_11target_archE1030ELNS1_3gpuE2ELNS1_3repE0EEENS1_30default_config_static_selectorELNS0_4arch9wavefront6targetE0EEEvT1_,comdat
	.protected	_ZN7rocprim17ROCPRIM_400000_NS6detail17trampoline_kernelINS0_14default_configENS1_25partition_config_selectorILNS1_17partition_subalgoE6EsNS0_10empty_typeEbEEZZNS1_14partition_implILS5_6ELb0ES3_mN6thrust23THRUST_200600_302600_NS6detail15normal_iteratorINSA_10device_ptrIsEEEEPS6_SG_NS0_5tupleIJSF_S6_EEENSH_IJSG_SG_EEES6_PlJ7is_evenIsEEEE10hipError_tPvRmT3_T4_T5_T6_T7_T9_mT8_P12ihipStream_tbDpT10_ENKUlT_T0_E_clISt17integral_constantIbLb0EES16_EEDaS11_S12_EUlS11_E_NS1_11comp_targetILNS1_3genE8ELNS1_11target_archE1030ELNS1_3gpuE2ELNS1_3repE0EEENS1_30default_config_static_selectorELNS0_4arch9wavefront6targetE0EEEvT1_ ; -- Begin function _ZN7rocprim17ROCPRIM_400000_NS6detail17trampoline_kernelINS0_14default_configENS1_25partition_config_selectorILNS1_17partition_subalgoE6EsNS0_10empty_typeEbEEZZNS1_14partition_implILS5_6ELb0ES3_mN6thrust23THRUST_200600_302600_NS6detail15normal_iteratorINSA_10device_ptrIsEEEEPS6_SG_NS0_5tupleIJSF_S6_EEENSH_IJSG_SG_EEES6_PlJ7is_evenIsEEEE10hipError_tPvRmT3_T4_T5_T6_T7_T9_mT8_P12ihipStream_tbDpT10_ENKUlT_T0_E_clISt17integral_constantIbLb0EES16_EEDaS11_S12_EUlS11_E_NS1_11comp_targetILNS1_3genE8ELNS1_11target_archE1030ELNS1_3gpuE2ELNS1_3repE0EEENS1_30default_config_static_selectorELNS0_4arch9wavefront6targetE0EEEvT1_
	.globl	_ZN7rocprim17ROCPRIM_400000_NS6detail17trampoline_kernelINS0_14default_configENS1_25partition_config_selectorILNS1_17partition_subalgoE6EsNS0_10empty_typeEbEEZZNS1_14partition_implILS5_6ELb0ES3_mN6thrust23THRUST_200600_302600_NS6detail15normal_iteratorINSA_10device_ptrIsEEEEPS6_SG_NS0_5tupleIJSF_S6_EEENSH_IJSG_SG_EEES6_PlJ7is_evenIsEEEE10hipError_tPvRmT3_T4_T5_T6_T7_T9_mT8_P12ihipStream_tbDpT10_ENKUlT_T0_E_clISt17integral_constantIbLb0EES16_EEDaS11_S12_EUlS11_E_NS1_11comp_targetILNS1_3genE8ELNS1_11target_archE1030ELNS1_3gpuE2ELNS1_3repE0EEENS1_30default_config_static_selectorELNS0_4arch9wavefront6targetE0EEEvT1_
	.p2align	8
	.type	_ZN7rocprim17ROCPRIM_400000_NS6detail17trampoline_kernelINS0_14default_configENS1_25partition_config_selectorILNS1_17partition_subalgoE6EsNS0_10empty_typeEbEEZZNS1_14partition_implILS5_6ELb0ES3_mN6thrust23THRUST_200600_302600_NS6detail15normal_iteratorINSA_10device_ptrIsEEEEPS6_SG_NS0_5tupleIJSF_S6_EEENSH_IJSG_SG_EEES6_PlJ7is_evenIsEEEE10hipError_tPvRmT3_T4_T5_T6_T7_T9_mT8_P12ihipStream_tbDpT10_ENKUlT_T0_E_clISt17integral_constantIbLb0EES16_EEDaS11_S12_EUlS11_E_NS1_11comp_targetILNS1_3genE8ELNS1_11target_archE1030ELNS1_3gpuE2ELNS1_3repE0EEENS1_30default_config_static_selectorELNS0_4arch9wavefront6targetE0EEEvT1_,@function
_ZN7rocprim17ROCPRIM_400000_NS6detail17trampoline_kernelINS0_14default_configENS1_25partition_config_selectorILNS1_17partition_subalgoE6EsNS0_10empty_typeEbEEZZNS1_14partition_implILS5_6ELb0ES3_mN6thrust23THRUST_200600_302600_NS6detail15normal_iteratorINSA_10device_ptrIsEEEEPS6_SG_NS0_5tupleIJSF_S6_EEENSH_IJSG_SG_EEES6_PlJ7is_evenIsEEEE10hipError_tPvRmT3_T4_T5_T6_T7_T9_mT8_P12ihipStream_tbDpT10_ENKUlT_T0_E_clISt17integral_constantIbLb0EES16_EEDaS11_S12_EUlS11_E_NS1_11comp_targetILNS1_3genE8ELNS1_11target_archE1030ELNS1_3gpuE2ELNS1_3repE0EEENS1_30default_config_static_selectorELNS0_4arch9wavefront6targetE0EEEvT1_: ; @_ZN7rocprim17ROCPRIM_400000_NS6detail17trampoline_kernelINS0_14default_configENS1_25partition_config_selectorILNS1_17partition_subalgoE6EsNS0_10empty_typeEbEEZZNS1_14partition_implILS5_6ELb0ES3_mN6thrust23THRUST_200600_302600_NS6detail15normal_iteratorINSA_10device_ptrIsEEEEPS6_SG_NS0_5tupleIJSF_S6_EEENSH_IJSG_SG_EEES6_PlJ7is_evenIsEEEE10hipError_tPvRmT3_T4_T5_T6_T7_T9_mT8_P12ihipStream_tbDpT10_ENKUlT_T0_E_clISt17integral_constantIbLb0EES16_EEDaS11_S12_EUlS11_E_NS1_11comp_targetILNS1_3genE8ELNS1_11target_archE1030ELNS1_3gpuE2ELNS1_3repE0EEENS1_30default_config_static_selectorELNS0_4arch9wavefront6targetE0EEEvT1_
; %bb.0:
	.section	.rodata,"a",@progbits
	.p2align	6, 0x0
	.amdhsa_kernel _ZN7rocprim17ROCPRIM_400000_NS6detail17trampoline_kernelINS0_14default_configENS1_25partition_config_selectorILNS1_17partition_subalgoE6EsNS0_10empty_typeEbEEZZNS1_14partition_implILS5_6ELb0ES3_mN6thrust23THRUST_200600_302600_NS6detail15normal_iteratorINSA_10device_ptrIsEEEEPS6_SG_NS0_5tupleIJSF_S6_EEENSH_IJSG_SG_EEES6_PlJ7is_evenIsEEEE10hipError_tPvRmT3_T4_T5_T6_T7_T9_mT8_P12ihipStream_tbDpT10_ENKUlT_T0_E_clISt17integral_constantIbLb0EES16_EEDaS11_S12_EUlS11_E_NS1_11comp_targetILNS1_3genE8ELNS1_11target_archE1030ELNS1_3gpuE2ELNS1_3repE0EEENS1_30default_config_static_selectorELNS0_4arch9wavefront6targetE0EEEvT1_
		.amdhsa_group_segment_fixed_size 0
		.amdhsa_private_segment_fixed_size 0
		.amdhsa_kernarg_size 112
		.amdhsa_user_sgpr_count 15
		.amdhsa_user_sgpr_dispatch_ptr 0
		.amdhsa_user_sgpr_queue_ptr 0
		.amdhsa_user_sgpr_kernarg_segment_ptr 1
		.amdhsa_user_sgpr_dispatch_id 0
		.amdhsa_user_sgpr_private_segment_size 0
		.amdhsa_wavefront_size32 1
		.amdhsa_uses_dynamic_stack 0
		.amdhsa_enable_private_segment 0
		.amdhsa_system_sgpr_workgroup_id_x 1
		.amdhsa_system_sgpr_workgroup_id_y 0
		.amdhsa_system_sgpr_workgroup_id_z 0
		.amdhsa_system_sgpr_workgroup_info 0
		.amdhsa_system_vgpr_workitem_id 0
		.amdhsa_next_free_vgpr 1
		.amdhsa_next_free_sgpr 1
		.amdhsa_reserve_vcc 0
		.amdhsa_float_round_mode_32 0
		.amdhsa_float_round_mode_16_64 0
		.amdhsa_float_denorm_mode_32 3
		.amdhsa_float_denorm_mode_16_64 3
		.amdhsa_dx10_clamp 1
		.amdhsa_ieee_mode 1
		.amdhsa_fp16_overflow 0
		.amdhsa_workgroup_processor_mode 1
		.amdhsa_memory_ordered 1
		.amdhsa_forward_progress 0
		.amdhsa_shared_vgpr_count 0
		.amdhsa_exception_fp_ieee_invalid_op 0
		.amdhsa_exception_fp_denorm_src 0
		.amdhsa_exception_fp_ieee_div_zero 0
		.amdhsa_exception_fp_ieee_overflow 0
		.amdhsa_exception_fp_ieee_underflow 0
		.amdhsa_exception_fp_ieee_inexact 0
		.amdhsa_exception_int_div_zero 0
	.end_amdhsa_kernel
	.section	.text._ZN7rocprim17ROCPRIM_400000_NS6detail17trampoline_kernelINS0_14default_configENS1_25partition_config_selectorILNS1_17partition_subalgoE6EsNS0_10empty_typeEbEEZZNS1_14partition_implILS5_6ELb0ES3_mN6thrust23THRUST_200600_302600_NS6detail15normal_iteratorINSA_10device_ptrIsEEEEPS6_SG_NS0_5tupleIJSF_S6_EEENSH_IJSG_SG_EEES6_PlJ7is_evenIsEEEE10hipError_tPvRmT3_T4_T5_T6_T7_T9_mT8_P12ihipStream_tbDpT10_ENKUlT_T0_E_clISt17integral_constantIbLb0EES16_EEDaS11_S12_EUlS11_E_NS1_11comp_targetILNS1_3genE8ELNS1_11target_archE1030ELNS1_3gpuE2ELNS1_3repE0EEENS1_30default_config_static_selectorELNS0_4arch9wavefront6targetE0EEEvT1_,"axG",@progbits,_ZN7rocprim17ROCPRIM_400000_NS6detail17trampoline_kernelINS0_14default_configENS1_25partition_config_selectorILNS1_17partition_subalgoE6EsNS0_10empty_typeEbEEZZNS1_14partition_implILS5_6ELb0ES3_mN6thrust23THRUST_200600_302600_NS6detail15normal_iteratorINSA_10device_ptrIsEEEEPS6_SG_NS0_5tupleIJSF_S6_EEENSH_IJSG_SG_EEES6_PlJ7is_evenIsEEEE10hipError_tPvRmT3_T4_T5_T6_T7_T9_mT8_P12ihipStream_tbDpT10_ENKUlT_T0_E_clISt17integral_constantIbLb0EES16_EEDaS11_S12_EUlS11_E_NS1_11comp_targetILNS1_3genE8ELNS1_11target_archE1030ELNS1_3gpuE2ELNS1_3repE0EEENS1_30default_config_static_selectorELNS0_4arch9wavefront6targetE0EEEvT1_,comdat
.Lfunc_end431:
	.size	_ZN7rocprim17ROCPRIM_400000_NS6detail17trampoline_kernelINS0_14default_configENS1_25partition_config_selectorILNS1_17partition_subalgoE6EsNS0_10empty_typeEbEEZZNS1_14partition_implILS5_6ELb0ES3_mN6thrust23THRUST_200600_302600_NS6detail15normal_iteratorINSA_10device_ptrIsEEEEPS6_SG_NS0_5tupleIJSF_S6_EEENSH_IJSG_SG_EEES6_PlJ7is_evenIsEEEE10hipError_tPvRmT3_T4_T5_T6_T7_T9_mT8_P12ihipStream_tbDpT10_ENKUlT_T0_E_clISt17integral_constantIbLb0EES16_EEDaS11_S12_EUlS11_E_NS1_11comp_targetILNS1_3genE8ELNS1_11target_archE1030ELNS1_3gpuE2ELNS1_3repE0EEENS1_30default_config_static_selectorELNS0_4arch9wavefront6targetE0EEEvT1_, .Lfunc_end431-_ZN7rocprim17ROCPRIM_400000_NS6detail17trampoline_kernelINS0_14default_configENS1_25partition_config_selectorILNS1_17partition_subalgoE6EsNS0_10empty_typeEbEEZZNS1_14partition_implILS5_6ELb0ES3_mN6thrust23THRUST_200600_302600_NS6detail15normal_iteratorINSA_10device_ptrIsEEEEPS6_SG_NS0_5tupleIJSF_S6_EEENSH_IJSG_SG_EEES6_PlJ7is_evenIsEEEE10hipError_tPvRmT3_T4_T5_T6_T7_T9_mT8_P12ihipStream_tbDpT10_ENKUlT_T0_E_clISt17integral_constantIbLb0EES16_EEDaS11_S12_EUlS11_E_NS1_11comp_targetILNS1_3genE8ELNS1_11target_archE1030ELNS1_3gpuE2ELNS1_3repE0EEENS1_30default_config_static_selectorELNS0_4arch9wavefront6targetE0EEEvT1_
                                        ; -- End function
	.section	.AMDGPU.csdata,"",@progbits
; Kernel info:
; codeLenInByte = 0
; NumSgprs: 0
; NumVgprs: 0
; ScratchSize: 0
; MemoryBound: 0
; FloatMode: 240
; IeeeMode: 1
; LDSByteSize: 0 bytes/workgroup (compile time only)
; SGPRBlocks: 0
; VGPRBlocks: 0
; NumSGPRsForWavesPerEU: 1
; NumVGPRsForWavesPerEU: 1
; Occupancy: 16
; WaveLimiterHint : 0
; COMPUTE_PGM_RSRC2:SCRATCH_EN: 0
; COMPUTE_PGM_RSRC2:USER_SGPR: 15
; COMPUTE_PGM_RSRC2:TRAP_HANDLER: 0
; COMPUTE_PGM_RSRC2:TGID_X_EN: 1
; COMPUTE_PGM_RSRC2:TGID_Y_EN: 0
; COMPUTE_PGM_RSRC2:TGID_Z_EN: 0
; COMPUTE_PGM_RSRC2:TIDIG_COMP_CNT: 0
	.section	.text._ZN7rocprim17ROCPRIM_400000_NS6detail17trampoline_kernelINS0_14default_configENS1_25partition_config_selectorILNS1_17partition_subalgoE6EsNS0_10empty_typeEbEEZZNS1_14partition_implILS5_6ELb0ES3_mN6thrust23THRUST_200600_302600_NS6detail15normal_iteratorINSA_10device_ptrIsEEEEPS6_SG_NS0_5tupleIJSF_S6_EEENSH_IJSG_SG_EEES6_PlJ7is_evenIsEEEE10hipError_tPvRmT3_T4_T5_T6_T7_T9_mT8_P12ihipStream_tbDpT10_ENKUlT_T0_E_clISt17integral_constantIbLb1EES16_EEDaS11_S12_EUlS11_E_NS1_11comp_targetILNS1_3genE0ELNS1_11target_archE4294967295ELNS1_3gpuE0ELNS1_3repE0EEENS1_30default_config_static_selectorELNS0_4arch9wavefront6targetE0EEEvT1_,"axG",@progbits,_ZN7rocprim17ROCPRIM_400000_NS6detail17trampoline_kernelINS0_14default_configENS1_25partition_config_selectorILNS1_17partition_subalgoE6EsNS0_10empty_typeEbEEZZNS1_14partition_implILS5_6ELb0ES3_mN6thrust23THRUST_200600_302600_NS6detail15normal_iteratorINSA_10device_ptrIsEEEEPS6_SG_NS0_5tupleIJSF_S6_EEENSH_IJSG_SG_EEES6_PlJ7is_evenIsEEEE10hipError_tPvRmT3_T4_T5_T6_T7_T9_mT8_P12ihipStream_tbDpT10_ENKUlT_T0_E_clISt17integral_constantIbLb1EES16_EEDaS11_S12_EUlS11_E_NS1_11comp_targetILNS1_3genE0ELNS1_11target_archE4294967295ELNS1_3gpuE0ELNS1_3repE0EEENS1_30default_config_static_selectorELNS0_4arch9wavefront6targetE0EEEvT1_,comdat
	.protected	_ZN7rocprim17ROCPRIM_400000_NS6detail17trampoline_kernelINS0_14default_configENS1_25partition_config_selectorILNS1_17partition_subalgoE6EsNS0_10empty_typeEbEEZZNS1_14partition_implILS5_6ELb0ES3_mN6thrust23THRUST_200600_302600_NS6detail15normal_iteratorINSA_10device_ptrIsEEEEPS6_SG_NS0_5tupleIJSF_S6_EEENSH_IJSG_SG_EEES6_PlJ7is_evenIsEEEE10hipError_tPvRmT3_T4_T5_T6_T7_T9_mT8_P12ihipStream_tbDpT10_ENKUlT_T0_E_clISt17integral_constantIbLb1EES16_EEDaS11_S12_EUlS11_E_NS1_11comp_targetILNS1_3genE0ELNS1_11target_archE4294967295ELNS1_3gpuE0ELNS1_3repE0EEENS1_30default_config_static_selectorELNS0_4arch9wavefront6targetE0EEEvT1_ ; -- Begin function _ZN7rocprim17ROCPRIM_400000_NS6detail17trampoline_kernelINS0_14default_configENS1_25partition_config_selectorILNS1_17partition_subalgoE6EsNS0_10empty_typeEbEEZZNS1_14partition_implILS5_6ELb0ES3_mN6thrust23THRUST_200600_302600_NS6detail15normal_iteratorINSA_10device_ptrIsEEEEPS6_SG_NS0_5tupleIJSF_S6_EEENSH_IJSG_SG_EEES6_PlJ7is_evenIsEEEE10hipError_tPvRmT3_T4_T5_T6_T7_T9_mT8_P12ihipStream_tbDpT10_ENKUlT_T0_E_clISt17integral_constantIbLb1EES16_EEDaS11_S12_EUlS11_E_NS1_11comp_targetILNS1_3genE0ELNS1_11target_archE4294967295ELNS1_3gpuE0ELNS1_3repE0EEENS1_30default_config_static_selectorELNS0_4arch9wavefront6targetE0EEEvT1_
	.globl	_ZN7rocprim17ROCPRIM_400000_NS6detail17trampoline_kernelINS0_14default_configENS1_25partition_config_selectorILNS1_17partition_subalgoE6EsNS0_10empty_typeEbEEZZNS1_14partition_implILS5_6ELb0ES3_mN6thrust23THRUST_200600_302600_NS6detail15normal_iteratorINSA_10device_ptrIsEEEEPS6_SG_NS0_5tupleIJSF_S6_EEENSH_IJSG_SG_EEES6_PlJ7is_evenIsEEEE10hipError_tPvRmT3_T4_T5_T6_T7_T9_mT8_P12ihipStream_tbDpT10_ENKUlT_T0_E_clISt17integral_constantIbLb1EES16_EEDaS11_S12_EUlS11_E_NS1_11comp_targetILNS1_3genE0ELNS1_11target_archE4294967295ELNS1_3gpuE0ELNS1_3repE0EEENS1_30default_config_static_selectorELNS0_4arch9wavefront6targetE0EEEvT1_
	.p2align	8
	.type	_ZN7rocprim17ROCPRIM_400000_NS6detail17trampoline_kernelINS0_14default_configENS1_25partition_config_selectorILNS1_17partition_subalgoE6EsNS0_10empty_typeEbEEZZNS1_14partition_implILS5_6ELb0ES3_mN6thrust23THRUST_200600_302600_NS6detail15normal_iteratorINSA_10device_ptrIsEEEEPS6_SG_NS0_5tupleIJSF_S6_EEENSH_IJSG_SG_EEES6_PlJ7is_evenIsEEEE10hipError_tPvRmT3_T4_T5_T6_T7_T9_mT8_P12ihipStream_tbDpT10_ENKUlT_T0_E_clISt17integral_constantIbLb1EES16_EEDaS11_S12_EUlS11_E_NS1_11comp_targetILNS1_3genE0ELNS1_11target_archE4294967295ELNS1_3gpuE0ELNS1_3repE0EEENS1_30default_config_static_selectorELNS0_4arch9wavefront6targetE0EEEvT1_,@function
_ZN7rocprim17ROCPRIM_400000_NS6detail17trampoline_kernelINS0_14default_configENS1_25partition_config_selectorILNS1_17partition_subalgoE6EsNS0_10empty_typeEbEEZZNS1_14partition_implILS5_6ELb0ES3_mN6thrust23THRUST_200600_302600_NS6detail15normal_iteratorINSA_10device_ptrIsEEEEPS6_SG_NS0_5tupleIJSF_S6_EEENSH_IJSG_SG_EEES6_PlJ7is_evenIsEEEE10hipError_tPvRmT3_T4_T5_T6_T7_T9_mT8_P12ihipStream_tbDpT10_ENKUlT_T0_E_clISt17integral_constantIbLb1EES16_EEDaS11_S12_EUlS11_E_NS1_11comp_targetILNS1_3genE0ELNS1_11target_archE4294967295ELNS1_3gpuE0ELNS1_3repE0EEENS1_30default_config_static_selectorELNS0_4arch9wavefront6targetE0EEEvT1_: ; @_ZN7rocprim17ROCPRIM_400000_NS6detail17trampoline_kernelINS0_14default_configENS1_25partition_config_selectorILNS1_17partition_subalgoE6EsNS0_10empty_typeEbEEZZNS1_14partition_implILS5_6ELb0ES3_mN6thrust23THRUST_200600_302600_NS6detail15normal_iteratorINSA_10device_ptrIsEEEEPS6_SG_NS0_5tupleIJSF_S6_EEENSH_IJSG_SG_EEES6_PlJ7is_evenIsEEEE10hipError_tPvRmT3_T4_T5_T6_T7_T9_mT8_P12ihipStream_tbDpT10_ENKUlT_T0_E_clISt17integral_constantIbLb1EES16_EEDaS11_S12_EUlS11_E_NS1_11comp_targetILNS1_3genE0ELNS1_11target_archE4294967295ELNS1_3gpuE0ELNS1_3repE0EEENS1_30default_config_static_selectorELNS0_4arch9wavefront6targetE0EEEvT1_
; %bb.0:
	.section	.rodata,"a",@progbits
	.p2align	6, 0x0
	.amdhsa_kernel _ZN7rocprim17ROCPRIM_400000_NS6detail17trampoline_kernelINS0_14default_configENS1_25partition_config_selectorILNS1_17partition_subalgoE6EsNS0_10empty_typeEbEEZZNS1_14partition_implILS5_6ELb0ES3_mN6thrust23THRUST_200600_302600_NS6detail15normal_iteratorINSA_10device_ptrIsEEEEPS6_SG_NS0_5tupleIJSF_S6_EEENSH_IJSG_SG_EEES6_PlJ7is_evenIsEEEE10hipError_tPvRmT3_T4_T5_T6_T7_T9_mT8_P12ihipStream_tbDpT10_ENKUlT_T0_E_clISt17integral_constantIbLb1EES16_EEDaS11_S12_EUlS11_E_NS1_11comp_targetILNS1_3genE0ELNS1_11target_archE4294967295ELNS1_3gpuE0ELNS1_3repE0EEENS1_30default_config_static_selectorELNS0_4arch9wavefront6targetE0EEEvT1_
		.amdhsa_group_segment_fixed_size 0
		.amdhsa_private_segment_fixed_size 0
		.amdhsa_kernarg_size 128
		.amdhsa_user_sgpr_count 15
		.amdhsa_user_sgpr_dispatch_ptr 0
		.amdhsa_user_sgpr_queue_ptr 0
		.amdhsa_user_sgpr_kernarg_segment_ptr 1
		.amdhsa_user_sgpr_dispatch_id 0
		.amdhsa_user_sgpr_private_segment_size 0
		.amdhsa_wavefront_size32 1
		.amdhsa_uses_dynamic_stack 0
		.amdhsa_enable_private_segment 0
		.amdhsa_system_sgpr_workgroup_id_x 1
		.amdhsa_system_sgpr_workgroup_id_y 0
		.amdhsa_system_sgpr_workgroup_id_z 0
		.amdhsa_system_sgpr_workgroup_info 0
		.amdhsa_system_vgpr_workitem_id 0
		.amdhsa_next_free_vgpr 1
		.amdhsa_next_free_sgpr 1
		.amdhsa_reserve_vcc 0
		.amdhsa_float_round_mode_32 0
		.amdhsa_float_round_mode_16_64 0
		.amdhsa_float_denorm_mode_32 3
		.amdhsa_float_denorm_mode_16_64 3
		.amdhsa_dx10_clamp 1
		.amdhsa_ieee_mode 1
		.amdhsa_fp16_overflow 0
		.amdhsa_workgroup_processor_mode 1
		.amdhsa_memory_ordered 1
		.amdhsa_forward_progress 0
		.amdhsa_shared_vgpr_count 0
		.amdhsa_exception_fp_ieee_invalid_op 0
		.amdhsa_exception_fp_denorm_src 0
		.amdhsa_exception_fp_ieee_div_zero 0
		.amdhsa_exception_fp_ieee_overflow 0
		.amdhsa_exception_fp_ieee_underflow 0
		.amdhsa_exception_fp_ieee_inexact 0
		.amdhsa_exception_int_div_zero 0
	.end_amdhsa_kernel
	.section	.text._ZN7rocprim17ROCPRIM_400000_NS6detail17trampoline_kernelINS0_14default_configENS1_25partition_config_selectorILNS1_17partition_subalgoE6EsNS0_10empty_typeEbEEZZNS1_14partition_implILS5_6ELb0ES3_mN6thrust23THRUST_200600_302600_NS6detail15normal_iteratorINSA_10device_ptrIsEEEEPS6_SG_NS0_5tupleIJSF_S6_EEENSH_IJSG_SG_EEES6_PlJ7is_evenIsEEEE10hipError_tPvRmT3_T4_T5_T6_T7_T9_mT8_P12ihipStream_tbDpT10_ENKUlT_T0_E_clISt17integral_constantIbLb1EES16_EEDaS11_S12_EUlS11_E_NS1_11comp_targetILNS1_3genE0ELNS1_11target_archE4294967295ELNS1_3gpuE0ELNS1_3repE0EEENS1_30default_config_static_selectorELNS0_4arch9wavefront6targetE0EEEvT1_,"axG",@progbits,_ZN7rocprim17ROCPRIM_400000_NS6detail17trampoline_kernelINS0_14default_configENS1_25partition_config_selectorILNS1_17partition_subalgoE6EsNS0_10empty_typeEbEEZZNS1_14partition_implILS5_6ELb0ES3_mN6thrust23THRUST_200600_302600_NS6detail15normal_iteratorINSA_10device_ptrIsEEEEPS6_SG_NS0_5tupleIJSF_S6_EEENSH_IJSG_SG_EEES6_PlJ7is_evenIsEEEE10hipError_tPvRmT3_T4_T5_T6_T7_T9_mT8_P12ihipStream_tbDpT10_ENKUlT_T0_E_clISt17integral_constantIbLb1EES16_EEDaS11_S12_EUlS11_E_NS1_11comp_targetILNS1_3genE0ELNS1_11target_archE4294967295ELNS1_3gpuE0ELNS1_3repE0EEENS1_30default_config_static_selectorELNS0_4arch9wavefront6targetE0EEEvT1_,comdat
.Lfunc_end432:
	.size	_ZN7rocprim17ROCPRIM_400000_NS6detail17trampoline_kernelINS0_14default_configENS1_25partition_config_selectorILNS1_17partition_subalgoE6EsNS0_10empty_typeEbEEZZNS1_14partition_implILS5_6ELb0ES3_mN6thrust23THRUST_200600_302600_NS6detail15normal_iteratorINSA_10device_ptrIsEEEEPS6_SG_NS0_5tupleIJSF_S6_EEENSH_IJSG_SG_EEES6_PlJ7is_evenIsEEEE10hipError_tPvRmT3_T4_T5_T6_T7_T9_mT8_P12ihipStream_tbDpT10_ENKUlT_T0_E_clISt17integral_constantIbLb1EES16_EEDaS11_S12_EUlS11_E_NS1_11comp_targetILNS1_3genE0ELNS1_11target_archE4294967295ELNS1_3gpuE0ELNS1_3repE0EEENS1_30default_config_static_selectorELNS0_4arch9wavefront6targetE0EEEvT1_, .Lfunc_end432-_ZN7rocprim17ROCPRIM_400000_NS6detail17trampoline_kernelINS0_14default_configENS1_25partition_config_selectorILNS1_17partition_subalgoE6EsNS0_10empty_typeEbEEZZNS1_14partition_implILS5_6ELb0ES3_mN6thrust23THRUST_200600_302600_NS6detail15normal_iteratorINSA_10device_ptrIsEEEEPS6_SG_NS0_5tupleIJSF_S6_EEENSH_IJSG_SG_EEES6_PlJ7is_evenIsEEEE10hipError_tPvRmT3_T4_T5_T6_T7_T9_mT8_P12ihipStream_tbDpT10_ENKUlT_T0_E_clISt17integral_constantIbLb1EES16_EEDaS11_S12_EUlS11_E_NS1_11comp_targetILNS1_3genE0ELNS1_11target_archE4294967295ELNS1_3gpuE0ELNS1_3repE0EEENS1_30default_config_static_selectorELNS0_4arch9wavefront6targetE0EEEvT1_
                                        ; -- End function
	.section	.AMDGPU.csdata,"",@progbits
; Kernel info:
; codeLenInByte = 0
; NumSgprs: 0
; NumVgprs: 0
; ScratchSize: 0
; MemoryBound: 0
; FloatMode: 240
; IeeeMode: 1
; LDSByteSize: 0 bytes/workgroup (compile time only)
; SGPRBlocks: 0
; VGPRBlocks: 0
; NumSGPRsForWavesPerEU: 1
; NumVGPRsForWavesPerEU: 1
; Occupancy: 16
; WaveLimiterHint : 0
; COMPUTE_PGM_RSRC2:SCRATCH_EN: 0
; COMPUTE_PGM_RSRC2:USER_SGPR: 15
; COMPUTE_PGM_RSRC2:TRAP_HANDLER: 0
; COMPUTE_PGM_RSRC2:TGID_X_EN: 1
; COMPUTE_PGM_RSRC2:TGID_Y_EN: 0
; COMPUTE_PGM_RSRC2:TGID_Z_EN: 0
; COMPUTE_PGM_RSRC2:TIDIG_COMP_CNT: 0
	.section	.text._ZN7rocprim17ROCPRIM_400000_NS6detail17trampoline_kernelINS0_14default_configENS1_25partition_config_selectorILNS1_17partition_subalgoE6EsNS0_10empty_typeEbEEZZNS1_14partition_implILS5_6ELb0ES3_mN6thrust23THRUST_200600_302600_NS6detail15normal_iteratorINSA_10device_ptrIsEEEEPS6_SG_NS0_5tupleIJSF_S6_EEENSH_IJSG_SG_EEES6_PlJ7is_evenIsEEEE10hipError_tPvRmT3_T4_T5_T6_T7_T9_mT8_P12ihipStream_tbDpT10_ENKUlT_T0_E_clISt17integral_constantIbLb1EES16_EEDaS11_S12_EUlS11_E_NS1_11comp_targetILNS1_3genE5ELNS1_11target_archE942ELNS1_3gpuE9ELNS1_3repE0EEENS1_30default_config_static_selectorELNS0_4arch9wavefront6targetE0EEEvT1_,"axG",@progbits,_ZN7rocprim17ROCPRIM_400000_NS6detail17trampoline_kernelINS0_14default_configENS1_25partition_config_selectorILNS1_17partition_subalgoE6EsNS0_10empty_typeEbEEZZNS1_14partition_implILS5_6ELb0ES3_mN6thrust23THRUST_200600_302600_NS6detail15normal_iteratorINSA_10device_ptrIsEEEEPS6_SG_NS0_5tupleIJSF_S6_EEENSH_IJSG_SG_EEES6_PlJ7is_evenIsEEEE10hipError_tPvRmT3_T4_T5_T6_T7_T9_mT8_P12ihipStream_tbDpT10_ENKUlT_T0_E_clISt17integral_constantIbLb1EES16_EEDaS11_S12_EUlS11_E_NS1_11comp_targetILNS1_3genE5ELNS1_11target_archE942ELNS1_3gpuE9ELNS1_3repE0EEENS1_30default_config_static_selectorELNS0_4arch9wavefront6targetE0EEEvT1_,comdat
	.protected	_ZN7rocprim17ROCPRIM_400000_NS6detail17trampoline_kernelINS0_14default_configENS1_25partition_config_selectorILNS1_17partition_subalgoE6EsNS0_10empty_typeEbEEZZNS1_14partition_implILS5_6ELb0ES3_mN6thrust23THRUST_200600_302600_NS6detail15normal_iteratorINSA_10device_ptrIsEEEEPS6_SG_NS0_5tupleIJSF_S6_EEENSH_IJSG_SG_EEES6_PlJ7is_evenIsEEEE10hipError_tPvRmT3_T4_T5_T6_T7_T9_mT8_P12ihipStream_tbDpT10_ENKUlT_T0_E_clISt17integral_constantIbLb1EES16_EEDaS11_S12_EUlS11_E_NS1_11comp_targetILNS1_3genE5ELNS1_11target_archE942ELNS1_3gpuE9ELNS1_3repE0EEENS1_30default_config_static_selectorELNS0_4arch9wavefront6targetE0EEEvT1_ ; -- Begin function _ZN7rocprim17ROCPRIM_400000_NS6detail17trampoline_kernelINS0_14default_configENS1_25partition_config_selectorILNS1_17partition_subalgoE6EsNS0_10empty_typeEbEEZZNS1_14partition_implILS5_6ELb0ES3_mN6thrust23THRUST_200600_302600_NS6detail15normal_iteratorINSA_10device_ptrIsEEEEPS6_SG_NS0_5tupleIJSF_S6_EEENSH_IJSG_SG_EEES6_PlJ7is_evenIsEEEE10hipError_tPvRmT3_T4_T5_T6_T7_T9_mT8_P12ihipStream_tbDpT10_ENKUlT_T0_E_clISt17integral_constantIbLb1EES16_EEDaS11_S12_EUlS11_E_NS1_11comp_targetILNS1_3genE5ELNS1_11target_archE942ELNS1_3gpuE9ELNS1_3repE0EEENS1_30default_config_static_selectorELNS0_4arch9wavefront6targetE0EEEvT1_
	.globl	_ZN7rocprim17ROCPRIM_400000_NS6detail17trampoline_kernelINS0_14default_configENS1_25partition_config_selectorILNS1_17partition_subalgoE6EsNS0_10empty_typeEbEEZZNS1_14partition_implILS5_6ELb0ES3_mN6thrust23THRUST_200600_302600_NS6detail15normal_iteratorINSA_10device_ptrIsEEEEPS6_SG_NS0_5tupleIJSF_S6_EEENSH_IJSG_SG_EEES6_PlJ7is_evenIsEEEE10hipError_tPvRmT3_T4_T5_T6_T7_T9_mT8_P12ihipStream_tbDpT10_ENKUlT_T0_E_clISt17integral_constantIbLb1EES16_EEDaS11_S12_EUlS11_E_NS1_11comp_targetILNS1_3genE5ELNS1_11target_archE942ELNS1_3gpuE9ELNS1_3repE0EEENS1_30default_config_static_selectorELNS0_4arch9wavefront6targetE0EEEvT1_
	.p2align	8
	.type	_ZN7rocprim17ROCPRIM_400000_NS6detail17trampoline_kernelINS0_14default_configENS1_25partition_config_selectorILNS1_17partition_subalgoE6EsNS0_10empty_typeEbEEZZNS1_14partition_implILS5_6ELb0ES3_mN6thrust23THRUST_200600_302600_NS6detail15normal_iteratorINSA_10device_ptrIsEEEEPS6_SG_NS0_5tupleIJSF_S6_EEENSH_IJSG_SG_EEES6_PlJ7is_evenIsEEEE10hipError_tPvRmT3_T4_T5_T6_T7_T9_mT8_P12ihipStream_tbDpT10_ENKUlT_T0_E_clISt17integral_constantIbLb1EES16_EEDaS11_S12_EUlS11_E_NS1_11comp_targetILNS1_3genE5ELNS1_11target_archE942ELNS1_3gpuE9ELNS1_3repE0EEENS1_30default_config_static_selectorELNS0_4arch9wavefront6targetE0EEEvT1_,@function
_ZN7rocprim17ROCPRIM_400000_NS6detail17trampoline_kernelINS0_14default_configENS1_25partition_config_selectorILNS1_17partition_subalgoE6EsNS0_10empty_typeEbEEZZNS1_14partition_implILS5_6ELb0ES3_mN6thrust23THRUST_200600_302600_NS6detail15normal_iteratorINSA_10device_ptrIsEEEEPS6_SG_NS0_5tupleIJSF_S6_EEENSH_IJSG_SG_EEES6_PlJ7is_evenIsEEEE10hipError_tPvRmT3_T4_T5_T6_T7_T9_mT8_P12ihipStream_tbDpT10_ENKUlT_T0_E_clISt17integral_constantIbLb1EES16_EEDaS11_S12_EUlS11_E_NS1_11comp_targetILNS1_3genE5ELNS1_11target_archE942ELNS1_3gpuE9ELNS1_3repE0EEENS1_30default_config_static_selectorELNS0_4arch9wavefront6targetE0EEEvT1_: ; @_ZN7rocprim17ROCPRIM_400000_NS6detail17trampoline_kernelINS0_14default_configENS1_25partition_config_selectorILNS1_17partition_subalgoE6EsNS0_10empty_typeEbEEZZNS1_14partition_implILS5_6ELb0ES3_mN6thrust23THRUST_200600_302600_NS6detail15normal_iteratorINSA_10device_ptrIsEEEEPS6_SG_NS0_5tupleIJSF_S6_EEENSH_IJSG_SG_EEES6_PlJ7is_evenIsEEEE10hipError_tPvRmT3_T4_T5_T6_T7_T9_mT8_P12ihipStream_tbDpT10_ENKUlT_T0_E_clISt17integral_constantIbLb1EES16_EEDaS11_S12_EUlS11_E_NS1_11comp_targetILNS1_3genE5ELNS1_11target_archE942ELNS1_3gpuE9ELNS1_3repE0EEENS1_30default_config_static_selectorELNS0_4arch9wavefront6targetE0EEEvT1_
; %bb.0:
	.section	.rodata,"a",@progbits
	.p2align	6, 0x0
	.amdhsa_kernel _ZN7rocprim17ROCPRIM_400000_NS6detail17trampoline_kernelINS0_14default_configENS1_25partition_config_selectorILNS1_17partition_subalgoE6EsNS0_10empty_typeEbEEZZNS1_14partition_implILS5_6ELb0ES3_mN6thrust23THRUST_200600_302600_NS6detail15normal_iteratorINSA_10device_ptrIsEEEEPS6_SG_NS0_5tupleIJSF_S6_EEENSH_IJSG_SG_EEES6_PlJ7is_evenIsEEEE10hipError_tPvRmT3_T4_T5_T6_T7_T9_mT8_P12ihipStream_tbDpT10_ENKUlT_T0_E_clISt17integral_constantIbLb1EES16_EEDaS11_S12_EUlS11_E_NS1_11comp_targetILNS1_3genE5ELNS1_11target_archE942ELNS1_3gpuE9ELNS1_3repE0EEENS1_30default_config_static_selectorELNS0_4arch9wavefront6targetE0EEEvT1_
		.amdhsa_group_segment_fixed_size 0
		.amdhsa_private_segment_fixed_size 0
		.amdhsa_kernarg_size 128
		.amdhsa_user_sgpr_count 15
		.amdhsa_user_sgpr_dispatch_ptr 0
		.amdhsa_user_sgpr_queue_ptr 0
		.amdhsa_user_sgpr_kernarg_segment_ptr 1
		.amdhsa_user_sgpr_dispatch_id 0
		.amdhsa_user_sgpr_private_segment_size 0
		.amdhsa_wavefront_size32 1
		.amdhsa_uses_dynamic_stack 0
		.amdhsa_enable_private_segment 0
		.amdhsa_system_sgpr_workgroup_id_x 1
		.amdhsa_system_sgpr_workgroup_id_y 0
		.amdhsa_system_sgpr_workgroup_id_z 0
		.amdhsa_system_sgpr_workgroup_info 0
		.amdhsa_system_vgpr_workitem_id 0
		.amdhsa_next_free_vgpr 1
		.amdhsa_next_free_sgpr 1
		.amdhsa_reserve_vcc 0
		.amdhsa_float_round_mode_32 0
		.amdhsa_float_round_mode_16_64 0
		.amdhsa_float_denorm_mode_32 3
		.amdhsa_float_denorm_mode_16_64 3
		.amdhsa_dx10_clamp 1
		.amdhsa_ieee_mode 1
		.amdhsa_fp16_overflow 0
		.amdhsa_workgroup_processor_mode 1
		.amdhsa_memory_ordered 1
		.amdhsa_forward_progress 0
		.amdhsa_shared_vgpr_count 0
		.amdhsa_exception_fp_ieee_invalid_op 0
		.amdhsa_exception_fp_denorm_src 0
		.amdhsa_exception_fp_ieee_div_zero 0
		.amdhsa_exception_fp_ieee_overflow 0
		.amdhsa_exception_fp_ieee_underflow 0
		.amdhsa_exception_fp_ieee_inexact 0
		.amdhsa_exception_int_div_zero 0
	.end_amdhsa_kernel
	.section	.text._ZN7rocprim17ROCPRIM_400000_NS6detail17trampoline_kernelINS0_14default_configENS1_25partition_config_selectorILNS1_17partition_subalgoE6EsNS0_10empty_typeEbEEZZNS1_14partition_implILS5_6ELb0ES3_mN6thrust23THRUST_200600_302600_NS6detail15normal_iteratorINSA_10device_ptrIsEEEEPS6_SG_NS0_5tupleIJSF_S6_EEENSH_IJSG_SG_EEES6_PlJ7is_evenIsEEEE10hipError_tPvRmT3_T4_T5_T6_T7_T9_mT8_P12ihipStream_tbDpT10_ENKUlT_T0_E_clISt17integral_constantIbLb1EES16_EEDaS11_S12_EUlS11_E_NS1_11comp_targetILNS1_3genE5ELNS1_11target_archE942ELNS1_3gpuE9ELNS1_3repE0EEENS1_30default_config_static_selectorELNS0_4arch9wavefront6targetE0EEEvT1_,"axG",@progbits,_ZN7rocprim17ROCPRIM_400000_NS6detail17trampoline_kernelINS0_14default_configENS1_25partition_config_selectorILNS1_17partition_subalgoE6EsNS0_10empty_typeEbEEZZNS1_14partition_implILS5_6ELb0ES3_mN6thrust23THRUST_200600_302600_NS6detail15normal_iteratorINSA_10device_ptrIsEEEEPS6_SG_NS0_5tupleIJSF_S6_EEENSH_IJSG_SG_EEES6_PlJ7is_evenIsEEEE10hipError_tPvRmT3_T4_T5_T6_T7_T9_mT8_P12ihipStream_tbDpT10_ENKUlT_T0_E_clISt17integral_constantIbLb1EES16_EEDaS11_S12_EUlS11_E_NS1_11comp_targetILNS1_3genE5ELNS1_11target_archE942ELNS1_3gpuE9ELNS1_3repE0EEENS1_30default_config_static_selectorELNS0_4arch9wavefront6targetE0EEEvT1_,comdat
.Lfunc_end433:
	.size	_ZN7rocprim17ROCPRIM_400000_NS6detail17trampoline_kernelINS0_14default_configENS1_25partition_config_selectorILNS1_17partition_subalgoE6EsNS0_10empty_typeEbEEZZNS1_14partition_implILS5_6ELb0ES3_mN6thrust23THRUST_200600_302600_NS6detail15normal_iteratorINSA_10device_ptrIsEEEEPS6_SG_NS0_5tupleIJSF_S6_EEENSH_IJSG_SG_EEES6_PlJ7is_evenIsEEEE10hipError_tPvRmT3_T4_T5_T6_T7_T9_mT8_P12ihipStream_tbDpT10_ENKUlT_T0_E_clISt17integral_constantIbLb1EES16_EEDaS11_S12_EUlS11_E_NS1_11comp_targetILNS1_3genE5ELNS1_11target_archE942ELNS1_3gpuE9ELNS1_3repE0EEENS1_30default_config_static_selectorELNS0_4arch9wavefront6targetE0EEEvT1_, .Lfunc_end433-_ZN7rocprim17ROCPRIM_400000_NS6detail17trampoline_kernelINS0_14default_configENS1_25partition_config_selectorILNS1_17partition_subalgoE6EsNS0_10empty_typeEbEEZZNS1_14partition_implILS5_6ELb0ES3_mN6thrust23THRUST_200600_302600_NS6detail15normal_iteratorINSA_10device_ptrIsEEEEPS6_SG_NS0_5tupleIJSF_S6_EEENSH_IJSG_SG_EEES6_PlJ7is_evenIsEEEE10hipError_tPvRmT3_T4_T5_T6_T7_T9_mT8_P12ihipStream_tbDpT10_ENKUlT_T0_E_clISt17integral_constantIbLb1EES16_EEDaS11_S12_EUlS11_E_NS1_11comp_targetILNS1_3genE5ELNS1_11target_archE942ELNS1_3gpuE9ELNS1_3repE0EEENS1_30default_config_static_selectorELNS0_4arch9wavefront6targetE0EEEvT1_
                                        ; -- End function
	.section	.AMDGPU.csdata,"",@progbits
; Kernel info:
; codeLenInByte = 0
; NumSgprs: 0
; NumVgprs: 0
; ScratchSize: 0
; MemoryBound: 0
; FloatMode: 240
; IeeeMode: 1
; LDSByteSize: 0 bytes/workgroup (compile time only)
; SGPRBlocks: 0
; VGPRBlocks: 0
; NumSGPRsForWavesPerEU: 1
; NumVGPRsForWavesPerEU: 1
; Occupancy: 16
; WaveLimiterHint : 0
; COMPUTE_PGM_RSRC2:SCRATCH_EN: 0
; COMPUTE_PGM_RSRC2:USER_SGPR: 15
; COMPUTE_PGM_RSRC2:TRAP_HANDLER: 0
; COMPUTE_PGM_RSRC2:TGID_X_EN: 1
; COMPUTE_PGM_RSRC2:TGID_Y_EN: 0
; COMPUTE_PGM_RSRC2:TGID_Z_EN: 0
; COMPUTE_PGM_RSRC2:TIDIG_COMP_CNT: 0
	.section	.text._ZN7rocprim17ROCPRIM_400000_NS6detail17trampoline_kernelINS0_14default_configENS1_25partition_config_selectorILNS1_17partition_subalgoE6EsNS0_10empty_typeEbEEZZNS1_14partition_implILS5_6ELb0ES3_mN6thrust23THRUST_200600_302600_NS6detail15normal_iteratorINSA_10device_ptrIsEEEEPS6_SG_NS0_5tupleIJSF_S6_EEENSH_IJSG_SG_EEES6_PlJ7is_evenIsEEEE10hipError_tPvRmT3_T4_T5_T6_T7_T9_mT8_P12ihipStream_tbDpT10_ENKUlT_T0_E_clISt17integral_constantIbLb1EES16_EEDaS11_S12_EUlS11_E_NS1_11comp_targetILNS1_3genE4ELNS1_11target_archE910ELNS1_3gpuE8ELNS1_3repE0EEENS1_30default_config_static_selectorELNS0_4arch9wavefront6targetE0EEEvT1_,"axG",@progbits,_ZN7rocprim17ROCPRIM_400000_NS6detail17trampoline_kernelINS0_14default_configENS1_25partition_config_selectorILNS1_17partition_subalgoE6EsNS0_10empty_typeEbEEZZNS1_14partition_implILS5_6ELb0ES3_mN6thrust23THRUST_200600_302600_NS6detail15normal_iteratorINSA_10device_ptrIsEEEEPS6_SG_NS0_5tupleIJSF_S6_EEENSH_IJSG_SG_EEES6_PlJ7is_evenIsEEEE10hipError_tPvRmT3_T4_T5_T6_T7_T9_mT8_P12ihipStream_tbDpT10_ENKUlT_T0_E_clISt17integral_constantIbLb1EES16_EEDaS11_S12_EUlS11_E_NS1_11comp_targetILNS1_3genE4ELNS1_11target_archE910ELNS1_3gpuE8ELNS1_3repE0EEENS1_30default_config_static_selectorELNS0_4arch9wavefront6targetE0EEEvT1_,comdat
	.protected	_ZN7rocprim17ROCPRIM_400000_NS6detail17trampoline_kernelINS0_14default_configENS1_25partition_config_selectorILNS1_17partition_subalgoE6EsNS0_10empty_typeEbEEZZNS1_14partition_implILS5_6ELb0ES3_mN6thrust23THRUST_200600_302600_NS6detail15normal_iteratorINSA_10device_ptrIsEEEEPS6_SG_NS0_5tupleIJSF_S6_EEENSH_IJSG_SG_EEES6_PlJ7is_evenIsEEEE10hipError_tPvRmT3_T4_T5_T6_T7_T9_mT8_P12ihipStream_tbDpT10_ENKUlT_T0_E_clISt17integral_constantIbLb1EES16_EEDaS11_S12_EUlS11_E_NS1_11comp_targetILNS1_3genE4ELNS1_11target_archE910ELNS1_3gpuE8ELNS1_3repE0EEENS1_30default_config_static_selectorELNS0_4arch9wavefront6targetE0EEEvT1_ ; -- Begin function _ZN7rocprim17ROCPRIM_400000_NS6detail17trampoline_kernelINS0_14default_configENS1_25partition_config_selectorILNS1_17partition_subalgoE6EsNS0_10empty_typeEbEEZZNS1_14partition_implILS5_6ELb0ES3_mN6thrust23THRUST_200600_302600_NS6detail15normal_iteratorINSA_10device_ptrIsEEEEPS6_SG_NS0_5tupleIJSF_S6_EEENSH_IJSG_SG_EEES6_PlJ7is_evenIsEEEE10hipError_tPvRmT3_T4_T5_T6_T7_T9_mT8_P12ihipStream_tbDpT10_ENKUlT_T0_E_clISt17integral_constantIbLb1EES16_EEDaS11_S12_EUlS11_E_NS1_11comp_targetILNS1_3genE4ELNS1_11target_archE910ELNS1_3gpuE8ELNS1_3repE0EEENS1_30default_config_static_selectorELNS0_4arch9wavefront6targetE0EEEvT1_
	.globl	_ZN7rocprim17ROCPRIM_400000_NS6detail17trampoline_kernelINS0_14default_configENS1_25partition_config_selectorILNS1_17partition_subalgoE6EsNS0_10empty_typeEbEEZZNS1_14partition_implILS5_6ELb0ES3_mN6thrust23THRUST_200600_302600_NS6detail15normal_iteratorINSA_10device_ptrIsEEEEPS6_SG_NS0_5tupleIJSF_S6_EEENSH_IJSG_SG_EEES6_PlJ7is_evenIsEEEE10hipError_tPvRmT3_T4_T5_T6_T7_T9_mT8_P12ihipStream_tbDpT10_ENKUlT_T0_E_clISt17integral_constantIbLb1EES16_EEDaS11_S12_EUlS11_E_NS1_11comp_targetILNS1_3genE4ELNS1_11target_archE910ELNS1_3gpuE8ELNS1_3repE0EEENS1_30default_config_static_selectorELNS0_4arch9wavefront6targetE0EEEvT1_
	.p2align	8
	.type	_ZN7rocprim17ROCPRIM_400000_NS6detail17trampoline_kernelINS0_14default_configENS1_25partition_config_selectorILNS1_17partition_subalgoE6EsNS0_10empty_typeEbEEZZNS1_14partition_implILS5_6ELb0ES3_mN6thrust23THRUST_200600_302600_NS6detail15normal_iteratorINSA_10device_ptrIsEEEEPS6_SG_NS0_5tupleIJSF_S6_EEENSH_IJSG_SG_EEES6_PlJ7is_evenIsEEEE10hipError_tPvRmT3_T4_T5_T6_T7_T9_mT8_P12ihipStream_tbDpT10_ENKUlT_T0_E_clISt17integral_constantIbLb1EES16_EEDaS11_S12_EUlS11_E_NS1_11comp_targetILNS1_3genE4ELNS1_11target_archE910ELNS1_3gpuE8ELNS1_3repE0EEENS1_30default_config_static_selectorELNS0_4arch9wavefront6targetE0EEEvT1_,@function
_ZN7rocprim17ROCPRIM_400000_NS6detail17trampoline_kernelINS0_14default_configENS1_25partition_config_selectorILNS1_17partition_subalgoE6EsNS0_10empty_typeEbEEZZNS1_14partition_implILS5_6ELb0ES3_mN6thrust23THRUST_200600_302600_NS6detail15normal_iteratorINSA_10device_ptrIsEEEEPS6_SG_NS0_5tupleIJSF_S6_EEENSH_IJSG_SG_EEES6_PlJ7is_evenIsEEEE10hipError_tPvRmT3_T4_T5_T6_T7_T9_mT8_P12ihipStream_tbDpT10_ENKUlT_T0_E_clISt17integral_constantIbLb1EES16_EEDaS11_S12_EUlS11_E_NS1_11comp_targetILNS1_3genE4ELNS1_11target_archE910ELNS1_3gpuE8ELNS1_3repE0EEENS1_30default_config_static_selectorELNS0_4arch9wavefront6targetE0EEEvT1_: ; @_ZN7rocprim17ROCPRIM_400000_NS6detail17trampoline_kernelINS0_14default_configENS1_25partition_config_selectorILNS1_17partition_subalgoE6EsNS0_10empty_typeEbEEZZNS1_14partition_implILS5_6ELb0ES3_mN6thrust23THRUST_200600_302600_NS6detail15normal_iteratorINSA_10device_ptrIsEEEEPS6_SG_NS0_5tupleIJSF_S6_EEENSH_IJSG_SG_EEES6_PlJ7is_evenIsEEEE10hipError_tPvRmT3_T4_T5_T6_T7_T9_mT8_P12ihipStream_tbDpT10_ENKUlT_T0_E_clISt17integral_constantIbLb1EES16_EEDaS11_S12_EUlS11_E_NS1_11comp_targetILNS1_3genE4ELNS1_11target_archE910ELNS1_3gpuE8ELNS1_3repE0EEENS1_30default_config_static_selectorELNS0_4arch9wavefront6targetE0EEEvT1_
; %bb.0:
	.section	.rodata,"a",@progbits
	.p2align	6, 0x0
	.amdhsa_kernel _ZN7rocprim17ROCPRIM_400000_NS6detail17trampoline_kernelINS0_14default_configENS1_25partition_config_selectorILNS1_17partition_subalgoE6EsNS0_10empty_typeEbEEZZNS1_14partition_implILS5_6ELb0ES3_mN6thrust23THRUST_200600_302600_NS6detail15normal_iteratorINSA_10device_ptrIsEEEEPS6_SG_NS0_5tupleIJSF_S6_EEENSH_IJSG_SG_EEES6_PlJ7is_evenIsEEEE10hipError_tPvRmT3_T4_T5_T6_T7_T9_mT8_P12ihipStream_tbDpT10_ENKUlT_T0_E_clISt17integral_constantIbLb1EES16_EEDaS11_S12_EUlS11_E_NS1_11comp_targetILNS1_3genE4ELNS1_11target_archE910ELNS1_3gpuE8ELNS1_3repE0EEENS1_30default_config_static_selectorELNS0_4arch9wavefront6targetE0EEEvT1_
		.amdhsa_group_segment_fixed_size 0
		.amdhsa_private_segment_fixed_size 0
		.amdhsa_kernarg_size 128
		.amdhsa_user_sgpr_count 15
		.amdhsa_user_sgpr_dispatch_ptr 0
		.amdhsa_user_sgpr_queue_ptr 0
		.amdhsa_user_sgpr_kernarg_segment_ptr 1
		.amdhsa_user_sgpr_dispatch_id 0
		.amdhsa_user_sgpr_private_segment_size 0
		.amdhsa_wavefront_size32 1
		.amdhsa_uses_dynamic_stack 0
		.amdhsa_enable_private_segment 0
		.amdhsa_system_sgpr_workgroup_id_x 1
		.amdhsa_system_sgpr_workgroup_id_y 0
		.amdhsa_system_sgpr_workgroup_id_z 0
		.amdhsa_system_sgpr_workgroup_info 0
		.amdhsa_system_vgpr_workitem_id 0
		.amdhsa_next_free_vgpr 1
		.amdhsa_next_free_sgpr 1
		.amdhsa_reserve_vcc 0
		.amdhsa_float_round_mode_32 0
		.amdhsa_float_round_mode_16_64 0
		.amdhsa_float_denorm_mode_32 3
		.amdhsa_float_denorm_mode_16_64 3
		.amdhsa_dx10_clamp 1
		.amdhsa_ieee_mode 1
		.amdhsa_fp16_overflow 0
		.amdhsa_workgroup_processor_mode 1
		.amdhsa_memory_ordered 1
		.amdhsa_forward_progress 0
		.amdhsa_shared_vgpr_count 0
		.amdhsa_exception_fp_ieee_invalid_op 0
		.amdhsa_exception_fp_denorm_src 0
		.amdhsa_exception_fp_ieee_div_zero 0
		.amdhsa_exception_fp_ieee_overflow 0
		.amdhsa_exception_fp_ieee_underflow 0
		.amdhsa_exception_fp_ieee_inexact 0
		.amdhsa_exception_int_div_zero 0
	.end_amdhsa_kernel
	.section	.text._ZN7rocprim17ROCPRIM_400000_NS6detail17trampoline_kernelINS0_14default_configENS1_25partition_config_selectorILNS1_17partition_subalgoE6EsNS0_10empty_typeEbEEZZNS1_14partition_implILS5_6ELb0ES3_mN6thrust23THRUST_200600_302600_NS6detail15normal_iteratorINSA_10device_ptrIsEEEEPS6_SG_NS0_5tupleIJSF_S6_EEENSH_IJSG_SG_EEES6_PlJ7is_evenIsEEEE10hipError_tPvRmT3_T4_T5_T6_T7_T9_mT8_P12ihipStream_tbDpT10_ENKUlT_T0_E_clISt17integral_constantIbLb1EES16_EEDaS11_S12_EUlS11_E_NS1_11comp_targetILNS1_3genE4ELNS1_11target_archE910ELNS1_3gpuE8ELNS1_3repE0EEENS1_30default_config_static_selectorELNS0_4arch9wavefront6targetE0EEEvT1_,"axG",@progbits,_ZN7rocprim17ROCPRIM_400000_NS6detail17trampoline_kernelINS0_14default_configENS1_25partition_config_selectorILNS1_17partition_subalgoE6EsNS0_10empty_typeEbEEZZNS1_14partition_implILS5_6ELb0ES3_mN6thrust23THRUST_200600_302600_NS6detail15normal_iteratorINSA_10device_ptrIsEEEEPS6_SG_NS0_5tupleIJSF_S6_EEENSH_IJSG_SG_EEES6_PlJ7is_evenIsEEEE10hipError_tPvRmT3_T4_T5_T6_T7_T9_mT8_P12ihipStream_tbDpT10_ENKUlT_T0_E_clISt17integral_constantIbLb1EES16_EEDaS11_S12_EUlS11_E_NS1_11comp_targetILNS1_3genE4ELNS1_11target_archE910ELNS1_3gpuE8ELNS1_3repE0EEENS1_30default_config_static_selectorELNS0_4arch9wavefront6targetE0EEEvT1_,comdat
.Lfunc_end434:
	.size	_ZN7rocprim17ROCPRIM_400000_NS6detail17trampoline_kernelINS0_14default_configENS1_25partition_config_selectorILNS1_17partition_subalgoE6EsNS0_10empty_typeEbEEZZNS1_14partition_implILS5_6ELb0ES3_mN6thrust23THRUST_200600_302600_NS6detail15normal_iteratorINSA_10device_ptrIsEEEEPS6_SG_NS0_5tupleIJSF_S6_EEENSH_IJSG_SG_EEES6_PlJ7is_evenIsEEEE10hipError_tPvRmT3_T4_T5_T6_T7_T9_mT8_P12ihipStream_tbDpT10_ENKUlT_T0_E_clISt17integral_constantIbLb1EES16_EEDaS11_S12_EUlS11_E_NS1_11comp_targetILNS1_3genE4ELNS1_11target_archE910ELNS1_3gpuE8ELNS1_3repE0EEENS1_30default_config_static_selectorELNS0_4arch9wavefront6targetE0EEEvT1_, .Lfunc_end434-_ZN7rocprim17ROCPRIM_400000_NS6detail17trampoline_kernelINS0_14default_configENS1_25partition_config_selectorILNS1_17partition_subalgoE6EsNS0_10empty_typeEbEEZZNS1_14partition_implILS5_6ELb0ES3_mN6thrust23THRUST_200600_302600_NS6detail15normal_iteratorINSA_10device_ptrIsEEEEPS6_SG_NS0_5tupleIJSF_S6_EEENSH_IJSG_SG_EEES6_PlJ7is_evenIsEEEE10hipError_tPvRmT3_T4_T5_T6_T7_T9_mT8_P12ihipStream_tbDpT10_ENKUlT_T0_E_clISt17integral_constantIbLb1EES16_EEDaS11_S12_EUlS11_E_NS1_11comp_targetILNS1_3genE4ELNS1_11target_archE910ELNS1_3gpuE8ELNS1_3repE0EEENS1_30default_config_static_selectorELNS0_4arch9wavefront6targetE0EEEvT1_
                                        ; -- End function
	.section	.AMDGPU.csdata,"",@progbits
; Kernel info:
; codeLenInByte = 0
; NumSgprs: 0
; NumVgprs: 0
; ScratchSize: 0
; MemoryBound: 0
; FloatMode: 240
; IeeeMode: 1
; LDSByteSize: 0 bytes/workgroup (compile time only)
; SGPRBlocks: 0
; VGPRBlocks: 0
; NumSGPRsForWavesPerEU: 1
; NumVGPRsForWavesPerEU: 1
; Occupancy: 16
; WaveLimiterHint : 0
; COMPUTE_PGM_RSRC2:SCRATCH_EN: 0
; COMPUTE_PGM_RSRC2:USER_SGPR: 15
; COMPUTE_PGM_RSRC2:TRAP_HANDLER: 0
; COMPUTE_PGM_RSRC2:TGID_X_EN: 1
; COMPUTE_PGM_RSRC2:TGID_Y_EN: 0
; COMPUTE_PGM_RSRC2:TGID_Z_EN: 0
; COMPUTE_PGM_RSRC2:TIDIG_COMP_CNT: 0
	.section	.text._ZN7rocprim17ROCPRIM_400000_NS6detail17trampoline_kernelINS0_14default_configENS1_25partition_config_selectorILNS1_17partition_subalgoE6EsNS0_10empty_typeEbEEZZNS1_14partition_implILS5_6ELb0ES3_mN6thrust23THRUST_200600_302600_NS6detail15normal_iteratorINSA_10device_ptrIsEEEEPS6_SG_NS0_5tupleIJSF_S6_EEENSH_IJSG_SG_EEES6_PlJ7is_evenIsEEEE10hipError_tPvRmT3_T4_T5_T6_T7_T9_mT8_P12ihipStream_tbDpT10_ENKUlT_T0_E_clISt17integral_constantIbLb1EES16_EEDaS11_S12_EUlS11_E_NS1_11comp_targetILNS1_3genE3ELNS1_11target_archE908ELNS1_3gpuE7ELNS1_3repE0EEENS1_30default_config_static_selectorELNS0_4arch9wavefront6targetE0EEEvT1_,"axG",@progbits,_ZN7rocprim17ROCPRIM_400000_NS6detail17trampoline_kernelINS0_14default_configENS1_25partition_config_selectorILNS1_17partition_subalgoE6EsNS0_10empty_typeEbEEZZNS1_14partition_implILS5_6ELb0ES3_mN6thrust23THRUST_200600_302600_NS6detail15normal_iteratorINSA_10device_ptrIsEEEEPS6_SG_NS0_5tupleIJSF_S6_EEENSH_IJSG_SG_EEES6_PlJ7is_evenIsEEEE10hipError_tPvRmT3_T4_T5_T6_T7_T9_mT8_P12ihipStream_tbDpT10_ENKUlT_T0_E_clISt17integral_constantIbLb1EES16_EEDaS11_S12_EUlS11_E_NS1_11comp_targetILNS1_3genE3ELNS1_11target_archE908ELNS1_3gpuE7ELNS1_3repE0EEENS1_30default_config_static_selectorELNS0_4arch9wavefront6targetE0EEEvT1_,comdat
	.protected	_ZN7rocprim17ROCPRIM_400000_NS6detail17trampoline_kernelINS0_14default_configENS1_25partition_config_selectorILNS1_17partition_subalgoE6EsNS0_10empty_typeEbEEZZNS1_14partition_implILS5_6ELb0ES3_mN6thrust23THRUST_200600_302600_NS6detail15normal_iteratorINSA_10device_ptrIsEEEEPS6_SG_NS0_5tupleIJSF_S6_EEENSH_IJSG_SG_EEES6_PlJ7is_evenIsEEEE10hipError_tPvRmT3_T4_T5_T6_T7_T9_mT8_P12ihipStream_tbDpT10_ENKUlT_T0_E_clISt17integral_constantIbLb1EES16_EEDaS11_S12_EUlS11_E_NS1_11comp_targetILNS1_3genE3ELNS1_11target_archE908ELNS1_3gpuE7ELNS1_3repE0EEENS1_30default_config_static_selectorELNS0_4arch9wavefront6targetE0EEEvT1_ ; -- Begin function _ZN7rocprim17ROCPRIM_400000_NS6detail17trampoline_kernelINS0_14default_configENS1_25partition_config_selectorILNS1_17partition_subalgoE6EsNS0_10empty_typeEbEEZZNS1_14partition_implILS5_6ELb0ES3_mN6thrust23THRUST_200600_302600_NS6detail15normal_iteratorINSA_10device_ptrIsEEEEPS6_SG_NS0_5tupleIJSF_S6_EEENSH_IJSG_SG_EEES6_PlJ7is_evenIsEEEE10hipError_tPvRmT3_T4_T5_T6_T7_T9_mT8_P12ihipStream_tbDpT10_ENKUlT_T0_E_clISt17integral_constantIbLb1EES16_EEDaS11_S12_EUlS11_E_NS1_11comp_targetILNS1_3genE3ELNS1_11target_archE908ELNS1_3gpuE7ELNS1_3repE0EEENS1_30default_config_static_selectorELNS0_4arch9wavefront6targetE0EEEvT1_
	.globl	_ZN7rocprim17ROCPRIM_400000_NS6detail17trampoline_kernelINS0_14default_configENS1_25partition_config_selectorILNS1_17partition_subalgoE6EsNS0_10empty_typeEbEEZZNS1_14partition_implILS5_6ELb0ES3_mN6thrust23THRUST_200600_302600_NS6detail15normal_iteratorINSA_10device_ptrIsEEEEPS6_SG_NS0_5tupleIJSF_S6_EEENSH_IJSG_SG_EEES6_PlJ7is_evenIsEEEE10hipError_tPvRmT3_T4_T5_T6_T7_T9_mT8_P12ihipStream_tbDpT10_ENKUlT_T0_E_clISt17integral_constantIbLb1EES16_EEDaS11_S12_EUlS11_E_NS1_11comp_targetILNS1_3genE3ELNS1_11target_archE908ELNS1_3gpuE7ELNS1_3repE0EEENS1_30default_config_static_selectorELNS0_4arch9wavefront6targetE0EEEvT1_
	.p2align	8
	.type	_ZN7rocprim17ROCPRIM_400000_NS6detail17trampoline_kernelINS0_14default_configENS1_25partition_config_selectorILNS1_17partition_subalgoE6EsNS0_10empty_typeEbEEZZNS1_14partition_implILS5_6ELb0ES3_mN6thrust23THRUST_200600_302600_NS6detail15normal_iteratorINSA_10device_ptrIsEEEEPS6_SG_NS0_5tupleIJSF_S6_EEENSH_IJSG_SG_EEES6_PlJ7is_evenIsEEEE10hipError_tPvRmT3_T4_T5_T6_T7_T9_mT8_P12ihipStream_tbDpT10_ENKUlT_T0_E_clISt17integral_constantIbLb1EES16_EEDaS11_S12_EUlS11_E_NS1_11comp_targetILNS1_3genE3ELNS1_11target_archE908ELNS1_3gpuE7ELNS1_3repE0EEENS1_30default_config_static_selectorELNS0_4arch9wavefront6targetE0EEEvT1_,@function
_ZN7rocprim17ROCPRIM_400000_NS6detail17trampoline_kernelINS0_14default_configENS1_25partition_config_selectorILNS1_17partition_subalgoE6EsNS0_10empty_typeEbEEZZNS1_14partition_implILS5_6ELb0ES3_mN6thrust23THRUST_200600_302600_NS6detail15normal_iteratorINSA_10device_ptrIsEEEEPS6_SG_NS0_5tupleIJSF_S6_EEENSH_IJSG_SG_EEES6_PlJ7is_evenIsEEEE10hipError_tPvRmT3_T4_T5_T6_T7_T9_mT8_P12ihipStream_tbDpT10_ENKUlT_T0_E_clISt17integral_constantIbLb1EES16_EEDaS11_S12_EUlS11_E_NS1_11comp_targetILNS1_3genE3ELNS1_11target_archE908ELNS1_3gpuE7ELNS1_3repE0EEENS1_30default_config_static_selectorELNS0_4arch9wavefront6targetE0EEEvT1_: ; @_ZN7rocprim17ROCPRIM_400000_NS6detail17trampoline_kernelINS0_14default_configENS1_25partition_config_selectorILNS1_17partition_subalgoE6EsNS0_10empty_typeEbEEZZNS1_14partition_implILS5_6ELb0ES3_mN6thrust23THRUST_200600_302600_NS6detail15normal_iteratorINSA_10device_ptrIsEEEEPS6_SG_NS0_5tupleIJSF_S6_EEENSH_IJSG_SG_EEES6_PlJ7is_evenIsEEEE10hipError_tPvRmT3_T4_T5_T6_T7_T9_mT8_P12ihipStream_tbDpT10_ENKUlT_T0_E_clISt17integral_constantIbLb1EES16_EEDaS11_S12_EUlS11_E_NS1_11comp_targetILNS1_3genE3ELNS1_11target_archE908ELNS1_3gpuE7ELNS1_3repE0EEENS1_30default_config_static_selectorELNS0_4arch9wavefront6targetE0EEEvT1_
; %bb.0:
	.section	.rodata,"a",@progbits
	.p2align	6, 0x0
	.amdhsa_kernel _ZN7rocprim17ROCPRIM_400000_NS6detail17trampoline_kernelINS0_14default_configENS1_25partition_config_selectorILNS1_17partition_subalgoE6EsNS0_10empty_typeEbEEZZNS1_14partition_implILS5_6ELb0ES3_mN6thrust23THRUST_200600_302600_NS6detail15normal_iteratorINSA_10device_ptrIsEEEEPS6_SG_NS0_5tupleIJSF_S6_EEENSH_IJSG_SG_EEES6_PlJ7is_evenIsEEEE10hipError_tPvRmT3_T4_T5_T6_T7_T9_mT8_P12ihipStream_tbDpT10_ENKUlT_T0_E_clISt17integral_constantIbLb1EES16_EEDaS11_S12_EUlS11_E_NS1_11comp_targetILNS1_3genE3ELNS1_11target_archE908ELNS1_3gpuE7ELNS1_3repE0EEENS1_30default_config_static_selectorELNS0_4arch9wavefront6targetE0EEEvT1_
		.amdhsa_group_segment_fixed_size 0
		.amdhsa_private_segment_fixed_size 0
		.amdhsa_kernarg_size 128
		.amdhsa_user_sgpr_count 15
		.amdhsa_user_sgpr_dispatch_ptr 0
		.amdhsa_user_sgpr_queue_ptr 0
		.amdhsa_user_sgpr_kernarg_segment_ptr 1
		.amdhsa_user_sgpr_dispatch_id 0
		.amdhsa_user_sgpr_private_segment_size 0
		.amdhsa_wavefront_size32 1
		.amdhsa_uses_dynamic_stack 0
		.amdhsa_enable_private_segment 0
		.amdhsa_system_sgpr_workgroup_id_x 1
		.amdhsa_system_sgpr_workgroup_id_y 0
		.amdhsa_system_sgpr_workgroup_id_z 0
		.amdhsa_system_sgpr_workgroup_info 0
		.amdhsa_system_vgpr_workitem_id 0
		.amdhsa_next_free_vgpr 1
		.amdhsa_next_free_sgpr 1
		.amdhsa_reserve_vcc 0
		.amdhsa_float_round_mode_32 0
		.amdhsa_float_round_mode_16_64 0
		.amdhsa_float_denorm_mode_32 3
		.amdhsa_float_denorm_mode_16_64 3
		.amdhsa_dx10_clamp 1
		.amdhsa_ieee_mode 1
		.amdhsa_fp16_overflow 0
		.amdhsa_workgroup_processor_mode 1
		.amdhsa_memory_ordered 1
		.amdhsa_forward_progress 0
		.amdhsa_shared_vgpr_count 0
		.amdhsa_exception_fp_ieee_invalid_op 0
		.amdhsa_exception_fp_denorm_src 0
		.amdhsa_exception_fp_ieee_div_zero 0
		.amdhsa_exception_fp_ieee_overflow 0
		.amdhsa_exception_fp_ieee_underflow 0
		.amdhsa_exception_fp_ieee_inexact 0
		.amdhsa_exception_int_div_zero 0
	.end_amdhsa_kernel
	.section	.text._ZN7rocprim17ROCPRIM_400000_NS6detail17trampoline_kernelINS0_14default_configENS1_25partition_config_selectorILNS1_17partition_subalgoE6EsNS0_10empty_typeEbEEZZNS1_14partition_implILS5_6ELb0ES3_mN6thrust23THRUST_200600_302600_NS6detail15normal_iteratorINSA_10device_ptrIsEEEEPS6_SG_NS0_5tupleIJSF_S6_EEENSH_IJSG_SG_EEES6_PlJ7is_evenIsEEEE10hipError_tPvRmT3_T4_T5_T6_T7_T9_mT8_P12ihipStream_tbDpT10_ENKUlT_T0_E_clISt17integral_constantIbLb1EES16_EEDaS11_S12_EUlS11_E_NS1_11comp_targetILNS1_3genE3ELNS1_11target_archE908ELNS1_3gpuE7ELNS1_3repE0EEENS1_30default_config_static_selectorELNS0_4arch9wavefront6targetE0EEEvT1_,"axG",@progbits,_ZN7rocprim17ROCPRIM_400000_NS6detail17trampoline_kernelINS0_14default_configENS1_25partition_config_selectorILNS1_17partition_subalgoE6EsNS0_10empty_typeEbEEZZNS1_14partition_implILS5_6ELb0ES3_mN6thrust23THRUST_200600_302600_NS6detail15normal_iteratorINSA_10device_ptrIsEEEEPS6_SG_NS0_5tupleIJSF_S6_EEENSH_IJSG_SG_EEES6_PlJ7is_evenIsEEEE10hipError_tPvRmT3_T4_T5_T6_T7_T9_mT8_P12ihipStream_tbDpT10_ENKUlT_T0_E_clISt17integral_constantIbLb1EES16_EEDaS11_S12_EUlS11_E_NS1_11comp_targetILNS1_3genE3ELNS1_11target_archE908ELNS1_3gpuE7ELNS1_3repE0EEENS1_30default_config_static_selectorELNS0_4arch9wavefront6targetE0EEEvT1_,comdat
.Lfunc_end435:
	.size	_ZN7rocprim17ROCPRIM_400000_NS6detail17trampoline_kernelINS0_14default_configENS1_25partition_config_selectorILNS1_17partition_subalgoE6EsNS0_10empty_typeEbEEZZNS1_14partition_implILS5_6ELb0ES3_mN6thrust23THRUST_200600_302600_NS6detail15normal_iteratorINSA_10device_ptrIsEEEEPS6_SG_NS0_5tupleIJSF_S6_EEENSH_IJSG_SG_EEES6_PlJ7is_evenIsEEEE10hipError_tPvRmT3_T4_T5_T6_T7_T9_mT8_P12ihipStream_tbDpT10_ENKUlT_T0_E_clISt17integral_constantIbLb1EES16_EEDaS11_S12_EUlS11_E_NS1_11comp_targetILNS1_3genE3ELNS1_11target_archE908ELNS1_3gpuE7ELNS1_3repE0EEENS1_30default_config_static_selectorELNS0_4arch9wavefront6targetE0EEEvT1_, .Lfunc_end435-_ZN7rocprim17ROCPRIM_400000_NS6detail17trampoline_kernelINS0_14default_configENS1_25partition_config_selectorILNS1_17partition_subalgoE6EsNS0_10empty_typeEbEEZZNS1_14partition_implILS5_6ELb0ES3_mN6thrust23THRUST_200600_302600_NS6detail15normal_iteratorINSA_10device_ptrIsEEEEPS6_SG_NS0_5tupleIJSF_S6_EEENSH_IJSG_SG_EEES6_PlJ7is_evenIsEEEE10hipError_tPvRmT3_T4_T5_T6_T7_T9_mT8_P12ihipStream_tbDpT10_ENKUlT_T0_E_clISt17integral_constantIbLb1EES16_EEDaS11_S12_EUlS11_E_NS1_11comp_targetILNS1_3genE3ELNS1_11target_archE908ELNS1_3gpuE7ELNS1_3repE0EEENS1_30default_config_static_selectorELNS0_4arch9wavefront6targetE0EEEvT1_
                                        ; -- End function
	.section	.AMDGPU.csdata,"",@progbits
; Kernel info:
; codeLenInByte = 0
; NumSgprs: 0
; NumVgprs: 0
; ScratchSize: 0
; MemoryBound: 0
; FloatMode: 240
; IeeeMode: 1
; LDSByteSize: 0 bytes/workgroup (compile time only)
; SGPRBlocks: 0
; VGPRBlocks: 0
; NumSGPRsForWavesPerEU: 1
; NumVGPRsForWavesPerEU: 1
; Occupancy: 16
; WaveLimiterHint : 0
; COMPUTE_PGM_RSRC2:SCRATCH_EN: 0
; COMPUTE_PGM_RSRC2:USER_SGPR: 15
; COMPUTE_PGM_RSRC2:TRAP_HANDLER: 0
; COMPUTE_PGM_RSRC2:TGID_X_EN: 1
; COMPUTE_PGM_RSRC2:TGID_Y_EN: 0
; COMPUTE_PGM_RSRC2:TGID_Z_EN: 0
; COMPUTE_PGM_RSRC2:TIDIG_COMP_CNT: 0
	.section	.text._ZN7rocprim17ROCPRIM_400000_NS6detail17trampoline_kernelINS0_14default_configENS1_25partition_config_selectorILNS1_17partition_subalgoE6EsNS0_10empty_typeEbEEZZNS1_14partition_implILS5_6ELb0ES3_mN6thrust23THRUST_200600_302600_NS6detail15normal_iteratorINSA_10device_ptrIsEEEEPS6_SG_NS0_5tupleIJSF_S6_EEENSH_IJSG_SG_EEES6_PlJ7is_evenIsEEEE10hipError_tPvRmT3_T4_T5_T6_T7_T9_mT8_P12ihipStream_tbDpT10_ENKUlT_T0_E_clISt17integral_constantIbLb1EES16_EEDaS11_S12_EUlS11_E_NS1_11comp_targetILNS1_3genE2ELNS1_11target_archE906ELNS1_3gpuE6ELNS1_3repE0EEENS1_30default_config_static_selectorELNS0_4arch9wavefront6targetE0EEEvT1_,"axG",@progbits,_ZN7rocprim17ROCPRIM_400000_NS6detail17trampoline_kernelINS0_14default_configENS1_25partition_config_selectorILNS1_17partition_subalgoE6EsNS0_10empty_typeEbEEZZNS1_14partition_implILS5_6ELb0ES3_mN6thrust23THRUST_200600_302600_NS6detail15normal_iteratorINSA_10device_ptrIsEEEEPS6_SG_NS0_5tupleIJSF_S6_EEENSH_IJSG_SG_EEES6_PlJ7is_evenIsEEEE10hipError_tPvRmT3_T4_T5_T6_T7_T9_mT8_P12ihipStream_tbDpT10_ENKUlT_T0_E_clISt17integral_constantIbLb1EES16_EEDaS11_S12_EUlS11_E_NS1_11comp_targetILNS1_3genE2ELNS1_11target_archE906ELNS1_3gpuE6ELNS1_3repE0EEENS1_30default_config_static_selectorELNS0_4arch9wavefront6targetE0EEEvT1_,comdat
	.protected	_ZN7rocprim17ROCPRIM_400000_NS6detail17trampoline_kernelINS0_14default_configENS1_25partition_config_selectorILNS1_17partition_subalgoE6EsNS0_10empty_typeEbEEZZNS1_14partition_implILS5_6ELb0ES3_mN6thrust23THRUST_200600_302600_NS6detail15normal_iteratorINSA_10device_ptrIsEEEEPS6_SG_NS0_5tupleIJSF_S6_EEENSH_IJSG_SG_EEES6_PlJ7is_evenIsEEEE10hipError_tPvRmT3_T4_T5_T6_T7_T9_mT8_P12ihipStream_tbDpT10_ENKUlT_T0_E_clISt17integral_constantIbLb1EES16_EEDaS11_S12_EUlS11_E_NS1_11comp_targetILNS1_3genE2ELNS1_11target_archE906ELNS1_3gpuE6ELNS1_3repE0EEENS1_30default_config_static_selectorELNS0_4arch9wavefront6targetE0EEEvT1_ ; -- Begin function _ZN7rocprim17ROCPRIM_400000_NS6detail17trampoline_kernelINS0_14default_configENS1_25partition_config_selectorILNS1_17partition_subalgoE6EsNS0_10empty_typeEbEEZZNS1_14partition_implILS5_6ELb0ES3_mN6thrust23THRUST_200600_302600_NS6detail15normal_iteratorINSA_10device_ptrIsEEEEPS6_SG_NS0_5tupleIJSF_S6_EEENSH_IJSG_SG_EEES6_PlJ7is_evenIsEEEE10hipError_tPvRmT3_T4_T5_T6_T7_T9_mT8_P12ihipStream_tbDpT10_ENKUlT_T0_E_clISt17integral_constantIbLb1EES16_EEDaS11_S12_EUlS11_E_NS1_11comp_targetILNS1_3genE2ELNS1_11target_archE906ELNS1_3gpuE6ELNS1_3repE0EEENS1_30default_config_static_selectorELNS0_4arch9wavefront6targetE0EEEvT1_
	.globl	_ZN7rocprim17ROCPRIM_400000_NS6detail17trampoline_kernelINS0_14default_configENS1_25partition_config_selectorILNS1_17partition_subalgoE6EsNS0_10empty_typeEbEEZZNS1_14partition_implILS5_6ELb0ES3_mN6thrust23THRUST_200600_302600_NS6detail15normal_iteratorINSA_10device_ptrIsEEEEPS6_SG_NS0_5tupleIJSF_S6_EEENSH_IJSG_SG_EEES6_PlJ7is_evenIsEEEE10hipError_tPvRmT3_T4_T5_T6_T7_T9_mT8_P12ihipStream_tbDpT10_ENKUlT_T0_E_clISt17integral_constantIbLb1EES16_EEDaS11_S12_EUlS11_E_NS1_11comp_targetILNS1_3genE2ELNS1_11target_archE906ELNS1_3gpuE6ELNS1_3repE0EEENS1_30default_config_static_selectorELNS0_4arch9wavefront6targetE0EEEvT1_
	.p2align	8
	.type	_ZN7rocprim17ROCPRIM_400000_NS6detail17trampoline_kernelINS0_14default_configENS1_25partition_config_selectorILNS1_17partition_subalgoE6EsNS0_10empty_typeEbEEZZNS1_14partition_implILS5_6ELb0ES3_mN6thrust23THRUST_200600_302600_NS6detail15normal_iteratorINSA_10device_ptrIsEEEEPS6_SG_NS0_5tupleIJSF_S6_EEENSH_IJSG_SG_EEES6_PlJ7is_evenIsEEEE10hipError_tPvRmT3_T4_T5_T6_T7_T9_mT8_P12ihipStream_tbDpT10_ENKUlT_T0_E_clISt17integral_constantIbLb1EES16_EEDaS11_S12_EUlS11_E_NS1_11comp_targetILNS1_3genE2ELNS1_11target_archE906ELNS1_3gpuE6ELNS1_3repE0EEENS1_30default_config_static_selectorELNS0_4arch9wavefront6targetE0EEEvT1_,@function
_ZN7rocprim17ROCPRIM_400000_NS6detail17trampoline_kernelINS0_14default_configENS1_25partition_config_selectorILNS1_17partition_subalgoE6EsNS0_10empty_typeEbEEZZNS1_14partition_implILS5_6ELb0ES3_mN6thrust23THRUST_200600_302600_NS6detail15normal_iteratorINSA_10device_ptrIsEEEEPS6_SG_NS0_5tupleIJSF_S6_EEENSH_IJSG_SG_EEES6_PlJ7is_evenIsEEEE10hipError_tPvRmT3_T4_T5_T6_T7_T9_mT8_P12ihipStream_tbDpT10_ENKUlT_T0_E_clISt17integral_constantIbLb1EES16_EEDaS11_S12_EUlS11_E_NS1_11comp_targetILNS1_3genE2ELNS1_11target_archE906ELNS1_3gpuE6ELNS1_3repE0EEENS1_30default_config_static_selectorELNS0_4arch9wavefront6targetE0EEEvT1_: ; @_ZN7rocprim17ROCPRIM_400000_NS6detail17trampoline_kernelINS0_14default_configENS1_25partition_config_selectorILNS1_17partition_subalgoE6EsNS0_10empty_typeEbEEZZNS1_14partition_implILS5_6ELb0ES3_mN6thrust23THRUST_200600_302600_NS6detail15normal_iteratorINSA_10device_ptrIsEEEEPS6_SG_NS0_5tupleIJSF_S6_EEENSH_IJSG_SG_EEES6_PlJ7is_evenIsEEEE10hipError_tPvRmT3_T4_T5_T6_T7_T9_mT8_P12ihipStream_tbDpT10_ENKUlT_T0_E_clISt17integral_constantIbLb1EES16_EEDaS11_S12_EUlS11_E_NS1_11comp_targetILNS1_3genE2ELNS1_11target_archE906ELNS1_3gpuE6ELNS1_3repE0EEENS1_30default_config_static_selectorELNS0_4arch9wavefront6targetE0EEEvT1_
; %bb.0:
	.section	.rodata,"a",@progbits
	.p2align	6, 0x0
	.amdhsa_kernel _ZN7rocprim17ROCPRIM_400000_NS6detail17trampoline_kernelINS0_14default_configENS1_25partition_config_selectorILNS1_17partition_subalgoE6EsNS0_10empty_typeEbEEZZNS1_14partition_implILS5_6ELb0ES3_mN6thrust23THRUST_200600_302600_NS6detail15normal_iteratorINSA_10device_ptrIsEEEEPS6_SG_NS0_5tupleIJSF_S6_EEENSH_IJSG_SG_EEES6_PlJ7is_evenIsEEEE10hipError_tPvRmT3_T4_T5_T6_T7_T9_mT8_P12ihipStream_tbDpT10_ENKUlT_T0_E_clISt17integral_constantIbLb1EES16_EEDaS11_S12_EUlS11_E_NS1_11comp_targetILNS1_3genE2ELNS1_11target_archE906ELNS1_3gpuE6ELNS1_3repE0EEENS1_30default_config_static_selectorELNS0_4arch9wavefront6targetE0EEEvT1_
		.amdhsa_group_segment_fixed_size 0
		.amdhsa_private_segment_fixed_size 0
		.amdhsa_kernarg_size 128
		.amdhsa_user_sgpr_count 15
		.amdhsa_user_sgpr_dispatch_ptr 0
		.amdhsa_user_sgpr_queue_ptr 0
		.amdhsa_user_sgpr_kernarg_segment_ptr 1
		.amdhsa_user_sgpr_dispatch_id 0
		.amdhsa_user_sgpr_private_segment_size 0
		.amdhsa_wavefront_size32 1
		.amdhsa_uses_dynamic_stack 0
		.amdhsa_enable_private_segment 0
		.amdhsa_system_sgpr_workgroup_id_x 1
		.amdhsa_system_sgpr_workgroup_id_y 0
		.amdhsa_system_sgpr_workgroup_id_z 0
		.amdhsa_system_sgpr_workgroup_info 0
		.amdhsa_system_vgpr_workitem_id 0
		.amdhsa_next_free_vgpr 1
		.amdhsa_next_free_sgpr 1
		.amdhsa_reserve_vcc 0
		.amdhsa_float_round_mode_32 0
		.amdhsa_float_round_mode_16_64 0
		.amdhsa_float_denorm_mode_32 3
		.amdhsa_float_denorm_mode_16_64 3
		.amdhsa_dx10_clamp 1
		.amdhsa_ieee_mode 1
		.amdhsa_fp16_overflow 0
		.amdhsa_workgroup_processor_mode 1
		.amdhsa_memory_ordered 1
		.amdhsa_forward_progress 0
		.amdhsa_shared_vgpr_count 0
		.amdhsa_exception_fp_ieee_invalid_op 0
		.amdhsa_exception_fp_denorm_src 0
		.amdhsa_exception_fp_ieee_div_zero 0
		.amdhsa_exception_fp_ieee_overflow 0
		.amdhsa_exception_fp_ieee_underflow 0
		.amdhsa_exception_fp_ieee_inexact 0
		.amdhsa_exception_int_div_zero 0
	.end_amdhsa_kernel
	.section	.text._ZN7rocprim17ROCPRIM_400000_NS6detail17trampoline_kernelINS0_14default_configENS1_25partition_config_selectorILNS1_17partition_subalgoE6EsNS0_10empty_typeEbEEZZNS1_14partition_implILS5_6ELb0ES3_mN6thrust23THRUST_200600_302600_NS6detail15normal_iteratorINSA_10device_ptrIsEEEEPS6_SG_NS0_5tupleIJSF_S6_EEENSH_IJSG_SG_EEES6_PlJ7is_evenIsEEEE10hipError_tPvRmT3_T4_T5_T6_T7_T9_mT8_P12ihipStream_tbDpT10_ENKUlT_T0_E_clISt17integral_constantIbLb1EES16_EEDaS11_S12_EUlS11_E_NS1_11comp_targetILNS1_3genE2ELNS1_11target_archE906ELNS1_3gpuE6ELNS1_3repE0EEENS1_30default_config_static_selectorELNS0_4arch9wavefront6targetE0EEEvT1_,"axG",@progbits,_ZN7rocprim17ROCPRIM_400000_NS6detail17trampoline_kernelINS0_14default_configENS1_25partition_config_selectorILNS1_17partition_subalgoE6EsNS0_10empty_typeEbEEZZNS1_14partition_implILS5_6ELb0ES3_mN6thrust23THRUST_200600_302600_NS6detail15normal_iteratorINSA_10device_ptrIsEEEEPS6_SG_NS0_5tupleIJSF_S6_EEENSH_IJSG_SG_EEES6_PlJ7is_evenIsEEEE10hipError_tPvRmT3_T4_T5_T6_T7_T9_mT8_P12ihipStream_tbDpT10_ENKUlT_T0_E_clISt17integral_constantIbLb1EES16_EEDaS11_S12_EUlS11_E_NS1_11comp_targetILNS1_3genE2ELNS1_11target_archE906ELNS1_3gpuE6ELNS1_3repE0EEENS1_30default_config_static_selectorELNS0_4arch9wavefront6targetE0EEEvT1_,comdat
.Lfunc_end436:
	.size	_ZN7rocprim17ROCPRIM_400000_NS6detail17trampoline_kernelINS0_14default_configENS1_25partition_config_selectorILNS1_17partition_subalgoE6EsNS0_10empty_typeEbEEZZNS1_14partition_implILS5_6ELb0ES3_mN6thrust23THRUST_200600_302600_NS6detail15normal_iteratorINSA_10device_ptrIsEEEEPS6_SG_NS0_5tupleIJSF_S6_EEENSH_IJSG_SG_EEES6_PlJ7is_evenIsEEEE10hipError_tPvRmT3_T4_T5_T6_T7_T9_mT8_P12ihipStream_tbDpT10_ENKUlT_T0_E_clISt17integral_constantIbLb1EES16_EEDaS11_S12_EUlS11_E_NS1_11comp_targetILNS1_3genE2ELNS1_11target_archE906ELNS1_3gpuE6ELNS1_3repE0EEENS1_30default_config_static_selectorELNS0_4arch9wavefront6targetE0EEEvT1_, .Lfunc_end436-_ZN7rocprim17ROCPRIM_400000_NS6detail17trampoline_kernelINS0_14default_configENS1_25partition_config_selectorILNS1_17partition_subalgoE6EsNS0_10empty_typeEbEEZZNS1_14partition_implILS5_6ELb0ES3_mN6thrust23THRUST_200600_302600_NS6detail15normal_iteratorINSA_10device_ptrIsEEEEPS6_SG_NS0_5tupleIJSF_S6_EEENSH_IJSG_SG_EEES6_PlJ7is_evenIsEEEE10hipError_tPvRmT3_T4_T5_T6_T7_T9_mT8_P12ihipStream_tbDpT10_ENKUlT_T0_E_clISt17integral_constantIbLb1EES16_EEDaS11_S12_EUlS11_E_NS1_11comp_targetILNS1_3genE2ELNS1_11target_archE906ELNS1_3gpuE6ELNS1_3repE0EEENS1_30default_config_static_selectorELNS0_4arch9wavefront6targetE0EEEvT1_
                                        ; -- End function
	.section	.AMDGPU.csdata,"",@progbits
; Kernel info:
; codeLenInByte = 0
; NumSgprs: 0
; NumVgprs: 0
; ScratchSize: 0
; MemoryBound: 0
; FloatMode: 240
; IeeeMode: 1
; LDSByteSize: 0 bytes/workgroup (compile time only)
; SGPRBlocks: 0
; VGPRBlocks: 0
; NumSGPRsForWavesPerEU: 1
; NumVGPRsForWavesPerEU: 1
; Occupancy: 16
; WaveLimiterHint : 0
; COMPUTE_PGM_RSRC2:SCRATCH_EN: 0
; COMPUTE_PGM_RSRC2:USER_SGPR: 15
; COMPUTE_PGM_RSRC2:TRAP_HANDLER: 0
; COMPUTE_PGM_RSRC2:TGID_X_EN: 1
; COMPUTE_PGM_RSRC2:TGID_Y_EN: 0
; COMPUTE_PGM_RSRC2:TGID_Z_EN: 0
; COMPUTE_PGM_RSRC2:TIDIG_COMP_CNT: 0
	.section	.text._ZN7rocprim17ROCPRIM_400000_NS6detail17trampoline_kernelINS0_14default_configENS1_25partition_config_selectorILNS1_17partition_subalgoE6EsNS0_10empty_typeEbEEZZNS1_14partition_implILS5_6ELb0ES3_mN6thrust23THRUST_200600_302600_NS6detail15normal_iteratorINSA_10device_ptrIsEEEEPS6_SG_NS0_5tupleIJSF_S6_EEENSH_IJSG_SG_EEES6_PlJ7is_evenIsEEEE10hipError_tPvRmT3_T4_T5_T6_T7_T9_mT8_P12ihipStream_tbDpT10_ENKUlT_T0_E_clISt17integral_constantIbLb1EES16_EEDaS11_S12_EUlS11_E_NS1_11comp_targetILNS1_3genE10ELNS1_11target_archE1200ELNS1_3gpuE4ELNS1_3repE0EEENS1_30default_config_static_selectorELNS0_4arch9wavefront6targetE0EEEvT1_,"axG",@progbits,_ZN7rocprim17ROCPRIM_400000_NS6detail17trampoline_kernelINS0_14default_configENS1_25partition_config_selectorILNS1_17partition_subalgoE6EsNS0_10empty_typeEbEEZZNS1_14partition_implILS5_6ELb0ES3_mN6thrust23THRUST_200600_302600_NS6detail15normal_iteratorINSA_10device_ptrIsEEEEPS6_SG_NS0_5tupleIJSF_S6_EEENSH_IJSG_SG_EEES6_PlJ7is_evenIsEEEE10hipError_tPvRmT3_T4_T5_T6_T7_T9_mT8_P12ihipStream_tbDpT10_ENKUlT_T0_E_clISt17integral_constantIbLb1EES16_EEDaS11_S12_EUlS11_E_NS1_11comp_targetILNS1_3genE10ELNS1_11target_archE1200ELNS1_3gpuE4ELNS1_3repE0EEENS1_30default_config_static_selectorELNS0_4arch9wavefront6targetE0EEEvT1_,comdat
	.protected	_ZN7rocprim17ROCPRIM_400000_NS6detail17trampoline_kernelINS0_14default_configENS1_25partition_config_selectorILNS1_17partition_subalgoE6EsNS0_10empty_typeEbEEZZNS1_14partition_implILS5_6ELb0ES3_mN6thrust23THRUST_200600_302600_NS6detail15normal_iteratorINSA_10device_ptrIsEEEEPS6_SG_NS0_5tupleIJSF_S6_EEENSH_IJSG_SG_EEES6_PlJ7is_evenIsEEEE10hipError_tPvRmT3_T4_T5_T6_T7_T9_mT8_P12ihipStream_tbDpT10_ENKUlT_T0_E_clISt17integral_constantIbLb1EES16_EEDaS11_S12_EUlS11_E_NS1_11comp_targetILNS1_3genE10ELNS1_11target_archE1200ELNS1_3gpuE4ELNS1_3repE0EEENS1_30default_config_static_selectorELNS0_4arch9wavefront6targetE0EEEvT1_ ; -- Begin function _ZN7rocprim17ROCPRIM_400000_NS6detail17trampoline_kernelINS0_14default_configENS1_25partition_config_selectorILNS1_17partition_subalgoE6EsNS0_10empty_typeEbEEZZNS1_14partition_implILS5_6ELb0ES3_mN6thrust23THRUST_200600_302600_NS6detail15normal_iteratorINSA_10device_ptrIsEEEEPS6_SG_NS0_5tupleIJSF_S6_EEENSH_IJSG_SG_EEES6_PlJ7is_evenIsEEEE10hipError_tPvRmT3_T4_T5_T6_T7_T9_mT8_P12ihipStream_tbDpT10_ENKUlT_T0_E_clISt17integral_constantIbLb1EES16_EEDaS11_S12_EUlS11_E_NS1_11comp_targetILNS1_3genE10ELNS1_11target_archE1200ELNS1_3gpuE4ELNS1_3repE0EEENS1_30default_config_static_selectorELNS0_4arch9wavefront6targetE0EEEvT1_
	.globl	_ZN7rocprim17ROCPRIM_400000_NS6detail17trampoline_kernelINS0_14default_configENS1_25partition_config_selectorILNS1_17partition_subalgoE6EsNS0_10empty_typeEbEEZZNS1_14partition_implILS5_6ELb0ES3_mN6thrust23THRUST_200600_302600_NS6detail15normal_iteratorINSA_10device_ptrIsEEEEPS6_SG_NS0_5tupleIJSF_S6_EEENSH_IJSG_SG_EEES6_PlJ7is_evenIsEEEE10hipError_tPvRmT3_T4_T5_T6_T7_T9_mT8_P12ihipStream_tbDpT10_ENKUlT_T0_E_clISt17integral_constantIbLb1EES16_EEDaS11_S12_EUlS11_E_NS1_11comp_targetILNS1_3genE10ELNS1_11target_archE1200ELNS1_3gpuE4ELNS1_3repE0EEENS1_30default_config_static_selectorELNS0_4arch9wavefront6targetE0EEEvT1_
	.p2align	8
	.type	_ZN7rocprim17ROCPRIM_400000_NS6detail17trampoline_kernelINS0_14default_configENS1_25partition_config_selectorILNS1_17partition_subalgoE6EsNS0_10empty_typeEbEEZZNS1_14partition_implILS5_6ELb0ES3_mN6thrust23THRUST_200600_302600_NS6detail15normal_iteratorINSA_10device_ptrIsEEEEPS6_SG_NS0_5tupleIJSF_S6_EEENSH_IJSG_SG_EEES6_PlJ7is_evenIsEEEE10hipError_tPvRmT3_T4_T5_T6_T7_T9_mT8_P12ihipStream_tbDpT10_ENKUlT_T0_E_clISt17integral_constantIbLb1EES16_EEDaS11_S12_EUlS11_E_NS1_11comp_targetILNS1_3genE10ELNS1_11target_archE1200ELNS1_3gpuE4ELNS1_3repE0EEENS1_30default_config_static_selectorELNS0_4arch9wavefront6targetE0EEEvT1_,@function
_ZN7rocprim17ROCPRIM_400000_NS6detail17trampoline_kernelINS0_14default_configENS1_25partition_config_selectorILNS1_17partition_subalgoE6EsNS0_10empty_typeEbEEZZNS1_14partition_implILS5_6ELb0ES3_mN6thrust23THRUST_200600_302600_NS6detail15normal_iteratorINSA_10device_ptrIsEEEEPS6_SG_NS0_5tupleIJSF_S6_EEENSH_IJSG_SG_EEES6_PlJ7is_evenIsEEEE10hipError_tPvRmT3_T4_T5_T6_T7_T9_mT8_P12ihipStream_tbDpT10_ENKUlT_T0_E_clISt17integral_constantIbLb1EES16_EEDaS11_S12_EUlS11_E_NS1_11comp_targetILNS1_3genE10ELNS1_11target_archE1200ELNS1_3gpuE4ELNS1_3repE0EEENS1_30default_config_static_selectorELNS0_4arch9wavefront6targetE0EEEvT1_: ; @_ZN7rocprim17ROCPRIM_400000_NS6detail17trampoline_kernelINS0_14default_configENS1_25partition_config_selectorILNS1_17partition_subalgoE6EsNS0_10empty_typeEbEEZZNS1_14partition_implILS5_6ELb0ES3_mN6thrust23THRUST_200600_302600_NS6detail15normal_iteratorINSA_10device_ptrIsEEEEPS6_SG_NS0_5tupleIJSF_S6_EEENSH_IJSG_SG_EEES6_PlJ7is_evenIsEEEE10hipError_tPvRmT3_T4_T5_T6_T7_T9_mT8_P12ihipStream_tbDpT10_ENKUlT_T0_E_clISt17integral_constantIbLb1EES16_EEDaS11_S12_EUlS11_E_NS1_11comp_targetILNS1_3genE10ELNS1_11target_archE1200ELNS1_3gpuE4ELNS1_3repE0EEENS1_30default_config_static_selectorELNS0_4arch9wavefront6targetE0EEEvT1_
; %bb.0:
	.section	.rodata,"a",@progbits
	.p2align	6, 0x0
	.amdhsa_kernel _ZN7rocprim17ROCPRIM_400000_NS6detail17trampoline_kernelINS0_14default_configENS1_25partition_config_selectorILNS1_17partition_subalgoE6EsNS0_10empty_typeEbEEZZNS1_14partition_implILS5_6ELb0ES3_mN6thrust23THRUST_200600_302600_NS6detail15normal_iteratorINSA_10device_ptrIsEEEEPS6_SG_NS0_5tupleIJSF_S6_EEENSH_IJSG_SG_EEES6_PlJ7is_evenIsEEEE10hipError_tPvRmT3_T4_T5_T6_T7_T9_mT8_P12ihipStream_tbDpT10_ENKUlT_T0_E_clISt17integral_constantIbLb1EES16_EEDaS11_S12_EUlS11_E_NS1_11comp_targetILNS1_3genE10ELNS1_11target_archE1200ELNS1_3gpuE4ELNS1_3repE0EEENS1_30default_config_static_selectorELNS0_4arch9wavefront6targetE0EEEvT1_
		.amdhsa_group_segment_fixed_size 0
		.amdhsa_private_segment_fixed_size 0
		.amdhsa_kernarg_size 128
		.amdhsa_user_sgpr_count 15
		.amdhsa_user_sgpr_dispatch_ptr 0
		.amdhsa_user_sgpr_queue_ptr 0
		.amdhsa_user_sgpr_kernarg_segment_ptr 1
		.amdhsa_user_sgpr_dispatch_id 0
		.amdhsa_user_sgpr_private_segment_size 0
		.amdhsa_wavefront_size32 1
		.amdhsa_uses_dynamic_stack 0
		.amdhsa_enable_private_segment 0
		.amdhsa_system_sgpr_workgroup_id_x 1
		.amdhsa_system_sgpr_workgroup_id_y 0
		.amdhsa_system_sgpr_workgroup_id_z 0
		.amdhsa_system_sgpr_workgroup_info 0
		.amdhsa_system_vgpr_workitem_id 0
		.amdhsa_next_free_vgpr 1
		.amdhsa_next_free_sgpr 1
		.amdhsa_reserve_vcc 0
		.amdhsa_float_round_mode_32 0
		.amdhsa_float_round_mode_16_64 0
		.amdhsa_float_denorm_mode_32 3
		.amdhsa_float_denorm_mode_16_64 3
		.amdhsa_dx10_clamp 1
		.amdhsa_ieee_mode 1
		.amdhsa_fp16_overflow 0
		.amdhsa_workgroup_processor_mode 1
		.amdhsa_memory_ordered 1
		.amdhsa_forward_progress 0
		.amdhsa_shared_vgpr_count 0
		.amdhsa_exception_fp_ieee_invalid_op 0
		.amdhsa_exception_fp_denorm_src 0
		.amdhsa_exception_fp_ieee_div_zero 0
		.amdhsa_exception_fp_ieee_overflow 0
		.amdhsa_exception_fp_ieee_underflow 0
		.amdhsa_exception_fp_ieee_inexact 0
		.amdhsa_exception_int_div_zero 0
	.end_amdhsa_kernel
	.section	.text._ZN7rocprim17ROCPRIM_400000_NS6detail17trampoline_kernelINS0_14default_configENS1_25partition_config_selectorILNS1_17partition_subalgoE6EsNS0_10empty_typeEbEEZZNS1_14partition_implILS5_6ELb0ES3_mN6thrust23THRUST_200600_302600_NS6detail15normal_iteratorINSA_10device_ptrIsEEEEPS6_SG_NS0_5tupleIJSF_S6_EEENSH_IJSG_SG_EEES6_PlJ7is_evenIsEEEE10hipError_tPvRmT3_T4_T5_T6_T7_T9_mT8_P12ihipStream_tbDpT10_ENKUlT_T0_E_clISt17integral_constantIbLb1EES16_EEDaS11_S12_EUlS11_E_NS1_11comp_targetILNS1_3genE10ELNS1_11target_archE1200ELNS1_3gpuE4ELNS1_3repE0EEENS1_30default_config_static_selectorELNS0_4arch9wavefront6targetE0EEEvT1_,"axG",@progbits,_ZN7rocprim17ROCPRIM_400000_NS6detail17trampoline_kernelINS0_14default_configENS1_25partition_config_selectorILNS1_17partition_subalgoE6EsNS0_10empty_typeEbEEZZNS1_14partition_implILS5_6ELb0ES3_mN6thrust23THRUST_200600_302600_NS6detail15normal_iteratorINSA_10device_ptrIsEEEEPS6_SG_NS0_5tupleIJSF_S6_EEENSH_IJSG_SG_EEES6_PlJ7is_evenIsEEEE10hipError_tPvRmT3_T4_T5_T6_T7_T9_mT8_P12ihipStream_tbDpT10_ENKUlT_T0_E_clISt17integral_constantIbLb1EES16_EEDaS11_S12_EUlS11_E_NS1_11comp_targetILNS1_3genE10ELNS1_11target_archE1200ELNS1_3gpuE4ELNS1_3repE0EEENS1_30default_config_static_selectorELNS0_4arch9wavefront6targetE0EEEvT1_,comdat
.Lfunc_end437:
	.size	_ZN7rocprim17ROCPRIM_400000_NS6detail17trampoline_kernelINS0_14default_configENS1_25partition_config_selectorILNS1_17partition_subalgoE6EsNS0_10empty_typeEbEEZZNS1_14partition_implILS5_6ELb0ES3_mN6thrust23THRUST_200600_302600_NS6detail15normal_iteratorINSA_10device_ptrIsEEEEPS6_SG_NS0_5tupleIJSF_S6_EEENSH_IJSG_SG_EEES6_PlJ7is_evenIsEEEE10hipError_tPvRmT3_T4_T5_T6_T7_T9_mT8_P12ihipStream_tbDpT10_ENKUlT_T0_E_clISt17integral_constantIbLb1EES16_EEDaS11_S12_EUlS11_E_NS1_11comp_targetILNS1_3genE10ELNS1_11target_archE1200ELNS1_3gpuE4ELNS1_3repE0EEENS1_30default_config_static_selectorELNS0_4arch9wavefront6targetE0EEEvT1_, .Lfunc_end437-_ZN7rocprim17ROCPRIM_400000_NS6detail17trampoline_kernelINS0_14default_configENS1_25partition_config_selectorILNS1_17partition_subalgoE6EsNS0_10empty_typeEbEEZZNS1_14partition_implILS5_6ELb0ES3_mN6thrust23THRUST_200600_302600_NS6detail15normal_iteratorINSA_10device_ptrIsEEEEPS6_SG_NS0_5tupleIJSF_S6_EEENSH_IJSG_SG_EEES6_PlJ7is_evenIsEEEE10hipError_tPvRmT3_T4_T5_T6_T7_T9_mT8_P12ihipStream_tbDpT10_ENKUlT_T0_E_clISt17integral_constantIbLb1EES16_EEDaS11_S12_EUlS11_E_NS1_11comp_targetILNS1_3genE10ELNS1_11target_archE1200ELNS1_3gpuE4ELNS1_3repE0EEENS1_30default_config_static_selectorELNS0_4arch9wavefront6targetE0EEEvT1_
                                        ; -- End function
	.section	.AMDGPU.csdata,"",@progbits
; Kernel info:
; codeLenInByte = 0
; NumSgprs: 0
; NumVgprs: 0
; ScratchSize: 0
; MemoryBound: 0
; FloatMode: 240
; IeeeMode: 1
; LDSByteSize: 0 bytes/workgroup (compile time only)
; SGPRBlocks: 0
; VGPRBlocks: 0
; NumSGPRsForWavesPerEU: 1
; NumVGPRsForWavesPerEU: 1
; Occupancy: 15
; WaveLimiterHint : 0
; COMPUTE_PGM_RSRC2:SCRATCH_EN: 0
; COMPUTE_PGM_RSRC2:USER_SGPR: 15
; COMPUTE_PGM_RSRC2:TRAP_HANDLER: 0
; COMPUTE_PGM_RSRC2:TGID_X_EN: 1
; COMPUTE_PGM_RSRC2:TGID_Y_EN: 0
; COMPUTE_PGM_RSRC2:TGID_Z_EN: 0
; COMPUTE_PGM_RSRC2:TIDIG_COMP_CNT: 0
	.section	.text._ZN7rocprim17ROCPRIM_400000_NS6detail17trampoline_kernelINS0_14default_configENS1_25partition_config_selectorILNS1_17partition_subalgoE6EsNS0_10empty_typeEbEEZZNS1_14partition_implILS5_6ELb0ES3_mN6thrust23THRUST_200600_302600_NS6detail15normal_iteratorINSA_10device_ptrIsEEEEPS6_SG_NS0_5tupleIJSF_S6_EEENSH_IJSG_SG_EEES6_PlJ7is_evenIsEEEE10hipError_tPvRmT3_T4_T5_T6_T7_T9_mT8_P12ihipStream_tbDpT10_ENKUlT_T0_E_clISt17integral_constantIbLb1EES16_EEDaS11_S12_EUlS11_E_NS1_11comp_targetILNS1_3genE9ELNS1_11target_archE1100ELNS1_3gpuE3ELNS1_3repE0EEENS1_30default_config_static_selectorELNS0_4arch9wavefront6targetE0EEEvT1_,"axG",@progbits,_ZN7rocprim17ROCPRIM_400000_NS6detail17trampoline_kernelINS0_14default_configENS1_25partition_config_selectorILNS1_17partition_subalgoE6EsNS0_10empty_typeEbEEZZNS1_14partition_implILS5_6ELb0ES3_mN6thrust23THRUST_200600_302600_NS6detail15normal_iteratorINSA_10device_ptrIsEEEEPS6_SG_NS0_5tupleIJSF_S6_EEENSH_IJSG_SG_EEES6_PlJ7is_evenIsEEEE10hipError_tPvRmT3_T4_T5_T6_T7_T9_mT8_P12ihipStream_tbDpT10_ENKUlT_T0_E_clISt17integral_constantIbLb1EES16_EEDaS11_S12_EUlS11_E_NS1_11comp_targetILNS1_3genE9ELNS1_11target_archE1100ELNS1_3gpuE3ELNS1_3repE0EEENS1_30default_config_static_selectorELNS0_4arch9wavefront6targetE0EEEvT1_,comdat
	.protected	_ZN7rocprim17ROCPRIM_400000_NS6detail17trampoline_kernelINS0_14default_configENS1_25partition_config_selectorILNS1_17partition_subalgoE6EsNS0_10empty_typeEbEEZZNS1_14partition_implILS5_6ELb0ES3_mN6thrust23THRUST_200600_302600_NS6detail15normal_iteratorINSA_10device_ptrIsEEEEPS6_SG_NS0_5tupleIJSF_S6_EEENSH_IJSG_SG_EEES6_PlJ7is_evenIsEEEE10hipError_tPvRmT3_T4_T5_T6_T7_T9_mT8_P12ihipStream_tbDpT10_ENKUlT_T0_E_clISt17integral_constantIbLb1EES16_EEDaS11_S12_EUlS11_E_NS1_11comp_targetILNS1_3genE9ELNS1_11target_archE1100ELNS1_3gpuE3ELNS1_3repE0EEENS1_30default_config_static_selectorELNS0_4arch9wavefront6targetE0EEEvT1_ ; -- Begin function _ZN7rocprim17ROCPRIM_400000_NS6detail17trampoline_kernelINS0_14default_configENS1_25partition_config_selectorILNS1_17partition_subalgoE6EsNS0_10empty_typeEbEEZZNS1_14partition_implILS5_6ELb0ES3_mN6thrust23THRUST_200600_302600_NS6detail15normal_iteratorINSA_10device_ptrIsEEEEPS6_SG_NS0_5tupleIJSF_S6_EEENSH_IJSG_SG_EEES6_PlJ7is_evenIsEEEE10hipError_tPvRmT3_T4_T5_T6_T7_T9_mT8_P12ihipStream_tbDpT10_ENKUlT_T0_E_clISt17integral_constantIbLb1EES16_EEDaS11_S12_EUlS11_E_NS1_11comp_targetILNS1_3genE9ELNS1_11target_archE1100ELNS1_3gpuE3ELNS1_3repE0EEENS1_30default_config_static_selectorELNS0_4arch9wavefront6targetE0EEEvT1_
	.globl	_ZN7rocprim17ROCPRIM_400000_NS6detail17trampoline_kernelINS0_14default_configENS1_25partition_config_selectorILNS1_17partition_subalgoE6EsNS0_10empty_typeEbEEZZNS1_14partition_implILS5_6ELb0ES3_mN6thrust23THRUST_200600_302600_NS6detail15normal_iteratorINSA_10device_ptrIsEEEEPS6_SG_NS0_5tupleIJSF_S6_EEENSH_IJSG_SG_EEES6_PlJ7is_evenIsEEEE10hipError_tPvRmT3_T4_T5_T6_T7_T9_mT8_P12ihipStream_tbDpT10_ENKUlT_T0_E_clISt17integral_constantIbLb1EES16_EEDaS11_S12_EUlS11_E_NS1_11comp_targetILNS1_3genE9ELNS1_11target_archE1100ELNS1_3gpuE3ELNS1_3repE0EEENS1_30default_config_static_selectorELNS0_4arch9wavefront6targetE0EEEvT1_
	.p2align	8
	.type	_ZN7rocprim17ROCPRIM_400000_NS6detail17trampoline_kernelINS0_14default_configENS1_25partition_config_selectorILNS1_17partition_subalgoE6EsNS0_10empty_typeEbEEZZNS1_14partition_implILS5_6ELb0ES3_mN6thrust23THRUST_200600_302600_NS6detail15normal_iteratorINSA_10device_ptrIsEEEEPS6_SG_NS0_5tupleIJSF_S6_EEENSH_IJSG_SG_EEES6_PlJ7is_evenIsEEEE10hipError_tPvRmT3_T4_T5_T6_T7_T9_mT8_P12ihipStream_tbDpT10_ENKUlT_T0_E_clISt17integral_constantIbLb1EES16_EEDaS11_S12_EUlS11_E_NS1_11comp_targetILNS1_3genE9ELNS1_11target_archE1100ELNS1_3gpuE3ELNS1_3repE0EEENS1_30default_config_static_selectorELNS0_4arch9wavefront6targetE0EEEvT1_,@function
_ZN7rocprim17ROCPRIM_400000_NS6detail17trampoline_kernelINS0_14default_configENS1_25partition_config_selectorILNS1_17partition_subalgoE6EsNS0_10empty_typeEbEEZZNS1_14partition_implILS5_6ELb0ES3_mN6thrust23THRUST_200600_302600_NS6detail15normal_iteratorINSA_10device_ptrIsEEEEPS6_SG_NS0_5tupleIJSF_S6_EEENSH_IJSG_SG_EEES6_PlJ7is_evenIsEEEE10hipError_tPvRmT3_T4_T5_T6_T7_T9_mT8_P12ihipStream_tbDpT10_ENKUlT_T0_E_clISt17integral_constantIbLb1EES16_EEDaS11_S12_EUlS11_E_NS1_11comp_targetILNS1_3genE9ELNS1_11target_archE1100ELNS1_3gpuE3ELNS1_3repE0EEENS1_30default_config_static_selectorELNS0_4arch9wavefront6targetE0EEEvT1_: ; @_ZN7rocprim17ROCPRIM_400000_NS6detail17trampoline_kernelINS0_14default_configENS1_25partition_config_selectorILNS1_17partition_subalgoE6EsNS0_10empty_typeEbEEZZNS1_14partition_implILS5_6ELb0ES3_mN6thrust23THRUST_200600_302600_NS6detail15normal_iteratorINSA_10device_ptrIsEEEEPS6_SG_NS0_5tupleIJSF_S6_EEENSH_IJSG_SG_EEES6_PlJ7is_evenIsEEEE10hipError_tPvRmT3_T4_T5_T6_T7_T9_mT8_P12ihipStream_tbDpT10_ENKUlT_T0_E_clISt17integral_constantIbLb1EES16_EEDaS11_S12_EUlS11_E_NS1_11comp_targetILNS1_3genE9ELNS1_11target_archE1100ELNS1_3gpuE3ELNS1_3repE0EEENS1_30default_config_static_selectorELNS0_4arch9wavefront6targetE0EEEvT1_
; %bb.0:
	s_clause 0x3
	s_load_b64 s[12:13], s[0:1], 0x28
	s_load_b128 s[8:11], s[0:1], 0x40
	s_load_b64 s[16:17], s[0:1], 0x50
	s_load_b64 s[14:15], s[0:1], 0x60
	v_cmp_eq_u32_e64 s2, 0, v0
	s_delay_alu instid0(VALU_DEP_1)
	s_and_saveexec_b32 s3, s2
	s_cbranch_execz .LBB438_4
; %bb.1:
	s_mov_b32 s5, exec_lo
	s_mov_b32 s4, exec_lo
	v_mbcnt_lo_u32_b32 v1, s5, 0
                                        ; implicit-def: $vgpr2
	s_delay_alu instid0(VALU_DEP_1)
	v_cmpx_eq_u32_e32 0, v1
	s_cbranch_execz .LBB438_3
; %bb.2:
	s_load_b64 s[6:7], s[0:1], 0x70
	s_bcnt1_i32_b32 s5, s5
	s_delay_alu instid0(SALU_CYCLE_1)
	v_dual_mov_b32 v2, 0 :: v_dual_mov_b32 v3, s5
	s_waitcnt lgkmcnt(0)
	global_atomic_add_u32 v2, v2, v3, s[6:7] glc
.LBB438_3:
	s_or_b32 exec_lo, exec_lo, s4
	s_waitcnt vmcnt(0)
	v_readfirstlane_b32 s4, v2
	s_delay_alu instid0(VALU_DEP_1)
	v_dual_mov_b32 v2, 0 :: v_dual_add_nc_u32 v1, s4, v1
	ds_store_b32 v2, v1
.LBB438_4:
	s_or_b32 exec_lo, exec_lo, s3
	v_mov_b32_e32 v2, 0
	s_clause 0x1
	s_load_b128 s[4:7], s[0:1], 0x8
	s_load_b32 s0, s[0:1], 0x68
	s_waitcnt lgkmcnt(0)
	s_barrier
	buffer_gl0_inv
	ds_load_b32 v1, v2
	s_waitcnt lgkmcnt(0)
	s_barrier
	buffer_gl0_inv
	global_load_b64 v[12:13], v2, s[10:11]
	s_lshl_b64 s[10:11], s[6:7], 1
	s_mul_i32 s3, s0, 0xf00
	s_add_u32 s1, s4, s10
	s_addc_u32 s10, s5, s11
	s_add_i32 s5, s3, s6
	v_readfirstlane_b32 s4, v1
	v_mul_lo_u32 v1, 0xf00, v1
	s_add_i32 s11, s0, -1
	s_sub_i32 s0, s16, s5
	s_add_u32 s6, s6, s3
	s_addc_u32 s7, s7, 0
	s_cmp_eq_u32 s4, s11
	v_cmp_ge_u64_e64 s3, s[6:7], s[16:17]
	s_cselect_b32 s5, -1, 0
	v_lshlrev_b64 v[2:3], 1, v[1:2]
	v_lshlrev_b32_e32 v1, 1, v0
	s_delay_alu instid0(VALU_DEP_3) | instskip(NEXT) | instid1(VALU_DEP_2)
	s_and_b32 s3, s3, s5
	v_add_co_u32 v2, vcc_lo, s1, v2
	s_delay_alu instid0(VALU_DEP_3)
	v_add_co_ci_u32_e32 v3, vcc_lo, s10, v3, vcc_lo
	s_xor_b32 s3, s3, -1
	s_mov_b32 s1, -1
	s_and_b32 vcc_lo, exec_lo, s3
	s_cbranch_vccz .LBB438_6
; %bb.5:
	v_add_co_u32 v4, vcc_lo, v2, v1
	v_add_co_ci_u32_e32 v5, vcc_lo, 0, v3, vcc_lo
	s_mov_b32 s1, 0
	s_delay_alu instid0(VALU_DEP_2)
	v_add_co_u32 v6, vcc_lo, 0x1000, v4
	s_clause 0x7
	flat_load_u16 v8, v[4:5]
	flat_load_u16 v9, v[4:5] offset:256
	flat_load_u16 v10, v[4:5] offset:512
	;; [unrolled: 1-line block ×7, first 2 shown]
	v_add_co_ci_u32_e32 v7, vcc_lo, 0, v5, vcc_lo
	s_clause 0x15
	flat_load_u16 v18, v[4:5] offset:2048
	flat_load_u16 v19, v[4:5] offset:2304
	;; [unrolled: 1-line block ×8, first 2 shown]
	flat_load_u16 v5, v[6:7]
	flat_load_u16 v25, v[6:7] offset:256
	flat_load_u16 v26, v[6:7] offset:512
	;; [unrolled: 1-line block ×13, first 2 shown]
	s_waitcnt vmcnt(29) lgkmcnt(29)
	ds_store_b16 v1, v8
	s_waitcnt vmcnt(28) lgkmcnt(29)
	ds_store_b16 v1, v9 offset:256
	s_waitcnt vmcnt(27) lgkmcnt(29)
	ds_store_b16 v1, v10 offset:512
	;; [unrolled: 2-line block ×29, first 2 shown]
	s_waitcnt lgkmcnt(0)
	s_barrier
.LBB438_6:
	s_and_not1_b32 vcc_lo, exec_lo, s1
	s_addk_i32 s0, 0xf00
	s_cbranch_vccnz .LBB438_68
; %bb.7:
	s_mov_b32 s1, exec_lo
                                        ; implicit-def: $vgpr4
	v_cmpx_gt_u32_e64 s0, v0
	s_cbranch_execz .LBB438_9
; %bb.8:
	v_add_co_u32 v4, vcc_lo, v2, v1
	v_add_co_ci_u32_e32 v5, vcc_lo, 0, v3, vcc_lo
	flat_load_u16 v4, v[4:5]
.LBB438_9:
	s_or_b32 exec_lo, exec_lo, s1
	v_or_b32_e32 v5, 0x80, v0
	s_delay_alu instid0(VALU_DEP_1)
	v_cmp_gt_u32_e32 vcc_lo, s0, v5
                                        ; implicit-def: $vgpr5
	s_and_saveexec_b32 s1, vcc_lo
	s_cbranch_execz .LBB438_11
; %bb.10:
	v_add_co_u32 v5, vcc_lo, v2, v1
	v_add_co_ci_u32_e32 v6, vcc_lo, 0, v3, vcc_lo
	flat_load_u16 v5, v[5:6] offset:256
.LBB438_11:
	s_or_b32 exec_lo, exec_lo, s1
	v_or_b32_e32 v6, 0x100, v0
	s_delay_alu instid0(VALU_DEP_1)
	v_cmp_gt_u32_e32 vcc_lo, s0, v6
                                        ; implicit-def: $vgpr6
	s_and_saveexec_b32 s1, vcc_lo
	s_cbranch_execz .LBB438_13
; %bb.12:
	v_add_co_u32 v6, vcc_lo, v2, v1
	v_add_co_ci_u32_e32 v7, vcc_lo, 0, v3, vcc_lo
	flat_load_u16 v6, v[6:7] offset:512
.LBB438_13:
	s_or_b32 exec_lo, exec_lo, s1
	v_or_b32_e32 v7, 0x180, v0
	s_delay_alu instid0(VALU_DEP_1)
	v_cmp_gt_u32_e32 vcc_lo, s0, v7
                                        ; implicit-def: $vgpr7
	s_and_saveexec_b32 s1, vcc_lo
	s_cbranch_execz .LBB438_15
; %bb.14:
	v_add_co_u32 v7, vcc_lo, v2, v1
	v_add_co_ci_u32_e32 v8, vcc_lo, 0, v3, vcc_lo
	flat_load_u16 v7, v[7:8] offset:768
.LBB438_15:
	s_or_b32 exec_lo, exec_lo, s1
	v_or_b32_e32 v8, 0x200, v0
	s_delay_alu instid0(VALU_DEP_1)
	v_cmp_gt_u32_e32 vcc_lo, s0, v8
                                        ; implicit-def: $vgpr8
	s_and_saveexec_b32 s1, vcc_lo
	s_cbranch_execz .LBB438_17
; %bb.16:
	v_add_co_u32 v8, vcc_lo, v2, v1
	v_add_co_ci_u32_e32 v9, vcc_lo, 0, v3, vcc_lo
	flat_load_u16 v8, v[8:9] offset:1024
.LBB438_17:
	s_or_b32 exec_lo, exec_lo, s1
	v_or_b32_e32 v9, 0x280, v0
	s_delay_alu instid0(VALU_DEP_1)
	v_cmp_gt_u32_e32 vcc_lo, s0, v9
                                        ; implicit-def: $vgpr9
	s_and_saveexec_b32 s1, vcc_lo
	s_cbranch_execz .LBB438_19
; %bb.18:
	v_add_co_u32 v9, vcc_lo, v2, v1
	v_add_co_ci_u32_e32 v10, vcc_lo, 0, v3, vcc_lo
	flat_load_u16 v9, v[9:10] offset:1280
.LBB438_19:
	s_or_b32 exec_lo, exec_lo, s1
	v_or_b32_e32 v10, 0x300, v0
	s_delay_alu instid0(VALU_DEP_1)
	v_cmp_gt_u32_e32 vcc_lo, s0, v10
                                        ; implicit-def: $vgpr10
	s_and_saveexec_b32 s1, vcc_lo
	s_cbranch_execz .LBB438_21
; %bb.20:
	v_add_co_u32 v10, vcc_lo, v2, v1
	v_add_co_ci_u32_e32 v11, vcc_lo, 0, v3, vcc_lo
	flat_load_u16 v10, v[10:11] offset:1536
.LBB438_21:
	s_or_b32 exec_lo, exec_lo, s1
	v_or_b32_e32 v11, 0x380, v0
	s_delay_alu instid0(VALU_DEP_1)
	v_cmp_gt_u32_e32 vcc_lo, s0, v11
                                        ; implicit-def: $vgpr11
	s_and_saveexec_b32 s1, vcc_lo
	s_cbranch_execz .LBB438_23
; %bb.22:
	v_add_co_u32 v14, vcc_lo, v2, v1
	v_add_co_ci_u32_e32 v15, vcc_lo, 0, v3, vcc_lo
	flat_load_u16 v11, v[14:15] offset:1792
.LBB438_23:
	s_or_b32 exec_lo, exec_lo, s1
	v_or_b32_e32 v14, 0x400, v0
	s_delay_alu instid0(VALU_DEP_1)
	v_cmp_gt_u32_e32 vcc_lo, s0, v14
                                        ; implicit-def: $vgpr14
	s_and_saveexec_b32 s1, vcc_lo
	s_cbranch_execz .LBB438_25
; %bb.24:
	v_add_co_u32 v14, vcc_lo, v2, v1
	v_add_co_ci_u32_e32 v15, vcc_lo, 0, v3, vcc_lo
	flat_load_u16 v14, v[14:15] offset:2048
.LBB438_25:
	s_or_b32 exec_lo, exec_lo, s1
	v_or_b32_e32 v15, 0x480, v0
	s_delay_alu instid0(VALU_DEP_1)
	v_cmp_gt_u32_e32 vcc_lo, s0, v15
                                        ; implicit-def: $vgpr15
	s_and_saveexec_b32 s1, vcc_lo
	s_cbranch_execz .LBB438_27
; %bb.26:
	v_add_co_u32 v15, vcc_lo, v2, v1
	v_add_co_ci_u32_e32 v16, vcc_lo, 0, v3, vcc_lo
	flat_load_u16 v15, v[15:16] offset:2304
.LBB438_27:
	s_or_b32 exec_lo, exec_lo, s1
	v_or_b32_e32 v16, 0x500, v0
	s_delay_alu instid0(VALU_DEP_1)
	v_cmp_gt_u32_e32 vcc_lo, s0, v16
                                        ; implicit-def: $vgpr16
	s_and_saveexec_b32 s1, vcc_lo
	s_cbranch_execz .LBB438_29
; %bb.28:
	v_add_co_u32 v16, vcc_lo, v2, v1
	v_add_co_ci_u32_e32 v17, vcc_lo, 0, v3, vcc_lo
	flat_load_u16 v16, v[16:17] offset:2560
.LBB438_29:
	s_or_b32 exec_lo, exec_lo, s1
	v_or_b32_e32 v17, 0x580, v0
	s_delay_alu instid0(VALU_DEP_1)
	v_cmp_gt_u32_e32 vcc_lo, s0, v17
                                        ; implicit-def: $vgpr17
	s_and_saveexec_b32 s1, vcc_lo
	s_cbranch_execz .LBB438_31
; %bb.30:
	v_add_co_u32 v17, vcc_lo, v2, v1
	v_add_co_ci_u32_e32 v18, vcc_lo, 0, v3, vcc_lo
	flat_load_u16 v17, v[17:18] offset:2816
.LBB438_31:
	s_or_b32 exec_lo, exec_lo, s1
	v_or_b32_e32 v18, 0x600, v0
	s_delay_alu instid0(VALU_DEP_1)
	v_cmp_gt_u32_e32 vcc_lo, s0, v18
                                        ; implicit-def: $vgpr18
	s_and_saveexec_b32 s1, vcc_lo
	s_cbranch_execz .LBB438_33
; %bb.32:
	v_add_co_u32 v18, vcc_lo, v2, v1
	v_add_co_ci_u32_e32 v19, vcc_lo, 0, v3, vcc_lo
	flat_load_u16 v18, v[18:19] offset:3072
.LBB438_33:
	s_or_b32 exec_lo, exec_lo, s1
	v_or_b32_e32 v19, 0x680, v0
	s_delay_alu instid0(VALU_DEP_1)
	v_cmp_gt_u32_e32 vcc_lo, s0, v19
                                        ; implicit-def: $vgpr19
	s_and_saveexec_b32 s1, vcc_lo
	s_cbranch_execz .LBB438_35
; %bb.34:
	v_add_co_u32 v19, vcc_lo, v2, v1
	v_add_co_ci_u32_e32 v20, vcc_lo, 0, v3, vcc_lo
	flat_load_u16 v19, v[19:20] offset:3328
.LBB438_35:
	s_or_b32 exec_lo, exec_lo, s1
	v_or_b32_e32 v20, 0x700, v0
	s_delay_alu instid0(VALU_DEP_1)
	v_cmp_gt_u32_e32 vcc_lo, s0, v20
                                        ; implicit-def: $vgpr20
	s_and_saveexec_b32 s1, vcc_lo
	s_cbranch_execz .LBB438_37
; %bb.36:
	v_add_co_u32 v20, vcc_lo, v2, v1
	v_add_co_ci_u32_e32 v21, vcc_lo, 0, v3, vcc_lo
	flat_load_u16 v20, v[20:21] offset:3584
.LBB438_37:
	s_or_b32 exec_lo, exec_lo, s1
	v_or_b32_e32 v21, 0x780, v0
	s_delay_alu instid0(VALU_DEP_1)
	v_cmp_gt_u32_e32 vcc_lo, s0, v21
                                        ; implicit-def: $vgpr21
	s_and_saveexec_b32 s1, vcc_lo
	s_cbranch_execz .LBB438_39
; %bb.38:
	v_add_co_u32 v21, vcc_lo, v2, v1
	v_add_co_ci_u32_e32 v22, vcc_lo, 0, v3, vcc_lo
	flat_load_u16 v21, v[21:22] offset:3840
.LBB438_39:
	s_or_b32 exec_lo, exec_lo, s1
	v_or_b32_e32 v23, 0x800, v0
	s_mov_b32 s1, exec_lo
                                        ; implicit-def: $vgpr22
	s_delay_alu instid0(VALU_DEP_1)
	v_cmpx_gt_u32_e64 s0, v23
	s_cbranch_execz .LBB438_41
; %bb.40:
	v_lshlrev_b32_e32 v22, 1, v23
	s_delay_alu instid0(VALU_DEP_1)
	v_add_co_u32 v22, vcc_lo, v2, v22
	v_add_co_ci_u32_e32 v23, vcc_lo, 0, v3, vcc_lo
	flat_load_u16 v22, v[22:23]
.LBB438_41:
	s_or_b32 exec_lo, exec_lo, s1
	v_or_b32_e32 v24, 0x880, v0
	s_mov_b32 s1, exec_lo
                                        ; implicit-def: $vgpr23
	s_delay_alu instid0(VALU_DEP_1)
	v_cmpx_gt_u32_e64 s0, v24
	s_cbranch_execz .LBB438_43
; %bb.42:
	v_lshlrev_b32_e32 v23, 1, v24
	s_delay_alu instid0(VALU_DEP_1)
	v_add_co_u32 v23, vcc_lo, v2, v23
	v_add_co_ci_u32_e32 v24, vcc_lo, 0, v3, vcc_lo
	flat_load_u16 v23, v[23:24]
.LBB438_43:
	s_or_b32 exec_lo, exec_lo, s1
	v_or_b32_e32 v25, 0x900, v0
	s_mov_b32 s1, exec_lo
                                        ; implicit-def: $vgpr24
	s_delay_alu instid0(VALU_DEP_1)
	v_cmpx_gt_u32_e64 s0, v25
	s_cbranch_execz .LBB438_45
; %bb.44:
	v_lshlrev_b32_e32 v24, 1, v25
	s_delay_alu instid0(VALU_DEP_1)
	v_add_co_u32 v24, vcc_lo, v2, v24
	v_add_co_ci_u32_e32 v25, vcc_lo, 0, v3, vcc_lo
	flat_load_u16 v24, v[24:25]
.LBB438_45:
	s_or_b32 exec_lo, exec_lo, s1
	v_or_b32_e32 v26, 0x980, v0
	s_mov_b32 s1, exec_lo
                                        ; implicit-def: $vgpr25
	s_delay_alu instid0(VALU_DEP_1)
	v_cmpx_gt_u32_e64 s0, v26
	s_cbranch_execz .LBB438_47
; %bb.46:
	v_lshlrev_b32_e32 v25, 1, v26
	s_delay_alu instid0(VALU_DEP_1)
	v_add_co_u32 v25, vcc_lo, v2, v25
	v_add_co_ci_u32_e32 v26, vcc_lo, 0, v3, vcc_lo
	flat_load_u16 v25, v[25:26]
.LBB438_47:
	s_or_b32 exec_lo, exec_lo, s1
	v_or_b32_e32 v27, 0xa00, v0
	s_mov_b32 s1, exec_lo
                                        ; implicit-def: $vgpr26
	s_delay_alu instid0(VALU_DEP_1)
	v_cmpx_gt_u32_e64 s0, v27
	s_cbranch_execz .LBB438_49
; %bb.48:
	v_lshlrev_b32_e32 v26, 1, v27
	s_delay_alu instid0(VALU_DEP_1)
	v_add_co_u32 v26, vcc_lo, v2, v26
	v_add_co_ci_u32_e32 v27, vcc_lo, 0, v3, vcc_lo
	flat_load_u16 v26, v[26:27]
.LBB438_49:
	s_or_b32 exec_lo, exec_lo, s1
	v_or_b32_e32 v28, 0xa80, v0
	s_mov_b32 s1, exec_lo
                                        ; implicit-def: $vgpr27
	s_delay_alu instid0(VALU_DEP_1)
	v_cmpx_gt_u32_e64 s0, v28
	s_cbranch_execz .LBB438_51
; %bb.50:
	v_lshlrev_b32_e32 v27, 1, v28
	s_delay_alu instid0(VALU_DEP_1)
	v_add_co_u32 v27, vcc_lo, v2, v27
	v_add_co_ci_u32_e32 v28, vcc_lo, 0, v3, vcc_lo
	flat_load_u16 v27, v[27:28]
.LBB438_51:
	s_or_b32 exec_lo, exec_lo, s1
	v_or_b32_e32 v29, 0xb00, v0
	s_mov_b32 s1, exec_lo
                                        ; implicit-def: $vgpr28
	s_delay_alu instid0(VALU_DEP_1)
	v_cmpx_gt_u32_e64 s0, v29
	s_cbranch_execz .LBB438_53
; %bb.52:
	v_lshlrev_b32_e32 v28, 1, v29
	s_delay_alu instid0(VALU_DEP_1)
	v_add_co_u32 v28, vcc_lo, v2, v28
	v_add_co_ci_u32_e32 v29, vcc_lo, 0, v3, vcc_lo
	flat_load_u16 v28, v[28:29]
.LBB438_53:
	s_or_b32 exec_lo, exec_lo, s1
	v_or_b32_e32 v30, 0xb80, v0
	s_mov_b32 s1, exec_lo
                                        ; implicit-def: $vgpr29
	s_delay_alu instid0(VALU_DEP_1)
	v_cmpx_gt_u32_e64 s0, v30
	s_cbranch_execz .LBB438_55
; %bb.54:
	v_lshlrev_b32_e32 v29, 1, v30
	s_delay_alu instid0(VALU_DEP_1)
	v_add_co_u32 v29, vcc_lo, v2, v29
	v_add_co_ci_u32_e32 v30, vcc_lo, 0, v3, vcc_lo
	flat_load_u16 v29, v[29:30]
.LBB438_55:
	s_or_b32 exec_lo, exec_lo, s1
	v_or_b32_e32 v31, 0xc00, v0
	s_mov_b32 s1, exec_lo
                                        ; implicit-def: $vgpr30
	s_delay_alu instid0(VALU_DEP_1)
	v_cmpx_gt_u32_e64 s0, v31
	s_cbranch_execz .LBB438_57
; %bb.56:
	v_lshlrev_b32_e32 v30, 1, v31
	s_delay_alu instid0(VALU_DEP_1)
	v_add_co_u32 v30, vcc_lo, v2, v30
	v_add_co_ci_u32_e32 v31, vcc_lo, 0, v3, vcc_lo
	flat_load_u16 v30, v[30:31]
.LBB438_57:
	s_or_b32 exec_lo, exec_lo, s1
	v_or_b32_e32 v32, 0xc80, v0
	s_mov_b32 s1, exec_lo
                                        ; implicit-def: $vgpr31
	s_delay_alu instid0(VALU_DEP_1)
	v_cmpx_gt_u32_e64 s0, v32
	s_cbranch_execz .LBB438_59
; %bb.58:
	v_lshlrev_b32_e32 v31, 1, v32
	s_delay_alu instid0(VALU_DEP_1)
	v_add_co_u32 v31, vcc_lo, v2, v31
	v_add_co_ci_u32_e32 v32, vcc_lo, 0, v3, vcc_lo
	flat_load_u16 v31, v[31:32]
.LBB438_59:
	s_or_b32 exec_lo, exec_lo, s1
	v_or_b32_e32 v33, 0xd00, v0
	s_mov_b32 s1, exec_lo
                                        ; implicit-def: $vgpr32
	s_delay_alu instid0(VALU_DEP_1)
	v_cmpx_gt_u32_e64 s0, v33
	s_cbranch_execz .LBB438_61
; %bb.60:
	v_lshlrev_b32_e32 v32, 1, v33
	s_delay_alu instid0(VALU_DEP_1)
	v_add_co_u32 v32, vcc_lo, v2, v32
	v_add_co_ci_u32_e32 v33, vcc_lo, 0, v3, vcc_lo
	flat_load_u16 v32, v[32:33]
.LBB438_61:
	s_or_b32 exec_lo, exec_lo, s1
	v_or_b32_e32 v34, 0xd80, v0
	s_mov_b32 s1, exec_lo
                                        ; implicit-def: $vgpr33
	s_delay_alu instid0(VALU_DEP_1)
	v_cmpx_gt_u32_e64 s0, v34
	s_cbranch_execz .LBB438_63
; %bb.62:
	v_lshlrev_b32_e32 v33, 1, v34
	s_delay_alu instid0(VALU_DEP_1)
	v_add_co_u32 v33, vcc_lo, v2, v33
	v_add_co_ci_u32_e32 v34, vcc_lo, 0, v3, vcc_lo
	flat_load_u16 v33, v[33:34]
.LBB438_63:
	s_or_b32 exec_lo, exec_lo, s1
	v_or_b32_e32 v35, 0xe00, v0
	s_mov_b32 s1, exec_lo
                                        ; implicit-def: $vgpr34
	s_delay_alu instid0(VALU_DEP_1)
	v_cmpx_gt_u32_e64 s0, v35
	s_cbranch_execz .LBB438_65
; %bb.64:
	v_lshlrev_b32_e32 v34, 1, v35
	s_delay_alu instid0(VALU_DEP_1)
	v_add_co_u32 v34, vcc_lo, v2, v34
	v_add_co_ci_u32_e32 v35, vcc_lo, 0, v3, vcc_lo
	flat_load_u16 v34, v[34:35]
.LBB438_65:
	s_or_b32 exec_lo, exec_lo, s1
	v_or_b32_e32 v36, 0xe80, v0
	s_mov_b32 s1, exec_lo
                                        ; implicit-def: $vgpr35
	s_delay_alu instid0(VALU_DEP_1)
	v_cmpx_gt_u32_e64 s0, v36
	s_cbranch_execz .LBB438_67
; %bb.66:
	v_lshlrev_b32_e32 v35, 1, v36
	s_delay_alu instid0(VALU_DEP_1)
	v_add_co_u32 v2, vcc_lo, v2, v35
	v_add_co_ci_u32_e32 v3, vcc_lo, 0, v3, vcc_lo
	flat_load_u16 v35, v[2:3]
.LBB438_67:
	s_or_b32 exec_lo, exec_lo, s1
	s_waitcnt vmcnt(0) lgkmcnt(0)
	ds_store_b16 v1, v4
	ds_store_b16 v1, v5 offset:256
	ds_store_b16 v1, v6 offset:512
	;; [unrolled: 1-line block ×29, first 2 shown]
	s_waitcnt lgkmcnt(0)
	s_barrier
.LBB438_68:
	v_mul_u32_u24_e32 v33, 30, v0
	s_waitcnt vmcnt(0)
	buffer_gl0_inv
	s_and_not1_b32 vcc_lo, exec_lo, s3
	v_lshlrev_b32_e32 v1, 1, v33
	ds_load_b32 v11, v1 offset:56
	ds_load_2addr_b32 v[9:10], v1 offset0:12 offset1:13
	ds_load_2addr_b32 v[14:15], v1 offset0:10 offset1:11
	ds_load_2addr_b32 v[24:25], v1 offset1:1
	ds_load_2addr_b32 v[22:23], v1 offset0:2 offset1:3
	ds_load_2addr_b32 v[20:21], v1 offset0:4 offset1:5
	;; [unrolled: 1-line block ×4, first 2 shown]
	s_waitcnt lgkmcnt(0)
	s_barrier
	buffer_gl0_inv
	v_lshrrev_b32_e32 v86, 16, v11
	v_lshrrev_b32_e32 v88, 16, v9
	;; [unrolled: 1-line block ×15, first 2 shown]
	v_xor_b32_e32 v44, -1, v24
	v_xor_b32_e32 v45, -1, v25
	;; [unrolled: 1-line block ×30, first 2 shown]
	s_cbranch_vccnz .LBB438_70
; %bb.69:
	v_and_b32_e32 v130, 1, v44
	v_and_b32_e32 v129, 1, v48
	;; [unrolled: 1-line block ×30, first 2 shown]
	s_cbranch_execz .LBB438_71
	s_branch .LBB438_72
.LBB438_70:
                                        ; implicit-def: $vgpr130
                                        ; implicit-def: $vgpr129
                                        ; implicit-def: $vgpr128
                                        ; implicit-def: $vgpr127
                                        ; implicit-def: $vgpr125
                                        ; implicit-def: $vgpr126
                                        ; implicit-def: $vgpr124
                                        ; implicit-def: $vgpr123
                                        ; implicit-def: $vgpr122
                                        ; implicit-def: $vgpr120
                                        ; implicit-def: $vgpr121
                                        ; implicit-def: $vgpr119
                                        ; implicit-def: $vgpr118
                                        ; implicit-def: $vgpr117
                                        ; implicit-def: $vgpr115
                                        ; implicit-def: $vgpr116
                                        ; implicit-def: $vgpr114
                                        ; implicit-def: $vgpr112
                                        ; implicit-def: $vgpr111
                                        ; implicit-def: $vgpr108
                                        ; implicit-def: $vgpr110
                                        ; implicit-def: $vgpr107
                                        ; implicit-def: $vgpr106
                                        ; implicit-def: $vgpr104
                                        ; implicit-def: $vgpr102
                                        ; implicit-def: $vgpr103
                                        ; implicit-def: $vgpr101
                                        ; implicit-def: $vgpr99
                                        ; implicit-def: $vgpr98
                                        ; implicit-def: $vgpr96
.LBB438_71:
	v_or_b32_e32 v58, 1, v33
	v_cmp_gt_u32_e32 vcc_lo, s0, v33
	v_add_nc_u32_e32 v49, 29, v33
	v_add_nc_u32_e32 v50, 28, v33
	;; [unrolled: 1-line block ×28, first 2 shown]
	v_cndmask_b32_e64 v33, 0, 1, vcc_lo
	v_cmp_gt_u32_e32 vcc_lo, s0, v58
	s_delay_alu instid0(VALU_DEP_2) | instskip(SKIP_2) | instid1(VALU_DEP_2)
	v_and_b32_e32 v130, v33, v44
	v_cndmask_b32_e64 v58, 0, 1, vcc_lo
	v_cmp_gt_u32_e32 vcc_lo, s0, v59
	v_and_b32_e32 v129, v58, v48
	v_cndmask_b32_e64 v59, 0, 1, vcc_lo
	v_cmp_gt_u32_e32 vcc_lo, s0, v60
	s_delay_alu instid0(VALU_DEP_2) | instskip(SKIP_2) | instid1(VALU_DEP_2)
	v_and_b32_e32 v128, v59, v45
	v_cndmask_b32_e64 v60, 0, 1, vcc_lo
	v_cmp_gt_u32_e32 vcc_lo, s0, v61
	v_and_b32_e32 v127, v60, v47
	v_cndmask_b32_e64 v61, 0, 1, vcc_lo
	v_cmp_gt_u32_e32 vcc_lo, s0, v62
	s_delay_alu instid0(VALU_DEP_2) | instskip(SKIP_2) | instid1(VALU_DEP_2)
	v_and_b32_e32 v125, v61, v46
	v_cndmask_b32_e64 v33, 0, 1, vcc_lo
	v_cmp_gt_u32_e32 vcc_lo, s0, v63
	v_and_b32_e32 v126, v33, v43
	v_cndmask_b32_e64 v44, 0, 1, vcc_lo
	v_cmp_gt_u32_e32 vcc_lo, s0, v64
	s_delay_alu instid0(VALU_DEP_2) | instskip(SKIP_2) | instid1(VALU_DEP_2)
	v_and_b32_e32 v124, v44, v39
	v_cndmask_b32_e64 v45, 0, 1, vcc_lo
	v_cmp_gt_u32_e32 vcc_lo, s0, v65
	v_and_b32_e32 v123, v45, v40
	v_cndmask_b32_e64 v46, 0, 1, vcc_lo
	v_cmp_gt_u32_e32 vcc_lo, s0, v66
	s_delay_alu instid0(VALU_DEP_2) | instskip(SKIP_2) | instid1(VALU_DEP_2)
	v_and_b32_e32 v122, v46, v41
	v_cndmask_b32_e64 v47, 0, 1, vcc_lo
	v_cmp_gt_u32_e32 vcc_lo, s0, v67
	v_and_b32_e32 v120, v47, v42
	v_cndmask_b32_e64 v33, 0, 1, vcc_lo
	v_cmp_gt_u32_e32 vcc_lo, s0, v68
	s_delay_alu instid0(VALU_DEP_2) | instskip(SKIP_2) | instid1(VALU_DEP_2)
	v_and_b32_e32 v121, v33, v34
	v_cndmask_b32_e64 v39, 0, 1, vcc_lo
	v_cmp_gt_u32_e32 vcc_lo, s0, v69
	v_and_b32_e32 v119, v39, v35
	v_cndmask_b32_e64 v40, 0, 1, vcc_lo
	v_cmp_gt_u32_e32 vcc_lo, s0, v70
	s_delay_alu instid0(VALU_DEP_2) | instskip(SKIP_2) | instid1(VALU_DEP_2)
	v_and_b32_e32 v118, v40, v36
	v_cndmask_b32_e64 v41, 0, 1, vcc_lo
	v_cmp_gt_u32_e32 vcc_lo, s0, v71
	v_and_b32_e32 v117, v41, v37
	v_cndmask_b32_e64 v42, 0, 1, vcc_lo
	v_cmp_gt_u32_e32 vcc_lo, s0, v72
	s_delay_alu instid0(VALU_DEP_2) | instskip(SKIP_2) | instid1(VALU_DEP_2)
	v_and_b32_e32 v115, v42, v38
	v_cndmask_b32_e64 v33, 0, 1, vcc_lo
	v_cmp_gt_u32_e32 vcc_lo, s0, v73
	v_and_b32_e32 v116, v33, v28
	v_cndmask_b32_e64 v34, 0, 1, vcc_lo
	v_cmp_gt_u32_e32 vcc_lo, s0, v74
	s_delay_alu instid0(VALU_DEP_2) | instskip(SKIP_2) | instid1(VALU_DEP_2)
	v_and_b32_e32 v114, v34, v29
	v_cndmask_b32_e64 v35, 0, 1, vcc_lo
	v_cmp_gt_u32_e32 vcc_lo, s0, v75
	v_and_b32_e32 v112, v35, v30
	v_cndmask_b32_e64 v36, 0, 1, vcc_lo
	v_cmp_gt_u32_e32 vcc_lo, s0, v76
	s_delay_alu instid0(VALU_DEP_2) | instskip(SKIP_2) | instid1(VALU_DEP_2)
	v_and_b32_e32 v111, v36, v31
	v_cndmask_b32_e64 v37, 0, 1, vcc_lo
	v_cmp_gt_u32_e32 vcc_lo, s0, v77
	v_and_b32_e32 v108, v37, v32
	v_cndmask_b32_e64 v28, 0, 1, vcc_lo
	v_cmp_gt_u32_e32 vcc_lo, s0, v57
	s_delay_alu instid0(VALU_DEP_2) | instskip(SKIP_2) | instid1(VALU_DEP_2)
	v_and_b32_e32 v110, v28, v6
	v_cndmask_b32_e64 v29, 0, 1, vcc_lo
	v_cmp_gt_u32_e32 vcc_lo, s0, v56
	v_and_b32_e32 v107, v29, v7
	v_cndmask_b32_e64 v30, 0, 1, vcc_lo
	v_cmp_gt_u32_e32 vcc_lo, s0, v55
	s_delay_alu instid0(VALU_DEP_2) | instskip(SKIP_2) | instid1(VALU_DEP_2)
	v_and_b32_e32 v106, v30, v8
	v_cndmask_b32_e64 v31, 0, 1, vcc_lo
	v_cmp_gt_u32_e32 vcc_lo, s0, v54
	v_and_b32_e32 v104, v31, v26
	v_cndmask_b32_e64 v32, 0, 1, vcc_lo
	v_cmp_gt_u32_e32 vcc_lo, s0, v53
	s_delay_alu instid0(VALU_DEP_2) | instskip(SKIP_2) | instid1(VALU_DEP_2)
	v_and_b32_e32 v102, v32, v27
	v_cndmask_b32_e64 v6, 0, 1, vcc_lo
	v_cmp_gt_u32_e32 vcc_lo, s0, v52
	v_and_b32_e32 v103, v6, v1
	v_cndmask_b32_e64 v7, 0, 1, vcc_lo
	v_cmp_gt_u32_e32 vcc_lo, s0, v51
	s_delay_alu instid0(VALU_DEP_2) | instskip(SKIP_2) | instid1(VALU_DEP_2)
	v_and_b32_e32 v101, v7, v2
	v_cndmask_b32_e64 v8, 0, 1, vcc_lo
	v_cmp_gt_u32_e32 vcc_lo, s0, v50
	v_and_b32_e32 v99, v8, v3
	v_cndmask_b32_e64 v26, 0, 1, vcc_lo
	v_cmp_gt_u32_e32 vcc_lo, s0, v49
	s_delay_alu instid0(VALU_DEP_2) | instskip(SKIP_1) | instid1(VALU_DEP_1)
	v_and_b32_e32 v98, v26, v4
	v_cndmask_b32_e64 v27, 0, 1, vcc_lo
	v_and_b32_e32 v96, v27, v5
.LBB438_72:
	s_delay_alu instid0(VALU_DEP_2) | instskip(NEXT) | instid1(VALU_DEP_2)
	v_and_b32_e32 v84, 0xff, v98
	v_dual_mov_b32 v2, 0 :: v_dual_and_b32 v1, 0xff, v96
	v_and_b32_e32 v85, 0xff, v99
	v_and_b32_e32 v131, 0xff, v101
	;; [unrolled: 1-line block ×3, first 2 shown]
	s_delay_alu instid0(VALU_DEP_4) | instskip(NEXT) | instid1(VALU_DEP_1)
	v_add_co_u32 v1, s0, v84, v1
	v_add_co_ci_u32_e64 v3, null, 0, 0, s0
	v_and_b32_e32 v133, 0xff, v102
	s_delay_alu instid0(VALU_DEP_3) | instskip(NEXT) | instid1(VALU_DEP_3)
	v_add_co_u32 v1, vcc_lo, v1, v85
	v_add_co_ci_u32_e32 v3, vcc_lo, 0, v3, vcc_lo
	v_and_b32_e32 v34, 0xff, v104
	s_delay_alu instid0(VALU_DEP_3) | instskip(NEXT) | instid1(VALU_DEP_3)
	v_add_co_u32 v1, vcc_lo, v1, v131
	v_add_co_ci_u32_e32 v3, vcc_lo, 0, v3, vcc_lo
	;; [unrolled: 4-line block ×24, first 2 shown]
	v_mbcnt_lo_u32_b32 v58, -1, 0
	s_delay_alu instid0(VALU_DEP_3) | instskip(NEXT) | instid1(VALU_DEP_3)
	v_add_co_u32 v1, vcc_lo, v1, v55
	v_add_co_ci_u32_e32 v3, vcc_lo, 0, v3, vcc_lo
	v_and_b32_e32 v46, 0xff, v130
	s_delay_alu instid0(VALU_DEP_3) | instskip(NEXT) | instid1(VALU_DEP_3)
	v_add_co_u32 v1, vcc_lo, v1, v56
	v_add_co_ci_u32_e32 v3, vcc_lo, 0, v3, vcc_lo
	v_and_b32_e32 v59, 15, v58
	s_delay_alu instid0(VALU_DEP_3) | instskip(NEXT) | instid1(VALU_DEP_3)
	v_add_co_u32 v1, vcc_lo, v1, v57
	v_add_co_ci_u32_e32 v3, vcc_lo, 0, v3, vcc_lo
	s_delay_alu instid0(VALU_DEP_3) | instskip(NEXT) | instid1(VALU_DEP_3)
	v_cmp_ne_u32_e64 s0, 0, v59
	v_add_co_u32 v26, vcc_lo, v1, v46
	s_delay_alu instid0(VALU_DEP_3)
	v_add_co_ci_u32_e32 v27, vcc_lo, 0, v3, vcc_lo
	s_cmp_lg_u32 s4, 0
	s_mov_b32 s1, -1
	s_cbranch_scc0 .LBB438_137
; %bb.73:
	v_mov_b32_e32 v3, v26
	v_mov_b32_dpp v1, v26 row_shr:1 row_mask:0xf bank_mask:0xf
	v_mov_b32_dpp v6, v2 row_shr:1 row_mask:0xf bank_mask:0xf
	v_dual_mov_b32 v5, v26 :: v_dual_mov_b32 v4, v27
	s_and_saveexec_b32 s1, s0
; %bb.74:
	s_delay_alu instid0(VALU_DEP_3) | instskip(SKIP_1) | instid1(VALU_DEP_2)
	v_add_co_u32 v5, vcc_lo, v26, v1
	v_add_co_ci_u32_e32 v2, vcc_lo, 0, v27, vcc_lo
	v_add_co_u32 v1, vcc_lo, 0, v5
	s_delay_alu instid0(VALU_DEP_2) | instskip(NEXT) | instid1(VALU_DEP_1)
	v_add_co_ci_u32_e32 v2, vcc_lo, v6, v2, vcc_lo
	v_dual_mov_b32 v4, v2 :: v_dual_mov_b32 v3, v1
; %bb.75:
	s_or_b32 exec_lo, exec_lo, s1
	v_mov_b32_dpp v1, v5 row_shr:2 row_mask:0xf bank_mask:0xf
	v_mov_b32_dpp v6, v2 row_shr:2 row_mask:0xf bank_mask:0xf
	s_mov_b32 s1, exec_lo
	v_cmpx_lt_u32_e32 1, v59
; %bb.76:
	s_delay_alu instid0(VALU_DEP_3) | instskip(SKIP_1) | instid1(VALU_DEP_2)
	v_add_co_u32 v5, vcc_lo, v3, v1
	v_add_co_ci_u32_e32 v2, vcc_lo, 0, v4, vcc_lo
	v_add_co_u32 v1, vcc_lo, 0, v5
	s_delay_alu instid0(VALU_DEP_2) | instskip(NEXT) | instid1(VALU_DEP_1)
	v_add_co_ci_u32_e32 v2, vcc_lo, v6, v2, vcc_lo
	v_dual_mov_b32 v4, v2 :: v_dual_mov_b32 v3, v1
; %bb.77:
	s_or_b32 exec_lo, exec_lo, s1
	v_mov_b32_dpp v1, v5 row_shr:4 row_mask:0xf bank_mask:0xf
	v_mov_b32_dpp v6, v2 row_shr:4 row_mask:0xf bank_mask:0xf
	s_mov_b32 s1, exec_lo
	v_cmpx_lt_u32_e32 3, v59
; %bb.78:
	s_delay_alu instid0(VALU_DEP_3) | instskip(SKIP_1) | instid1(VALU_DEP_2)
	v_add_co_u32 v5, vcc_lo, v3, v1
	v_add_co_ci_u32_e32 v2, vcc_lo, 0, v4, vcc_lo
	v_add_co_u32 v1, vcc_lo, 0, v5
	s_delay_alu instid0(VALU_DEP_2) | instskip(NEXT) | instid1(VALU_DEP_1)
	v_add_co_ci_u32_e32 v2, vcc_lo, v6, v2, vcc_lo
	v_dual_mov_b32 v4, v2 :: v_dual_mov_b32 v3, v1
; %bb.79:
	s_or_b32 exec_lo, exec_lo, s1
	v_mov_b32_dpp v6, v5 row_shr:8 row_mask:0xf bank_mask:0xf
	v_mov_b32_dpp v1, v2 row_shr:8 row_mask:0xf bank_mask:0xf
	s_mov_b32 s1, exec_lo
	v_cmpx_lt_u32_e32 7, v59
; %bb.80:
	s_delay_alu instid0(VALU_DEP_3) | instskip(SKIP_1) | instid1(VALU_DEP_2)
	v_add_co_u32 v5, vcc_lo, v3, v6
	v_add_co_ci_u32_e32 v2, vcc_lo, 0, v4, vcc_lo
	v_add_co_u32 v3, vcc_lo, 0, v5
	s_delay_alu instid0(VALU_DEP_2) | instskip(NEXT) | instid1(VALU_DEP_1)
	v_add_co_ci_u32_e32 v4, vcc_lo, v1, v2, vcc_lo
	v_mov_b32_e32 v2, v4
; %bb.81:
	s_or_b32 exec_lo, exec_lo, s1
	ds_swizzle_b32 v1, v5 offset:swizzle(BROADCAST,32,15)
	ds_swizzle_b32 v6, v2 offset:swizzle(BROADCAST,32,15)
	v_and_b32_e32 v7, 16, v58
	s_mov_b32 s1, exec_lo
	s_delay_alu instid0(VALU_DEP_1)
	v_cmpx_ne_u32_e32 0, v7
	s_cbranch_execz .LBB438_83
; %bb.82:
	s_waitcnt lgkmcnt(1)
	v_add_co_u32 v5, vcc_lo, v3, v1
	v_add_co_ci_u32_e32 v2, vcc_lo, 0, v4, vcc_lo
	s_delay_alu instid0(VALU_DEP_2) | instskip(SKIP_1) | instid1(VALU_DEP_2)
	v_add_co_u32 v1, vcc_lo, 0, v5
	s_waitcnt lgkmcnt(0)
	v_add_co_ci_u32_e32 v2, vcc_lo, v6, v2, vcc_lo
	s_delay_alu instid0(VALU_DEP_1)
	v_dual_mov_b32 v4, v2 :: v_dual_mov_b32 v3, v1
.LBB438_83:
	s_or_b32 exec_lo, exec_lo, s1
	s_waitcnt lgkmcnt(0)
	v_or_b32_e32 v6, 31, v0
	v_lshrrev_b32_e32 v1, 5, v0
	s_mov_b32 s1, exec_lo
	s_delay_alu instid0(VALU_DEP_2)
	v_cmpx_eq_u32_e64 v6, v0
	s_cbranch_execz .LBB438_85
; %bb.84:
	s_delay_alu instid0(VALU_DEP_2)
	v_lshlrev_b32_e32 v6, 3, v1
	ds_store_b64 v6, v[3:4]
.LBB438_85:
	s_or_b32 exec_lo, exec_lo, s1
	s_delay_alu instid0(SALU_CYCLE_1)
	s_mov_b32 s1, exec_lo
	s_waitcnt lgkmcnt(0)
	s_barrier
	buffer_gl0_inv
	v_cmpx_gt_u32_e32 4, v0
	s_cbranch_execz .LBB438_91
; %bb.86:
	v_lshlrev_b32_e32 v6, 3, v0
	s_mov_b32 s6, exec_lo
	ds_load_b64 v[3:4], v6
	s_waitcnt lgkmcnt(0)
	v_dual_mov_b32 v8, v3 :: v_dual_and_b32 v7, 3, v58
	v_mov_b32_dpp v29, v3 row_shr:1 row_mask:0xf bank_mask:0xf
	v_mov_b32_dpp v28, v4 row_shr:1 row_mask:0xf bank_mask:0xf
	s_delay_alu instid0(VALU_DEP_3)
	v_cmpx_ne_u32_e32 0, v7
; %bb.87:
	s_delay_alu instid0(VALU_DEP_3) | instskip(SKIP_1) | instid1(VALU_DEP_2)
	v_add_co_u32 v8, vcc_lo, v3, v29
	v_add_co_ci_u32_e32 v4, vcc_lo, 0, v4, vcc_lo
	v_add_co_u32 v3, vcc_lo, 0, v8
	s_delay_alu instid0(VALU_DEP_2)
	v_add_co_ci_u32_e32 v4, vcc_lo, v28, v4, vcc_lo
; %bb.88:
	s_or_b32 exec_lo, exec_lo, s6
	v_mov_b32_dpp v28, v8 row_shr:2 row_mask:0xf bank_mask:0xf
	s_delay_alu instid0(VALU_DEP_2)
	v_mov_b32_dpp v8, v4 row_shr:2 row_mask:0xf bank_mask:0xf
	s_mov_b32 s6, exec_lo
	v_cmpx_lt_u32_e32 1, v7
; %bb.89:
	s_delay_alu instid0(VALU_DEP_3) | instskip(SKIP_1) | instid1(VALU_DEP_2)
	v_add_co_u32 v3, vcc_lo, v3, v28
	v_add_co_ci_u32_e32 v4, vcc_lo, 0, v4, vcc_lo
	v_add_co_u32 v3, vcc_lo, v3, 0
	s_delay_alu instid0(VALU_DEP_2)
	v_add_co_ci_u32_e32 v4, vcc_lo, v4, v8, vcc_lo
; %bb.90:
	s_or_b32 exec_lo, exec_lo, s6
	ds_store_b64 v6, v[3:4]
.LBB438_91:
	s_or_b32 exec_lo, exec_lo, s1
	v_cmp_gt_u32_e32 vcc_lo, 32, v0
	s_mov_b32 s6, exec_lo
	s_waitcnt lgkmcnt(0)
	s_barrier
	buffer_gl0_inv
                                        ; implicit-def: $vgpr28_vgpr29
	v_cmpx_lt_u32_e32 31, v0
	s_cbranch_execz .LBB438_93
; %bb.92:
	v_lshl_add_u32 v1, v1, 3, -8
	ds_load_b64 v[28:29], v1
	s_waitcnt lgkmcnt(0)
	v_add_co_u32 v5, s1, v5, v28
	s_delay_alu instid0(VALU_DEP_1)
	v_add_co_ci_u32_e64 v2, s1, v2, v29, s1
.LBB438_93:
	s_or_b32 exec_lo, exec_lo, s6
	v_add_nc_u32_e32 v1, -1, v58
	s_delay_alu instid0(VALU_DEP_1) | instskip(NEXT) | instid1(VALU_DEP_1)
	v_cmp_gt_i32_e64 s1, 0, v1
	v_cndmask_b32_e64 v1, v1, v58, s1
	v_cmp_eq_u32_e64 s1, 0, v58
	s_delay_alu instid0(VALU_DEP_2)
	v_lshlrev_b32_e32 v1, 2, v1
	ds_bpermute_b32 v60, v1, v5
	ds_bpermute_b32 v61, v1, v2
	s_and_saveexec_b32 s6, vcc_lo
	s_cbranch_execz .LBB438_136
; %bb.94:
	v_mov_b32_e32 v4, 0
	ds_load_b64 v[1:2], v4 offset:24
	s_and_saveexec_b32 s7, s1
	s_cbranch_execz .LBB438_96
; %bb.95:
	s_add_i32 s10, s4, 32
	s_mov_b32 s11, 0
	s_delay_alu instid0(SALU_CYCLE_1) | instskip(NEXT) | instid1(SALU_CYCLE_1)
	s_lshl_b64 s[10:11], s[10:11], 4
	s_add_u32 s10, s14, s10
	s_addc_u32 s11, s15, s11
	v_mov_b32_e32 v5, s10
	v_dual_mov_b32 v3, 1 :: v_dual_mov_b32 v6, s11
	s_waitcnt lgkmcnt(0)
	;;#ASMSTART
	global_store_dwordx4 v[5:6], v[1:4] off	
s_waitcnt vmcnt(0)
	;;#ASMEND
.LBB438_96:
	s_or_b32 exec_lo, exec_lo, s7
	v_xad_u32 v30, v58, -1, s4
	s_mov_b32 s10, 0
	s_mov_b32 s7, exec_lo
	s_delay_alu instid0(VALU_DEP_1) | instskip(NEXT) | instid1(VALU_DEP_1)
	v_add_nc_u32_e32 v3, 32, v30
	v_lshlrev_b64 v[3:4], 4, v[3:4]
	s_delay_alu instid0(VALU_DEP_1) | instskip(NEXT) | instid1(VALU_DEP_2)
	v_add_co_u32 v3, vcc_lo, s14, v3
	v_add_co_ci_u32_e32 v4, vcc_lo, s15, v4, vcc_lo
	;;#ASMSTART
	global_load_dwordx4 v[5:8], v[3:4] off glc	
s_waitcnt vmcnt(0)
	;;#ASMEND
	v_and_b32_e32 v8, 0xff, v6
	v_and_b32_e32 v31, 0xff00, v6
	v_or3_b32 v5, v5, 0, 0
	v_and_b32_e32 v32, 0xff000000, v6
	v_and_b32_e32 v6, 0xff0000, v6
	s_delay_alu instid0(VALU_DEP_4) | instskip(SKIP_2) | instid1(VALU_DEP_3)
	v_or3_b32 v8, 0, v8, v31
	v_and_b32_e32 v31, 0xff, v7
	v_or3_b32 v5, v5, 0, 0
	v_or3_b32 v6, v8, v6, v32
	s_delay_alu instid0(VALU_DEP_3)
	v_cmpx_eq_u16_e32 0, v31
	s_cbranch_execz .LBB438_102
; %bb.97:
	s_mov_b32 s11, 1
	.p2align	6
.LBB438_98:                             ; =>This Loop Header: Depth=1
                                        ;     Child Loop BB438_99 Depth 2
	s_delay_alu instid0(SALU_CYCLE_1)
	s_max_u32 s16, s11, 1
.LBB438_99:                             ;   Parent Loop BB438_98 Depth=1
                                        ; =>  This Inner Loop Header: Depth=2
	s_delay_alu instid0(SALU_CYCLE_1)
	s_add_i32 s16, s16, -1
	s_sleep 1
	s_cmp_eq_u32 s16, 0
	s_cbranch_scc0 .LBB438_99
; %bb.100:                              ;   in Loop: Header=BB438_98 Depth=1
	;;#ASMSTART
	global_load_dwordx4 v[5:8], v[3:4] off glc	
s_waitcnt vmcnt(0)
	;;#ASMEND
	v_and_b32_e32 v8, 0xff, v7
	s_cmp_lt_u32 s11, 32
	s_cselect_b32 s16, -1, 0
	s_delay_alu instid0(SALU_CYCLE_1) | instskip(NEXT) | instid1(VALU_DEP_1)
	s_cmp_lg_u32 s16, 0
	v_cmp_ne_u16_e32 vcc_lo, 0, v8
	s_addc_u32 s11, s11, 0
	s_or_b32 s10, vcc_lo, s10
	s_delay_alu instid0(SALU_CYCLE_1)
	s_and_not1_b32 exec_lo, exec_lo, s10
	s_cbranch_execnz .LBB438_98
; %bb.101:
	s_or_b32 exec_lo, exec_lo, s10
.LBB438_102:
	s_delay_alu instid0(SALU_CYCLE_1)
	s_or_b32 exec_lo, exec_lo, s7
	v_cmp_ne_u32_e32 vcc_lo, 31, v58
	v_and_b32_e32 v4, 0xff, v7
	v_lshlrev_b32_e64 v63, v58, -1
	s_mov_b32 s7, exec_lo
	v_add_co_ci_u32_e32 v3, vcc_lo, 0, v58, vcc_lo
	s_delay_alu instid0(VALU_DEP_3) | instskip(SKIP_1) | instid1(VALU_DEP_3)
	v_cmp_eq_u16_e32 vcc_lo, 2, v4
	v_mov_b32_e32 v4, v5
	v_lshlrev_b32_e32 v62, 2, v3
	v_and_or_b32 v3, vcc_lo, v63, 0x80000000
	ds_bpermute_b32 v31, v62, v5
	ds_bpermute_b32 v8, v62, v6
	v_ctz_i32_b32_e32 v3, v3
	s_delay_alu instid0(VALU_DEP_1)
	v_cmpx_lt_u32_e64 v58, v3
	s_cbranch_execz .LBB438_104
; %bb.103:
	s_waitcnt lgkmcnt(1)
	v_add_co_u32 v4, vcc_lo, v5, v31
	v_add_co_ci_u32_e32 v6, vcc_lo, 0, v6, vcc_lo
	s_delay_alu instid0(VALU_DEP_2) | instskip(SKIP_1) | instid1(VALU_DEP_2)
	v_add_co_u32 v5, vcc_lo, 0, v4
	s_waitcnt lgkmcnt(0)
	v_add_co_ci_u32_e32 v6, vcc_lo, v8, v6, vcc_lo
.LBB438_104:
	s_or_b32 exec_lo, exec_lo, s7
	v_cmp_gt_u32_e32 vcc_lo, 30, v58
	v_add_nc_u32_e32 v65, 2, v58
	s_mov_b32 s7, exec_lo
	s_waitcnt lgkmcnt(0)
	v_cndmask_b32_e64 v8, 0, 1, vcc_lo
	s_delay_alu instid0(VALU_DEP_1) | instskip(NEXT) | instid1(VALU_DEP_1)
	v_lshlrev_b32_e32 v8, 1, v8
	v_add_lshl_u32 v64, v8, v58, 2
	ds_bpermute_b32 v31, v64, v4
	ds_bpermute_b32 v8, v64, v6
	v_cmpx_le_u32_e64 v65, v3
	s_cbranch_execz .LBB438_106
; %bb.105:
	s_waitcnt lgkmcnt(1)
	v_add_co_u32 v4, vcc_lo, v5, v31
	v_add_co_ci_u32_e32 v6, vcc_lo, 0, v6, vcc_lo
	s_delay_alu instid0(VALU_DEP_2) | instskip(SKIP_1) | instid1(VALU_DEP_2)
	v_add_co_u32 v5, vcc_lo, 0, v4
	s_waitcnt lgkmcnt(0)
	v_add_co_ci_u32_e32 v6, vcc_lo, v8, v6, vcc_lo
.LBB438_106:
	s_or_b32 exec_lo, exec_lo, s7
	v_cmp_gt_u32_e32 vcc_lo, 28, v58
	v_add_nc_u32_e32 v67, 4, v58
	s_mov_b32 s7, exec_lo
	s_waitcnt lgkmcnt(0)
	v_cndmask_b32_e64 v8, 0, 1, vcc_lo
	s_delay_alu instid0(VALU_DEP_1) | instskip(NEXT) | instid1(VALU_DEP_1)
	v_lshlrev_b32_e32 v8, 2, v8
	v_add_lshl_u32 v66, v8, v58, 2
	ds_bpermute_b32 v31, v66, v4
	ds_bpermute_b32 v8, v66, v6
	v_cmpx_le_u32_e64 v67, v3
	;; [unrolled: 22-line block ×4, first 2 shown]
	s_cbranch_execz .LBB438_112
; %bb.111:
	s_waitcnt lgkmcnt(1)
	v_add_co_u32 v3, vcc_lo, v5, v8
	v_add_co_ci_u32_e32 v6, vcc_lo, 0, v6, vcc_lo
	s_delay_alu instid0(VALU_DEP_2) | instskip(SKIP_1) | instid1(VALU_DEP_2)
	v_add_co_u32 v5, vcc_lo, v3, 0
	s_waitcnt lgkmcnt(0)
	v_add_co_ci_u32_e32 v6, vcc_lo, v6, v4, vcc_lo
.LBB438_112:
	s_or_b32 exec_lo, exec_lo, s7
	v_mov_b32_e32 v31, 0
	s_branch .LBB438_114
.LBB438_113:                            ;   in Loop: Header=BB438_114 Depth=1
	s_or_b32 exec_lo, exec_lo, s7
	v_add_co_u32 v5, vcc_lo, v5, v3
	v_subrev_nc_u32_e32 v30, 32, v30
	v_add_co_ci_u32_e32 v6, vcc_lo, v6, v4, vcc_lo
.LBB438_114:                            ; =>This Loop Header: Depth=1
                                        ;     Child Loop BB438_117 Depth 2
                                        ;       Child Loop BB438_118 Depth 3
	v_and_b32_e32 v3, 0xff, v7
	s_delay_alu instid0(VALU_DEP_1) | instskip(SKIP_2) | instid1(VALU_DEP_1)
	v_cmp_ne_u16_e32 vcc_lo, 2, v3
	v_cndmask_b32_e64 v3, 0, 1, vcc_lo
	;;#ASMSTART
	;;#ASMEND
	v_cmp_ne_u32_e32 vcc_lo, 0, v3
	s_waitcnt lgkmcnt(0)
	v_dual_mov_b32 v3, v5 :: v_dual_mov_b32 v4, v6
	s_cmp_lg_u32 vcc_lo, exec_lo
	s_cbranch_scc1 .LBB438_131
; %bb.115:                              ;   in Loop: Header=BB438_114 Depth=1
	v_lshlrev_b64 v[5:6], 4, v[30:31]
	s_mov_b32 s7, exec_lo
	s_delay_alu instid0(VALU_DEP_1) | instskip(NEXT) | instid1(VALU_DEP_2)
	v_add_co_u32 v32, vcc_lo, s14, v5
	v_add_co_ci_u32_e32 v33, vcc_lo, s15, v6, vcc_lo
	;;#ASMSTART
	global_load_dwordx4 v[5:8], v[32:33] off glc	
s_waitcnt vmcnt(0)
	;;#ASMEND
	v_and_b32_e32 v8, 0xff, v6
	v_and_b32_e32 v72, 0xff00, v6
	v_or3_b32 v5, v5, 0, 0
	v_and_b32_e32 v73, 0xff000000, v6
	v_and_b32_e32 v6, 0xff0000, v6
	s_delay_alu instid0(VALU_DEP_4) | instskip(SKIP_2) | instid1(VALU_DEP_3)
	v_or3_b32 v8, 0, v8, v72
	v_and_b32_e32 v72, 0xff, v7
	v_or3_b32 v5, v5, 0, 0
	v_or3_b32 v6, v8, v6, v73
	s_delay_alu instid0(VALU_DEP_3)
	v_cmpx_eq_u16_e32 0, v72
	s_cbranch_execz .LBB438_121
; %bb.116:                              ;   in Loop: Header=BB438_114 Depth=1
	s_mov_b32 s11, 1
	s_mov_b32 s10, 0
	.p2align	6
.LBB438_117:                            ;   Parent Loop BB438_114 Depth=1
                                        ; =>  This Loop Header: Depth=2
                                        ;       Child Loop BB438_118 Depth 3
	s_max_u32 s16, s11, 1
.LBB438_118:                            ;   Parent Loop BB438_114 Depth=1
                                        ;     Parent Loop BB438_117 Depth=2
                                        ; =>    This Inner Loop Header: Depth=3
	s_delay_alu instid0(SALU_CYCLE_1)
	s_add_i32 s16, s16, -1
	s_sleep 1
	s_cmp_eq_u32 s16, 0
	s_cbranch_scc0 .LBB438_118
; %bb.119:                              ;   in Loop: Header=BB438_117 Depth=2
	;;#ASMSTART
	global_load_dwordx4 v[5:8], v[32:33] off glc	
s_waitcnt vmcnt(0)
	;;#ASMEND
	v_and_b32_e32 v8, 0xff, v7
	s_cmp_lt_u32 s11, 32
	s_cselect_b32 s16, -1, 0
	s_delay_alu instid0(SALU_CYCLE_1) | instskip(NEXT) | instid1(VALU_DEP_1)
	s_cmp_lg_u32 s16, 0
	v_cmp_ne_u16_e32 vcc_lo, 0, v8
	s_addc_u32 s11, s11, 0
	s_or_b32 s10, vcc_lo, s10
	s_delay_alu instid0(SALU_CYCLE_1)
	s_and_not1_b32 exec_lo, exec_lo, s10
	s_cbranch_execnz .LBB438_117
; %bb.120:                              ;   in Loop: Header=BB438_114 Depth=1
	s_or_b32 exec_lo, exec_lo, s10
.LBB438_121:                            ;   in Loop: Header=BB438_114 Depth=1
	s_delay_alu instid0(SALU_CYCLE_1)
	s_or_b32 exec_lo, exec_lo, s7
	v_and_b32_e32 v8, 0xff, v7
	ds_bpermute_b32 v72, v62, v5
	ds_bpermute_b32 v33, v62, v6
	v_mov_b32_e32 v32, v5
	s_mov_b32 s7, exec_lo
	v_cmp_eq_u16_e32 vcc_lo, 2, v8
	v_and_or_b32 v8, vcc_lo, v63, 0x80000000
	s_delay_alu instid0(VALU_DEP_1) | instskip(NEXT) | instid1(VALU_DEP_1)
	v_ctz_i32_b32_e32 v8, v8
	v_cmpx_lt_u32_e64 v58, v8
	s_cbranch_execz .LBB438_123
; %bb.122:                              ;   in Loop: Header=BB438_114 Depth=1
	s_waitcnt lgkmcnt(1)
	v_add_co_u32 v32, vcc_lo, v5, v72
	v_add_co_ci_u32_e32 v6, vcc_lo, 0, v6, vcc_lo
	s_delay_alu instid0(VALU_DEP_2) | instskip(SKIP_1) | instid1(VALU_DEP_2)
	v_add_co_u32 v5, vcc_lo, 0, v32
	s_waitcnt lgkmcnt(0)
	v_add_co_ci_u32_e32 v6, vcc_lo, v33, v6, vcc_lo
.LBB438_123:                            ;   in Loop: Header=BB438_114 Depth=1
	s_or_b32 exec_lo, exec_lo, s7
	s_waitcnt lgkmcnt(1)
	ds_bpermute_b32 v72, v64, v32
	s_waitcnt lgkmcnt(1)
	ds_bpermute_b32 v33, v64, v6
	s_mov_b32 s7, exec_lo
	v_cmpx_le_u32_e64 v65, v8
	s_cbranch_execz .LBB438_125
; %bb.124:                              ;   in Loop: Header=BB438_114 Depth=1
	s_waitcnt lgkmcnt(1)
	v_add_co_u32 v32, vcc_lo, v5, v72
	v_add_co_ci_u32_e32 v6, vcc_lo, 0, v6, vcc_lo
	s_delay_alu instid0(VALU_DEP_2) | instskip(SKIP_1) | instid1(VALU_DEP_2)
	v_add_co_u32 v5, vcc_lo, 0, v32
	s_waitcnt lgkmcnt(0)
	v_add_co_ci_u32_e32 v6, vcc_lo, v33, v6, vcc_lo
.LBB438_125:                            ;   in Loop: Header=BB438_114 Depth=1
	s_or_b32 exec_lo, exec_lo, s7
	s_waitcnt lgkmcnt(1)
	ds_bpermute_b32 v72, v66, v32
	s_waitcnt lgkmcnt(1)
	ds_bpermute_b32 v33, v66, v6
	s_mov_b32 s7, exec_lo
	v_cmpx_le_u32_e64 v67, v8
	;; [unrolled: 17-line block ×3, first 2 shown]
	s_cbranch_execz .LBB438_129
; %bb.128:                              ;   in Loop: Header=BB438_114 Depth=1
	s_waitcnt lgkmcnt(1)
	v_add_co_u32 v32, vcc_lo, v5, v72
	v_add_co_ci_u32_e32 v6, vcc_lo, 0, v6, vcc_lo
	s_delay_alu instid0(VALU_DEP_2) | instskip(SKIP_1) | instid1(VALU_DEP_2)
	v_add_co_u32 v5, vcc_lo, 0, v32
	s_waitcnt lgkmcnt(0)
	v_add_co_ci_u32_e32 v6, vcc_lo, v33, v6, vcc_lo
.LBB438_129:                            ;   in Loop: Header=BB438_114 Depth=1
	s_or_b32 exec_lo, exec_lo, s7
	s_waitcnt lgkmcnt(0)
	ds_bpermute_b32 v33, v70, v32
	ds_bpermute_b32 v32, v70, v6
	s_mov_b32 s7, exec_lo
	v_cmpx_le_u32_e64 v71, v8
	s_cbranch_execz .LBB438_113
; %bb.130:                              ;   in Loop: Header=BB438_114 Depth=1
	s_waitcnt lgkmcnt(1)
	v_add_co_u32 v5, vcc_lo, v5, v33
	v_add_co_ci_u32_e32 v6, vcc_lo, 0, v6, vcc_lo
	s_delay_alu instid0(VALU_DEP_2) | instskip(SKIP_1) | instid1(VALU_DEP_2)
	v_add_co_u32 v5, vcc_lo, v5, 0
	s_waitcnt lgkmcnt(0)
	v_add_co_ci_u32_e32 v6, vcc_lo, v6, v32, vcc_lo
	s_branch .LBB438_113
.LBB438_131:                            ;   in Loop: Header=BB438_114 Depth=1
                                        ; implicit-def: $vgpr5_vgpr6
	s_cbranch_execz .LBB438_114
; %bb.132:
	s_and_saveexec_b32 s7, s1
	s_cbranch_execz .LBB438_134
; %bb.133:
	s_add_i32 s10, s4, 32
	s_mov_b32 s11, 0
	v_add_co_u32 v5, vcc_lo, v3, v1
	s_lshl_b64 s[10:11], s[10:11], 4
	v_dual_mov_b32 v7, 2 :: v_dual_mov_b32 v8, 0
	s_add_u32 s10, s14, s10
	s_addc_u32 s11, s15, s11
	v_add_co_ci_u32_e32 v6, vcc_lo, v4, v2, vcc_lo
	v_dual_mov_b32 v31, s11 :: v_dual_mov_b32 v30, s10
	;;#ASMSTART
	global_store_dwordx4 v[30:31], v[5:8] off	
s_waitcnt vmcnt(0)
	;;#ASMEND
	ds_store_b128 v8, v[1:4] offset:7680
.LBB438_134:
	s_or_b32 exec_lo, exec_lo, s7
	s_delay_alu instid0(SALU_CYCLE_1)
	s_and_b32 exec_lo, exec_lo, s2
	s_cbranch_execz .LBB438_136
; %bb.135:
	v_mov_b32_e32 v1, 0
	ds_store_b64 v1, v[3:4] offset:24
.LBB438_136:
	s_or_b32 exec_lo, exec_lo, s6
	v_mov_b32_e32 v3, 0
	s_waitcnt lgkmcnt(0)
	s_barrier
	buffer_gl0_inv
	v_cndmask_b32_e64 v8, v61, v29, s1
	ds_load_b64 v[1:2], v3 offset:24
	s_waitcnt lgkmcnt(0)
	s_barrier
	buffer_gl0_inv
	ds_load_b128 v[4:7], v3 offset:7680
	v_cndmask_b32_e64 v3, v60, v28, s1
	v_cndmask_b32_e64 v8, v8, 0, s2
	s_delay_alu instid0(VALU_DEP_2) | instskip(NEXT) | instid1(VALU_DEP_1)
	v_cndmask_b32_e64 v3, v3, 0, s2
	v_add_co_u32 v74, vcc_lo, v1, v3
	s_delay_alu instid0(VALU_DEP_3)
	v_add_co_ci_u32_e32 v75, vcc_lo, v2, v8, vcc_lo
	s_branch .LBB438_161
.LBB438_137:
                                        ; implicit-def: $vgpr6_vgpr7
                                        ; implicit-def: $vgpr74_vgpr75
	s_and_b32 vcc_lo, exec_lo, s1
	s_cbranch_vccz .LBB438_161
; %bb.138:
	v_dual_mov_b32 v2, 0 :: v_dual_mov_b32 v3, v26
	s_waitcnt lgkmcnt(0)
	v_mov_b32_dpp v4, v26 row_shr:1 row_mask:0xf bank_mask:0xf
	s_delay_alu instid0(VALU_DEP_2)
	v_mov_b32_dpp v1, v2 row_shr:1 row_mask:0xf bank_mask:0xf
	s_and_saveexec_b32 s1, s0
; %bb.139:
	s_delay_alu instid0(VALU_DEP_2) | instskip(SKIP_1) | instid1(VALU_DEP_2)
	v_add_co_u32 v3, vcc_lo, v26, v4
	v_add_co_ci_u32_e32 v2, vcc_lo, 0, v27, vcc_lo
	v_add_co_u32 v26, vcc_lo, 0, v3
	s_delay_alu instid0(VALU_DEP_2) | instskip(NEXT) | instid1(VALU_DEP_1)
	v_add_co_ci_u32_e32 v27, vcc_lo, v1, v2, vcc_lo
	v_mov_b32_e32 v2, v27
; %bb.140:
	s_or_b32 exec_lo, exec_lo, s1
	v_mov_b32_dpp v1, v3 row_shr:2 row_mask:0xf bank_mask:0xf
	s_delay_alu instid0(VALU_DEP_2)
	v_mov_b32_dpp v4, v2 row_shr:2 row_mask:0xf bank_mask:0xf
	s_mov_b32 s0, exec_lo
	v_cmpx_lt_u32_e32 1, v59
; %bb.141:
	s_delay_alu instid0(VALU_DEP_3) | instskip(SKIP_1) | instid1(VALU_DEP_2)
	v_add_co_u32 v3, vcc_lo, v26, v1
	v_add_co_ci_u32_e32 v2, vcc_lo, 0, v27, vcc_lo
	v_add_co_u32 v1, vcc_lo, 0, v3
	s_delay_alu instid0(VALU_DEP_2) | instskip(NEXT) | instid1(VALU_DEP_1)
	v_add_co_ci_u32_e32 v2, vcc_lo, v4, v2, vcc_lo
	v_dual_mov_b32 v27, v2 :: v_dual_mov_b32 v26, v1
; %bb.142:
	s_or_b32 exec_lo, exec_lo, s0
	v_mov_b32_dpp v1, v3 row_shr:4 row_mask:0xf bank_mask:0xf
	v_mov_b32_dpp v4, v2 row_shr:4 row_mask:0xf bank_mask:0xf
	s_mov_b32 s0, exec_lo
	v_cmpx_lt_u32_e32 3, v59
; %bb.143:
	s_delay_alu instid0(VALU_DEP_3) | instskip(SKIP_1) | instid1(VALU_DEP_2)
	v_add_co_u32 v3, vcc_lo, v26, v1
	v_add_co_ci_u32_e32 v2, vcc_lo, 0, v27, vcc_lo
	v_add_co_u32 v1, vcc_lo, 0, v3
	s_delay_alu instid0(VALU_DEP_2) | instskip(NEXT) | instid1(VALU_DEP_1)
	v_add_co_ci_u32_e32 v2, vcc_lo, v4, v2, vcc_lo
	v_dual_mov_b32 v27, v2 :: v_dual_mov_b32 v26, v1
; %bb.144:
	s_or_b32 exec_lo, exec_lo, s0
	v_mov_b32_dpp v4, v3 row_shr:8 row_mask:0xf bank_mask:0xf
	v_mov_b32_dpp v1, v2 row_shr:8 row_mask:0xf bank_mask:0xf
	s_mov_b32 s0, exec_lo
	v_cmpx_lt_u32_e32 7, v59
; %bb.145:
	s_delay_alu instid0(VALU_DEP_3) | instskip(SKIP_1) | instid1(VALU_DEP_2)
	v_add_co_u32 v3, vcc_lo, v26, v4
	v_add_co_ci_u32_e32 v2, vcc_lo, 0, v27, vcc_lo
	v_add_co_u32 v26, vcc_lo, 0, v3
	s_delay_alu instid0(VALU_DEP_2) | instskip(NEXT) | instid1(VALU_DEP_1)
	v_add_co_ci_u32_e32 v27, vcc_lo, v1, v2, vcc_lo
	v_mov_b32_e32 v2, v27
; %bb.146:
	s_or_b32 exec_lo, exec_lo, s0
	ds_swizzle_b32 v3, v3 offset:swizzle(BROADCAST,32,15)
	ds_swizzle_b32 v1, v2 offset:swizzle(BROADCAST,32,15)
	v_and_b32_e32 v2, 16, v58
	s_mov_b32 s0, exec_lo
	s_delay_alu instid0(VALU_DEP_1)
	v_cmpx_ne_u32_e32 0, v2
	s_cbranch_execz .LBB438_148
; %bb.147:
	s_waitcnt lgkmcnt(1)
	v_add_co_u32 v2, vcc_lo, v26, v3
	v_add_co_ci_u32_e32 v3, vcc_lo, 0, v27, vcc_lo
	s_delay_alu instid0(VALU_DEP_2) | instskip(SKIP_1) | instid1(VALU_DEP_2)
	v_add_co_u32 v26, vcc_lo, v2, 0
	s_waitcnt lgkmcnt(0)
	v_add_co_ci_u32_e32 v27, vcc_lo, v3, v1, vcc_lo
.LBB438_148:
	s_or_b32 exec_lo, exec_lo, s0
	s_waitcnt lgkmcnt(0)
	v_or_b32_e32 v1, 31, v0
	v_lshrrev_b32_e32 v3, 5, v0
	s_mov_b32 s0, exec_lo
	s_delay_alu instid0(VALU_DEP_2)
	v_cmpx_eq_u32_e64 v1, v0
	s_cbranch_execz .LBB438_150
; %bb.149:
	s_delay_alu instid0(VALU_DEP_2)
	v_lshlrev_b32_e32 v1, 3, v3
	ds_store_b64 v1, v[26:27]
.LBB438_150:
	s_or_b32 exec_lo, exec_lo, s0
	s_delay_alu instid0(SALU_CYCLE_1)
	s_mov_b32 s0, exec_lo
	s_waitcnt lgkmcnt(0)
	s_barrier
	buffer_gl0_inv
	v_cmpx_gt_u32_e32 4, v0
	s_cbranch_execz .LBB438_156
; %bb.151:
	v_lshlrev_b32_e32 v4, 3, v0
	s_mov_b32 s1, exec_lo
	ds_load_b64 v[1:2], v4
	s_waitcnt lgkmcnt(0)
	v_dual_mov_b32 v6, v1 :: v_dual_and_b32 v5, 3, v58
	v_mov_b32_dpp v8, v1 row_shr:1 row_mask:0xf bank_mask:0xf
	v_mov_b32_dpp v7, v2 row_shr:1 row_mask:0xf bank_mask:0xf
	s_delay_alu instid0(VALU_DEP_3)
	v_cmpx_ne_u32_e32 0, v5
; %bb.152:
	s_delay_alu instid0(VALU_DEP_3) | instskip(SKIP_1) | instid1(VALU_DEP_2)
	v_add_co_u32 v6, vcc_lo, v1, v8
	v_add_co_ci_u32_e32 v2, vcc_lo, 0, v2, vcc_lo
	v_add_co_u32 v1, vcc_lo, 0, v6
	s_delay_alu instid0(VALU_DEP_2)
	v_add_co_ci_u32_e32 v2, vcc_lo, v7, v2, vcc_lo
; %bb.153:
	s_or_b32 exec_lo, exec_lo, s1
	v_mov_b32_dpp v7, v6 row_shr:2 row_mask:0xf bank_mask:0xf
	s_delay_alu instid0(VALU_DEP_2)
	v_mov_b32_dpp v6, v2 row_shr:2 row_mask:0xf bank_mask:0xf
	s_mov_b32 s1, exec_lo
	v_cmpx_lt_u32_e32 1, v5
; %bb.154:
	s_delay_alu instid0(VALU_DEP_3) | instskip(SKIP_1) | instid1(VALU_DEP_2)
	v_add_co_u32 v1, vcc_lo, v1, v7
	v_add_co_ci_u32_e32 v2, vcc_lo, 0, v2, vcc_lo
	v_add_co_u32 v1, vcc_lo, v1, 0
	s_delay_alu instid0(VALU_DEP_2)
	v_add_co_ci_u32_e32 v2, vcc_lo, v2, v6, vcc_lo
; %bb.155:
	s_or_b32 exec_lo, exec_lo, s1
	ds_store_b64 v4, v[1:2]
.LBB438_156:
	s_or_b32 exec_lo, exec_lo, s0
	v_mov_b32_e32 v1, 0
	v_mov_b32_e32 v2, 0
	s_mov_b32 s0, exec_lo
	s_waitcnt lgkmcnt(0)
	s_barrier
	buffer_gl0_inv
	v_cmpx_lt_u32_e32 31, v0
	s_cbranch_execz .LBB438_158
; %bb.157:
	v_lshl_add_u32 v1, v3, 3, -8
	ds_load_b64 v[1:2], v1
.LBB438_158:
	s_or_b32 exec_lo, exec_lo, s0
	v_add_nc_u32_e32 v3, -1, v58
	v_mov_b32_e32 v7, 0
	s_delay_alu instid0(VALU_DEP_2) | instskip(SKIP_1) | instid1(VALU_DEP_1)
	v_cmp_gt_i32_e32 vcc_lo, 0, v3
	v_cndmask_b32_e32 v3, v3, v58, vcc_lo
	v_lshlrev_b32_e32 v4, 2, v3
	s_waitcnt lgkmcnt(0)
	v_add_co_u32 v3, vcc_lo, v1, v26
	v_add_co_ci_u32_e32 v5, vcc_lo, v2, v27, vcc_lo
	ds_bpermute_b32 v3, v4, v3
	ds_bpermute_b32 v8, v4, v5
	ds_load_b64 v[4:5], v7 offset:24
	s_and_saveexec_b32 s0, s2
	s_cbranch_execz .LBB438_160
; %bb.159:
	s_add_u32 s6, s14, 0x200
	s_addc_u32 s7, s15, 0
	s_delay_alu instid0(SALU_CYCLE_1)
	v_dual_mov_b32 v6, 2 :: v_dual_mov_b32 v27, s7
	v_mov_b32_e32 v26, s6
	s_waitcnt lgkmcnt(0)
	;;#ASMSTART
	global_store_dwordx4 v[26:27], v[4:7] off	
s_waitcnt vmcnt(0)
	;;#ASMEND
.LBB438_160:
	s_or_b32 exec_lo, exec_lo, s0
	v_cmp_eq_u32_e32 vcc_lo, 0, v58
	v_mov_b32_e32 v6, 0
	v_mov_b32_e32 v7, 0
	s_waitcnt lgkmcnt(0)
	s_barrier
	v_dual_cndmask_b32 v1, v3, v1 :: v_dual_cndmask_b32 v2, v8, v2
	buffer_gl0_inv
	v_cndmask_b32_e64 v74, v1, 0, s2
	v_cndmask_b32_e64 v75, v2, 0, s2
.LBB438_161:
	s_delay_alu instid0(VALU_DEP_2) | instskip(NEXT) | instid1(VALU_DEP_2)
	v_add_co_u32 v82, vcc_lo, v74, v46
	v_add_co_ci_u32_e32 v83, vcc_lo, 0, v75, vcc_lo
	s_delay_alu instid0(VALU_DEP_2) | instskip(NEXT) | instid1(VALU_DEP_2)
	v_add_co_u32 v80, vcc_lo, v82, v57
	v_add_co_ci_u32_e32 v81, vcc_lo, 0, v83, vcc_lo
	;; [unrolled: 3-line block ×27, first 2 shown]
	s_waitcnt lgkmcnt(0)
	v_cmp_gt_u64_e32 vcc_lo, 0x81, v[4:5]
	s_delay_alu instid0(VALU_DEP_3) | instskip(NEXT) | instid1(VALU_DEP_1)
	v_add_co_u32 v28, s0, v26, v85
	v_add_co_ci_u32_e64 v29, s0, 0, v27, s0
	s_delay_alu instid0(VALU_DEP_2) | instskip(NEXT) | instid1(VALU_DEP_1)
	v_add_co_u32 v1, s0, v28, v84
	v_add_co_ci_u32_e64 v2, s0, 0, v29, s0
	s_mov_b32 s0, -1
	s_cbranch_vccnz .LBB438_165
; %bb.162:
	s_and_b32 vcc_lo, exec_lo, s0
	s_cbranch_vccnz .LBB438_256
.LBB438_163:
	s_and_b32 s0, s2, s5
	s_delay_alu instid0(SALU_CYCLE_1)
	s_and_saveexec_b32 s1, s0
	s_cbranch_execnz .LBB438_327
.LBB438_164:
	s_nop 0
	s_sendmsg sendmsg(MSG_DEALLOC_VGPRS)
	s_endpgm
.LBB438_165:
	v_add_co_u32 v84, vcc_lo, v6, v4
	v_add_co_ci_u32_e32 v85, vcc_lo, v7, v5, vcc_lo
	v_lshlrev_b64 v[131:132], 1, v[12:13]
	s_delay_alu instid0(VALU_DEP_2) | instskip(NEXT) | instid1(VALU_DEP_2)
	v_cmp_lt_u64_e32 vcc_lo, v[74:75], v[84:85]
	v_add_co_u32 v3, s0, s12, v131
	s_delay_alu instid0(VALU_DEP_1) | instskip(SKIP_1) | instid1(SALU_CYCLE_1)
	v_add_co_ci_u32_e64 v8, s0, s13, v132, s0
	s_or_b32 s1, s3, vcc_lo
	s_and_saveexec_b32 s0, s1
	s_cbranch_execz .LBB438_168
; %bb.166:
	v_and_b32_e32 v131, 1, v130
	s_delay_alu instid0(VALU_DEP_1)
	v_cmp_eq_u32_e32 vcc_lo, 1, v131
	s_and_b32 exec_lo, exec_lo, vcc_lo
	s_cbranch_execz .LBB438_168
; %bb.167:
	v_lshlrev_b64 v[131:132], 1, v[74:75]
	s_delay_alu instid0(VALU_DEP_1) | instskip(NEXT) | instid1(VALU_DEP_2)
	v_add_co_u32 v131, vcc_lo, v3, v131
	v_add_co_ci_u32_e32 v132, vcc_lo, v8, v132, vcc_lo
	global_store_b16 v[131:132], v24, off
.LBB438_168:
	s_or_b32 exec_lo, exec_lo, s0
	v_cmp_lt_u64_e32 vcc_lo, v[82:83], v[84:85]
	s_or_b32 s1, s3, vcc_lo
	s_delay_alu instid0(SALU_CYCLE_1)
	s_and_saveexec_b32 s0, s1
	s_cbranch_execz .LBB438_171
; %bb.169:
	v_and_b32_e32 v75, 1, v129
	s_delay_alu instid0(VALU_DEP_1)
	v_cmp_eq_u32_e32 vcc_lo, 1, v75
	s_and_b32 exec_lo, exec_lo, vcc_lo
	s_cbranch_execz .LBB438_171
; %bb.170:
	v_lshlrev_b64 v[131:132], 1, v[82:83]
	s_delay_alu instid0(VALU_DEP_1) | instskip(NEXT) | instid1(VALU_DEP_2)
	v_add_co_u32 v131, vcc_lo, v3, v131
	v_add_co_ci_u32_e32 v132, vcc_lo, v8, v132, vcc_lo
	global_store_b16 v[131:132], v113, off
.LBB438_171:
	s_or_b32 exec_lo, exec_lo, s0
	v_cmp_lt_u64_e32 vcc_lo, v[80:81], v[84:85]
	s_or_b32 s1, s3, vcc_lo
	s_delay_alu instid0(SALU_CYCLE_1)
	;; [unrolled: 19-line block ×29, first 2 shown]
	s_and_saveexec_b32 s0, s1
	s_cbranch_execz .LBB438_255
; %bb.253:
	v_and_b32_e32 v27, 1, v96
	s_delay_alu instid0(VALU_DEP_1)
	v_cmp_eq_u32_e32 vcc_lo, 1, v27
	s_and_b32 exec_lo, exec_lo, vcc_lo
	s_cbranch_execz .LBB438_255
; %bb.254:
	v_lshlrev_b64 v[83:84], 1, v[1:2]
	s_delay_alu instid0(VALU_DEP_1) | instskip(NEXT) | instid1(VALU_DEP_2)
	v_add_co_u32 v2, vcc_lo, v3, v83
	v_add_co_ci_u32_e32 v3, vcc_lo, v8, v84, vcc_lo
	global_store_b16 v[2:3], v86, off
.LBB438_255:
	s_or_b32 exec_lo, exec_lo, s0
	s_branch .LBB438_163
.LBB438_256:
	v_and_b32_e32 v2, 1, v130
	s_mov_b32 s0, exec_lo
	s_delay_alu instid0(VALU_DEP_1)
	v_cmpx_eq_u32_e32 1, v2
	s_cbranch_execz .LBB438_258
; %bb.257:
	v_sub_nc_u32_e32 v2, v74, v6
	s_delay_alu instid0(VALU_DEP_1)
	v_lshlrev_b32_e32 v2, 1, v2
	ds_store_b16 v2, v24
.LBB438_258:
	s_or_b32 exec_lo, exec_lo, s0
	v_and_b32_e32 v2, 1, v129
	s_mov_b32 s0, exec_lo
	s_delay_alu instid0(VALU_DEP_1)
	v_cmpx_eq_u32_e32 1, v2
	s_cbranch_execz .LBB438_260
; %bb.259:
	v_sub_nc_u32_e32 v2, v82, v6
	s_delay_alu instid0(VALU_DEP_1)
	v_lshlrev_b32_e32 v2, 1, v2
	ds_store_b16 v2, v113
.LBB438_260:
	s_or_b32 exec_lo, exec_lo, s0
	;; [unrolled: 12-line block ×30, first 2 shown]
	v_mov_b32_e32 v1, 0
	s_mov_b32 s10, exec_lo
	s_waitcnt lgkmcnt(0)
	s_waitcnt_vscnt null, 0x0
	s_barrier
	buffer_gl0_inv
	v_cmpx_gt_u64_e64 v[4:5], v[0:1]
	s_cbranch_execz .LBB438_326
; %bb.317:
	v_not_b32_e32 v2, v0
	v_not_b32_e32 v3, 0
	s_mov_b32 s11, exec_lo
	s_delay_alu instid0(VALU_DEP_2) | instskip(NEXT) | instid1(VALU_DEP_2)
	v_add_co_u32 v8, vcc_lo, v4, v2
	v_add_co_ci_u32_e32 v9, vcc_lo, v5, v3, vcc_lo
	v_dual_mov_b32 v3, v1 :: v_dual_mov_b32 v2, v0
	s_delay_alu instid0(VALU_DEP_2)
	v_cmp_gt_u64_e32 vcc_lo, 0x1a80, v[8:9]
	v_cmpx_lt_u64_e32 0x1a7f, v[8:9]
	s_cbranch_execz .LBB438_323
; %bb.318:
	v_alignbit_b32 v2, v9, v8, 7
	v_not_b32_e32 v3, v0
	v_xor_b32_e32 v10, 0xffffff7f, v0
	s_movk_i32 s7, 0x7f
	s_mov_b32 s6, -1
	v_lshlrev_b32_e32 v11, 7, v2
	v_cmp_lt_u64_e64 s0, s[6:7], v[8:9]
	v_cmp_lt_u32_e64 s1, 0x1ffffff, v2
	s_delay_alu instid0(VALU_DEP_3) | instskip(SKIP_2) | instid1(VALU_DEP_4)
	v_cmp_gt_u32_e64 s3, v11, v3
	v_dual_mov_b32 v3, v1 :: v_dual_mov_b32 v2, v0
	v_cmp_lt_u32_e64 s4, v10, v11
	s_or_b32 s0, s1, s0
	s_delay_alu instid0(VALU_DEP_3) | instskip(NEXT) | instid1(VALU_DEP_1)
	s_or_b32 s1, s3, s1
	s_or_b32 s0, s0, s4
	s_delay_alu instid0(SALU_CYCLE_1) | instskip(NEXT) | instid1(SALU_CYCLE_1)
	s_or_b32 s0, s1, s0
	s_xor_b32 s0, s0, -1
	s_delay_alu instid0(SALU_CYCLE_1)
	s_and_saveexec_b32 s3, s0
	s_cbranch_execz .LBB438_322
; %bb.319:
	v_lshrrev_b64 v[2:3], 7, v[8:9]
	v_lshlrev_b64 v[8:9], 1, v[6:7]
	s_mov_b32 s4, 0
	s_delay_alu instid0(VALU_DEP_2) | instskip(NEXT) | instid1(VALU_DEP_1)
	v_add_co_u32 v14, s0, v2, 1
	v_add_co_ci_u32_e64 v15, s0, 0, v3, s0
	v_lshlrev_b64 v[2:3], 1, v[12:13]
	s_delay_alu instid0(VALU_DEP_2) | instskip(NEXT) | instid1(VALU_DEP_2)
	v_dual_mov_b32 v17, v15 :: v_dual_and_b32 v16, -2, v14
	v_add_co_u32 v2, s0, v8, v2
	s_delay_alu instid0(VALU_DEP_1) | instskip(SKIP_1) | instid1(VALU_DEP_3)
	v_add_co_ci_u32_e64 v3, s0, v9, v3, s0
	v_lshlrev_b32_e32 v8, 1, v0
	v_add_co_u32 v9, s0, s12, v2
	s_delay_alu instid0(VALU_DEP_1) | instskip(SKIP_1) | instid1(VALU_DEP_3)
	v_add_co_ci_u32_e64 v3, s0, s13, v3, s0
	v_or_b32_e32 v2, 0x80, v0
	v_add_co_u32 v8, s0, v9, v8
	s_delay_alu instid0(VALU_DEP_1) | instskip(SKIP_1) | instid1(VALU_DEP_3)
	v_add_co_ci_u32_e64 v9, s0, 0, v3, s0
	v_mov_b32_e32 v3, v1
	v_add_co_u32 v18, s0, 0x100, v8
	s_delay_alu instid0(VALU_DEP_1) | instskip(NEXT) | instid1(VALU_DEP_3)
	v_add_co_ci_u32_e64 v19, s0, 0, v9, s0
	v_dual_mov_b32 v11, v3 :: v_dual_mov_b32 v10, v2
	v_dual_mov_b32 v21, v17 :: v_dual_mov_b32 v20, v16
	;; [unrolled: 1-line block ×3, first 2 shown]
	s_set_inst_prefetch_distance 0x1
	.p2align	6
.LBB438_320:                            ; =>This Inner Loop Header: Depth=1
	s_delay_alu instid0(VALU_DEP_1) | instskip(SKIP_2) | instid1(VALU_DEP_1)
	v_lshlrev_b32_e32 v1, 1, v8
	v_lshlrev_b32_e32 v2, 1, v10
	v_add_co_u32 v10, s0, 0x100, v10
	v_add_co_ci_u32_e64 v11, s0, 0, v11, s0
	ds_load_u16 v1, v1
	ds_load_u16 v2, v2
	v_add_co_u32 v20, s0, v20, -2
	s_delay_alu instid0(VALU_DEP_1) | instskip(SKIP_1) | instid1(VALU_DEP_1)
	v_add_co_ci_u32_e64 v21, s0, -1, v21, s0
	v_add_co_u32 v8, s0, 0x100, v8
	v_add_co_ci_u32_e64 v9, s0, 0, v9, s0
	s_delay_alu instid0(VALU_DEP_3)
	v_cmp_eq_u64_e64 s0, 0, v[20:21]
	s_waitcnt lgkmcnt(1)
	global_store_b16 v[18:19], v1, off offset:-256
	s_waitcnt lgkmcnt(0)
	global_store_b16 v[18:19], v2, off
	v_add_co_u32 v18, s1, 0x200, v18
	s_delay_alu instid0(VALU_DEP_1) | instskip(SKIP_1) | instid1(SALU_CYCLE_1)
	v_add_co_ci_u32_e64 v19, s1, 0, v19, s1
	s_or_b32 s4, s0, s4
	s_and_not1_b32 exec_lo, exec_lo, s4
	s_cbranch_execnz .LBB438_320
; %bb.321:
	s_set_inst_prefetch_distance 0x2
	s_or_b32 exec_lo, exec_lo, s4
	v_lshlrev_b64 v[1:2], 7, v[16:17]
	v_cmp_ne_u64_e64 s0, v[14:15], v[16:17]
	s_delay_alu instid0(VALU_DEP_2) | instskip(NEXT) | instid1(VALU_DEP_3)
	v_or_b32_e32 v3, 0, v2
	v_or_b32_e32 v2, v1, v0
	v_lshl_or_b32 v0, v16, 7, v0
	s_delay_alu instid0(VALU_DEP_4)
	s_or_not1_b32 s6, s0, exec_lo
.LBB438_322:
	s_or_b32 exec_lo, exec_lo, s3
	s_delay_alu instid0(SALU_CYCLE_1) | instskip(SKIP_1) | instid1(SALU_CYCLE_1)
	s_and_not1_b32 s0, vcc_lo, exec_lo
	s_and_b32 s1, s6, exec_lo
	s_or_b32 vcc_lo, s0, s1
.LBB438_323:
	s_or_b32 exec_lo, exec_lo, s11
	s_delay_alu instid0(SALU_CYCLE_1)
	s_and_b32 exec_lo, exec_lo, vcc_lo
	s_cbranch_execz .LBB438_326
; %bb.324:
	v_lshlrev_b64 v[8:9], 1, v[6:7]
	v_lshlrev_b64 v[10:11], 1, v[12:13]
	v_add_nc_u32_e32 v0, 0x80, v0
	s_mov_b32 s1, 0
	s_delay_alu instid0(VALU_DEP_3) | instskip(NEXT) | instid1(VALU_DEP_4)
	v_add_co_u32 v1, vcc_lo, s12, v8
	v_add_co_ci_u32_e32 v9, vcc_lo, s13, v9, vcc_lo
	s_delay_alu instid0(VALU_DEP_2) | instskip(SKIP_1) | instid1(VALU_DEP_3)
	v_add_co_u32 v8, vcc_lo, v1, v10
	v_mov_b32_e32 v1, 0
	v_add_co_ci_u32_e32 v9, vcc_lo, v9, v11, vcc_lo
	.p2align	6
.LBB438_325:                            ; =>This Inner Loop Header: Depth=1
	v_lshlrev_b32_e32 v10, 1, v2
	s_delay_alu instid0(VALU_DEP_3)
	v_cmp_le_u64_e32 vcc_lo, v[4:5], v[0:1]
	ds_load_u16 v14, v10
	v_lshlrev_b64 v[10:11], 1, v[2:3]
	v_dual_mov_b32 v3, v1 :: v_dual_mov_b32 v2, v0
	v_add_nc_u32_e32 v0, 0x80, v0
	s_or_b32 s1, vcc_lo, s1
	s_delay_alu instid0(VALU_DEP_3) | instskip(NEXT) | instid1(VALU_DEP_1)
	v_add_co_u32 v10, s0, v8, v10
	v_add_co_ci_u32_e64 v11, s0, v9, v11, s0
	s_waitcnt lgkmcnt(0)
	global_store_b16 v[10:11], v14, off
	s_and_not1_b32 exec_lo, exec_lo, s1
	s_cbranch_execnz .LBB438_325
.LBB438_326:
	s_or_b32 exec_lo, exec_lo, s10
	s_and_b32 s0, s2, s5
	s_delay_alu instid0(SALU_CYCLE_1)
	s_and_saveexec_b32 s1, s0
	s_cbranch_execz .LBB438_164
.LBB438_327:
	v_add_co_u32 v0, vcc_lo, v6, v4
	v_add_co_ci_u32_e32 v1, vcc_lo, v7, v5, vcc_lo
	v_mov_b32_e32 v2, 0
	s_delay_alu instid0(VALU_DEP_3) | instskip(NEXT) | instid1(VALU_DEP_3)
	v_add_co_u32 v0, vcc_lo, v0, v12
	v_add_co_ci_u32_e32 v1, vcc_lo, v1, v13, vcc_lo
	global_store_b64 v2, v[0:1], s[8:9]
	s_nop 0
	s_sendmsg sendmsg(MSG_DEALLOC_VGPRS)
	s_endpgm
	.section	.rodata,"a",@progbits
	.p2align	6, 0x0
	.amdhsa_kernel _ZN7rocprim17ROCPRIM_400000_NS6detail17trampoline_kernelINS0_14default_configENS1_25partition_config_selectorILNS1_17partition_subalgoE6EsNS0_10empty_typeEbEEZZNS1_14partition_implILS5_6ELb0ES3_mN6thrust23THRUST_200600_302600_NS6detail15normal_iteratorINSA_10device_ptrIsEEEEPS6_SG_NS0_5tupleIJSF_S6_EEENSH_IJSG_SG_EEES6_PlJ7is_evenIsEEEE10hipError_tPvRmT3_T4_T5_T6_T7_T9_mT8_P12ihipStream_tbDpT10_ENKUlT_T0_E_clISt17integral_constantIbLb1EES16_EEDaS11_S12_EUlS11_E_NS1_11comp_targetILNS1_3genE9ELNS1_11target_archE1100ELNS1_3gpuE3ELNS1_3repE0EEENS1_30default_config_static_selectorELNS0_4arch9wavefront6targetE0EEEvT1_
		.amdhsa_group_segment_fixed_size 7696
		.amdhsa_private_segment_fixed_size 0
		.amdhsa_kernarg_size 128
		.amdhsa_user_sgpr_count 15
		.amdhsa_user_sgpr_dispatch_ptr 0
		.amdhsa_user_sgpr_queue_ptr 0
		.amdhsa_user_sgpr_kernarg_segment_ptr 1
		.amdhsa_user_sgpr_dispatch_id 0
		.amdhsa_user_sgpr_private_segment_size 0
		.amdhsa_wavefront_size32 1
		.amdhsa_uses_dynamic_stack 0
		.amdhsa_enable_private_segment 0
		.amdhsa_system_sgpr_workgroup_id_x 1
		.amdhsa_system_sgpr_workgroup_id_y 0
		.amdhsa_system_sgpr_workgroup_id_z 0
		.amdhsa_system_sgpr_workgroup_info 0
		.amdhsa_system_vgpr_workitem_id 0
		.amdhsa_next_free_vgpr 134
		.amdhsa_next_free_sgpr 18
		.amdhsa_reserve_vcc 1
		.amdhsa_float_round_mode_32 0
		.amdhsa_float_round_mode_16_64 0
		.amdhsa_float_denorm_mode_32 3
		.amdhsa_float_denorm_mode_16_64 3
		.amdhsa_dx10_clamp 1
		.amdhsa_ieee_mode 1
		.amdhsa_fp16_overflow 0
		.amdhsa_workgroup_processor_mode 1
		.amdhsa_memory_ordered 1
		.amdhsa_forward_progress 0
		.amdhsa_shared_vgpr_count 0
		.amdhsa_exception_fp_ieee_invalid_op 0
		.amdhsa_exception_fp_denorm_src 0
		.amdhsa_exception_fp_ieee_div_zero 0
		.amdhsa_exception_fp_ieee_overflow 0
		.amdhsa_exception_fp_ieee_underflow 0
		.amdhsa_exception_fp_ieee_inexact 0
		.amdhsa_exception_int_div_zero 0
	.end_amdhsa_kernel
	.section	.text._ZN7rocprim17ROCPRIM_400000_NS6detail17trampoline_kernelINS0_14default_configENS1_25partition_config_selectorILNS1_17partition_subalgoE6EsNS0_10empty_typeEbEEZZNS1_14partition_implILS5_6ELb0ES3_mN6thrust23THRUST_200600_302600_NS6detail15normal_iteratorINSA_10device_ptrIsEEEEPS6_SG_NS0_5tupleIJSF_S6_EEENSH_IJSG_SG_EEES6_PlJ7is_evenIsEEEE10hipError_tPvRmT3_T4_T5_T6_T7_T9_mT8_P12ihipStream_tbDpT10_ENKUlT_T0_E_clISt17integral_constantIbLb1EES16_EEDaS11_S12_EUlS11_E_NS1_11comp_targetILNS1_3genE9ELNS1_11target_archE1100ELNS1_3gpuE3ELNS1_3repE0EEENS1_30default_config_static_selectorELNS0_4arch9wavefront6targetE0EEEvT1_,"axG",@progbits,_ZN7rocprim17ROCPRIM_400000_NS6detail17trampoline_kernelINS0_14default_configENS1_25partition_config_selectorILNS1_17partition_subalgoE6EsNS0_10empty_typeEbEEZZNS1_14partition_implILS5_6ELb0ES3_mN6thrust23THRUST_200600_302600_NS6detail15normal_iteratorINSA_10device_ptrIsEEEEPS6_SG_NS0_5tupleIJSF_S6_EEENSH_IJSG_SG_EEES6_PlJ7is_evenIsEEEE10hipError_tPvRmT3_T4_T5_T6_T7_T9_mT8_P12ihipStream_tbDpT10_ENKUlT_T0_E_clISt17integral_constantIbLb1EES16_EEDaS11_S12_EUlS11_E_NS1_11comp_targetILNS1_3genE9ELNS1_11target_archE1100ELNS1_3gpuE3ELNS1_3repE0EEENS1_30default_config_static_selectorELNS0_4arch9wavefront6targetE0EEEvT1_,comdat
.Lfunc_end438:
	.size	_ZN7rocprim17ROCPRIM_400000_NS6detail17trampoline_kernelINS0_14default_configENS1_25partition_config_selectorILNS1_17partition_subalgoE6EsNS0_10empty_typeEbEEZZNS1_14partition_implILS5_6ELb0ES3_mN6thrust23THRUST_200600_302600_NS6detail15normal_iteratorINSA_10device_ptrIsEEEEPS6_SG_NS0_5tupleIJSF_S6_EEENSH_IJSG_SG_EEES6_PlJ7is_evenIsEEEE10hipError_tPvRmT3_T4_T5_T6_T7_T9_mT8_P12ihipStream_tbDpT10_ENKUlT_T0_E_clISt17integral_constantIbLb1EES16_EEDaS11_S12_EUlS11_E_NS1_11comp_targetILNS1_3genE9ELNS1_11target_archE1100ELNS1_3gpuE3ELNS1_3repE0EEENS1_30default_config_static_selectorELNS0_4arch9wavefront6targetE0EEEvT1_, .Lfunc_end438-_ZN7rocprim17ROCPRIM_400000_NS6detail17trampoline_kernelINS0_14default_configENS1_25partition_config_selectorILNS1_17partition_subalgoE6EsNS0_10empty_typeEbEEZZNS1_14partition_implILS5_6ELb0ES3_mN6thrust23THRUST_200600_302600_NS6detail15normal_iteratorINSA_10device_ptrIsEEEEPS6_SG_NS0_5tupleIJSF_S6_EEENSH_IJSG_SG_EEES6_PlJ7is_evenIsEEEE10hipError_tPvRmT3_T4_T5_T6_T7_T9_mT8_P12ihipStream_tbDpT10_ENKUlT_T0_E_clISt17integral_constantIbLb1EES16_EEDaS11_S12_EUlS11_E_NS1_11comp_targetILNS1_3genE9ELNS1_11target_archE1100ELNS1_3gpuE3ELNS1_3repE0EEENS1_30default_config_static_selectorELNS0_4arch9wavefront6targetE0EEEvT1_
                                        ; -- End function
	.section	.AMDGPU.csdata,"",@progbits
; Kernel info:
; codeLenInByte = 13376
; NumSgprs: 20
; NumVgprs: 134
; ScratchSize: 0
; MemoryBound: 0
; FloatMode: 240
; IeeeMode: 1
; LDSByteSize: 7696 bytes/workgroup (compile time only)
; SGPRBlocks: 2
; VGPRBlocks: 16
; NumSGPRsForWavesPerEU: 20
; NumVGPRsForWavesPerEU: 134
; Occupancy: 10
; WaveLimiterHint : 1
; COMPUTE_PGM_RSRC2:SCRATCH_EN: 0
; COMPUTE_PGM_RSRC2:USER_SGPR: 15
; COMPUTE_PGM_RSRC2:TRAP_HANDLER: 0
; COMPUTE_PGM_RSRC2:TGID_X_EN: 1
; COMPUTE_PGM_RSRC2:TGID_Y_EN: 0
; COMPUTE_PGM_RSRC2:TGID_Z_EN: 0
; COMPUTE_PGM_RSRC2:TIDIG_COMP_CNT: 0
	.section	.text._ZN7rocprim17ROCPRIM_400000_NS6detail17trampoline_kernelINS0_14default_configENS1_25partition_config_selectorILNS1_17partition_subalgoE6EsNS0_10empty_typeEbEEZZNS1_14partition_implILS5_6ELb0ES3_mN6thrust23THRUST_200600_302600_NS6detail15normal_iteratorINSA_10device_ptrIsEEEEPS6_SG_NS0_5tupleIJSF_S6_EEENSH_IJSG_SG_EEES6_PlJ7is_evenIsEEEE10hipError_tPvRmT3_T4_T5_T6_T7_T9_mT8_P12ihipStream_tbDpT10_ENKUlT_T0_E_clISt17integral_constantIbLb1EES16_EEDaS11_S12_EUlS11_E_NS1_11comp_targetILNS1_3genE8ELNS1_11target_archE1030ELNS1_3gpuE2ELNS1_3repE0EEENS1_30default_config_static_selectorELNS0_4arch9wavefront6targetE0EEEvT1_,"axG",@progbits,_ZN7rocprim17ROCPRIM_400000_NS6detail17trampoline_kernelINS0_14default_configENS1_25partition_config_selectorILNS1_17partition_subalgoE6EsNS0_10empty_typeEbEEZZNS1_14partition_implILS5_6ELb0ES3_mN6thrust23THRUST_200600_302600_NS6detail15normal_iteratorINSA_10device_ptrIsEEEEPS6_SG_NS0_5tupleIJSF_S6_EEENSH_IJSG_SG_EEES6_PlJ7is_evenIsEEEE10hipError_tPvRmT3_T4_T5_T6_T7_T9_mT8_P12ihipStream_tbDpT10_ENKUlT_T0_E_clISt17integral_constantIbLb1EES16_EEDaS11_S12_EUlS11_E_NS1_11comp_targetILNS1_3genE8ELNS1_11target_archE1030ELNS1_3gpuE2ELNS1_3repE0EEENS1_30default_config_static_selectorELNS0_4arch9wavefront6targetE0EEEvT1_,comdat
	.protected	_ZN7rocprim17ROCPRIM_400000_NS6detail17trampoline_kernelINS0_14default_configENS1_25partition_config_selectorILNS1_17partition_subalgoE6EsNS0_10empty_typeEbEEZZNS1_14partition_implILS5_6ELb0ES3_mN6thrust23THRUST_200600_302600_NS6detail15normal_iteratorINSA_10device_ptrIsEEEEPS6_SG_NS0_5tupleIJSF_S6_EEENSH_IJSG_SG_EEES6_PlJ7is_evenIsEEEE10hipError_tPvRmT3_T4_T5_T6_T7_T9_mT8_P12ihipStream_tbDpT10_ENKUlT_T0_E_clISt17integral_constantIbLb1EES16_EEDaS11_S12_EUlS11_E_NS1_11comp_targetILNS1_3genE8ELNS1_11target_archE1030ELNS1_3gpuE2ELNS1_3repE0EEENS1_30default_config_static_selectorELNS0_4arch9wavefront6targetE0EEEvT1_ ; -- Begin function _ZN7rocprim17ROCPRIM_400000_NS6detail17trampoline_kernelINS0_14default_configENS1_25partition_config_selectorILNS1_17partition_subalgoE6EsNS0_10empty_typeEbEEZZNS1_14partition_implILS5_6ELb0ES3_mN6thrust23THRUST_200600_302600_NS6detail15normal_iteratorINSA_10device_ptrIsEEEEPS6_SG_NS0_5tupleIJSF_S6_EEENSH_IJSG_SG_EEES6_PlJ7is_evenIsEEEE10hipError_tPvRmT3_T4_T5_T6_T7_T9_mT8_P12ihipStream_tbDpT10_ENKUlT_T0_E_clISt17integral_constantIbLb1EES16_EEDaS11_S12_EUlS11_E_NS1_11comp_targetILNS1_3genE8ELNS1_11target_archE1030ELNS1_3gpuE2ELNS1_3repE0EEENS1_30default_config_static_selectorELNS0_4arch9wavefront6targetE0EEEvT1_
	.globl	_ZN7rocprim17ROCPRIM_400000_NS6detail17trampoline_kernelINS0_14default_configENS1_25partition_config_selectorILNS1_17partition_subalgoE6EsNS0_10empty_typeEbEEZZNS1_14partition_implILS5_6ELb0ES3_mN6thrust23THRUST_200600_302600_NS6detail15normal_iteratorINSA_10device_ptrIsEEEEPS6_SG_NS0_5tupleIJSF_S6_EEENSH_IJSG_SG_EEES6_PlJ7is_evenIsEEEE10hipError_tPvRmT3_T4_T5_T6_T7_T9_mT8_P12ihipStream_tbDpT10_ENKUlT_T0_E_clISt17integral_constantIbLb1EES16_EEDaS11_S12_EUlS11_E_NS1_11comp_targetILNS1_3genE8ELNS1_11target_archE1030ELNS1_3gpuE2ELNS1_3repE0EEENS1_30default_config_static_selectorELNS0_4arch9wavefront6targetE0EEEvT1_
	.p2align	8
	.type	_ZN7rocprim17ROCPRIM_400000_NS6detail17trampoline_kernelINS0_14default_configENS1_25partition_config_selectorILNS1_17partition_subalgoE6EsNS0_10empty_typeEbEEZZNS1_14partition_implILS5_6ELb0ES3_mN6thrust23THRUST_200600_302600_NS6detail15normal_iteratorINSA_10device_ptrIsEEEEPS6_SG_NS0_5tupleIJSF_S6_EEENSH_IJSG_SG_EEES6_PlJ7is_evenIsEEEE10hipError_tPvRmT3_T4_T5_T6_T7_T9_mT8_P12ihipStream_tbDpT10_ENKUlT_T0_E_clISt17integral_constantIbLb1EES16_EEDaS11_S12_EUlS11_E_NS1_11comp_targetILNS1_3genE8ELNS1_11target_archE1030ELNS1_3gpuE2ELNS1_3repE0EEENS1_30default_config_static_selectorELNS0_4arch9wavefront6targetE0EEEvT1_,@function
_ZN7rocprim17ROCPRIM_400000_NS6detail17trampoline_kernelINS0_14default_configENS1_25partition_config_selectorILNS1_17partition_subalgoE6EsNS0_10empty_typeEbEEZZNS1_14partition_implILS5_6ELb0ES3_mN6thrust23THRUST_200600_302600_NS6detail15normal_iteratorINSA_10device_ptrIsEEEEPS6_SG_NS0_5tupleIJSF_S6_EEENSH_IJSG_SG_EEES6_PlJ7is_evenIsEEEE10hipError_tPvRmT3_T4_T5_T6_T7_T9_mT8_P12ihipStream_tbDpT10_ENKUlT_T0_E_clISt17integral_constantIbLb1EES16_EEDaS11_S12_EUlS11_E_NS1_11comp_targetILNS1_3genE8ELNS1_11target_archE1030ELNS1_3gpuE2ELNS1_3repE0EEENS1_30default_config_static_selectorELNS0_4arch9wavefront6targetE0EEEvT1_: ; @_ZN7rocprim17ROCPRIM_400000_NS6detail17trampoline_kernelINS0_14default_configENS1_25partition_config_selectorILNS1_17partition_subalgoE6EsNS0_10empty_typeEbEEZZNS1_14partition_implILS5_6ELb0ES3_mN6thrust23THRUST_200600_302600_NS6detail15normal_iteratorINSA_10device_ptrIsEEEEPS6_SG_NS0_5tupleIJSF_S6_EEENSH_IJSG_SG_EEES6_PlJ7is_evenIsEEEE10hipError_tPvRmT3_T4_T5_T6_T7_T9_mT8_P12ihipStream_tbDpT10_ENKUlT_T0_E_clISt17integral_constantIbLb1EES16_EEDaS11_S12_EUlS11_E_NS1_11comp_targetILNS1_3genE8ELNS1_11target_archE1030ELNS1_3gpuE2ELNS1_3repE0EEENS1_30default_config_static_selectorELNS0_4arch9wavefront6targetE0EEEvT1_
; %bb.0:
	.section	.rodata,"a",@progbits
	.p2align	6, 0x0
	.amdhsa_kernel _ZN7rocprim17ROCPRIM_400000_NS6detail17trampoline_kernelINS0_14default_configENS1_25partition_config_selectorILNS1_17partition_subalgoE6EsNS0_10empty_typeEbEEZZNS1_14partition_implILS5_6ELb0ES3_mN6thrust23THRUST_200600_302600_NS6detail15normal_iteratorINSA_10device_ptrIsEEEEPS6_SG_NS0_5tupleIJSF_S6_EEENSH_IJSG_SG_EEES6_PlJ7is_evenIsEEEE10hipError_tPvRmT3_T4_T5_T6_T7_T9_mT8_P12ihipStream_tbDpT10_ENKUlT_T0_E_clISt17integral_constantIbLb1EES16_EEDaS11_S12_EUlS11_E_NS1_11comp_targetILNS1_3genE8ELNS1_11target_archE1030ELNS1_3gpuE2ELNS1_3repE0EEENS1_30default_config_static_selectorELNS0_4arch9wavefront6targetE0EEEvT1_
		.amdhsa_group_segment_fixed_size 0
		.amdhsa_private_segment_fixed_size 0
		.amdhsa_kernarg_size 128
		.amdhsa_user_sgpr_count 15
		.amdhsa_user_sgpr_dispatch_ptr 0
		.amdhsa_user_sgpr_queue_ptr 0
		.amdhsa_user_sgpr_kernarg_segment_ptr 1
		.amdhsa_user_sgpr_dispatch_id 0
		.amdhsa_user_sgpr_private_segment_size 0
		.amdhsa_wavefront_size32 1
		.amdhsa_uses_dynamic_stack 0
		.amdhsa_enable_private_segment 0
		.amdhsa_system_sgpr_workgroup_id_x 1
		.amdhsa_system_sgpr_workgroup_id_y 0
		.amdhsa_system_sgpr_workgroup_id_z 0
		.amdhsa_system_sgpr_workgroup_info 0
		.amdhsa_system_vgpr_workitem_id 0
		.amdhsa_next_free_vgpr 1
		.amdhsa_next_free_sgpr 1
		.amdhsa_reserve_vcc 0
		.amdhsa_float_round_mode_32 0
		.amdhsa_float_round_mode_16_64 0
		.amdhsa_float_denorm_mode_32 3
		.amdhsa_float_denorm_mode_16_64 3
		.amdhsa_dx10_clamp 1
		.amdhsa_ieee_mode 1
		.amdhsa_fp16_overflow 0
		.amdhsa_workgroup_processor_mode 1
		.amdhsa_memory_ordered 1
		.amdhsa_forward_progress 0
		.amdhsa_shared_vgpr_count 0
		.amdhsa_exception_fp_ieee_invalid_op 0
		.amdhsa_exception_fp_denorm_src 0
		.amdhsa_exception_fp_ieee_div_zero 0
		.amdhsa_exception_fp_ieee_overflow 0
		.amdhsa_exception_fp_ieee_underflow 0
		.amdhsa_exception_fp_ieee_inexact 0
		.amdhsa_exception_int_div_zero 0
	.end_amdhsa_kernel
	.section	.text._ZN7rocprim17ROCPRIM_400000_NS6detail17trampoline_kernelINS0_14default_configENS1_25partition_config_selectorILNS1_17partition_subalgoE6EsNS0_10empty_typeEbEEZZNS1_14partition_implILS5_6ELb0ES3_mN6thrust23THRUST_200600_302600_NS6detail15normal_iteratorINSA_10device_ptrIsEEEEPS6_SG_NS0_5tupleIJSF_S6_EEENSH_IJSG_SG_EEES6_PlJ7is_evenIsEEEE10hipError_tPvRmT3_T4_T5_T6_T7_T9_mT8_P12ihipStream_tbDpT10_ENKUlT_T0_E_clISt17integral_constantIbLb1EES16_EEDaS11_S12_EUlS11_E_NS1_11comp_targetILNS1_3genE8ELNS1_11target_archE1030ELNS1_3gpuE2ELNS1_3repE0EEENS1_30default_config_static_selectorELNS0_4arch9wavefront6targetE0EEEvT1_,"axG",@progbits,_ZN7rocprim17ROCPRIM_400000_NS6detail17trampoline_kernelINS0_14default_configENS1_25partition_config_selectorILNS1_17partition_subalgoE6EsNS0_10empty_typeEbEEZZNS1_14partition_implILS5_6ELb0ES3_mN6thrust23THRUST_200600_302600_NS6detail15normal_iteratorINSA_10device_ptrIsEEEEPS6_SG_NS0_5tupleIJSF_S6_EEENSH_IJSG_SG_EEES6_PlJ7is_evenIsEEEE10hipError_tPvRmT3_T4_T5_T6_T7_T9_mT8_P12ihipStream_tbDpT10_ENKUlT_T0_E_clISt17integral_constantIbLb1EES16_EEDaS11_S12_EUlS11_E_NS1_11comp_targetILNS1_3genE8ELNS1_11target_archE1030ELNS1_3gpuE2ELNS1_3repE0EEENS1_30default_config_static_selectorELNS0_4arch9wavefront6targetE0EEEvT1_,comdat
.Lfunc_end439:
	.size	_ZN7rocprim17ROCPRIM_400000_NS6detail17trampoline_kernelINS0_14default_configENS1_25partition_config_selectorILNS1_17partition_subalgoE6EsNS0_10empty_typeEbEEZZNS1_14partition_implILS5_6ELb0ES3_mN6thrust23THRUST_200600_302600_NS6detail15normal_iteratorINSA_10device_ptrIsEEEEPS6_SG_NS0_5tupleIJSF_S6_EEENSH_IJSG_SG_EEES6_PlJ7is_evenIsEEEE10hipError_tPvRmT3_T4_T5_T6_T7_T9_mT8_P12ihipStream_tbDpT10_ENKUlT_T0_E_clISt17integral_constantIbLb1EES16_EEDaS11_S12_EUlS11_E_NS1_11comp_targetILNS1_3genE8ELNS1_11target_archE1030ELNS1_3gpuE2ELNS1_3repE0EEENS1_30default_config_static_selectorELNS0_4arch9wavefront6targetE0EEEvT1_, .Lfunc_end439-_ZN7rocprim17ROCPRIM_400000_NS6detail17trampoline_kernelINS0_14default_configENS1_25partition_config_selectorILNS1_17partition_subalgoE6EsNS0_10empty_typeEbEEZZNS1_14partition_implILS5_6ELb0ES3_mN6thrust23THRUST_200600_302600_NS6detail15normal_iteratorINSA_10device_ptrIsEEEEPS6_SG_NS0_5tupleIJSF_S6_EEENSH_IJSG_SG_EEES6_PlJ7is_evenIsEEEE10hipError_tPvRmT3_T4_T5_T6_T7_T9_mT8_P12ihipStream_tbDpT10_ENKUlT_T0_E_clISt17integral_constantIbLb1EES16_EEDaS11_S12_EUlS11_E_NS1_11comp_targetILNS1_3genE8ELNS1_11target_archE1030ELNS1_3gpuE2ELNS1_3repE0EEENS1_30default_config_static_selectorELNS0_4arch9wavefront6targetE0EEEvT1_
                                        ; -- End function
	.section	.AMDGPU.csdata,"",@progbits
; Kernel info:
; codeLenInByte = 0
; NumSgprs: 0
; NumVgprs: 0
; ScratchSize: 0
; MemoryBound: 0
; FloatMode: 240
; IeeeMode: 1
; LDSByteSize: 0 bytes/workgroup (compile time only)
; SGPRBlocks: 0
; VGPRBlocks: 0
; NumSGPRsForWavesPerEU: 1
; NumVGPRsForWavesPerEU: 1
; Occupancy: 16
; WaveLimiterHint : 0
; COMPUTE_PGM_RSRC2:SCRATCH_EN: 0
; COMPUTE_PGM_RSRC2:USER_SGPR: 15
; COMPUTE_PGM_RSRC2:TRAP_HANDLER: 0
; COMPUTE_PGM_RSRC2:TGID_X_EN: 1
; COMPUTE_PGM_RSRC2:TGID_Y_EN: 0
; COMPUTE_PGM_RSRC2:TGID_Z_EN: 0
; COMPUTE_PGM_RSRC2:TIDIG_COMP_CNT: 0
	.section	.text._ZN7rocprim17ROCPRIM_400000_NS6detail17trampoline_kernelINS0_14default_configENS1_25partition_config_selectorILNS1_17partition_subalgoE6EsNS0_10empty_typeEbEEZZNS1_14partition_implILS5_6ELb0ES3_mN6thrust23THRUST_200600_302600_NS6detail15normal_iteratorINSA_10device_ptrIsEEEEPS6_SG_NS0_5tupleIJSF_S6_EEENSH_IJSG_SG_EEES6_PlJ7is_evenIsEEEE10hipError_tPvRmT3_T4_T5_T6_T7_T9_mT8_P12ihipStream_tbDpT10_ENKUlT_T0_E_clISt17integral_constantIbLb1EES15_IbLb0EEEEDaS11_S12_EUlS11_E_NS1_11comp_targetILNS1_3genE0ELNS1_11target_archE4294967295ELNS1_3gpuE0ELNS1_3repE0EEENS1_30default_config_static_selectorELNS0_4arch9wavefront6targetE0EEEvT1_,"axG",@progbits,_ZN7rocprim17ROCPRIM_400000_NS6detail17trampoline_kernelINS0_14default_configENS1_25partition_config_selectorILNS1_17partition_subalgoE6EsNS0_10empty_typeEbEEZZNS1_14partition_implILS5_6ELb0ES3_mN6thrust23THRUST_200600_302600_NS6detail15normal_iteratorINSA_10device_ptrIsEEEEPS6_SG_NS0_5tupleIJSF_S6_EEENSH_IJSG_SG_EEES6_PlJ7is_evenIsEEEE10hipError_tPvRmT3_T4_T5_T6_T7_T9_mT8_P12ihipStream_tbDpT10_ENKUlT_T0_E_clISt17integral_constantIbLb1EES15_IbLb0EEEEDaS11_S12_EUlS11_E_NS1_11comp_targetILNS1_3genE0ELNS1_11target_archE4294967295ELNS1_3gpuE0ELNS1_3repE0EEENS1_30default_config_static_selectorELNS0_4arch9wavefront6targetE0EEEvT1_,comdat
	.protected	_ZN7rocprim17ROCPRIM_400000_NS6detail17trampoline_kernelINS0_14default_configENS1_25partition_config_selectorILNS1_17partition_subalgoE6EsNS0_10empty_typeEbEEZZNS1_14partition_implILS5_6ELb0ES3_mN6thrust23THRUST_200600_302600_NS6detail15normal_iteratorINSA_10device_ptrIsEEEEPS6_SG_NS0_5tupleIJSF_S6_EEENSH_IJSG_SG_EEES6_PlJ7is_evenIsEEEE10hipError_tPvRmT3_T4_T5_T6_T7_T9_mT8_P12ihipStream_tbDpT10_ENKUlT_T0_E_clISt17integral_constantIbLb1EES15_IbLb0EEEEDaS11_S12_EUlS11_E_NS1_11comp_targetILNS1_3genE0ELNS1_11target_archE4294967295ELNS1_3gpuE0ELNS1_3repE0EEENS1_30default_config_static_selectorELNS0_4arch9wavefront6targetE0EEEvT1_ ; -- Begin function _ZN7rocprim17ROCPRIM_400000_NS6detail17trampoline_kernelINS0_14default_configENS1_25partition_config_selectorILNS1_17partition_subalgoE6EsNS0_10empty_typeEbEEZZNS1_14partition_implILS5_6ELb0ES3_mN6thrust23THRUST_200600_302600_NS6detail15normal_iteratorINSA_10device_ptrIsEEEEPS6_SG_NS0_5tupleIJSF_S6_EEENSH_IJSG_SG_EEES6_PlJ7is_evenIsEEEE10hipError_tPvRmT3_T4_T5_T6_T7_T9_mT8_P12ihipStream_tbDpT10_ENKUlT_T0_E_clISt17integral_constantIbLb1EES15_IbLb0EEEEDaS11_S12_EUlS11_E_NS1_11comp_targetILNS1_3genE0ELNS1_11target_archE4294967295ELNS1_3gpuE0ELNS1_3repE0EEENS1_30default_config_static_selectorELNS0_4arch9wavefront6targetE0EEEvT1_
	.globl	_ZN7rocprim17ROCPRIM_400000_NS6detail17trampoline_kernelINS0_14default_configENS1_25partition_config_selectorILNS1_17partition_subalgoE6EsNS0_10empty_typeEbEEZZNS1_14partition_implILS5_6ELb0ES3_mN6thrust23THRUST_200600_302600_NS6detail15normal_iteratorINSA_10device_ptrIsEEEEPS6_SG_NS0_5tupleIJSF_S6_EEENSH_IJSG_SG_EEES6_PlJ7is_evenIsEEEE10hipError_tPvRmT3_T4_T5_T6_T7_T9_mT8_P12ihipStream_tbDpT10_ENKUlT_T0_E_clISt17integral_constantIbLb1EES15_IbLb0EEEEDaS11_S12_EUlS11_E_NS1_11comp_targetILNS1_3genE0ELNS1_11target_archE4294967295ELNS1_3gpuE0ELNS1_3repE0EEENS1_30default_config_static_selectorELNS0_4arch9wavefront6targetE0EEEvT1_
	.p2align	8
	.type	_ZN7rocprim17ROCPRIM_400000_NS6detail17trampoline_kernelINS0_14default_configENS1_25partition_config_selectorILNS1_17partition_subalgoE6EsNS0_10empty_typeEbEEZZNS1_14partition_implILS5_6ELb0ES3_mN6thrust23THRUST_200600_302600_NS6detail15normal_iteratorINSA_10device_ptrIsEEEEPS6_SG_NS0_5tupleIJSF_S6_EEENSH_IJSG_SG_EEES6_PlJ7is_evenIsEEEE10hipError_tPvRmT3_T4_T5_T6_T7_T9_mT8_P12ihipStream_tbDpT10_ENKUlT_T0_E_clISt17integral_constantIbLb1EES15_IbLb0EEEEDaS11_S12_EUlS11_E_NS1_11comp_targetILNS1_3genE0ELNS1_11target_archE4294967295ELNS1_3gpuE0ELNS1_3repE0EEENS1_30default_config_static_selectorELNS0_4arch9wavefront6targetE0EEEvT1_,@function
_ZN7rocprim17ROCPRIM_400000_NS6detail17trampoline_kernelINS0_14default_configENS1_25partition_config_selectorILNS1_17partition_subalgoE6EsNS0_10empty_typeEbEEZZNS1_14partition_implILS5_6ELb0ES3_mN6thrust23THRUST_200600_302600_NS6detail15normal_iteratorINSA_10device_ptrIsEEEEPS6_SG_NS0_5tupleIJSF_S6_EEENSH_IJSG_SG_EEES6_PlJ7is_evenIsEEEE10hipError_tPvRmT3_T4_T5_T6_T7_T9_mT8_P12ihipStream_tbDpT10_ENKUlT_T0_E_clISt17integral_constantIbLb1EES15_IbLb0EEEEDaS11_S12_EUlS11_E_NS1_11comp_targetILNS1_3genE0ELNS1_11target_archE4294967295ELNS1_3gpuE0ELNS1_3repE0EEENS1_30default_config_static_selectorELNS0_4arch9wavefront6targetE0EEEvT1_: ; @_ZN7rocprim17ROCPRIM_400000_NS6detail17trampoline_kernelINS0_14default_configENS1_25partition_config_selectorILNS1_17partition_subalgoE6EsNS0_10empty_typeEbEEZZNS1_14partition_implILS5_6ELb0ES3_mN6thrust23THRUST_200600_302600_NS6detail15normal_iteratorINSA_10device_ptrIsEEEEPS6_SG_NS0_5tupleIJSF_S6_EEENSH_IJSG_SG_EEES6_PlJ7is_evenIsEEEE10hipError_tPvRmT3_T4_T5_T6_T7_T9_mT8_P12ihipStream_tbDpT10_ENKUlT_T0_E_clISt17integral_constantIbLb1EES15_IbLb0EEEEDaS11_S12_EUlS11_E_NS1_11comp_targetILNS1_3genE0ELNS1_11target_archE4294967295ELNS1_3gpuE0ELNS1_3repE0EEENS1_30default_config_static_selectorELNS0_4arch9wavefront6targetE0EEEvT1_
; %bb.0:
	.section	.rodata,"a",@progbits
	.p2align	6, 0x0
	.amdhsa_kernel _ZN7rocprim17ROCPRIM_400000_NS6detail17trampoline_kernelINS0_14default_configENS1_25partition_config_selectorILNS1_17partition_subalgoE6EsNS0_10empty_typeEbEEZZNS1_14partition_implILS5_6ELb0ES3_mN6thrust23THRUST_200600_302600_NS6detail15normal_iteratorINSA_10device_ptrIsEEEEPS6_SG_NS0_5tupleIJSF_S6_EEENSH_IJSG_SG_EEES6_PlJ7is_evenIsEEEE10hipError_tPvRmT3_T4_T5_T6_T7_T9_mT8_P12ihipStream_tbDpT10_ENKUlT_T0_E_clISt17integral_constantIbLb1EES15_IbLb0EEEEDaS11_S12_EUlS11_E_NS1_11comp_targetILNS1_3genE0ELNS1_11target_archE4294967295ELNS1_3gpuE0ELNS1_3repE0EEENS1_30default_config_static_selectorELNS0_4arch9wavefront6targetE0EEEvT1_
		.amdhsa_group_segment_fixed_size 0
		.amdhsa_private_segment_fixed_size 0
		.amdhsa_kernarg_size 112
		.amdhsa_user_sgpr_count 15
		.amdhsa_user_sgpr_dispatch_ptr 0
		.amdhsa_user_sgpr_queue_ptr 0
		.amdhsa_user_sgpr_kernarg_segment_ptr 1
		.amdhsa_user_sgpr_dispatch_id 0
		.amdhsa_user_sgpr_private_segment_size 0
		.amdhsa_wavefront_size32 1
		.amdhsa_uses_dynamic_stack 0
		.amdhsa_enable_private_segment 0
		.amdhsa_system_sgpr_workgroup_id_x 1
		.amdhsa_system_sgpr_workgroup_id_y 0
		.amdhsa_system_sgpr_workgroup_id_z 0
		.amdhsa_system_sgpr_workgroup_info 0
		.amdhsa_system_vgpr_workitem_id 0
		.amdhsa_next_free_vgpr 1
		.amdhsa_next_free_sgpr 1
		.amdhsa_reserve_vcc 0
		.amdhsa_float_round_mode_32 0
		.amdhsa_float_round_mode_16_64 0
		.amdhsa_float_denorm_mode_32 3
		.amdhsa_float_denorm_mode_16_64 3
		.amdhsa_dx10_clamp 1
		.amdhsa_ieee_mode 1
		.amdhsa_fp16_overflow 0
		.amdhsa_workgroup_processor_mode 1
		.amdhsa_memory_ordered 1
		.amdhsa_forward_progress 0
		.amdhsa_shared_vgpr_count 0
		.amdhsa_exception_fp_ieee_invalid_op 0
		.amdhsa_exception_fp_denorm_src 0
		.amdhsa_exception_fp_ieee_div_zero 0
		.amdhsa_exception_fp_ieee_overflow 0
		.amdhsa_exception_fp_ieee_underflow 0
		.amdhsa_exception_fp_ieee_inexact 0
		.amdhsa_exception_int_div_zero 0
	.end_amdhsa_kernel
	.section	.text._ZN7rocprim17ROCPRIM_400000_NS6detail17trampoline_kernelINS0_14default_configENS1_25partition_config_selectorILNS1_17partition_subalgoE6EsNS0_10empty_typeEbEEZZNS1_14partition_implILS5_6ELb0ES3_mN6thrust23THRUST_200600_302600_NS6detail15normal_iteratorINSA_10device_ptrIsEEEEPS6_SG_NS0_5tupleIJSF_S6_EEENSH_IJSG_SG_EEES6_PlJ7is_evenIsEEEE10hipError_tPvRmT3_T4_T5_T6_T7_T9_mT8_P12ihipStream_tbDpT10_ENKUlT_T0_E_clISt17integral_constantIbLb1EES15_IbLb0EEEEDaS11_S12_EUlS11_E_NS1_11comp_targetILNS1_3genE0ELNS1_11target_archE4294967295ELNS1_3gpuE0ELNS1_3repE0EEENS1_30default_config_static_selectorELNS0_4arch9wavefront6targetE0EEEvT1_,"axG",@progbits,_ZN7rocprim17ROCPRIM_400000_NS6detail17trampoline_kernelINS0_14default_configENS1_25partition_config_selectorILNS1_17partition_subalgoE6EsNS0_10empty_typeEbEEZZNS1_14partition_implILS5_6ELb0ES3_mN6thrust23THRUST_200600_302600_NS6detail15normal_iteratorINSA_10device_ptrIsEEEEPS6_SG_NS0_5tupleIJSF_S6_EEENSH_IJSG_SG_EEES6_PlJ7is_evenIsEEEE10hipError_tPvRmT3_T4_T5_T6_T7_T9_mT8_P12ihipStream_tbDpT10_ENKUlT_T0_E_clISt17integral_constantIbLb1EES15_IbLb0EEEEDaS11_S12_EUlS11_E_NS1_11comp_targetILNS1_3genE0ELNS1_11target_archE4294967295ELNS1_3gpuE0ELNS1_3repE0EEENS1_30default_config_static_selectorELNS0_4arch9wavefront6targetE0EEEvT1_,comdat
.Lfunc_end440:
	.size	_ZN7rocprim17ROCPRIM_400000_NS6detail17trampoline_kernelINS0_14default_configENS1_25partition_config_selectorILNS1_17partition_subalgoE6EsNS0_10empty_typeEbEEZZNS1_14partition_implILS5_6ELb0ES3_mN6thrust23THRUST_200600_302600_NS6detail15normal_iteratorINSA_10device_ptrIsEEEEPS6_SG_NS0_5tupleIJSF_S6_EEENSH_IJSG_SG_EEES6_PlJ7is_evenIsEEEE10hipError_tPvRmT3_T4_T5_T6_T7_T9_mT8_P12ihipStream_tbDpT10_ENKUlT_T0_E_clISt17integral_constantIbLb1EES15_IbLb0EEEEDaS11_S12_EUlS11_E_NS1_11comp_targetILNS1_3genE0ELNS1_11target_archE4294967295ELNS1_3gpuE0ELNS1_3repE0EEENS1_30default_config_static_selectorELNS0_4arch9wavefront6targetE0EEEvT1_, .Lfunc_end440-_ZN7rocprim17ROCPRIM_400000_NS6detail17trampoline_kernelINS0_14default_configENS1_25partition_config_selectorILNS1_17partition_subalgoE6EsNS0_10empty_typeEbEEZZNS1_14partition_implILS5_6ELb0ES3_mN6thrust23THRUST_200600_302600_NS6detail15normal_iteratorINSA_10device_ptrIsEEEEPS6_SG_NS0_5tupleIJSF_S6_EEENSH_IJSG_SG_EEES6_PlJ7is_evenIsEEEE10hipError_tPvRmT3_T4_T5_T6_T7_T9_mT8_P12ihipStream_tbDpT10_ENKUlT_T0_E_clISt17integral_constantIbLb1EES15_IbLb0EEEEDaS11_S12_EUlS11_E_NS1_11comp_targetILNS1_3genE0ELNS1_11target_archE4294967295ELNS1_3gpuE0ELNS1_3repE0EEENS1_30default_config_static_selectorELNS0_4arch9wavefront6targetE0EEEvT1_
                                        ; -- End function
	.section	.AMDGPU.csdata,"",@progbits
; Kernel info:
; codeLenInByte = 0
; NumSgprs: 0
; NumVgprs: 0
; ScratchSize: 0
; MemoryBound: 0
; FloatMode: 240
; IeeeMode: 1
; LDSByteSize: 0 bytes/workgroup (compile time only)
; SGPRBlocks: 0
; VGPRBlocks: 0
; NumSGPRsForWavesPerEU: 1
; NumVGPRsForWavesPerEU: 1
; Occupancy: 16
; WaveLimiterHint : 0
; COMPUTE_PGM_RSRC2:SCRATCH_EN: 0
; COMPUTE_PGM_RSRC2:USER_SGPR: 15
; COMPUTE_PGM_RSRC2:TRAP_HANDLER: 0
; COMPUTE_PGM_RSRC2:TGID_X_EN: 1
; COMPUTE_PGM_RSRC2:TGID_Y_EN: 0
; COMPUTE_PGM_RSRC2:TGID_Z_EN: 0
; COMPUTE_PGM_RSRC2:TIDIG_COMP_CNT: 0
	.section	.text._ZN7rocprim17ROCPRIM_400000_NS6detail17trampoline_kernelINS0_14default_configENS1_25partition_config_selectorILNS1_17partition_subalgoE6EsNS0_10empty_typeEbEEZZNS1_14partition_implILS5_6ELb0ES3_mN6thrust23THRUST_200600_302600_NS6detail15normal_iteratorINSA_10device_ptrIsEEEEPS6_SG_NS0_5tupleIJSF_S6_EEENSH_IJSG_SG_EEES6_PlJ7is_evenIsEEEE10hipError_tPvRmT3_T4_T5_T6_T7_T9_mT8_P12ihipStream_tbDpT10_ENKUlT_T0_E_clISt17integral_constantIbLb1EES15_IbLb0EEEEDaS11_S12_EUlS11_E_NS1_11comp_targetILNS1_3genE5ELNS1_11target_archE942ELNS1_3gpuE9ELNS1_3repE0EEENS1_30default_config_static_selectorELNS0_4arch9wavefront6targetE0EEEvT1_,"axG",@progbits,_ZN7rocprim17ROCPRIM_400000_NS6detail17trampoline_kernelINS0_14default_configENS1_25partition_config_selectorILNS1_17partition_subalgoE6EsNS0_10empty_typeEbEEZZNS1_14partition_implILS5_6ELb0ES3_mN6thrust23THRUST_200600_302600_NS6detail15normal_iteratorINSA_10device_ptrIsEEEEPS6_SG_NS0_5tupleIJSF_S6_EEENSH_IJSG_SG_EEES6_PlJ7is_evenIsEEEE10hipError_tPvRmT3_T4_T5_T6_T7_T9_mT8_P12ihipStream_tbDpT10_ENKUlT_T0_E_clISt17integral_constantIbLb1EES15_IbLb0EEEEDaS11_S12_EUlS11_E_NS1_11comp_targetILNS1_3genE5ELNS1_11target_archE942ELNS1_3gpuE9ELNS1_3repE0EEENS1_30default_config_static_selectorELNS0_4arch9wavefront6targetE0EEEvT1_,comdat
	.protected	_ZN7rocprim17ROCPRIM_400000_NS6detail17trampoline_kernelINS0_14default_configENS1_25partition_config_selectorILNS1_17partition_subalgoE6EsNS0_10empty_typeEbEEZZNS1_14partition_implILS5_6ELb0ES3_mN6thrust23THRUST_200600_302600_NS6detail15normal_iteratorINSA_10device_ptrIsEEEEPS6_SG_NS0_5tupleIJSF_S6_EEENSH_IJSG_SG_EEES6_PlJ7is_evenIsEEEE10hipError_tPvRmT3_T4_T5_T6_T7_T9_mT8_P12ihipStream_tbDpT10_ENKUlT_T0_E_clISt17integral_constantIbLb1EES15_IbLb0EEEEDaS11_S12_EUlS11_E_NS1_11comp_targetILNS1_3genE5ELNS1_11target_archE942ELNS1_3gpuE9ELNS1_3repE0EEENS1_30default_config_static_selectorELNS0_4arch9wavefront6targetE0EEEvT1_ ; -- Begin function _ZN7rocprim17ROCPRIM_400000_NS6detail17trampoline_kernelINS0_14default_configENS1_25partition_config_selectorILNS1_17partition_subalgoE6EsNS0_10empty_typeEbEEZZNS1_14partition_implILS5_6ELb0ES3_mN6thrust23THRUST_200600_302600_NS6detail15normal_iteratorINSA_10device_ptrIsEEEEPS6_SG_NS0_5tupleIJSF_S6_EEENSH_IJSG_SG_EEES6_PlJ7is_evenIsEEEE10hipError_tPvRmT3_T4_T5_T6_T7_T9_mT8_P12ihipStream_tbDpT10_ENKUlT_T0_E_clISt17integral_constantIbLb1EES15_IbLb0EEEEDaS11_S12_EUlS11_E_NS1_11comp_targetILNS1_3genE5ELNS1_11target_archE942ELNS1_3gpuE9ELNS1_3repE0EEENS1_30default_config_static_selectorELNS0_4arch9wavefront6targetE0EEEvT1_
	.globl	_ZN7rocprim17ROCPRIM_400000_NS6detail17trampoline_kernelINS0_14default_configENS1_25partition_config_selectorILNS1_17partition_subalgoE6EsNS0_10empty_typeEbEEZZNS1_14partition_implILS5_6ELb0ES3_mN6thrust23THRUST_200600_302600_NS6detail15normal_iteratorINSA_10device_ptrIsEEEEPS6_SG_NS0_5tupleIJSF_S6_EEENSH_IJSG_SG_EEES6_PlJ7is_evenIsEEEE10hipError_tPvRmT3_T4_T5_T6_T7_T9_mT8_P12ihipStream_tbDpT10_ENKUlT_T0_E_clISt17integral_constantIbLb1EES15_IbLb0EEEEDaS11_S12_EUlS11_E_NS1_11comp_targetILNS1_3genE5ELNS1_11target_archE942ELNS1_3gpuE9ELNS1_3repE0EEENS1_30default_config_static_selectorELNS0_4arch9wavefront6targetE0EEEvT1_
	.p2align	8
	.type	_ZN7rocprim17ROCPRIM_400000_NS6detail17trampoline_kernelINS0_14default_configENS1_25partition_config_selectorILNS1_17partition_subalgoE6EsNS0_10empty_typeEbEEZZNS1_14partition_implILS5_6ELb0ES3_mN6thrust23THRUST_200600_302600_NS6detail15normal_iteratorINSA_10device_ptrIsEEEEPS6_SG_NS0_5tupleIJSF_S6_EEENSH_IJSG_SG_EEES6_PlJ7is_evenIsEEEE10hipError_tPvRmT3_T4_T5_T6_T7_T9_mT8_P12ihipStream_tbDpT10_ENKUlT_T0_E_clISt17integral_constantIbLb1EES15_IbLb0EEEEDaS11_S12_EUlS11_E_NS1_11comp_targetILNS1_3genE5ELNS1_11target_archE942ELNS1_3gpuE9ELNS1_3repE0EEENS1_30default_config_static_selectorELNS0_4arch9wavefront6targetE0EEEvT1_,@function
_ZN7rocprim17ROCPRIM_400000_NS6detail17trampoline_kernelINS0_14default_configENS1_25partition_config_selectorILNS1_17partition_subalgoE6EsNS0_10empty_typeEbEEZZNS1_14partition_implILS5_6ELb0ES3_mN6thrust23THRUST_200600_302600_NS6detail15normal_iteratorINSA_10device_ptrIsEEEEPS6_SG_NS0_5tupleIJSF_S6_EEENSH_IJSG_SG_EEES6_PlJ7is_evenIsEEEE10hipError_tPvRmT3_T4_T5_T6_T7_T9_mT8_P12ihipStream_tbDpT10_ENKUlT_T0_E_clISt17integral_constantIbLb1EES15_IbLb0EEEEDaS11_S12_EUlS11_E_NS1_11comp_targetILNS1_3genE5ELNS1_11target_archE942ELNS1_3gpuE9ELNS1_3repE0EEENS1_30default_config_static_selectorELNS0_4arch9wavefront6targetE0EEEvT1_: ; @_ZN7rocprim17ROCPRIM_400000_NS6detail17trampoline_kernelINS0_14default_configENS1_25partition_config_selectorILNS1_17partition_subalgoE6EsNS0_10empty_typeEbEEZZNS1_14partition_implILS5_6ELb0ES3_mN6thrust23THRUST_200600_302600_NS6detail15normal_iteratorINSA_10device_ptrIsEEEEPS6_SG_NS0_5tupleIJSF_S6_EEENSH_IJSG_SG_EEES6_PlJ7is_evenIsEEEE10hipError_tPvRmT3_T4_T5_T6_T7_T9_mT8_P12ihipStream_tbDpT10_ENKUlT_T0_E_clISt17integral_constantIbLb1EES15_IbLb0EEEEDaS11_S12_EUlS11_E_NS1_11comp_targetILNS1_3genE5ELNS1_11target_archE942ELNS1_3gpuE9ELNS1_3repE0EEENS1_30default_config_static_selectorELNS0_4arch9wavefront6targetE0EEEvT1_
; %bb.0:
	.section	.rodata,"a",@progbits
	.p2align	6, 0x0
	.amdhsa_kernel _ZN7rocprim17ROCPRIM_400000_NS6detail17trampoline_kernelINS0_14default_configENS1_25partition_config_selectorILNS1_17partition_subalgoE6EsNS0_10empty_typeEbEEZZNS1_14partition_implILS5_6ELb0ES3_mN6thrust23THRUST_200600_302600_NS6detail15normal_iteratorINSA_10device_ptrIsEEEEPS6_SG_NS0_5tupleIJSF_S6_EEENSH_IJSG_SG_EEES6_PlJ7is_evenIsEEEE10hipError_tPvRmT3_T4_T5_T6_T7_T9_mT8_P12ihipStream_tbDpT10_ENKUlT_T0_E_clISt17integral_constantIbLb1EES15_IbLb0EEEEDaS11_S12_EUlS11_E_NS1_11comp_targetILNS1_3genE5ELNS1_11target_archE942ELNS1_3gpuE9ELNS1_3repE0EEENS1_30default_config_static_selectorELNS0_4arch9wavefront6targetE0EEEvT1_
		.amdhsa_group_segment_fixed_size 0
		.amdhsa_private_segment_fixed_size 0
		.amdhsa_kernarg_size 112
		.amdhsa_user_sgpr_count 15
		.amdhsa_user_sgpr_dispatch_ptr 0
		.amdhsa_user_sgpr_queue_ptr 0
		.amdhsa_user_sgpr_kernarg_segment_ptr 1
		.amdhsa_user_sgpr_dispatch_id 0
		.amdhsa_user_sgpr_private_segment_size 0
		.amdhsa_wavefront_size32 1
		.amdhsa_uses_dynamic_stack 0
		.amdhsa_enable_private_segment 0
		.amdhsa_system_sgpr_workgroup_id_x 1
		.amdhsa_system_sgpr_workgroup_id_y 0
		.amdhsa_system_sgpr_workgroup_id_z 0
		.amdhsa_system_sgpr_workgroup_info 0
		.amdhsa_system_vgpr_workitem_id 0
		.amdhsa_next_free_vgpr 1
		.amdhsa_next_free_sgpr 1
		.amdhsa_reserve_vcc 0
		.amdhsa_float_round_mode_32 0
		.amdhsa_float_round_mode_16_64 0
		.amdhsa_float_denorm_mode_32 3
		.amdhsa_float_denorm_mode_16_64 3
		.amdhsa_dx10_clamp 1
		.amdhsa_ieee_mode 1
		.amdhsa_fp16_overflow 0
		.amdhsa_workgroup_processor_mode 1
		.amdhsa_memory_ordered 1
		.amdhsa_forward_progress 0
		.amdhsa_shared_vgpr_count 0
		.amdhsa_exception_fp_ieee_invalid_op 0
		.amdhsa_exception_fp_denorm_src 0
		.amdhsa_exception_fp_ieee_div_zero 0
		.amdhsa_exception_fp_ieee_overflow 0
		.amdhsa_exception_fp_ieee_underflow 0
		.amdhsa_exception_fp_ieee_inexact 0
		.amdhsa_exception_int_div_zero 0
	.end_amdhsa_kernel
	.section	.text._ZN7rocprim17ROCPRIM_400000_NS6detail17trampoline_kernelINS0_14default_configENS1_25partition_config_selectorILNS1_17partition_subalgoE6EsNS0_10empty_typeEbEEZZNS1_14partition_implILS5_6ELb0ES3_mN6thrust23THRUST_200600_302600_NS6detail15normal_iteratorINSA_10device_ptrIsEEEEPS6_SG_NS0_5tupleIJSF_S6_EEENSH_IJSG_SG_EEES6_PlJ7is_evenIsEEEE10hipError_tPvRmT3_T4_T5_T6_T7_T9_mT8_P12ihipStream_tbDpT10_ENKUlT_T0_E_clISt17integral_constantIbLb1EES15_IbLb0EEEEDaS11_S12_EUlS11_E_NS1_11comp_targetILNS1_3genE5ELNS1_11target_archE942ELNS1_3gpuE9ELNS1_3repE0EEENS1_30default_config_static_selectorELNS0_4arch9wavefront6targetE0EEEvT1_,"axG",@progbits,_ZN7rocprim17ROCPRIM_400000_NS6detail17trampoline_kernelINS0_14default_configENS1_25partition_config_selectorILNS1_17partition_subalgoE6EsNS0_10empty_typeEbEEZZNS1_14partition_implILS5_6ELb0ES3_mN6thrust23THRUST_200600_302600_NS6detail15normal_iteratorINSA_10device_ptrIsEEEEPS6_SG_NS0_5tupleIJSF_S6_EEENSH_IJSG_SG_EEES6_PlJ7is_evenIsEEEE10hipError_tPvRmT3_T4_T5_T6_T7_T9_mT8_P12ihipStream_tbDpT10_ENKUlT_T0_E_clISt17integral_constantIbLb1EES15_IbLb0EEEEDaS11_S12_EUlS11_E_NS1_11comp_targetILNS1_3genE5ELNS1_11target_archE942ELNS1_3gpuE9ELNS1_3repE0EEENS1_30default_config_static_selectorELNS0_4arch9wavefront6targetE0EEEvT1_,comdat
.Lfunc_end441:
	.size	_ZN7rocprim17ROCPRIM_400000_NS6detail17trampoline_kernelINS0_14default_configENS1_25partition_config_selectorILNS1_17partition_subalgoE6EsNS0_10empty_typeEbEEZZNS1_14partition_implILS5_6ELb0ES3_mN6thrust23THRUST_200600_302600_NS6detail15normal_iteratorINSA_10device_ptrIsEEEEPS6_SG_NS0_5tupleIJSF_S6_EEENSH_IJSG_SG_EEES6_PlJ7is_evenIsEEEE10hipError_tPvRmT3_T4_T5_T6_T7_T9_mT8_P12ihipStream_tbDpT10_ENKUlT_T0_E_clISt17integral_constantIbLb1EES15_IbLb0EEEEDaS11_S12_EUlS11_E_NS1_11comp_targetILNS1_3genE5ELNS1_11target_archE942ELNS1_3gpuE9ELNS1_3repE0EEENS1_30default_config_static_selectorELNS0_4arch9wavefront6targetE0EEEvT1_, .Lfunc_end441-_ZN7rocprim17ROCPRIM_400000_NS6detail17trampoline_kernelINS0_14default_configENS1_25partition_config_selectorILNS1_17partition_subalgoE6EsNS0_10empty_typeEbEEZZNS1_14partition_implILS5_6ELb0ES3_mN6thrust23THRUST_200600_302600_NS6detail15normal_iteratorINSA_10device_ptrIsEEEEPS6_SG_NS0_5tupleIJSF_S6_EEENSH_IJSG_SG_EEES6_PlJ7is_evenIsEEEE10hipError_tPvRmT3_T4_T5_T6_T7_T9_mT8_P12ihipStream_tbDpT10_ENKUlT_T0_E_clISt17integral_constantIbLb1EES15_IbLb0EEEEDaS11_S12_EUlS11_E_NS1_11comp_targetILNS1_3genE5ELNS1_11target_archE942ELNS1_3gpuE9ELNS1_3repE0EEENS1_30default_config_static_selectorELNS0_4arch9wavefront6targetE0EEEvT1_
                                        ; -- End function
	.section	.AMDGPU.csdata,"",@progbits
; Kernel info:
; codeLenInByte = 0
; NumSgprs: 0
; NumVgprs: 0
; ScratchSize: 0
; MemoryBound: 0
; FloatMode: 240
; IeeeMode: 1
; LDSByteSize: 0 bytes/workgroup (compile time only)
; SGPRBlocks: 0
; VGPRBlocks: 0
; NumSGPRsForWavesPerEU: 1
; NumVGPRsForWavesPerEU: 1
; Occupancy: 16
; WaveLimiterHint : 0
; COMPUTE_PGM_RSRC2:SCRATCH_EN: 0
; COMPUTE_PGM_RSRC2:USER_SGPR: 15
; COMPUTE_PGM_RSRC2:TRAP_HANDLER: 0
; COMPUTE_PGM_RSRC2:TGID_X_EN: 1
; COMPUTE_PGM_RSRC2:TGID_Y_EN: 0
; COMPUTE_PGM_RSRC2:TGID_Z_EN: 0
; COMPUTE_PGM_RSRC2:TIDIG_COMP_CNT: 0
	.section	.text._ZN7rocprim17ROCPRIM_400000_NS6detail17trampoline_kernelINS0_14default_configENS1_25partition_config_selectorILNS1_17partition_subalgoE6EsNS0_10empty_typeEbEEZZNS1_14partition_implILS5_6ELb0ES3_mN6thrust23THRUST_200600_302600_NS6detail15normal_iteratorINSA_10device_ptrIsEEEEPS6_SG_NS0_5tupleIJSF_S6_EEENSH_IJSG_SG_EEES6_PlJ7is_evenIsEEEE10hipError_tPvRmT3_T4_T5_T6_T7_T9_mT8_P12ihipStream_tbDpT10_ENKUlT_T0_E_clISt17integral_constantIbLb1EES15_IbLb0EEEEDaS11_S12_EUlS11_E_NS1_11comp_targetILNS1_3genE4ELNS1_11target_archE910ELNS1_3gpuE8ELNS1_3repE0EEENS1_30default_config_static_selectorELNS0_4arch9wavefront6targetE0EEEvT1_,"axG",@progbits,_ZN7rocprim17ROCPRIM_400000_NS6detail17trampoline_kernelINS0_14default_configENS1_25partition_config_selectorILNS1_17partition_subalgoE6EsNS0_10empty_typeEbEEZZNS1_14partition_implILS5_6ELb0ES3_mN6thrust23THRUST_200600_302600_NS6detail15normal_iteratorINSA_10device_ptrIsEEEEPS6_SG_NS0_5tupleIJSF_S6_EEENSH_IJSG_SG_EEES6_PlJ7is_evenIsEEEE10hipError_tPvRmT3_T4_T5_T6_T7_T9_mT8_P12ihipStream_tbDpT10_ENKUlT_T0_E_clISt17integral_constantIbLb1EES15_IbLb0EEEEDaS11_S12_EUlS11_E_NS1_11comp_targetILNS1_3genE4ELNS1_11target_archE910ELNS1_3gpuE8ELNS1_3repE0EEENS1_30default_config_static_selectorELNS0_4arch9wavefront6targetE0EEEvT1_,comdat
	.protected	_ZN7rocprim17ROCPRIM_400000_NS6detail17trampoline_kernelINS0_14default_configENS1_25partition_config_selectorILNS1_17partition_subalgoE6EsNS0_10empty_typeEbEEZZNS1_14partition_implILS5_6ELb0ES3_mN6thrust23THRUST_200600_302600_NS6detail15normal_iteratorINSA_10device_ptrIsEEEEPS6_SG_NS0_5tupleIJSF_S6_EEENSH_IJSG_SG_EEES6_PlJ7is_evenIsEEEE10hipError_tPvRmT3_T4_T5_T6_T7_T9_mT8_P12ihipStream_tbDpT10_ENKUlT_T0_E_clISt17integral_constantIbLb1EES15_IbLb0EEEEDaS11_S12_EUlS11_E_NS1_11comp_targetILNS1_3genE4ELNS1_11target_archE910ELNS1_3gpuE8ELNS1_3repE0EEENS1_30default_config_static_selectorELNS0_4arch9wavefront6targetE0EEEvT1_ ; -- Begin function _ZN7rocprim17ROCPRIM_400000_NS6detail17trampoline_kernelINS0_14default_configENS1_25partition_config_selectorILNS1_17partition_subalgoE6EsNS0_10empty_typeEbEEZZNS1_14partition_implILS5_6ELb0ES3_mN6thrust23THRUST_200600_302600_NS6detail15normal_iteratorINSA_10device_ptrIsEEEEPS6_SG_NS0_5tupleIJSF_S6_EEENSH_IJSG_SG_EEES6_PlJ7is_evenIsEEEE10hipError_tPvRmT3_T4_T5_T6_T7_T9_mT8_P12ihipStream_tbDpT10_ENKUlT_T0_E_clISt17integral_constantIbLb1EES15_IbLb0EEEEDaS11_S12_EUlS11_E_NS1_11comp_targetILNS1_3genE4ELNS1_11target_archE910ELNS1_3gpuE8ELNS1_3repE0EEENS1_30default_config_static_selectorELNS0_4arch9wavefront6targetE0EEEvT1_
	.globl	_ZN7rocprim17ROCPRIM_400000_NS6detail17trampoline_kernelINS0_14default_configENS1_25partition_config_selectorILNS1_17partition_subalgoE6EsNS0_10empty_typeEbEEZZNS1_14partition_implILS5_6ELb0ES3_mN6thrust23THRUST_200600_302600_NS6detail15normal_iteratorINSA_10device_ptrIsEEEEPS6_SG_NS0_5tupleIJSF_S6_EEENSH_IJSG_SG_EEES6_PlJ7is_evenIsEEEE10hipError_tPvRmT3_T4_T5_T6_T7_T9_mT8_P12ihipStream_tbDpT10_ENKUlT_T0_E_clISt17integral_constantIbLb1EES15_IbLb0EEEEDaS11_S12_EUlS11_E_NS1_11comp_targetILNS1_3genE4ELNS1_11target_archE910ELNS1_3gpuE8ELNS1_3repE0EEENS1_30default_config_static_selectorELNS0_4arch9wavefront6targetE0EEEvT1_
	.p2align	8
	.type	_ZN7rocprim17ROCPRIM_400000_NS6detail17trampoline_kernelINS0_14default_configENS1_25partition_config_selectorILNS1_17partition_subalgoE6EsNS0_10empty_typeEbEEZZNS1_14partition_implILS5_6ELb0ES3_mN6thrust23THRUST_200600_302600_NS6detail15normal_iteratorINSA_10device_ptrIsEEEEPS6_SG_NS0_5tupleIJSF_S6_EEENSH_IJSG_SG_EEES6_PlJ7is_evenIsEEEE10hipError_tPvRmT3_T4_T5_T6_T7_T9_mT8_P12ihipStream_tbDpT10_ENKUlT_T0_E_clISt17integral_constantIbLb1EES15_IbLb0EEEEDaS11_S12_EUlS11_E_NS1_11comp_targetILNS1_3genE4ELNS1_11target_archE910ELNS1_3gpuE8ELNS1_3repE0EEENS1_30default_config_static_selectorELNS0_4arch9wavefront6targetE0EEEvT1_,@function
_ZN7rocprim17ROCPRIM_400000_NS6detail17trampoline_kernelINS0_14default_configENS1_25partition_config_selectorILNS1_17partition_subalgoE6EsNS0_10empty_typeEbEEZZNS1_14partition_implILS5_6ELb0ES3_mN6thrust23THRUST_200600_302600_NS6detail15normal_iteratorINSA_10device_ptrIsEEEEPS6_SG_NS0_5tupleIJSF_S6_EEENSH_IJSG_SG_EEES6_PlJ7is_evenIsEEEE10hipError_tPvRmT3_T4_T5_T6_T7_T9_mT8_P12ihipStream_tbDpT10_ENKUlT_T0_E_clISt17integral_constantIbLb1EES15_IbLb0EEEEDaS11_S12_EUlS11_E_NS1_11comp_targetILNS1_3genE4ELNS1_11target_archE910ELNS1_3gpuE8ELNS1_3repE0EEENS1_30default_config_static_selectorELNS0_4arch9wavefront6targetE0EEEvT1_: ; @_ZN7rocprim17ROCPRIM_400000_NS6detail17trampoline_kernelINS0_14default_configENS1_25partition_config_selectorILNS1_17partition_subalgoE6EsNS0_10empty_typeEbEEZZNS1_14partition_implILS5_6ELb0ES3_mN6thrust23THRUST_200600_302600_NS6detail15normal_iteratorINSA_10device_ptrIsEEEEPS6_SG_NS0_5tupleIJSF_S6_EEENSH_IJSG_SG_EEES6_PlJ7is_evenIsEEEE10hipError_tPvRmT3_T4_T5_T6_T7_T9_mT8_P12ihipStream_tbDpT10_ENKUlT_T0_E_clISt17integral_constantIbLb1EES15_IbLb0EEEEDaS11_S12_EUlS11_E_NS1_11comp_targetILNS1_3genE4ELNS1_11target_archE910ELNS1_3gpuE8ELNS1_3repE0EEENS1_30default_config_static_selectorELNS0_4arch9wavefront6targetE0EEEvT1_
; %bb.0:
	.section	.rodata,"a",@progbits
	.p2align	6, 0x0
	.amdhsa_kernel _ZN7rocprim17ROCPRIM_400000_NS6detail17trampoline_kernelINS0_14default_configENS1_25partition_config_selectorILNS1_17partition_subalgoE6EsNS0_10empty_typeEbEEZZNS1_14partition_implILS5_6ELb0ES3_mN6thrust23THRUST_200600_302600_NS6detail15normal_iteratorINSA_10device_ptrIsEEEEPS6_SG_NS0_5tupleIJSF_S6_EEENSH_IJSG_SG_EEES6_PlJ7is_evenIsEEEE10hipError_tPvRmT3_T4_T5_T6_T7_T9_mT8_P12ihipStream_tbDpT10_ENKUlT_T0_E_clISt17integral_constantIbLb1EES15_IbLb0EEEEDaS11_S12_EUlS11_E_NS1_11comp_targetILNS1_3genE4ELNS1_11target_archE910ELNS1_3gpuE8ELNS1_3repE0EEENS1_30default_config_static_selectorELNS0_4arch9wavefront6targetE0EEEvT1_
		.amdhsa_group_segment_fixed_size 0
		.amdhsa_private_segment_fixed_size 0
		.amdhsa_kernarg_size 112
		.amdhsa_user_sgpr_count 15
		.amdhsa_user_sgpr_dispatch_ptr 0
		.amdhsa_user_sgpr_queue_ptr 0
		.amdhsa_user_sgpr_kernarg_segment_ptr 1
		.amdhsa_user_sgpr_dispatch_id 0
		.amdhsa_user_sgpr_private_segment_size 0
		.amdhsa_wavefront_size32 1
		.amdhsa_uses_dynamic_stack 0
		.amdhsa_enable_private_segment 0
		.amdhsa_system_sgpr_workgroup_id_x 1
		.amdhsa_system_sgpr_workgroup_id_y 0
		.amdhsa_system_sgpr_workgroup_id_z 0
		.amdhsa_system_sgpr_workgroup_info 0
		.amdhsa_system_vgpr_workitem_id 0
		.amdhsa_next_free_vgpr 1
		.amdhsa_next_free_sgpr 1
		.amdhsa_reserve_vcc 0
		.amdhsa_float_round_mode_32 0
		.amdhsa_float_round_mode_16_64 0
		.amdhsa_float_denorm_mode_32 3
		.amdhsa_float_denorm_mode_16_64 3
		.amdhsa_dx10_clamp 1
		.amdhsa_ieee_mode 1
		.amdhsa_fp16_overflow 0
		.amdhsa_workgroup_processor_mode 1
		.amdhsa_memory_ordered 1
		.amdhsa_forward_progress 0
		.amdhsa_shared_vgpr_count 0
		.amdhsa_exception_fp_ieee_invalid_op 0
		.amdhsa_exception_fp_denorm_src 0
		.amdhsa_exception_fp_ieee_div_zero 0
		.amdhsa_exception_fp_ieee_overflow 0
		.amdhsa_exception_fp_ieee_underflow 0
		.amdhsa_exception_fp_ieee_inexact 0
		.amdhsa_exception_int_div_zero 0
	.end_amdhsa_kernel
	.section	.text._ZN7rocprim17ROCPRIM_400000_NS6detail17trampoline_kernelINS0_14default_configENS1_25partition_config_selectorILNS1_17partition_subalgoE6EsNS0_10empty_typeEbEEZZNS1_14partition_implILS5_6ELb0ES3_mN6thrust23THRUST_200600_302600_NS6detail15normal_iteratorINSA_10device_ptrIsEEEEPS6_SG_NS0_5tupleIJSF_S6_EEENSH_IJSG_SG_EEES6_PlJ7is_evenIsEEEE10hipError_tPvRmT3_T4_T5_T6_T7_T9_mT8_P12ihipStream_tbDpT10_ENKUlT_T0_E_clISt17integral_constantIbLb1EES15_IbLb0EEEEDaS11_S12_EUlS11_E_NS1_11comp_targetILNS1_3genE4ELNS1_11target_archE910ELNS1_3gpuE8ELNS1_3repE0EEENS1_30default_config_static_selectorELNS0_4arch9wavefront6targetE0EEEvT1_,"axG",@progbits,_ZN7rocprim17ROCPRIM_400000_NS6detail17trampoline_kernelINS0_14default_configENS1_25partition_config_selectorILNS1_17partition_subalgoE6EsNS0_10empty_typeEbEEZZNS1_14partition_implILS5_6ELb0ES3_mN6thrust23THRUST_200600_302600_NS6detail15normal_iteratorINSA_10device_ptrIsEEEEPS6_SG_NS0_5tupleIJSF_S6_EEENSH_IJSG_SG_EEES6_PlJ7is_evenIsEEEE10hipError_tPvRmT3_T4_T5_T6_T7_T9_mT8_P12ihipStream_tbDpT10_ENKUlT_T0_E_clISt17integral_constantIbLb1EES15_IbLb0EEEEDaS11_S12_EUlS11_E_NS1_11comp_targetILNS1_3genE4ELNS1_11target_archE910ELNS1_3gpuE8ELNS1_3repE0EEENS1_30default_config_static_selectorELNS0_4arch9wavefront6targetE0EEEvT1_,comdat
.Lfunc_end442:
	.size	_ZN7rocprim17ROCPRIM_400000_NS6detail17trampoline_kernelINS0_14default_configENS1_25partition_config_selectorILNS1_17partition_subalgoE6EsNS0_10empty_typeEbEEZZNS1_14partition_implILS5_6ELb0ES3_mN6thrust23THRUST_200600_302600_NS6detail15normal_iteratorINSA_10device_ptrIsEEEEPS6_SG_NS0_5tupleIJSF_S6_EEENSH_IJSG_SG_EEES6_PlJ7is_evenIsEEEE10hipError_tPvRmT3_T4_T5_T6_T7_T9_mT8_P12ihipStream_tbDpT10_ENKUlT_T0_E_clISt17integral_constantIbLb1EES15_IbLb0EEEEDaS11_S12_EUlS11_E_NS1_11comp_targetILNS1_3genE4ELNS1_11target_archE910ELNS1_3gpuE8ELNS1_3repE0EEENS1_30default_config_static_selectorELNS0_4arch9wavefront6targetE0EEEvT1_, .Lfunc_end442-_ZN7rocprim17ROCPRIM_400000_NS6detail17trampoline_kernelINS0_14default_configENS1_25partition_config_selectorILNS1_17partition_subalgoE6EsNS0_10empty_typeEbEEZZNS1_14partition_implILS5_6ELb0ES3_mN6thrust23THRUST_200600_302600_NS6detail15normal_iteratorINSA_10device_ptrIsEEEEPS6_SG_NS0_5tupleIJSF_S6_EEENSH_IJSG_SG_EEES6_PlJ7is_evenIsEEEE10hipError_tPvRmT3_T4_T5_T6_T7_T9_mT8_P12ihipStream_tbDpT10_ENKUlT_T0_E_clISt17integral_constantIbLb1EES15_IbLb0EEEEDaS11_S12_EUlS11_E_NS1_11comp_targetILNS1_3genE4ELNS1_11target_archE910ELNS1_3gpuE8ELNS1_3repE0EEENS1_30default_config_static_selectorELNS0_4arch9wavefront6targetE0EEEvT1_
                                        ; -- End function
	.section	.AMDGPU.csdata,"",@progbits
; Kernel info:
; codeLenInByte = 0
; NumSgprs: 0
; NumVgprs: 0
; ScratchSize: 0
; MemoryBound: 0
; FloatMode: 240
; IeeeMode: 1
; LDSByteSize: 0 bytes/workgroup (compile time only)
; SGPRBlocks: 0
; VGPRBlocks: 0
; NumSGPRsForWavesPerEU: 1
; NumVGPRsForWavesPerEU: 1
; Occupancy: 16
; WaveLimiterHint : 0
; COMPUTE_PGM_RSRC2:SCRATCH_EN: 0
; COMPUTE_PGM_RSRC2:USER_SGPR: 15
; COMPUTE_PGM_RSRC2:TRAP_HANDLER: 0
; COMPUTE_PGM_RSRC2:TGID_X_EN: 1
; COMPUTE_PGM_RSRC2:TGID_Y_EN: 0
; COMPUTE_PGM_RSRC2:TGID_Z_EN: 0
; COMPUTE_PGM_RSRC2:TIDIG_COMP_CNT: 0
	.section	.text._ZN7rocprim17ROCPRIM_400000_NS6detail17trampoline_kernelINS0_14default_configENS1_25partition_config_selectorILNS1_17partition_subalgoE6EsNS0_10empty_typeEbEEZZNS1_14partition_implILS5_6ELb0ES3_mN6thrust23THRUST_200600_302600_NS6detail15normal_iteratorINSA_10device_ptrIsEEEEPS6_SG_NS0_5tupleIJSF_S6_EEENSH_IJSG_SG_EEES6_PlJ7is_evenIsEEEE10hipError_tPvRmT3_T4_T5_T6_T7_T9_mT8_P12ihipStream_tbDpT10_ENKUlT_T0_E_clISt17integral_constantIbLb1EES15_IbLb0EEEEDaS11_S12_EUlS11_E_NS1_11comp_targetILNS1_3genE3ELNS1_11target_archE908ELNS1_3gpuE7ELNS1_3repE0EEENS1_30default_config_static_selectorELNS0_4arch9wavefront6targetE0EEEvT1_,"axG",@progbits,_ZN7rocprim17ROCPRIM_400000_NS6detail17trampoline_kernelINS0_14default_configENS1_25partition_config_selectorILNS1_17partition_subalgoE6EsNS0_10empty_typeEbEEZZNS1_14partition_implILS5_6ELb0ES3_mN6thrust23THRUST_200600_302600_NS6detail15normal_iteratorINSA_10device_ptrIsEEEEPS6_SG_NS0_5tupleIJSF_S6_EEENSH_IJSG_SG_EEES6_PlJ7is_evenIsEEEE10hipError_tPvRmT3_T4_T5_T6_T7_T9_mT8_P12ihipStream_tbDpT10_ENKUlT_T0_E_clISt17integral_constantIbLb1EES15_IbLb0EEEEDaS11_S12_EUlS11_E_NS1_11comp_targetILNS1_3genE3ELNS1_11target_archE908ELNS1_3gpuE7ELNS1_3repE0EEENS1_30default_config_static_selectorELNS0_4arch9wavefront6targetE0EEEvT1_,comdat
	.protected	_ZN7rocprim17ROCPRIM_400000_NS6detail17trampoline_kernelINS0_14default_configENS1_25partition_config_selectorILNS1_17partition_subalgoE6EsNS0_10empty_typeEbEEZZNS1_14partition_implILS5_6ELb0ES3_mN6thrust23THRUST_200600_302600_NS6detail15normal_iteratorINSA_10device_ptrIsEEEEPS6_SG_NS0_5tupleIJSF_S6_EEENSH_IJSG_SG_EEES6_PlJ7is_evenIsEEEE10hipError_tPvRmT3_T4_T5_T6_T7_T9_mT8_P12ihipStream_tbDpT10_ENKUlT_T0_E_clISt17integral_constantIbLb1EES15_IbLb0EEEEDaS11_S12_EUlS11_E_NS1_11comp_targetILNS1_3genE3ELNS1_11target_archE908ELNS1_3gpuE7ELNS1_3repE0EEENS1_30default_config_static_selectorELNS0_4arch9wavefront6targetE0EEEvT1_ ; -- Begin function _ZN7rocprim17ROCPRIM_400000_NS6detail17trampoline_kernelINS0_14default_configENS1_25partition_config_selectorILNS1_17partition_subalgoE6EsNS0_10empty_typeEbEEZZNS1_14partition_implILS5_6ELb0ES3_mN6thrust23THRUST_200600_302600_NS6detail15normal_iteratorINSA_10device_ptrIsEEEEPS6_SG_NS0_5tupleIJSF_S6_EEENSH_IJSG_SG_EEES6_PlJ7is_evenIsEEEE10hipError_tPvRmT3_T4_T5_T6_T7_T9_mT8_P12ihipStream_tbDpT10_ENKUlT_T0_E_clISt17integral_constantIbLb1EES15_IbLb0EEEEDaS11_S12_EUlS11_E_NS1_11comp_targetILNS1_3genE3ELNS1_11target_archE908ELNS1_3gpuE7ELNS1_3repE0EEENS1_30default_config_static_selectorELNS0_4arch9wavefront6targetE0EEEvT1_
	.globl	_ZN7rocprim17ROCPRIM_400000_NS6detail17trampoline_kernelINS0_14default_configENS1_25partition_config_selectorILNS1_17partition_subalgoE6EsNS0_10empty_typeEbEEZZNS1_14partition_implILS5_6ELb0ES3_mN6thrust23THRUST_200600_302600_NS6detail15normal_iteratorINSA_10device_ptrIsEEEEPS6_SG_NS0_5tupleIJSF_S6_EEENSH_IJSG_SG_EEES6_PlJ7is_evenIsEEEE10hipError_tPvRmT3_T4_T5_T6_T7_T9_mT8_P12ihipStream_tbDpT10_ENKUlT_T0_E_clISt17integral_constantIbLb1EES15_IbLb0EEEEDaS11_S12_EUlS11_E_NS1_11comp_targetILNS1_3genE3ELNS1_11target_archE908ELNS1_3gpuE7ELNS1_3repE0EEENS1_30default_config_static_selectorELNS0_4arch9wavefront6targetE0EEEvT1_
	.p2align	8
	.type	_ZN7rocprim17ROCPRIM_400000_NS6detail17trampoline_kernelINS0_14default_configENS1_25partition_config_selectorILNS1_17partition_subalgoE6EsNS0_10empty_typeEbEEZZNS1_14partition_implILS5_6ELb0ES3_mN6thrust23THRUST_200600_302600_NS6detail15normal_iteratorINSA_10device_ptrIsEEEEPS6_SG_NS0_5tupleIJSF_S6_EEENSH_IJSG_SG_EEES6_PlJ7is_evenIsEEEE10hipError_tPvRmT3_T4_T5_T6_T7_T9_mT8_P12ihipStream_tbDpT10_ENKUlT_T0_E_clISt17integral_constantIbLb1EES15_IbLb0EEEEDaS11_S12_EUlS11_E_NS1_11comp_targetILNS1_3genE3ELNS1_11target_archE908ELNS1_3gpuE7ELNS1_3repE0EEENS1_30default_config_static_selectorELNS0_4arch9wavefront6targetE0EEEvT1_,@function
_ZN7rocprim17ROCPRIM_400000_NS6detail17trampoline_kernelINS0_14default_configENS1_25partition_config_selectorILNS1_17partition_subalgoE6EsNS0_10empty_typeEbEEZZNS1_14partition_implILS5_6ELb0ES3_mN6thrust23THRUST_200600_302600_NS6detail15normal_iteratorINSA_10device_ptrIsEEEEPS6_SG_NS0_5tupleIJSF_S6_EEENSH_IJSG_SG_EEES6_PlJ7is_evenIsEEEE10hipError_tPvRmT3_T4_T5_T6_T7_T9_mT8_P12ihipStream_tbDpT10_ENKUlT_T0_E_clISt17integral_constantIbLb1EES15_IbLb0EEEEDaS11_S12_EUlS11_E_NS1_11comp_targetILNS1_3genE3ELNS1_11target_archE908ELNS1_3gpuE7ELNS1_3repE0EEENS1_30default_config_static_selectorELNS0_4arch9wavefront6targetE0EEEvT1_: ; @_ZN7rocprim17ROCPRIM_400000_NS6detail17trampoline_kernelINS0_14default_configENS1_25partition_config_selectorILNS1_17partition_subalgoE6EsNS0_10empty_typeEbEEZZNS1_14partition_implILS5_6ELb0ES3_mN6thrust23THRUST_200600_302600_NS6detail15normal_iteratorINSA_10device_ptrIsEEEEPS6_SG_NS0_5tupleIJSF_S6_EEENSH_IJSG_SG_EEES6_PlJ7is_evenIsEEEE10hipError_tPvRmT3_T4_T5_T6_T7_T9_mT8_P12ihipStream_tbDpT10_ENKUlT_T0_E_clISt17integral_constantIbLb1EES15_IbLb0EEEEDaS11_S12_EUlS11_E_NS1_11comp_targetILNS1_3genE3ELNS1_11target_archE908ELNS1_3gpuE7ELNS1_3repE0EEENS1_30default_config_static_selectorELNS0_4arch9wavefront6targetE0EEEvT1_
; %bb.0:
	.section	.rodata,"a",@progbits
	.p2align	6, 0x0
	.amdhsa_kernel _ZN7rocprim17ROCPRIM_400000_NS6detail17trampoline_kernelINS0_14default_configENS1_25partition_config_selectorILNS1_17partition_subalgoE6EsNS0_10empty_typeEbEEZZNS1_14partition_implILS5_6ELb0ES3_mN6thrust23THRUST_200600_302600_NS6detail15normal_iteratorINSA_10device_ptrIsEEEEPS6_SG_NS0_5tupleIJSF_S6_EEENSH_IJSG_SG_EEES6_PlJ7is_evenIsEEEE10hipError_tPvRmT3_T4_T5_T6_T7_T9_mT8_P12ihipStream_tbDpT10_ENKUlT_T0_E_clISt17integral_constantIbLb1EES15_IbLb0EEEEDaS11_S12_EUlS11_E_NS1_11comp_targetILNS1_3genE3ELNS1_11target_archE908ELNS1_3gpuE7ELNS1_3repE0EEENS1_30default_config_static_selectorELNS0_4arch9wavefront6targetE0EEEvT1_
		.amdhsa_group_segment_fixed_size 0
		.amdhsa_private_segment_fixed_size 0
		.amdhsa_kernarg_size 112
		.amdhsa_user_sgpr_count 15
		.amdhsa_user_sgpr_dispatch_ptr 0
		.amdhsa_user_sgpr_queue_ptr 0
		.amdhsa_user_sgpr_kernarg_segment_ptr 1
		.amdhsa_user_sgpr_dispatch_id 0
		.amdhsa_user_sgpr_private_segment_size 0
		.amdhsa_wavefront_size32 1
		.amdhsa_uses_dynamic_stack 0
		.amdhsa_enable_private_segment 0
		.amdhsa_system_sgpr_workgroup_id_x 1
		.amdhsa_system_sgpr_workgroup_id_y 0
		.amdhsa_system_sgpr_workgroup_id_z 0
		.amdhsa_system_sgpr_workgroup_info 0
		.amdhsa_system_vgpr_workitem_id 0
		.amdhsa_next_free_vgpr 1
		.amdhsa_next_free_sgpr 1
		.amdhsa_reserve_vcc 0
		.amdhsa_float_round_mode_32 0
		.amdhsa_float_round_mode_16_64 0
		.amdhsa_float_denorm_mode_32 3
		.amdhsa_float_denorm_mode_16_64 3
		.amdhsa_dx10_clamp 1
		.amdhsa_ieee_mode 1
		.amdhsa_fp16_overflow 0
		.amdhsa_workgroup_processor_mode 1
		.amdhsa_memory_ordered 1
		.amdhsa_forward_progress 0
		.amdhsa_shared_vgpr_count 0
		.amdhsa_exception_fp_ieee_invalid_op 0
		.amdhsa_exception_fp_denorm_src 0
		.amdhsa_exception_fp_ieee_div_zero 0
		.amdhsa_exception_fp_ieee_overflow 0
		.amdhsa_exception_fp_ieee_underflow 0
		.amdhsa_exception_fp_ieee_inexact 0
		.amdhsa_exception_int_div_zero 0
	.end_amdhsa_kernel
	.section	.text._ZN7rocprim17ROCPRIM_400000_NS6detail17trampoline_kernelINS0_14default_configENS1_25partition_config_selectorILNS1_17partition_subalgoE6EsNS0_10empty_typeEbEEZZNS1_14partition_implILS5_6ELb0ES3_mN6thrust23THRUST_200600_302600_NS6detail15normal_iteratorINSA_10device_ptrIsEEEEPS6_SG_NS0_5tupleIJSF_S6_EEENSH_IJSG_SG_EEES6_PlJ7is_evenIsEEEE10hipError_tPvRmT3_T4_T5_T6_T7_T9_mT8_P12ihipStream_tbDpT10_ENKUlT_T0_E_clISt17integral_constantIbLb1EES15_IbLb0EEEEDaS11_S12_EUlS11_E_NS1_11comp_targetILNS1_3genE3ELNS1_11target_archE908ELNS1_3gpuE7ELNS1_3repE0EEENS1_30default_config_static_selectorELNS0_4arch9wavefront6targetE0EEEvT1_,"axG",@progbits,_ZN7rocprim17ROCPRIM_400000_NS6detail17trampoline_kernelINS0_14default_configENS1_25partition_config_selectorILNS1_17partition_subalgoE6EsNS0_10empty_typeEbEEZZNS1_14partition_implILS5_6ELb0ES3_mN6thrust23THRUST_200600_302600_NS6detail15normal_iteratorINSA_10device_ptrIsEEEEPS6_SG_NS0_5tupleIJSF_S6_EEENSH_IJSG_SG_EEES6_PlJ7is_evenIsEEEE10hipError_tPvRmT3_T4_T5_T6_T7_T9_mT8_P12ihipStream_tbDpT10_ENKUlT_T0_E_clISt17integral_constantIbLb1EES15_IbLb0EEEEDaS11_S12_EUlS11_E_NS1_11comp_targetILNS1_3genE3ELNS1_11target_archE908ELNS1_3gpuE7ELNS1_3repE0EEENS1_30default_config_static_selectorELNS0_4arch9wavefront6targetE0EEEvT1_,comdat
.Lfunc_end443:
	.size	_ZN7rocprim17ROCPRIM_400000_NS6detail17trampoline_kernelINS0_14default_configENS1_25partition_config_selectorILNS1_17partition_subalgoE6EsNS0_10empty_typeEbEEZZNS1_14partition_implILS5_6ELb0ES3_mN6thrust23THRUST_200600_302600_NS6detail15normal_iteratorINSA_10device_ptrIsEEEEPS6_SG_NS0_5tupleIJSF_S6_EEENSH_IJSG_SG_EEES6_PlJ7is_evenIsEEEE10hipError_tPvRmT3_T4_T5_T6_T7_T9_mT8_P12ihipStream_tbDpT10_ENKUlT_T0_E_clISt17integral_constantIbLb1EES15_IbLb0EEEEDaS11_S12_EUlS11_E_NS1_11comp_targetILNS1_3genE3ELNS1_11target_archE908ELNS1_3gpuE7ELNS1_3repE0EEENS1_30default_config_static_selectorELNS0_4arch9wavefront6targetE0EEEvT1_, .Lfunc_end443-_ZN7rocprim17ROCPRIM_400000_NS6detail17trampoline_kernelINS0_14default_configENS1_25partition_config_selectorILNS1_17partition_subalgoE6EsNS0_10empty_typeEbEEZZNS1_14partition_implILS5_6ELb0ES3_mN6thrust23THRUST_200600_302600_NS6detail15normal_iteratorINSA_10device_ptrIsEEEEPS6_SG_NS0_5tupleIJSF_S6_EEENSH_IJSG_SG_EEES6_PlJ7is_evenIsEEEE10hipError_tPvRmT3_T4_T5_T6_T7_T9_mT8_P12ihipStream_tbDpT10_ENKUlT_T0_E_clISt17integral_constantIbLb1EES15_IbLb0EEEEDaS11_S12_EUlS11_E_NS1_11comp_targetILNS1_3genE3ELNS1_11target_archE908ELNS1_3gpuE7ELNS1_3repE0EEENS1_30default_config_static_selectorELNS0_4arch9wavefront6targetE0EEEvT1_
                                        ; -- End function
	.section	.AMDGPU.csdata,"",@progbits
; Kernel info:
; codeLenInByte = 0
; NumSgprs: 0
; NumVgprs: 0
; ScratchSize: 0
; MemoryBound: 0
; FloatMode: 240
; IeeeMode: 1
; LDSByteSize: 0 bytes/workgroup (compile time only)
; SGPRBlocks: 0
; VGPRBlocks: 0
; NumSGPRsForWavesPerEU: 1
; NumVGPRsForWavesPerEU: 1
; Occupancy: 16
; WaveLimiterHint : 0
; COMPUTE_PGM_RSRC2:SCRATCH_EN: 0
; COMPUTE_PGM_RSRC2:USER_SGPR: 15
; COMPUTE_PGM_RSRC2:TRAP_HANDLER: 0
; COMPUTE_PGM_RSRC2:TGID_X_EN: 1
; COMPUTE_PGM_RSRC2:TGID_Y_EN: 0
; COMPUTE_PGM_RSRC2:TGID_Z_EN: 0
; COMPUTE_PGM_RSRC2:TIDIG_COMP_CNT: 0
	.section	.text._ZN7rocprim17ROCPRIM_400000_NS6detail17trampoline_kernelINS0_14default_configENS1_25partition_config_selectorILNS1_17partition_subalgoE6EsNS0_10empty_typeEbEEZZNS1_14partition_implILS5_6ELb0ES3_mN6thrust23THRUST_200600_302600_NS6detail15normal_iteratorINSA_10device_ptrIsEEEEPS6_SG_NS0_5tupleIJSF_S6_EEENSH_IJSG_SG_EEES6_PlJ7is_evenIsEEEE10hipError_tPvRmT3_T4_T5_T6_T7_T9_mT8_P12ihipStream_tbDpT10_ENKUlT_T0_E_clISt17integral_constantIbLb1EES15_IbLb0EEEEDaS11_S12_EUlS11_E_NS1_11comp_targetILNS1_3genE2ELNS1_11target_archE906ELNS1_3gpuE6ELNS1_3repE0EEENS1_30default_config_static_selectorELNS0_4arch9wavefront6targetE0EEEvT1_,"axG",@progbits,_ZN7rocprim17ROCPRIM_400000_NS6detail17trampoline_kernelINS0_14default_configENS1_25partition_config_selectorILNS1_17partition_subalgoE6EsNS0_10empty_typeEbEEZZNS1_14partition_implILS5_6ELb0ES3_mN6thrust23THRUST_200600_302600_NS6detail15normal_iteratorINSA_10device_ptrIsEEEEPS6_SG_NS0_5tupleIJSF_S6_EEENSH_IJSG_SG_EEES6_PlJ7is_evenIsEEEE10hipError_tPvRmT3_T4_T5_T6_T7_T9_mT8_P12ihipStream_tbDpT10_ENKUlT_T0_E_clISt17integral_constantIbLb1EES15_IbLb0EEEEDaS11_S12_EUlS11_E_NS1_11comp_targetILNS1_3genE2ELNS1_11target_archE906ELNS1_3gpuE6ELNS1_3repE0EEENS1_30default_config_static_selectorELNS0_4arch9wavefront6targetE0EEEvT1_,comdat
	.protected	_ZN7rocprim17ROCPRIM_400000_NS6detail17trampoline_kernelINS0_14default_configENS1_25partition_config_selectorILNS1_17partition_subalgoE6EsNS0_10empty_typeEbEEZZNS1_14partition_implILS5_6ELb0ES3_mN6thrust23THRUST_200600_302600_NS6detail15normal_iteratorINSA_10device_ptrIsEEEEPS6_SG_NS0_5tupleIJSF_S6_EEENSH_IJSG_SG_EEES6_PlJ7is_evenIsEEEE10hipError_tPvRmT3_T4_T5_T6_T7_T9_mT8_P12ihipStream_tbDpT10_ENKUlT_T0_E_clISt17integral_constantIbLb1EES15_IbLb0EEEEDaS11_S12_EUlS11_E_NS1_11comp_targetILNS1_3genE2ELNS1_11target_archE906ELNS1_3gpuE6ELNS1_3repE0EEENS1_30default_config_static_selectorELNS0_4arch9wavefront6targetE0EEEvT1_ ; -- Begin function _ZN7rocprim17ROCPRIM_400000_NS6detail17trampoline_kernelINS0_14default_configENS1_25partition_config_selectorILNS1_17partition_subalgoE6EsNS0_10empty_typeEbEEZZNS1_14partition_implILS5_6ELb0ES3_mN6thrust23THRUST_200600_302600_NS6detail15normal_iteratorINSA_10device_ptrIsEEEEPS6_SG_NS0_5tupleIJSF_S6_EEENSH_IJSG_SG_EEES6_PlJ7is_evenIsEEEE10hipError_tPvRmT3_T4_T5_T6_T7_T9_mT8_P12ihipStream_tbDpT10_ENKUlT_T0_E_clISt17integral_constantIbLb1EES15_IbLb0EEEEDaS11_S12_EUlS11_E_NS1_11comp_targetILNS1_3genE2ELNS1_11target_archE906ELNS1_3gpuE6ELNS1_3repE0EEENS1_30default_config_static_selectorELNS0_4arch9wavefront6targetE0EEEvT1_
	.globl	_ZN7rocprim17ROCPRIM_400000_NS6detail17trampoline_kernelINS0_14default_configENS1_25partition_config_selectorILNS1_17partition_subalgoE6EsNS0_10empty_typeEbEEZZNS1_14partition_implILS5_6ELb0ES3_mN6thrust23THRUST_200600_302600_NS6detail15normal_iteratorINSA_10device_ptrIsEEEEPS6_SG_NS0_5tupleIJSF_S6_EEENSH_IJSG_SG_EEES6_PlJ7is_evenIsEEEE10hipError_tPvRmT3_T4_T5_T6_T7_T9_mT8_P12ihipStream_tbDpT10_ENKUlT_T0_E_clISt17integral_constantIbLb1EES15_IbLb0EEEEDaS11_S12_EUlS11_E_NS1_11comp_targetILNS1_3genE2ELNS1_11target_archE906ELNS1_3gpuE6ELNS1_3repE0EEENS1_30default_config_static_selectorELNS0_4arch9wavefront6targetE0EEEvT1_
	.p2align	8
	.type	_ZN7rocprim17ROCPRIM_400000_NS6detail17trampoline_kernelINS0_14default_configENS1_25partition_config_selectorILNS1_17partition_subalgoE6EsNS0_10empty_typeEbEEZZNS1_14partition_implILS5_6ELb0ES3_mN6thrust23THRUST_200600_302600_NS6detail15normal_iteratorINSA_10device_ptrIsEEEEPS6_SG_NS0_5tupleIJSF_S6_EEENSH_IJSG_SG_EEES6_PlJ7is_evenIsEEEE10hipError_tPvRmT3_T4_T5_T6_T7_T9_mT8_P12ihipStream_tbDpT10_ENKUlT_T0_E_clISt17integral_constantIbLb1EES15_IbLb0EEEEDaS11_S12_EUlS11_E_NS1_11comp_targetILNS1_3genE2ELNS1_11target_archE906ELNS1_3gpuE6ELNS1_3repE0EEENS1_30default_config_static_selectorELNS0_4arch9wavefront6targetE0EEEvT1_,@function
_ZN7rocprim17ROCPRIM_400000_NS6detail17trampoline_kernelINS0_14default_configENS1_25partition_config_selectorILNS1_17partition_subalgoE6EsNS0_10empty_typeEbEEZZNS1_14partition_implILS5_6ELb0ES3_mN6thrust23THRUST_200600_302600_NS6detail15normal_iteratorINSA_10device_ptrIsEEEEPS6_SG_NS0_5tupleIJSF_S6_EEENSH_IJSG_SG_EEES6_PlJ7is_evenIsEEEE10hipError_tPvRmT3_T4_T5_T6_T7_T9_mT8_P12ihipStream_tbDpT10_ENKUlT_T0_E_clISt17integral_constantIbLb1EES15_IbLb0EEEEDaS11_S12_EUlS11_E_NS1_11comp_targetILNS1_3genE2ELNS1_11target_archE906ELNS1_3gpuE6ELNS1_3repE0EEENS1_30default_config_static_selectorELNS0_4arch9wavefront6targetE0EEEvT1_: ; @_ZN7rocprim17ROCPRIM_400000_NS6detail17trampoline_kernelINS0_14default_configENS1_25partition_config_selectorILNS1_17partition_subalgoE6EsNS0_10empty_typeEbEEZZNS1_14partition_implILS5_6ELb0ES3_mN6thrust23THRUST_200600_302600_NS6detail15normal_iteratorINSA_10device_ptrIsEEEEPS6_SG_NS0_5tupleIJSF_S6_EEENSH_IJSG_SG_EEES6_PlJ7is_evenIsEEEE10hipError_tPvRmT3_T4_T5_T6_T7_T9_mT8_P12ihipStream_tbDpT10_ENKUlT_T0_E_clISt17integral_constantIbLb1EES15_IbLb0EEEEDaS11_S12_EUlS11_E_NS1_11comp_targetILNS1_3genE2ELNS1_11target_archE906ELNS1_3gpuE6ELNS1_3repE0EEENS1_30default_config_static_selectorELNS0_4arch9wavefront6targetE0EEEvT1_
; %bb.0:
	.section	.rodata,"a",@progbits
	.p2align	6, 0x0
	.amdhsa_kernel _ZN7rocprim17ROCPRIM_400000_NS6detail17trampoline_kernelINS0_14default_configENS1_25partition_config_selectorILNS1_17partition_subalgoE6EsNS0_10empty_typeEbEEZZNS1_14partition_implILS5_6ELb0ES3_mN6thrust23THRUST_200600_302600_NS6detail15normal_iteratorINSA_10device_ptrIsEEEEPS6_SG_NS0_5tupleIJSF_S6_EEENSH_IJSG_SG_EEES6_PlJ7is_evenIsEEEE10hipError_tPvRmT3_T4_T5_T6_T7_T9_mT8_P12ihipStream_tbDpT10_ENKUlT_T0_E_clISt17integral_constantIbLb1EES15_IbLb0EEEEDaS11_S12_EUlS11_E_NS1_11comp_targetILNS1_3genE2ELNS1_11target_archE906ELNS1_3gpuE6ELNS1_3repE0EEENS1_30default_config_static_selectorELNS0_4arch9wavefront6targetE0EEEvT1_
		.amdhsa_group_segment_fixed_size 0
		.amdhsa_private_segment_fixed_size 0
		.amdhsa_kernarg_size 112
		.amdhsa_user_sgpr_count 15
		.amdhsa_user_sgpr_dispatch_ptr 0
		.amdhsa_user_sgpr_queue_ptr 0
		.amdhsa_user_sgpr_kernarg_segment_ptr 1
		.amdhsa_user_sgpr_dispatch_id 0
		.amdhsa_user_sgpr_private_segment_size 0
		.amdhsa_wavefront_size32 1
		.amdhsa_uses_dynamic_stack 0
		.amdhsa_enable_private_segment 0
		.amdhsa_system_sgpr_workgroup_id_x 1
		.amdhsa_system_sgpr_workgroup_id_y 0
		.amdhsa_system_sgpr_workgroup_id_z 0
		.amdhsa_system_sgpr_workgroup_info 0
		.amdhsa_system_vgpr_workitem_id 0
		.amdhsa_next_free_vgpr 1
		.amdhsa_next_free_sgpr 1
		.amdhsa_reserve_vcc 0
		.amdhsa_float_round_mode_32 0
		.amdhsa_float_round_mode_16_64 0
		.amdhsa_float_denorm_mode_32 3
		.amdhsa_float_denorm_mode_16_64 3
		.amdhsa_dx10_clamp 1
		.amdhsa_ieee_mode 1
		.amdhsa_fp16_overflow 0
		.amdhsa_workgroup_processor_mode 1
		.amdhsa_memory_ordered 1
		.amdhsa_forward_progress 0
		.amdhsa_shared_vgpr_count 0
		.amdhsa_exception_fp_ieee_invalid_op 0
		.amdhsa_exception_fp_denorm_src 0
		.amdhsa_exception_fp_ieee_div_zero 0
		.amdhsa_exception_fp_ieee_overflow 0
		.amdhsa_exception_fp_ieee_underflow 0
		.amdhsa_exception_fp_ieee_inexact 0
		.amdhsa_exception_int_div_zero 0
	.end_amdhsa_kernel
	.section	.text._ZN7rocprim17ROCPRIM_400000_NS6detail17trampoline_kernelINS0_14default_configENS1_25partition_config_selectorILNS1_17partition_subalgoE6EsNS0_10empty_typeEbEEZZNS1_14partition_implILS5_6ELb0ES3_mN6thrust23THRUST_200600_302600_NS6detail15normal_iteratorINSA_10device_ptrIsEEEEPS6_SG_NS0_5tupleIJSF_S6_EEENSH_IJSG_SG_EEES6_PlJ7is_evenIsEEEE10hipError_tPvRmT3_T4_T5_T6_T7_T9_mT8_P12ihipStream_tbDpT10_ENKUlT_T0_E_clISt17integral_constantIbLb1EES15_IbLb0EEEEDaS11_S12_EUlS11_E_NS1_11comp_targetILNS1_3genE2ELNS1_11target_archE906ELNS1_3gpuE6ELNS1_3repE0EEENS1_30default_config_static_selectorELNS0_4arch9wavefront6targetE0EEEvT1_,"axG",@progbits,_ZN7rocprim17ROCPRIM_400000_NS6detail17trampoline_kernelINS0_14default_configENS1_25partition_config_selectorILNS1_17partition_subalgoE6EsNS0_10empty_typeEbEEZZNS1_14partition_implILS5_6ELb0ES3_mN6thrust23THRUST_200600_302600_NS6detail15normal_iteratorINSA_10device_ptrIsEEEEPS6_SG_NS0_5tupleIJSF_S6_EEENSH_IJSG_SG_EEES6_PlJ7is_evenIsEEEE10hipError_tPvRmT3_T4_T5_T6_T7_T9_mT8_P12ihipStream_tbDpT10_ENKUlT_T0_E_clISt17integral_constantIbLb1EES15_IbLb0EEEEDaS11_S12_EUlS11_E_NS1_11comp_targetILNS1_3genE2ELNS1_11target_archE906ELNS1_3gpuE6ELNS1_3repE0EEENS1_30default_config_static_selectorELNS0_4arch9wavefront6targetE0EEEvT1_,comdat
.Lfunc_end444:
	.size	_ZN7rocprim17ROCPRIM_400000_NS6detail17trampoline_kernelINS0_14default_configENS1_25partition_config_selectorILNS1_17partition_subalgoE6EsNS0_10empty_typeEbEEZZNS1_14partition_implILS5_6ELb0ES3_mN6thrust23THRUST_200600_302600_NS6detail15normal_iteratorINSA_10device_ptrIsEEEEPS6_SG_NS0_5tupleIJSF_S6_EEENSH_IJSG_SG_EEES6_PlJ7is_evenIsEEEE10hipError_tPvRmT3_T4_T5_T6_T7_T9_mT8_P12ihipStream_tbDpT10_ENKUlT_T0_E_clISt17integral_constantIbLb1EES15_IbLb0EEEEDaS11_S12_EUlS11_E_NS1_11comp_targetILNS1_3genE2ELNS1_11target_archE906ELNS1_3gpuE6ELNS1_3repE0EEENS1_30default_config_static_selectorELNS0_4arch9wavefront6targetE0EEEvT1_, .Lfunc_end444-_ZN7rocprim17ROCPRIM_400000_NS6detail17trampoline_kernelINS0_14default_configENS1_25partition_config_selectorILNS1_17partition_subalgoE6EsNS0_10empty_typeEbEEZZNS1_14partition_implILS5_6ELb0ES3_mN6thrust23THRUST_200600_302600_NS6detail15normal_iteratorINSA_10device_ptrIsEEEEPS6_SG_NS0_5tupleIJSF_S6_EEENSH_IJSG_SG_EEES6_PlJ7is_evenIsEEEE10hipError_tPvRmT3_T4_T5_T6_T7_T9_mT8_P12ihipStream_tbDpT10_ENKUlT_T0_E_clISt17integral_constantIbLb1EES15_IbLb0EEEEDaS11_S12_EUlS11_E_NS1_11comp_targetILNS1_3genE2ELNS1_11target_archE906ELNS1_3gpuE6ELNS1_3repE0EEENS1_30default_config_static_selectorELNS0_4arch9wavefront6targetE0EEEvT1_
                                        ; -- End function
	.section	.AMDGPU.csdata,"",@progbits
; Kernel info:
; codeLenInByte = 0
; NumSgprs: 0
; NumVgprs: 0
; ScratchSize: 0
; MemoryBound: 0
; FloatMode: 240
; IeeeMode: 1
; LDSByteSize: 0 bytes/workgroup (compile time only)
; SGPRBlocks: 0
; VGPRBlocks: 0
; NumSGPRsForWavesPerEU: 1
; NumVGPRsForWavesPerEU: 1
; Occupancy: 16
; WaveLimiterHint : 0
; COMPUTE_PGM_RSRC2:SCRATCH_EN: 0
; COMPUTE_PGM_RSRC2:USER_SGPR: 15
; COMPUTE_PGM_RSRC2:TRAP_HANDLER: 0
; COMPUTE_PGM_RSRC2:TGID_X_EN: 1
; COMPUTE_PGM_RSRC2:TGID_Y_EN: 0
; COMPUTE_PGM_RSRC2:TGID_Z_EN: 0
; COMPUTE_PGM_RSRC2:TIDIG_COMP_CNT: 0
	.section	.text._ZN7rocprim17ROCPRIM_400000_NS6detail17trampoline_kernelINS0_14default_configENS1_25partition_config_selectorILNS1_17partition_subalgoE6EsNS0_10empty_typeEbEEZZNS1_14partition_implILS5_6ELb0ES3_mN6thrust23THRUST_200600_302600_NS6detail15normal_iteratorINSA_10device_ptrIsEEEEPS6_SG_NS0_5tupleIJSF_S6_EEENSH_IJSG_SG_EEES6_PlJ7is_evenIsEEEE10hipError_tPvRmT3_T4_T5_T6_T7_T9_mT8_P12ihipStream_tbDpT10_ENKUlT_T0_E_clISt17integral_constantIbLb1EES15_IbLb0EEEEDaS11_S12_EUlS11_E_NS1_11comp_targetILNS1_3genE10ELNS1_11target_archE1200ELNS1_3gpuE4ELNS1_3repE0EEENS1_30default_config_static_selectorELNS0_4arch9wavefront6targetE0EEEvT1_,"axG",@progbits,_ZN7rocprim17ROCPRIM_400000_NS6detail17trampoline_kernelINS0_14default_configENS1_25partition_config_selectorILNS1_17partition_subalgoE6EsNS0_10empty_typeEbEEZZNS1_14partition_implILS5_6ELb0ES3_mN6thrust23THRUST_200600_302600_NS6detail15normal_iteratorINSA_10device_ptrIsEEEEPS6_SG_NS0_5tupleIJSF_S6_EEENSH_IJSG_SG_EEES6_PlJ7is_evenIsEEEE10hipError_tPvRmT3_T4_T5_T6_T7_T9_mT8_P12ihipStream_tbDpT10_ENKUlT_T0_E_clISt17integral_constantIbLb1EES15_IbLb0EEEEDaS11_S12_EUlS11_E_NS1_11comp_targetILNS1_3genE10ELNS1_11target_archE1200ELNS1_3gpuE4ELNS1_3repE0EEENS1_30default_config_static_selectorELNS0_4arch9wavefront6targetE0EEEvT1_,comdat
	.protected	_ZN7rocprim17ROCPRIM_400000_NS6detail17trampoline_kernelINS0_14default_configENS1_25partition_config_selectorILNS1_17partition_subalgoE6EsNS0_10empty_typeEbEEZZNS1_14partition_implILS5_6ELb0ES3_mN6thrust23THRUST_200600_302600_NS6detail15normal_iteratorINSA_10device_ptrIsEEEEPS6_SG_NS0_5tupleIJSF_S6_EEENSH_IJSG_SG_EEES6_PlJ7is_evenIsEEEE10hipError_tPvRmT3_T4_T5_T6_T7_T9_mT8_P12ihipStream_tbDpT10_ENKUlT_T0_E_clISt17integral_constantIbLb1EES15_IbLb0EEEEDaS11_S12_EUlS11_E_NS1_11comp_targetILNS1_3genE10ELNS1_11target_archE1200ELNS1_3gpuE4ELNS1_3repE0EEENS1_30default_config_static_selectorELNS0_4arch9wavefront6targetE0EEEvT1_ ; -- Begin function _ZN7rocprim17ROCPRIM_400000_NS6detail17trampoline_kernelINS0_14default_configENS1_25partition_config_selectorILNS1_17partition_subalgoE6EsNS0_10empty_typeEbEEZZNS1_14partition_implILS5_6ELb0ES3_mN6thrust23THRUST_200600_302600_NS6detail15normal_iteratorINSA_10device_ptrIsEEEEPS6_SG_NS0_5tupleIJSF_S6_EEENSH_IJSG_SG_EEES6_PlJ7is_evenIsEEEE10hipError_tPvRmT3_T4_T5_T6_T7_T9_mT8_P12ihipStream_tbDpT10_ENKUlT_T0_E_clISt17integral_constantIbLb1EES15_IbLb0EEEEDaS11_S12_EUlS11_E_NS1_11comp_targetILNS1_3genE10ELNS1_11target_archE1200ELNS1_3gpuE4ELNS1_3repE0EEENS1_30default_config_static_selectorELNS0_4arch9wavefront6targetE0EEEvT1_
	.globl	_ZN7rocprim17ROCPRIM_400000_NS6detail17trampoline_kernelINS0_14default_configENS1_25partition_config_selectorILNS1_17partition_subalgoE6EsNS0_10empty_typeEbEEZZNS1_14partition_implILS5_6ELb0ES3_mN6thrust23THRUST_200600_302600_NS6detail15normal_iteratorINSA_10device_ptrIsEEEEPS6_SG_NS0_5tupleIJSF_S6_EEENSH_IJSG_SG_EEES6_PlJ7is_evenIsEEEE10hipError_tPvRmT3_T4_T5_T6_T7_T9_mT8_P12ihipStream_tbDpT10_ENKUlT_T0_E_clISt17integral_constantIbLb1EES15_IbLb0EEEEDaS11_S12_EUlS11_E_NS1_11comp_targetILNS1_3genE10ELNS1_11target_archE1200ELNS1_3gpuE4ELNS1_3repE0EEENS1_30default_config_static_selectorELNS0_4arch9wavefront6targetE0EEEvT1_
	.p2align	8
	.type	_ZN7rocprim17ROCPRIM_400000_NS6detail17trampoline_kernelINS0_14default_configENS1_25partition_config_selectorILNS1_17partition_subalgoE6EsNS0_10empty_typeEbEEZZNS1_14partition_implILS5_6ELb0ES3_mN6thrust23THRUST_200600_302600_NS6detail15normal_iteratorINSA_10device_ptrIsEEEEPS6_SG_NS0_5tupleIJSF_S6_EEENSH_IJSG_SG_EEES6_PlJ7is_evenIsEEEE10hipError_tPvRmT3_T4_T5_T6_T7_T9_mT8_P12ihipStream_tbDpT10_ENKUlT_T0_E_clISt17integral_constantIbLb1EES15_IbLb0EEEEDaS11_S12_EUlS11_E_NS1_11comp_targetILNS1_3genE10ELNS1_11target_archE1200ELNS1_3gpuE4ELNS1_3repE0EEENS1_30default_config_static_selectorELNS0_4arch9wavefront6targetE0EEEvT1_,@function
_ZN7rocprim17ROCPRIM_400000_NS6detail17trampoline_kernelINS0_14default_configENS1_25partition_config_selectorILNS1_17partition_subalgoE6EsNS0_10empty_typeEbEEZZNS1_14partition_implILS5_6ELb0ES3_mN6thrust23THRUST_200600_302600_NS6detail15normal_iteratorINSA_10device_ptrIsEEEEPS6_SG_NS0_5tupleIJSF_S6_EEENSH_IJSG_SG_EEES6_PlJ7is_evenIsEEEE10hipError_tPvRmT3_T4_T5_T6_T7_T9_mT8_P12ihipStream_tbDpT10_ENKUlT_T0_E_clISt17integral_constantIbLb1EES15_IbLb0EEEEDaS11_S12_EUlS11_E_NS1_11comp_targetILNS1_3genE10ELNS1_11target_archE1200ELNS1_3gpuE4ELNS1_3repE0EEENS1_30default_config_static_selectorELNS0_4arch9wavefront6targetE0EEEvT1_: ; @_ZN7rocprim17ROCPRIM_400000_NS6detail17trampoline_kernelINS0_14default_configENS1_25partition_config_selectorILNS1_17partition_subalgoE6EsNS0_10empty_typeEbEEZZNS1_14partition_implILS5_6ELb0ES3_mN6thrust23THRUST_200600_302600_NS6detail15normal_iteratorINSA_10device_ptrIsEEEEPS6_SG_NS0_5tupleIJSF_S6_EEENSH_IJSG_SG_EEES6_PlJ7is_evenIsEEEE10hipError_tPvRmT3_T4_T5_T6_T7_T9_mT8_P12ihipStream_tbDpT10_ENKUlT_T0_E_clISt17integral_constantIbLb1EES15_IbLb0EEEEDaS11_S12_EUlS11_E_NS1_11comp_targetILNS1_3genE10ELNS1_11target_archE1200ELNS1_3gpuE4ELNS1_3repE0EEENS1_30default_config_static_selectorELNS0_4arch9wavefront6targetE0EEEvT1_
; %bb.0:
	.section	.rodata,"a",@progbits
	.p2align	6, 0x0
	.amdhsa_kernel _ZN7rocprim17ROCPRIM_400000_NS6detail17trampoline_kernelINS0_14default_configENS1_25partition_config_selectorILNS1_17partition_subalgoE6EsNS0_10empty_typeEbEEZZNS1_14partition_implILS5_6ELb0ES3_mN6thrust23THRUST_200600_302600_NS6detail15normal_iteratorINSA_10device_ptrIsEEEEPS6_SG_NS0_5tupleIJSF_S6_EEENSH_IJSG_SG_EEES6_PlJ7is_evenIsEEEE10hipError_tPvRmT3_T4_T5_T6_T7_T9_mT8_P12ihipStream_tbDpT10_ENKUlT_T0_E_clISt17integral_constantIbLb1EES15_IbLb0EEEEDaS11_S12_EUlS11_E_NS1_11comp_targetILNS1_3genE10ELNS1_11target_archE1200ELNS1_3gpuE4ELNS1_3repE0EEENS1_30default_config_static_selectorELNS0_4arch9wavefront6targetE0EEEvT1_
		.amdhsa_group_segment_fixed_size 0
		.amdhsa_private_segment_fixed_size 0
		.amdhsa_kernarg_size 112
		.amdhsa_user_sgpr_count 15
		.amdhsa_user_sgpr_dispatch_ptr 0
		.amdhsa_user_sgpr_queue_ptr 0
		.amdhsa_user_sgpr_kernarg_segment_ptr 1
		.amdhsa_user_sgpr_dispatch_id 0
		.amdhsa_user_sgpr_private_segment_size 0
		.amdhsa_wavefront_size32 1
		.amdhsa_uses_dynamic_stack 0
		.amdhsa_enable_private_segment 0
		.amdhsa_system_sgpr_workgroup_id_x 1
		.amdhsa_system_sgpr_workgroup_id_y 0
		.amdhsa_system_sgpr_workgroup_id_z 0
		.amdhsa_system_sgpr_workgroup_info 0
		.amdhsa_system_vgpr_workitem_id 0
		.amdhsa_next_free_vgpr 1
		.amdhsa_next_free_sgpr 1
		.amdhsa_reserve_vcc 0
		.amdhsa_float_round_mode_32 0
		.amdhsa_float_round_mode_16_64 0
		.amdhsa_float_denorm_mode_32 3
		.amdhsa_float_denorm_mode_16_64 3
		.amdhsa_dx10_clamp 1
		.amdhsa_ieee_mode 1
		.amdhsa_fp16_overflow 0
		.amdhsa_workgroup_processor_mode 1
		.amdhsa_memory_ordered 1
		.amdhsa_forward_progress 0
		.amdhsa_shared_vgpr_count 0
		.amdhsa_exception_fp_ieee_invalid_op 0
		.amdhsa_exception_fp_denorm_src 0
		.amdhsa_exception_fp_ieee_div_zero 0
		.amdhsa_exception_fp_ieee_overflow 0
		.amdhsa_exception_fp_ieee_underflow 0
		.amdhsa_exception_fp_ieee_inexact 0
		.amdhsa_exception_int_div_zero 0
	.end_amdhsa_kernel
	.section	.text._ZN7rocprim17ROCPRIM_400000_NS6detail17trampoline_kernelINS0_14default_configENS1_25partition_config_selectorILNS1_17partition_subalgoE6EsNS0_10empty_typeEbEEZZNS1_14partition_implILS5_6ELb0ES3_mN6thrust23THRUST_200600_302600_NS6detail15normal_iteratorINSA_10device_ptrIsEEEEPS6_SG_NS0_5tupleIJSF_S6_EEENSH_IJSG_SG_EEES6_PlJ7is_evenIsEEEE10hipError_tPvRmT3_T4_T5_T6_T7_T9_mT8_P12ihipStream_tbDpT10_ENKUlT_T0_E_clISt17integral_constantIbLb1EES15_IbLb0EEEEDaS11_S12_EUlS11_E_NS1_11comp_targetILNS1_3genE10ELNS1_11target_archE1200ELNS1_3gpuE4ELNS1_3repE0EEENS1_30default_config_static_selectorELNS0_4arch9wavefront6targetE0EEEvT1_,"axG",@progbits,_ZN7rocprim17ROCPRIM_400000_NS6detail17trampoline_kernelINS0_14default_configENS1_25partition_config_selectorILNS1_17partition_subalgoE6EsNS0_10empty_typeEbEEZZNS1_14partition_implILS5_6ELb0ES3_mN6thrust23THRUST_200600_302600_NS6detail15normal_iteratorINSA_10device_ptrIsEEEEPS6_SG_NS0_5tupleIJSF_S6_EEENSH_IJSG_SG_EEES6_PlJ7is_evenIsEEEE10hipError_tPvRmT3_T4_T5_T6_T7_T9_mT8_P12ihipStream_tbDpT10_ENKUlT_T0_E_clISt17integral_constantIbLb1EES15_IbLb0EEEEDaS11_S12_EUlS11_E_NS1_11comp_targetILNS1_3genE10ELNS1_11target_archE1200ELNS1_3gpuE4ELNS1_3repE0EEENS1_30default_config_static_selectorELNS0_4arch9wavefront6targetE0EEEvT1_,comdat
.Lfunc_end445:
	.size	_ZN7rocprim17ROCPRIM_400000_NS6detail17trampoline_kernelINS0_14default_configENS1_25partition_config_selectorILNS1_17partition_subalgoE6EsNS0_10empty_typeEbEEZZNS1_14partition_implILS5_6ELb0ES3_mN6thrust23THRUST_200600_302600_NS6detail15normal_iteratorINSA_10device_ptrIsEEEEPS6_SG_NS0_5tupleIJSF_S6_EEENSH_IJSG_SG_EEES6_PlJ7is_evenIsEEEE10hipError_tPvRmT3_T4_T5_T6_T7_T9_mT8_P12ihipStream_tbDpT10_ENKUlT_T0_E_clISt17integral_constantIbLb1EES15_IbLb0EEEEDaS11_S12_EUlS11_E_NS1_11comp_targetILNS1_3genE10ELNS1_11target_archE1200ELNS1_3gpuE4ELNS1_3repE0EEENS1_30default_config_static_selectorELNS0_4arch9wavefront6targetE0EEEvT1_, .Lfunc_end445-_ZN7rocprim17ROCPRIM_400000_NS6detail17trampoline_kernelINS0_14default_configENS1_25partition_config_selectorILNS1_17partition_subalgoE6EsNS0_10empty_typeEbEEZZNS1_14partition_implILS5_6ELb0ES3_mN6thrust23THRUST_200600_302600_NS6detail15normal_iteratorINSA_10device_ptrIsEEEEPS6_SG_NS0_5tupleIJSF_S6_EEENSH_IJSG_SG_EEES6_PlJ7is_evenIsEEEE10hipError_tPvRmT3_T4_T5_T6_T7_T9_mT8_P12ihipStream_tbDpT10_ENKUlT_T0_E_clISt17integral_constantIbLb1EES15_IbLb0EEEEDaS11_S12_EUlS11_E_NS1_11comp_targetILNS1_3genE10ELNS1_11target_archE1200ELNS1_3gpuE4ELNS1_3repE0EEENS1_30default_config_static_selectorELNS0_4arch9wavefront6targetE0EEEvT1_
                                        ; -- End function
	.section	.AMDGPU.csdata,"",@progbits
; Kernel info:
; codeLenInByte = 0
; NumSgprs: 0
; NumVgprs: 0
; ScratchSize: 0
; MemoryBound: 0
; FloatMode: 240
; IeeeMode: 1
; LDSByteSize: 0 bytes/workgroup (compile time only)
; SGPRBlocks: 0
; VGPRBlocks: 0
; NumSGPRsForWavesPerEU: 1
; NumVGPRsForWavesPerEU: 1
; Occupancy: 15
; WaveLimiterHint : 0
; COMPUTE_PGM_RSRC2:SCRATCH_EN: 0
; COMPUTE_PGM_RSRC2:USER_SGPR: 15
; COMPUTE_PGM_RSRC2:TRAP_HANDLER: 0
; COMPUTE_PGM_RSRC2:TGID_X_EN: 1
; COMPUTE_PGM_RSRC2:TGID_Y_EN: 0
; COMPUTE_PGM_RSRC2:TGID_Z_EN: 0
; COMPUTE_PGM_RSRC2:TIDIG_COMP_CNT: 0
	.section	.text._ZN7rocprim17ROCPRIM_400000_NS6detail17trampoline_kernelINS0_14default_configENS1_25partition_config_selectorILNS1_17partition_subalgoE6EsNS0_10empty_typeEbEEZZNS1_14partition_implILS5_6ELb0ES3_mN6thrust23THRUST_200600_302600_NS6detail15normal_iteratorINSA_10device_ptrIsEEEEPS6_SG_NS0_5tupleIJSF_S6_EEENSH_IJSG_SG_EEES6_PlJ7is_evenIsEEEE10hipError_tPvRmT3_T4_T5_T6_T7_T9_mT8_P12ihipStream_tbDpT10_ENKUlT_T0_E_clISt17integral_constantIbLb1EES15_IbLb0EEEEDaS11_S12_EUlS11_E_NS1_11comp_targetILNS1_3genE9ELNS1_11target_archE1100ELNS1_3gpuE3ELNS1_3repE0EEENS1_30default_config_static_selectorELNS0_4arch9wavefront6targetE0EEEvT1_,"axG",@progbits,_ZN7rocprim17ROCPRIM_400000_NS6detail17trampoline_kernelINS0_14default_configENS1_25partition_config_selectorILNS1_17partition_subalgoE6EsNS0_10empty_typeEbEEZZNS1_14partition_implILS5_6ELb0ES3_mN6thrust23THRUST_200600_302600_NS6detail15normal_iteratorINSA_10device_ptrIsEEEEPS6_SG_NS0_5tupleIJSF_S6_EEENSH_IJSG_SG_EEES6_PlJ7is_evenIsEEEE10hipError_tPvRmT3_T4_T5_T6_T7_T9_mT8_P12ihipStream_tbDpT10_ENKUlT_T0_E_clISt17integral_constantIbLb1EES15_IbLb0EEEEDaS11_S12_EUlS11_E_NS1_11comp_targetILNS1_3genE9ELNS1_11target_archE1100ELNS1_3gpuE3ELNS1_3repE0EEENS1_30default_config_static_selectorELNS0_4arch9wavefront6targetE0EEEvT1_,comdat
	.protected	_ZN7rocprim17ROCPRIM_400000_NS6detail17trampoline_kernelINS0_14default_configENS1_25partition_config_selectorILNS1_17partition_subalgoE6EsNS0_10empty_typeEbEEZZNS1_14partition_implILS5_6ELb0ES3_mN6thrust23THRUST_200600_302600_NS6detail15normal_iteratorINSA_10device_ptrIsEEEEPS6_SG_NS0_5tupleIJSF_S6_EEENSH_IJSG_SG_EEES6_PlJ7is_evenIsEEEE10hipError_tPvRmT3_T4_T5_T6_T7_T9_mT8_P12ihipStream_tbDpT10_ENKUlT_T0_E_clISt17integral_constantIbLb1EES15_IbLb0EEEEDaS11_S12_EUlS11_E_NS1_11comp_targetILNS1_3genE9ELNS1_11target_archE1100ELNS1_3gpuE3ELNS1_3repE0EEENS1_30default_config_static_selectorELNS0_4arch9wavefront6targetE0EEEvT1_ ; -- Begin function _ZN7rocprim17ROCPRIM_400000_NS6detail17trampoline_kernelINS0_14default_configENS1_25partition_config_selectorILNS1_17partition_subalgoE6EsNS0_10empty_typeEbEEZZNS1_14partition_implILS5_6ELb0ES3_mN6thrust23THRUST_200600_302600_NS6detail15normal_iteratorINSA_10device_ptrIsEEEEPS6_SG_NS0_5tupleIJSF_S6_EEENSH_IJSG_SG_EEES6_PlJ7is_evenIsEEEE10hipError_tPvRmT3_T4_T5_T6_T7_T9_mT8_P12ihipStream_tbDpT10_ENKUlT_T0_E_clISt17integral_constantIbLb1EES15_IbLb0EEEEDaS11_S12_EUlS11_E_NS1_11comp_targetILNS1_3genE9ELNS1_11target_archE1100ELNS1_3gpuE3ELNS1_3repE0EEENS1_30default_config_static_selectorELNS0_4arch9wavefront6targetE0EEEvT1_
	.globl	_ZN7rocprim17ROCPRIM_400000_NS6detail17trampoline_kernelINS0_14default_configENS1_25partition_config_selectorILNS1_17partition_subalgoE6EsNS0_10empty_typeEbEEZZNS1_14partition_implILS5_6ELb0ES3_mN6thrust23THRUST_200600_302600_NS6detail15normal_iteratorINSA_10device_ptrIsEEEEPS6_SG_NS0_5tupleIJSF_S6_EEENSH_IJSG_SG_EEES6_PlJ7is_evenIsEEEE10hipError_tPvRmT3_T4_T5_T6_T7_T9_mT8_P12ihipStream_tbDpT10_ENKUlT_T0_E_clISt17integral_constantIbLb1EES15_IbLb0EEEEDaS11_S12_EUlS11_E_NS1_11comp_targetILNS1_3genE9ELNS1_11target_archE1100ELNS1_3gpuE3ELNS1_3repE0EEENS1_30default_config_static_selectorELNS0_4arch9wavefront6targetE0EEEvT1_
	.p2align	8
	.type	_ZN7rocprim17ROCPRIM_400000_NS6detail17trampoline_kernelINS0_14default_configENS1_25partition_config_selectorILNS1_17partition_subalgoE6EsNS0_10empty_typeEbEEZZNS1_14partition_implILS5_6ELb0ES3_mN6thrust23THRUST_200600_302600_NS6detail15normal_iteratorINSA_10device_ptrIsEEEEPS6_SG_NS0_5tupleIJSF_S6_EEENSH_IJSG_SG_EEES6_PlJ7is_evenIsEEEE10hipError_tPvRmT3_T4_T5_T6_T7_T9_mT8_P12ihipStream_tbDpT10_ENKUlT_T0_E_clISt17integral_constantIbLb1EES15_IbLb0EEEEDaS11_S12_EUlS11_E_NS1_11comp_targetILNS1_3genE9ELNS1_11target_archE1100ELNS1_3gpuE3ELNS1_3repE0EEENS1_30default_config_static_selectorELNS0_4arch9wavefront6targetE0EEEvT1_,@function
_ZN7rocprim17ROCPRIM_400000_NS6detail17trampoline_kernelINS0_14default_configENS1_25partition_config_selectorILNS1_17partition_subalgoE6EsNS0_10empty_typeEbEEZZNS1_14partition_implILS5_6ELb0ES3_mN6thrust23THRUST_200600_302600_NS6detail15normal_iteratorINSA_10device_ptrIsEEEEPS6_SG_NS0_5tupleIJSF_S6_EEENSH_IJSG_SG_EEES6_PlJ7is_evenIsEEEE10hipError_tPvRmT3_T4_T5_T6_T7_T9_mT8_P12ihipStream_tbDpT10_ENKUlT_T0_E_clISt17integral_constantIbLb1EES15_IbLb0EEEEDaS11_S12_EUlS11_E_NS1_11comp_targetILNS1_3genE9ELNS1_11target_archE1100ELNS1_3gpuE3ELNS1_3repE0EEENS1_30default_config_static_selectorELNS0_4arch9wavefront6targetE0EEEvT1_: ; @_ZN7rocprim17ROCPRIM_400000_NS6detail17trampoline_kernelINS0_14default_configENS1_25partition_config_selectorILNS1_17partition_subalgoE6EsNS0_10empty_typeEbEEZZNS1_14partition_implILS5_6ELb0ES3_mN6thrust23THRUST_200600_302600_NS6detail15normal_iteratorINSA_10device_ptrIsEEEEPS6_SG_NS0_5tupleIJSF_S6_EEENSH_IJSG_SG_EEES6_PlJ7is_evenIsEEEE10hipError_tPvRmT3_T4_T5_T6_T7_T9_mT8_P12ihipStream_tbDpT10_ENKUlT_T0_E_clISt17integral_constantIbLb1EES15_IbLb0EEEEDaS11_S12_EUlS11_E_NS1_11comp_targetILNS1_3genE9ELNS1_11target_archE1100ELNS1_3gpuE3ELNS1_3repE0EEENS1_30default_config_static_selectorELNS0_4arch9wavefront6targetE0EEEvT1_
; %bb.0:
	s_clause 0x3
	s_load_b128 s[8:11], s[0:1], 0x8
	s_load_b128 s[4:7], s[0:1], 0x40
	s_load_b32 s14, s[0:1], 0x68
	s_load_b64 s[12:13], s[0:1], 0x50
	v_lshlrev_b32_e32 v1, 1, v0
	s_waitcnt lgkmcnt(0)
	s_lshl_b64 s[2:3], s[10:11], 1
	s_load_b64 s[6:7], s[6:7], 0x0
	s_mul_i32 s16, s14, 0xf00
	s_add_u32 s17, s8, s2
	s_addc_u32 s18, s9, s3
	s_add_i32 s2, s16, s10
	s_add_i32 s14, s14, -1
	s_sub_i32 s2, s12, s2
	s_add_u32 s8, s10, s16
	s_addc_u32 s9, s11, 0
	s_cmp_eq_u32 s15, s14
	v_cmp_ge_u64_e64 s3, s[8:9], s[12:13]
	s_cselect_b32 s14, -1, 0
	s_mov_b32 s9, 0
	s_mul_i32 s8, s15, 0xf00
	s_delay_alu instid0(SALU_CYCLE_1) | instskip(NEXT) | instid1(VALU_DEP_1)
	s_lshl_b64 s[8:9], s[8:9], 1
	s_and_b32 s3, s14, s3
	s_delay_alu instid0(SALU_CYCLE_1)
	s_xor_b32 s16, s3, -1
	s_add_u32 s3, s17, s8
	s_addc_u32 s8, s18, s9
	s_and_b32 vcc_lo, exec_lo, s16
	s_mov_b32 s9, -1
	s_cbranch_vccz .LBB446_2
; %bb.1:
	v_add_co_u32 v2, s9, s3, v1
	s_delay_alu instid0(VALU_DEP_1) | instskip(SKIP_1) | instid1(VALU_DEP_2)
	v_add_co_ci_u32_e64 v3, null, s8, 0, s9
	s_mov_b32 s9, 0
	v_add_co_u32 v4, vcc_lo, 0x1000, v2
	s_clause 0x7
	flat_load_u16 v6, v[2:3]
	flat_load_u16 v7, v[2:3] offset:256
	flat_load_u16 v8, v[2:3] offset:512
	;; [unrolled: 1-line block ×7, first 2 shown]
	v_add_co_ci_u32_e32 v5, vcc_lo, 0, v3, vcc_lo
	s_clause 0x15
	flat_load_u16 v14, v[2:3] offset:2048
	flat_load_u16 v15, v[2:3] offset:2304
	flat_load_u16 v16, v[2:3] offset:2560
	flat_load_u16 v17, v[2:3] offset:2816
	flat_load_u16 v18, v[2:3] offset:3072
	flat_load_u16 v19, v[2:3] offset:3328
	flat_load_u16 v20, v[2:3] offset:3584
	flat_load_u16 v2, v[2:3] offset:3840
	flat_load_u16 v3, v[4:5]
	flat_load_u16 v21, v[4:5] offset:256
	flat_load_u16 v22, v[4:5] offset:512
	;; [unrolled: 1-line block ×13, first 2 shown]
	s_waitcnt vmcnt(29) lgkmcnt(0)
	ds_store_b16 v1, v6
	s_waitcnt vmcnt(28)
	ds_store_b16 v1, v7 offset:256
	s_waitcnt vmcnt(27)
	ds_store_b16 v1, v8 offset:512
	;; [unrolled: 2-line block ×29, first 2 shown]
	s_waitcnt lgkmcnt(0)
	s_barrier
.LBB446_2:
	s_and_not1_b32 vcc_lo, exec_lo, s9
	s_addk_i32 s2, 0xf00
	s_cbranch_vccnz .LBB446_64
; %bb.3:
	s_mov_b32 s9, exec_lo
                                        ; implicit-def: $vgpr2
	v_cmpx_gt_u32_e64 s2, v0
	s_cbranch_execz .LBB446_5
; %bb.4:
	v_add_co_u32 v2, s10, s3, v1
	s_delay_alu instid0(VALU_DEP_1)
	v_add_co_ci_u32_e64 v3, null, s8, 0, s10
	flat_load_u16 v2, v[2:3]
.LBB446_5:
	s_or_b32 exec_lo, exec_lo, s9
	v_or_b32_e32 v3, 0x80, v0
	s_delay_alu instid0(VALU_DEP_1)
	v_cmp_gt_u32_e32 vcc_lo, s2, v3
                                        ; implicit-def: $vgpr3
	s_and_saveexec_b32 s9, vcc_lo
	s_cbranch_execz .LBB446_7
; %bb.6:
	v_add_co_u32 v3, s10, s3, v1
	s_delay_alu instid0(VALU_DEP_1)
	v_add_co_ci_u32_e64 v4, null, s8, 0, s10
	flat_load_u16 v3, v[3:4] offset:256
.LBB446_7:
	s_or_b32 exec_lo, exec_lo, s9
	v_or_b32_e32 v4, 0x100, v0
	s_delay_alu instid0(VALU_DEP_1)
	v_cmp_gt_u32_e32 vcc_lo, s2, v4
                                        ; implicit-def: $vgpr4
	s_and_saveexec_b32 s9, vcc_lo
	s_cbranch_execz .LBB446_9
; %bb.8:
	v_add_co_u32 v4, s10, s3, v1
	s_delay_alu instid0(VALU_DEP_1)
	v_add_co_ci_u32_e64 v5, null, s8, 0, s10
	flat_load_u16 v4, v[4:5] offset:512
.LBB446_9:
	s_or_b32 exec_lo, exec_lo, s9
	v_or_b32_e32 v5, 0x180, v0
	s_delay_alu instid0(VALU_DEP_1)
	v_cmp_gt_u32_e32 vcc_lo, s2, v5
                                        ; implicit-def: $vgpr5
	s_and_saveexec_b32 s9, vcc_lo
	s_cbranch_execz .LBB446_11
; %bb.10:
	v_add_co_u32 v5, s10, s3, v1
	s_delay_alu instid0(VALU_DEP_1)
	v_add_co_ci_u32_e64 v6, null, s8, 0, s10
	flat_load_u16 v5, v[5:6] offset:768
.LBB446_11:
	s_or_b32 exec_lo, exec_lo, s9
	v_or_b32_e32 v6, 0x200, v0
	s_delay_alu instid0(VALU_DEP_1)
	v_cmp_gt_u32_e32 vcc_lo, s2, v6
                                        ; implicit-def: $vgpr6
	s_and_saveexec_b32 s9, vcc_lo
	s_cbranch_execz .LBB446_13
; %bb.12:
	v_add_co_u32 v6, s10, s3, v1
	s_delay_alu instid0(VALU_DEP_1)
	v_add_co_ci_u32_e64 v7, null, s8, 0, s10
	flat_load_u16 v6, v[6:7] offset:1024
.LBB446_13:
	s_or_b32 exec_lo, exec_lo, s9
	v_or_b32_e32 v7, 0x280, v0
	s_delay_alu instid0(VALU_DEP_1)
	v_cmp_gt_u32_e32 vcc_lo, s2, v7
                                        ; implicit-def: $vgpr7
	s_and_saveexec_b32 s9, vcc_lo
	s_cbranch_execz .LBB446_15
; %bb.14:
	v_add_co_u32 v7, s10, s3, v1
	s_delay_alu instid0(VALU_DEP_1)
	v_add_co_ci_u32_e64 v8, null, s8, 0, s10
	flat_load_u16 v7, v[7:8] offset:1280
.LBB446_15:
	s_or_b32 exec_lo, exec_lo, s9
	v_or_b32_e32 v8, 0x300, v0
	s_delay_alu instid0(VALU_DEP_1)
	v_cmp_gt_u32_e32 vcc_lo, s2, v8
                                        ; implicit-def: $vgpr8
	s_and_saveexec_b32 s9, vcc_lo
	s_cbranch_execz .LBB446_17
; %bb.16:
	v_add_co_u32 v8, s10, s3, v1
	s_delay_alu instid0(VALU_DEP_1)
	v_add_co_ci_u32_e64 v9, null, s8, 0, s10
	flat_load_u16 v8, v[8:9] offset:1536
.LBB446_17:
	s_or_b32 exec_lo, exec_lo, s9
	v_or_b32_e32 v9, 0x380, v0
	s_delay_alu instid0(VALU_DEP_1)
	v_cmp_gt_u32_e32 vcc_lo, s2, v9
                                        ; implicit-def: $vgpr9
	s_and_saveexec_b32 s9, vcc_lo
	s_cbranch_execz .LBB446_19
; %bb.18:
	v_add_co_u32 v9, s10, s3, v1
	s_delay_alu instid0(VALU_DEP_1)
	v_add_co_ci_u32_e64 v10, null, s8, 0, s10
	flat_load_u16 v9, v[9:10] offset:1792
.LBB446_19:
	s_or_b32 exec_lo, exec_lo, s9
	v_or_b32_e32 v10, 0x400, v0
	s_delay_alu instid0(VALU_DEP_1)
	v_cmp_gt_u32_e32 vcc_lo, s2, v10
                                        ; implicit-def: $vgpr10
	s_and_saveexec_b32 s9, vcc_lo
	s_cbranch_execz .LBB446_21
; %bb.20:
	v_add_co_u32 v10, s10, s3, v1
	s_delay_alu instid0(VALU_DEP_1)
	v_add_co_ci_u32_e64 v11, null, s8, 0, s10
	flat_load_u16 v10, v[10:11] offset:2048
.LBB446_21:
	s_or_b32 exec_lo, exec_lo, s9
	v_or_b32_e32 v11, 0x480, v0
	s_delay_alu instid0(VALU_DEP_1)
	v_cmp_gt_u32_e32 vcc_lo, s2, v11
                                        ; implicit-def: $vgpr11
	s_and_saveexec_b32 s9, vcc_lo
	s_cbranch_execz .LBB446_23
; %bb.22:
	v_add_co_u32 v11, s10, s3, v1
	s_delay_alu instid0(VALU_DEP_1)
	v_add_co_ci_u32_e64 v12, null, s8, 0, s10
	flat_load_u16 v11, v[11:12] offset:2304
.LBB446_23:
	s_or_b32 exec_lo, exec_lo, s9
	v_or_b32_e32 v12, 0x500, v0
	s_delay_alu instid0(VALU_DEP_1)
	v_cmp_gt_u32_e32 vcc_lo, s2, v12
                                        ; implicit-def: $vgpr12
	s_and_saveexec_b32 s9, vcc_lo
	s_cbranch_execz .LBB446_25
; %bb.24:
	v_add_co_u32 v12, s10, s3, v1
	s_delay_alu instid0(VALU_DEP_1)
	v_add_co_ci_u32_e64 v13, null, s8, 0, s10
	flat_load_u16 v12, v[12:13] offset:2560
.LBB446_25:
	s_or_b32 exec_lo, exec_lo, s9
	v_or_b32_e32 v13, 0x580, v0
	s_delay_alu instid0(VALU_DEP_1)
	v_cmp_gt_u32_e32 vcc_lo, s2, v13
                                        ; implicit-def: $vgpr13
	s_and_saveexec_b32 s9, vcc_lo
	s_cbranch_execz .LBB446_27
; %bb.26:
	v_add_co_u32 v13, s10, s3, v1
	s_delay_alu instid0(VALU_DEP_1)
	v_add_co_ci_u32_e64 v14, null, s8, 0, s10
	flat_load_u16 v13, v[13:14] offset:2816
.LBB446_27:
	s_or_b32 exec_lo, exec_lo, s9
	v_or_b32_e32 v14, 0x600, v0
	s_delay_alu instid0(VALU_DEP_1)
	v_cmp_gt_u32_e32 vcc_lo, s2, v14
                                        ; implicit-def: $vgpr14
	s_and_saveexec_b32 s9, vcc_lo
	s_cbranch_execz .LBB446_29
; %bb.28:
	v_add_co_u32 v14, s10, s3, v1
	s_delay_alu instid0(VALU_DEP_1)
	v_add_co_ci_u32_e64 v15, null, s8, 0, s10
	flat_load_u16 v14, v[14:15] offset:3072
.LBB446_29:
	s_or_b32 exec_lo, exec_lo, s9
	v_or_b32_e32 v15, 0x680, v0
	s_delay_alu instid0(VALU_DEP_1)
	v_cmp_gt_u32_e32 vcc_lo, s2, v15
                                        ; implicit-def: $vgpr15
	s_and_saveexec_b32 s9, vcc_lo
	s_cbranch_execz .LBB446_31
; %bb.30:
	v_add_co_u32 v15, s10, s3, v1
	s_delay_alu instid0(VALU_DEP_1)
	v_add_co_ci_u32_e64 v16, null, s8, 0, s10
	flat_load_u16 v15, v[15:16] offset:3328
.LBB446_31:
	s_or_b32 exec_lo, exec_lo, s9
	v_or_b32_e32 v16, 0x700, v0
	s_delay_alu instid0(VALU_DEP_1)
	v_cmp_gt_u32_e32 vcc_lo, s2, v16
                                        ; implicit-def: $vgpr16
	s_and_saveexec_b32 s9, vcc_lo
	s_cbranch_execz .LBB446_33
; %bb.32:
	v_add_co_u32 v16, s10, s3, v1
	s_delay_alu instid0(VALU_DEP_1)
	v_add_co_ci_u32_e64 v17, null, s8, 0, s10
	flat_load_u16 v16, v[16:17] offset:3584
.LBB446_33:
	s_or_b32 exec_lo, exec_lo, s9
	v_or_b32_e32 v17, 0x780, v0
	s_delay_alu instid0(VALU_DEP_1)
	v_cmp_gt_u32_e32 vcc_lo, s2, v17
                                        ; implicit-def: $vgpr17
	s_and_saveexec_b32 s9, vcc_lo
	s_cbranch_execz .LBB446_35
; %bb.34:
	v_add_co_u32 v17, s10, s3, v1
	s_delay_alu instid0(VALU_DEP_1)
	v_add_co_ci_u32_e64 v18, null, s8, 0, s10
	flat_load_u16 v17, v[17:18] offset:3840
.LBB446_35:
	s_or_b32 exec_lo, exec_lo, s9
	v_or_b32_e32 v19, 0x800, v0
	s_mov_b32 s9, exec_lo
                                        ; implicit-def: $vgpr18
	s_delay_alu instid0(VALU_DEP_1)
	v_cmpx_gt_u32_e64 s2, v19
	s_cbranch_execz .LBB446_37
; %bb.36:
	v_lshlrev_b32_e32 v18, 1, v19
	s_delay_alu instid0(VALU_DEP_1) | instskip(NEXT) | instid1(VALU_DEP_1)
	v_add_co_u32 v18, s10, s3, v18
	v_add_co_ci_u32_e64 v19, null, s8, 0, s10
	flat_load_u16 v18, v[18:19]
.LBB446_37:
	s_or_b32 exec_lo, exec_lo, s9
	v_or_b32_e32 v20, 0x880, v0
	s_mov_b32 s9, exec_lo
                                        ; implicit-def: $vgpr19
	s_delay_alu instid0(VALU_DEP_1)
	v_cmpx_gt_u32_e64 s2, v20
	s_cbranch_execz .LBB446_39
; %bb.38:
	v_lshlrev_b32_e32 v19, 1, v20
	s_delay_alu instid0(VALU_DEP_1) | instskip(NEXT) | instid1(VALU_DEP_1)
	v_add_co_u32 v19, s10, s3, v19
	v_add_co_ci_u32_e64 v20, null, s8, 0, s10
	flat_load_u16 v19, v[19:20]
.LBB446_39:
	s_or_b32 exec_lo, exec_lo, s9
	v_or_b32_e32 v21, 0x900, v0
	s_mov_b32 s9, exec_lo
                                        ; implicit-def: $vgpr20
	s_delay_alu instid0(VALU_DEP_1)
	v_cmpx_gt_u32_e64 s2, v21
	s_cbranch_execz .LBB446_41
; %bb.40:
	v_lshlrev_b32_e32 v20, 1, v21
	s_delay_alu instid0(VALU_DEP_1) | instskip(NEXT) | instid1(VALU_DEP_1)
	v_add_co_u32 v20, s10, s3, v20
	v_add_co_ci_u32_e64 v21, null, s8, 0, s10
	flat_load_u16 v20, v[20:21]
.LBB446_41:
	s_or_b32 exec_lo, exec_lo, s9
	v_or_b32_e32 v22, 0x980, v0
	s_mov_b32 s9, exec_lo
                                        ; implicit-def: $vgpr21
	s_delay_alu instid0(VALU_DEP_1)
	v_cmpx_gt_u32_e64 s2, v22
	s_cbranch_execz .LBB446_43
; %bb.42:
	v_lshlrev_b32_e32 v21, 1, v22
	s_delay_alu instid0(VALU_DEP_1) | instskip(NEXT) | instid1(VALU_DEP_1)
	v_add_co_u32 v21, s10, s3, v21
	v_add_co_ci_u32_e64 v22, null, s8, 0, s10
	flat_load_u16 v21, v[21:22]
.LBB446_43:
	s_or_b32 exec_lo, exec_lo, s9
	v_or_b32_e32 v23, 0xa00, v0
	s_mov_b32 s9, exec_lo
                                        ; implicit-def: $vgpr22
	s_delay_alu instid0(VALU_DEP_1)
	v_cmpx_gt_u32_e64 s2, v23
	s_cbranch_execz .LBB446_45
; %bb.44:
	v_lshlrev_b32_e32 v22, 1, v23
	s_delay_alu instid0(VALU_DEP_1) | instskip(NEXT) | instid1(VALU_DEP_1)
	v_add_co_u32 v22, s10, s3, v22
	v_add_co_ci_u32_e64 v23, null, s8, 0, s10
	flat_load_u16 v22, v[22:23]
.LBB446_45:
	s_or_b32 exec_lo, exec_lo, s9
	v_or_b32_e32 v24, 0xa80, v0
	s_mov_b32 s9, exec_lo
                                        ; implicit-def: $vgpr23
	s_delay_alu instid0(VALU_DEP_1)
	v_cmpx_gt_u32_e64 s2, v24
	s_cbranch_execz .LBB446_47
; %bb.46:
	v_lshlrev_b32_e32 v23, 1, v24
	s_delay_alu instid0(VALU_DEP_1) | instskip(NEXT) | instid1(VALU_DEP_1)
	v_add_co_u32 v23, s10, s3, v23
	v_add_co_ci_u32_e64 v24, null, s8, 0, s10
	flat_load_u16 v23, v[23:24]
.LBB446_47:
	s_or_b32 exec_lo, exec_lo, s9
	v_or_b32_e32 v25, 0xb00, v0
	s_mov_b32 s9, exec_lo
                                        ; implicit-def: $vgpr24
	s_delay_alu instid0(VALU_DEP_1)
	v_cmpx_gt_u32_e64 s2, v25
	s_cbranch_execz .LBB446_49
; %bb.48:
	v_lshlrev_b32_e32 v24, 1, v25
	s_delay_alu instid0(VALU_DEP_1) | instskip(NEXT) | instid1(VALU_DEP_1)
	v_add_co_u32 v24, s10, s3, v24
	v_add_co_ci_u32_e64 v25, null, s8, 0, s10
	flat_load_u16 v24, v[24:25]
.LBB446_49:
	s_or_b32 exec_lo, exec_lo, s9
	v_or_b32_e32 v26, 0xb80, v0
	s_mov_b32 s9, exec_lo
                                        ; implicit-def: $vgpr25
	s_delay_alu instid0(VALU_DEP_1)
	v_cmpx_gt_u32_e64 s2, v26
	s_cbranch_execz .LBB446_51
; %bb.50:
	v_lshlrev_b32_e32 v25, 1, v26
	s_delay_alu instid0(VALU_DEP_1) | instskip(NEXT) | instid1(VALU_DEP_1)
	v_add_co_u32 v25, s10, s3, v25
	v_add_co_ci_u32_e64 v26, null, s8, 0, s10
	flat_load_u16 v25, v[25:26]
.LBB446_51:
	s_or_b32 exec_lo, exec_lo, s9
	v_or_b32_e32 v27, 0xc00, v0
	s_mov_b32 s9, exec_lo
                                        ; implicit-def: $vgpr26
	s_delay_alu instid0(VALU_DEP_1)
	v_cmpx_gt_u32_e64 s2, v27
	s_cbranch_execz .LBB446_53
; %bb.52:
	v_lshlrev_b32_e32 v26, 1, v27
	s_delay_alu instid0(VALU_DEP_1) | instskip(NEXT) | instid1(VALU_DEP_1)
	v_add_co_u32 v26, s10, s3, v26
	v_add_co_ci_u32_e64 v27, null, s8, 0, s10
	flat_load_u16 v26, v[26:27]
.LBB446_53:
	s_or_b32 exec_lo, exec_lo, s9
	v_or_b32_e32 v28, 0xc80, v0
	s_mov_b32 s9, exec_lo
                                        ; implicit-def: $vgpr27
	s_delay_alu instid0(VALU_DEP_1)
	v_cmpx_gt_u32_e64 s2, v28
	s_cbranch_execz .LBB446_55
; %bb.54:
	v_lshlrev_b32_e32 v27, 1, v28
	s_delay_alu instid0(VALU_DEP_1) | instskip(NEXT) | instid1(VALU_DEP_1)
	v_add_co_u32 v27, s10, s3, v27
	v_add_co_ci_u32_e64 v28, null, s8, 0, s10
	flat_load_u16 v27, v[27:28]
.LBB446_55:
	s_or_b32 exec_lo, exec_lo, s9
	v_or_b32_e32 v29, 0xd00, v0
	s_mov_b32 s9, exec_lo
                                        ; implicit-def: $vgpr28
	s_delay_alu instid0(VALU_DEP_1)
	v_cmpx_gt_u32_e64 s2, v29
	s_cbranch_execz .LBB446_57
; %bb.56:
	v_lshlrev_b32_e32 v28, 1, v29
	s_delay_alu instid0(VALU_DEP_1) | instskip(NEXT) | instid1(VALU_DEP_1)
	v_add_co_u32 v28, s10, s3, v28
	v_add_co_ci_u32_e64 v29, null, s8, 0, s10
	flat_load_u16 v28, v[28:29]
.LBB446_57:
	s_or_b32 exec_lo, exec_lo, s9
	v_or_b32_e32 v30, 0xd80, v0
	s_mov_b32 s9, exec_lo
                                        ; implicit-def: $vgpr29
	s_delay_alu instid0(VALU_DEP_1)
	v_cmpx_gt_u32_e64 s2, v30
	s_cbranch_execz .LBB446_59
; %bb.58:
	v_lshlrev_b32_e32 v29, 1, v30
	s_delay_alu instid0(VALU_DEP_1) | instskip(NEXT) | instid1(VALU_DEP_1)
	v_add_co_u32 v29, s10, s3, v29
	v_add_co_ci_u32_e64 v30, null, s8, 0, s10
	flat_load_u16 v29, v[29:30]
.LBB446_59:
	s_or_b32 exec_lo, exec_lo, s9
	v_or_b32_e32 v31, 0xe00, v0
	s_mov_b32 s9, exec_lo
                                        ; implicit-def: $vgpr30
	s_delay_alu instid0(VALU_DEP_1)
	v_cmpx_gt_u32_e64 s2, v31
	s_cbranch_execz .LBB446_61
; %bb.60:
	v_lshlrev_b32_e32 v30, 1, v31
	s_delay_alu instid0(VALU_DEP_1) | instskip(NEXT) | instid1(VALU_DEP_1)
	v_add_co_u32 v30, s10, s3, v30
	v_add_co_ci_u32_e64 v31, null, s8, 0, s10
	flat_load_u16 v30, v[30:31]
.LBB446_61:
	s_or_b32 exec_lo, exec_lo, s9
	v_or_b32_e32 v32, 0xe80, v0
	s_mov_b32 s9, exec_lo
                                        ; implicit-def: $vgpr31
	s_delay_alu instid0(VALU_DEP_1)
	v_cmpx_gt_u32_e64 s2, v32
	s_cbranch_execz .LBB446_63
; %bb.62:
	v_lshlrev_b32_e32 v31, 1, v32
	s_delay_alu instid0(VALU_DEP_1) | instskip(NEXT) | instid1(VALU_DEP_1)
	v_add_co_u32 v31, s3, s3, v31
	v_add_co_ci_u32_e64 v32, null, s8, 0, s3
	flat_load_u16 v31, v[31:32]
.LBB446_63:
	s_or_b32 exec_lo, exec_lo, s9
	s_waitcnt vmcnt(0) lgkmcnt(0)
	ds_store_b16 v1, v2
	ds_store_b16 v1, v3 offset:256
	ds_store_b16 v1, v4 offset:512
	;; [unrolled: 1-line block ×29, first 2 shown]
	s_waitcnt lgkmcnt(0)
	s_barrier
.LBB446_64:
	v_mul_u32_u24_e32 v30, 30, v0
	s_waitcnt lgkmcnt(0)
	buffer_gl0_inv
	s_and_not1_b32 vcc_lo, exec_lo, s16
	v_lshlrev_b32_e32 v1, 1, v30
	ds_load_b32 v81, v1 offset:56
	ds_load_2addr_b32 v[9:10], v1 offset0:12 offset1:13
	ds_load_2addr_b32 v[11:12], v1 offset0:10 offset1:11
	ds_load_2addr_b32 v[21:22], v1 offset1:1
	ds_load_2addr_b32 v[19:20], v1 offset0:2 offset1:3
	ds_load_2addr_b32 v[17:18], v1 offset0:4 offset1:5
	;; [unrolled: 1-line block ×4, first 2 shown]
	s_waitcnt lgkmcnt(0)
	s_barrier
	buffer_gl0_inv
	v_lshrrev_b32_e32 v82, 16, v81
	v_lshrrev_b32_e32 v84, 16, v9
	;; [unrolled: 1-line block ×15, first 2 shown]
	v_xor_b32_e32 v41, -1, v21
	v_xor_b32_e32 v42, -1, v22
	;; [unrolled: 1-line block ×30, first 2 shown]
	s_cbranch_vccnz .LBB446_66
; %bb.65:
	v_and_b32_e32 v126, 1, v41
	v_and_b32_e32 v125, 1, v45
	;; [unrolled: 1-line block ×30, first 2 shown]
	s_load_b64 s[10:11], s[0:1], 0x60
	s_cbranch_execz .LBB446_67
	s_branch .LBB446_68
.LBB446_66:
                                        ; implicit-def: $vgpr126
                                        ; implicit-def: $vgpr125
                                        ; implicit-def: $vgpr124
                                        ; implicit-def: $vgpr123
                                        ; implicit-def: $vgpr121
                                        ; implicit-def: $vgpr122
                                        ; implicit-def: $vgpr120
                                        ; implicit-def: $vgpr119
                                        ; implicit-def: $vgpr118
                                        ; implicit-def: $vgpr116
                                        ; implicit-def: $vgpr117
                                        ; implicit-def: $vgpr115
                                        ; implicit-def: $vgpr114
                                        ; implicit-def: $vgpr113
                                        ; implicit-def: $vgpr111
                                        ; implicit-def: $vgpr112
                                        ; implicit-def: $vgpr110
                                        ; implicit-def: $vgpr108
                                        ; implicit-def: $vgpr107
                                        ; implicit-def: $vgpr104
                                        ; implicit-def: $vgpr106
                                        ; implicit-def: $vgpr103
                                        ; implicit-def: $vgpr102
                                        ; implicit-def: $vgpr100
                                        ; implicit-def: $vgpr98
                                        ; implicit-def: $vgpr99
                                        ; implicit-def: $vgpr97
                                        ; implicit-def: $vgpr95
                                        ; implicit-def: $vgpr94
                                        ; implicit-def: $vgpr92
	s_load_b64 s[10:11], s[0:1], 0x60
.LBB446_67:
	v_or_b32_e32 v55, 1, v30
	v_cmp_gt_u32_e32 vcc_lo, s2, v30
	v_add_nc_u32_e32 v46, 29, v30
	v_add_nc_u32_e32 v47, 28, v30
	;; [unrolled: 1-line block ×28, first 2 shown]
	v_cndmask_b32_e64 v30, 0, 1, vcc_lo
	v_cmp_gt_u32_e32 vcc_lo, s2, v55
	s_delay_alu instid0(VALU_DEP_2) | instskip(SKIP_2) | instid1(VALU_DEP_2)
	v_and_b32_e32 v126, v30, v41
	v_cndmask_b32_e64 v55, 0, 1, vcc_lo
	v_cmp_gt_u32_e32 vcc_lo, s2, v56
	v_and_b32_e32 v125, v55, v45
	v_cndmask_b32_e64 v56, 0, 1, vcc_lo
	v_cmp_gt_u32_e32 vcc_lo, s2, v57
	s_delay_alu instid0(VALU_DEP_2) | instskip(SKIP_2) | instid1(VALU_DEP_2)
	v_and_b32_e32 v124, v56, v42
	v_cndmask_b32_e64 v57, 0, 1, vcc_lo
	v_cmp_gt_u32_e32 vcc_lo, s2, v58
	v_and_b32_e32 v123, v57, v44
	;; [unrolled: 7-line block ×14, first 2 shown]
	v_cndmask_b32_e64 v23, 0, 1, vcc_lo
	v_cmp_gt_u32_e32 vcc_lo, s2, v46
	s_delay_alu instid0(VALU_DEP_2) | instskip(SKIP_1) | instid1(VALU_DEP_1)
	v_and_b32_e32 v94, v23, v4
	v_cndmask_b32_e64 v24, 0, 1, vcc_lo
	v_and_b32_e32 v92, v24, v5
.LBB446_68:
	s_delay_alu instid0(VALU_DEP_3) | instskip(NEXT) | instid1(VALU_DEP_2)
	v_dual_mov_b32 v2, 0 :: v_dual_and_b32 v79, 0xff, v94
	v_and_b32_e32 v1, 0xff, v92
	v_and_b32_e32 v80, 0xff, v95
	;; [unrolled: 1-line block ×5, first 2 shown]
	v_add_co_u32 v1, s2, v79, v1
	s_delay_alu instid0(VALU_DEP_1) | instskip(SKIP_1) | instid1(VALU_DEP_3)
	v_add_co_ci_u32_e64 v3, null, 0, 0, s2
	v_and_b32_e32 v130, 0xff, v100
	v_add_co_u32 v1, vcc_lo, v1, v80
	s_delay_alu instid0(VALU_DEP_3) | instskip(SKIP_1) | instid1(VALU_DEP_3)
	v_add_co_ci_u32_e32 v3, vcc_lo, 0, v3, vcc_lo
	v_and_b32_e32 v31, 0xff, v102
	v_add_co_u32 v1, vcc_lo, v1, v127
	s_delay_alu instid0(VALU_DEP_3) | instskip(SKIP_1) | instid1(VALU_DEP_3)
	v_add_co_ci_u32_e32 v3, vcc_lo, 0, v3, vcc_lo
	;; [unrolled: 4-line block ×23, first 2 shown]
	v_mbcnt_lo_u32_b32 v54, -1, 0
	v_add_co_u32 v1, vcc_lo, v1, v50
	s_delay_alu instid0(VALU_DEP_3) | instskip(SKIP_1) | instid1(VALU_DEP_3)
	v_add_co_ci_u32_e32 v3, vcc_lo, 0, v3, vcc_lo
	v_and_b32_e32 v42, 0xff, v126
	v_add_co_u32 v1, vcc_lo, v1, v51
	s_delay_alu instid0(VALU_DEP_3) | instskip(SKIP_1) | instid1(VALU_DEP_3)
	v_add_co_ci_u32_e32 v3, vcc_lo, 0, v3, vcc_lo
	v_and_b32_e32 v55, 15, v54
	v_add_co_u32 v1, vcc_lo, v1, v52
	s_delay_alu instid0(VALU_DEP_3) | instskip(NEXT) | instid1(VALU_DEP_3)
	v_add_co_ci_u32_e32 v3, vcc_lo, 0, v3, vcc_lo
	v_cmp_ne_u32_e64 s2, 0, v55
	s_delay_alu instid0(VALU_DEP_3) | instskip(NEXT) | instid1(VALU_DEP_3)
	v_add_co_u32 v1, vcc_lo, v1, v53
	v_add_co_ci_u32_e32 v3, vcc_lo, 0, v3, vcc_lo
	s_cmp_lg_u32 s15, 0
	s_delay_alu instid0(VALU_DEP_2) | instskip(NEXT) | instid1(VALU_DEP_2)
	v_add_co_u32 v23, vcc_lo, v1, v42
	v_add_co_ci_u32_e32 v24, vcc_lo, 0, v3, vcc_lo
	s_mov_b32 s3, -1
	s_cbranch_scc0 .LBB446_133
; %bb.69:
	s_delay_alu instid0(VALU_DEP_2)
	v_mov_b32_e32 v3, v23
	v_mov_b32_dpp v1, v23 row_shr:1 row_mask:0xf bank_mask:0xf
	v_mov_b32_dpp v6, v2 row_shr:1 row_mask:0xf bank_mask:0xf
	v_dual_mov_b32 v5, v23 :: v_dual_mov_b32 v4, v24
	s_and_saveexec_b32 s3, s2
; %bb.70:
	s_delay_alu instid0(VALU_DEP_3) | instskip(SKIP_1) | instid1(VALU_DEP_2)
	v_add_co_u32 v5, vcc_lo, v23, v1
	v_add_co_ci_u32_e32 v2, vcc_lo, 0, v24, vcc_lo
	v_add_co_u32 v1, vcc_lo, 0, v5
	s_delay_alu instid0(VALU_DEP_2) | instskip(NEXT) | instid1(VALU_DEP_1)
	v_add_co_ci_u32_e32 v2, vcc_lo, v6, v2, vcc_lo
	v_dual_mov_b32 v4, v2 :: v_dual_mov_b32 v3, v1
; %bb.71:
	s_or_b32 exec_lo, exec_lo, s3
	v_mov_b32_dpp v1, v5 row_shr:2 row_mask:0xf bank_mask:0xf
	v_mov_b32_dpp v6, v2 row_shr:2 row_mask:0xf bank_mask:0xf
	s_mov_b32 s3, exec_lo
	v_cmpx_lt_u32_e32 1, v55
; %bb.72:
	s_delay_alu instid0(VALU_DEP_3) | instskip(SKIP_1) | instid1(VALU_DEP_2)
	v_add_co_u32 v5, vcc_lo, v3, v1
	v_add_co_ci_u32_e32 v2, vcc_lo, 0, v4, vcc_lo
	v_add_co_u32 v1, vcc_lo, 0, v5
	s_delay_alu instid0(VALU_DEP_2) | instskip(NEXT) | instid1(VALU_DEP_1)
	v_add_co_ci_u32_e32 v2, vcc_lo, v6, v2, vcc_lo
	v_dual_mov_b32 v4, v2 :: v_dual_mov_b32 v3, v1
; %bb.73:
	s_or_b32 exec_lo, exec_lo, s3
	v_mov_b32_dpp v1, v5 row_shr:4 row_mask:0xf bank_mask:0xf
	v_mov_b32_dpp v6, v2 row_shr:4 row_mask:0xf bank_mask:0xf
	s_mov_b32 s3, exec_lo
	v_cmpx_lt_u32_e32 3, v55
	;; [unrolled: 14-line block ×3, first 2 shown]
; %bb.76:
	s_delay_alu instid0(VALU_DEP_3) | instskip(SKIP_1) | instid1(VALU_DEP_2)
	v_add_co_u32 v5, vcc_lo, v3, v6
	v_add_co_ci_u32_e32 v2, vcc_lo, 0, v4, vcc_lo
	v_add_co_u32 v3, vcc_lo, 0, v5
	s_delay_alu instid0(VALU_DEP_2) | instskip(NEXT) | instid1(VALU_DEP_1)
	v_add_co_ci_u32_e32 v4, vcc_lo, v1, v2, vcc_lo
	v_mov_b32_e32 v2, v4
; %bb.77:
	s_or_b32 exec_lo, exec_lo, s3
	ds_swizzle_b32 v1, v5 offset:swizzle(BROADCAST,32,15)
	ds_swizzle_b32 v6, v2 offset:swizzle(BROADCAST,32,15)
	v_and_b32_e32 v7, 16, v54
	s_mov_b32 s3, exec_lo
	s_delay_alu instid0(VALU_DEP_1)
	v_cmpx_ne_u32_e32 0, v7
	s_cbranch_execz .LBB446_79
; %bb.78:
	s_waitcnt lgkmcnt(0)
	v_add_co_u32 v5, vcc_lo, v3, v1
	v_add_co_ci_u32_e32 v2, vcc_lo, 0, v4, vcc_lo
	s_delay_alu instid0(VALU_DEP_2) | instskip(NEXT) | instid1(VALU_DEP_2)
	v_add_co_u32 v1, vcc_lo, 0, v5
	v_add_co_ci_u32_e32 v2, vcc_lo, v6, v2, vcc_lo
	s_delay_alu instid0(VALU_DEP_1)
	v_dual_mov_b32 v4, v2 :: v_dual_mov_b32 v3, v1
.LBB446_79:
	s_or_b32 exec_lo, exec_lo, s3
	s_waitcnt lgkmcnt(0)
	v_or_b32_e32 v6, 31, v0
	v_lshrrev_b32_e32 v1, 5, v0
	s_mov_b32 s3, exec_lo
	s_delay_alu instid0(VALU_DEP_2)
	v_cmpx_eq_u32_e64 v6, v0
	s_cbranch_execz .LBB446_81
; %bb.80:
	s_delay_alu instid0(VALU_DEP_2)
	v_lshlrev_b32_e32 v6, 3, v1
	ds_store_b64 v6, v[3:4]
.LBB446_81:
	s_or_b32 exec_lo, exec_lo, s3
	s_delay_alu instid0(SALU_CYCLE_1)
	s_mov_b32 s3, exec_lo
	s_waitcnt lgkmcnt(0)
	s_barrier
	buffer_gl0_inv
	v_cmpx_gt_u32_e32 4, v0
	s_cbranch_execz .LBB446_87
; %bb.82:
	v_lshlrev_b32_e32 v6, 3, v0
	s_mov_b32 s8, exec_lo
	ds_load_b64 v[3:4], v6
	s_waitcnt lgkmcnt(0)
	v_dual_mov_b32 v8, v3 :: v_dual_and_b32 v7, 3, v54
	v_mov_b32_dpp v26, v3 row_shr:1 row_mask:0xf bank_mask:0xf
	v_mov_b32_dpp v25, v4 row_shr:1 row_mask:0xf bank_mask:0xf
	s_delay_alu instid0(VALU_DEP_3)
	v_cmpx_ne_u32_e32 0, v7
; %bb.83:
	s_delay_alu instid0(VALU_DEP_3) | instskip(SKIP_1) | instid1(VALU_DEP_2)
	v_add_co_u32 v8, vcc_lo, v3, v26
	v_add_co_ci_u32_e32 v4, vcc_lo, 0, v4, vcc_lo
	v_add_co_u32 v3, vcc_lo, 0, v8
	s_delay_alu instid0(VALU_DEP_2)
	v_add_co_ci_u32_e32 v4, vcc_lo, v25, v4, vcc_lo
; %bb.84:
	s_or_b32 exec_lo, exec_lo, s8
	v_mov_b32_dpp v25, v8 row_shr:2 row_mask:0xf bank_mask:0xf
	s_delay_alu instid0(VALU_DEP_2)
	v_mov_b32_dpp v8, v4 row_shr:2 row_mask:0xf bank_mask:0xf
	s_mov_b32 s8, exec_lo
	v_cmpx_lt_u32_e32 1, v7
; %bb.85:
	s_delay_alu instid0(VALU_DEP_3) | instskip(SKIP_1) | instid1(VALU_DEP_2)
	v_add_co_u32 v3, vcc_lo, v3, v25
	v_add_co_ci_u32_e32 v4, vcc_lo, 0, v4, vcc_lo
	v_add_co_u32 v3, vcc_lo, v3, 0
	s_delay_alu instid0(VALU_DEP_2)
	v_add_co_ci_u32_e32 v4, vcc_lo, v4, v8, vcc_lo
; %bb.86:
	s_or_b32 exec_lo, exec_lo, s8
	ds_store_b64 v6, v[3:4]
.LBB446_87:
	s_or_b32 exec_lo, exec_lo, s3
	v_cmp_gt_u32_e32 vcc_lo, 32, v0
	s_mov_b32 s8, exec_lo
	s_waitcnt lgkmcnt(0)
	s_barrier
	buffer_gl0_inv
                                        ; implicit-def: $vgpr25_vgpr26
	v_cmpx_lt_u32_e32 31, v0
	s_cbranch_execz .LBB446_89
; %bb.88:
	v_lshl_add_u32 v1, v1, 3, -8
	ds_load_b64 v[25:26], v1
	s_waitcnt lgkmcnt(0)
	v_add_co_u32 v5, s3, v5, v25
	s_delay_alu instid0(VALU_DEP_1)
	v_add_co_ci_u32_e64 v2, s3, v2, v26, s3
.LBB446_89:
	s_or_b32 exec_lo, exec_lo, s8
	v_add_nc_u32_e32 v1, -1, v54
	s_delay_alu instid0(VALU_DEP_1) | instskip(NEXT) | instid1(VALU_DEP_1)
	v_cmp_gt_i32_e64 s3, 0, v1
	v_cndmask_b32_e64 v1, v1, v54, s3
	v_cmp_eq_u32_e64 s3, 0, v54
	s_delay_alu instid0(VALU_DEP_2)
	v_lshlrev_b32_e32 v1, 2, v1
	ds_bpermute_b32 v56, v1, v5
	ds_bpermute_b32 v57, v1, v2
	s_and_saveexec_b32 s8, vcc_lo
	s_cbranch_execz .LBB446_132
; %bb.90:
	v_mov_b32_e32 v4, 0
	ds_load_b64 v[1:2], v4 offset:24
	s_and_saveexec_b32 s9, s3
	s_cbranch_execz .LBB446_92
; %bb.91:
	s_add_i32 s12, s15, 32
	s_mov_b32 s13, 0
	s_delay_alu instid0(SALU_CYCLE_1) | instskip(NEXT) | instid1(SALU_CYCLE_1)
	s_lshl_b64 s[12:13], s[12:13], 4
	s_add_u32 s12, s10, s12
	s_addc_u32 s13, s11, s13
	v_mov_b32_e32 v5, s12
	v_dual_mov_b32 v3, 1 :: v_dual_mov_b32 v6, s13
	s_waitcnt lgkmcnt(0)
	;;#ASMSTART
	global_store_dwordx4 v[5:6], v[1:4] off	
s_waitcnt vmcnt(0)
	;;#ASMEND
.LBB446_92:
	s_or_b32 exec_lo, exec_lo, s9
	v_xad_u32 v27, v54, -1, s15
	s_mov_b32 s12, 0
	s_mov_b32 s9, exec_lo
	s_delay_alu instid0(VALU_DEP_1) | instskip(NEXT) | instid1(VALU_DEP_1)
	v_add_nc_u32_e32 v3, 32, v27
	v_lshlrev_b64 v[3:4], 4, v[3:4]
	s_delay_alu instid0(VALU_DEP_1) | instskip(NEXT) | instid1(VALU_DEP_2)
	v_add_co_u32 v3, vcc_lo, s10, v3
	v_add_co_ci_u32_e32 v4, vcc_lo, s11, v4, vcc_lo
	;;#ASMSTART
	global_load_dwordx4 v[5:8], v[3:4] off glc	
s_waitcnt vmcnt(0)
	;;#ASMEND
	v_and_b32_e32 v8, 0xff, v6
	v_and_b32_e32 v28, 0xff00, v6
	v_or3_b32 v5, v5, 0, 0
	v_and_b32_e32 v29, 0xff000000, v6
	v_and_b32_e32 v6, 0xff0000, v6
	s_delay_alu instid0(VALU_DEP_4) | instskip(SKIP_2) | instid1(VALU_DEP_3)
	v_or3_b32 v8, 0, v8, v28
	v_and_b32_e32 v28, 0xff, v7
	v_or3_b32 v5, v5, 0, 0
	v_or3_b32 v6, v8, v6, v29
	s_delay_alu instid0(VALU_DEP_3)
	v_cmpx_eq_u16_e32 0, v28
	s_cbranch_execz .LBB446_98
; %bb.93:
	s_mov_b32 s13, 1
	.p2align	6
.LBB446_94:                             ; =>This Loop Header: Depth=1
                                        ;     Child Loop BB446_95 Depth 2
	s_delay_alu instid0(SALU_CYCLE_1)
	s_max_u32 s17, s13, 1
.LBB446_95:                             ;   Parent Loop BB446_94 Depth=1
                                        ; =>  This Inner Loop Header: Depth=2
	s_delay_alu instid0(SALU_CYCLE_1)
	s_add_i32 s17, s17, -1
	s_sleep 1
	s_cmp_eq_u32 s17, 0
	s_cbranch_scc0 .LBB446_95
; %bb.96:                               ;   in Loop: Header=BB446_94 Depth=1
	;;#ASMSTART
	global_load_dwordx4 v[5:8], v[3:4] off glc	
s_waitcnt vmcnt(0)
	;;#ASMEND
	v_and_b32_e32 v8, 0xff, v7
	s_cmp_lt_u32 s13, 32
	s_cselect_b32 s17, -1, 0
	s_delay_alu instid0(SALU_CYCLE_1) | instskip(NEXT) | instid1(VALU_DEP_1)
	s_cmp_lg_u32 s17, 0
	v_cmp_ne_u16_e32 vcc_lo, 0, v8
	s_addc_u32 s13, s13, 0
	s_or_b32 s12, vcc_lo, s12
	s_delay_alu instid0(SALU_CYCLE_1)
	s_and_not1_b32 exec_lo, exec_lo, s12
	s_cbranch_execnz .LBB446_94
; %bb.97:
	s_or_b32 exec_lo, exec_lo, s12
.LBB446_98:
	s_delay_alu instid0(SALU_CYCLE_1)
	s_or_b32 exec_lo, exec_lo, s9
	v_cmp_ne_u32_e32 vcc_lo, 31, v54
	v_and_b32_e32 v4, 0xff, v7
	v_lshlrev_b32_e64 v59, v54, -1
	s_mov_b32 s9, exec_lo
	v_add_co_ci_u32_e32 v3, vcc_lo, 0, v54, vcc_lo
	s_delay_alu instid0(VALU_DEP_3) | instskip(SKIP_1) | instid1(VALU_DEP_3)
	v_cmp_eq_u16_e32 vcc_lo, 2, v4
	v_mov_b32_e32 v4, v5
	v_lshlrev_b32_e32 v58, 2, v3
	v_and_or_b32 v3, vcc_lo, v59, 0x80000000
	ds_bpermute_b32 v28, v58, v5
	ds_bpermute_b32 v8, v58, v6
	v_ctz_i32_b32_e32 v3, v3
	s_delay_alu instid0(VALU_DEP_1)
	v_cmpx_lt_u32_e64 v54, v3
	s_cbranch_execz .LBB446_100
; %bb.99:
	s_waitcnt lgkmcnt(1)
	v_add_co_u32 v4, vcc_lo, v5, v28
	v_add_co_ci_u32_e32 v6, vcc_lo, 0, v6, vcc_lo
	s_delay_alu instid0(VALU_DEP_2) | instskip(SKIP_1) | instid1(VALU_DEP_2)
	v_add_co_u32 v5, vcc_lo, 0, v4
	s_waitcnt lgkmcnt(0)
	v_add_co_ci_u32_e32 v6, vcc_lo, v8, v6, vcc_lo
.LBB446_100:
	s_or_b32 exec_lo, exec_lo, s9
	v_cmp_gt_u32_e32 vcc_lo, 30, v54
	v_add_nc_u32_e32 v61, 2, v54
	s_mov_b32 s9, exec_lo
	s_waitcnt lgkmcnt(0)
	v_cndmask_b32_e64 v8, 0, 1, vcc_lo
	s_delay_alu instid0(VALU_DEP_1) | instskip(NEXT) | instid1(VALU_DEP_1)
	v_lshlrev_b32_e32 v8, 1, v8
	v_add_lshl_u32 v60, v8, v54, 2
	ds_bpermute_b32 v28, v60, v4
	ds_bpermute_b32 v8, v60, v6
	v_cmpx_le_u32_e64 v61, v3
	s_cbranch_execz .LBB446_102
; %bb.101:
	s_waitcnt lgkmcnt(1)
	v_add_co_u32 v4, vcc_lo, v5, v28
	v_add_co_ci_u32_e32 v6, vcc_lo, 0, v6, vcc_lo
	s_delay_alu instid0(VALU_DEP_2) | instskip(SKIP_1) | instid1(VALU_DEP_2)
	v_add_co_u32 v5, vcc_lo, 0, v4
	s_waitcnt lgkmcnt(0)
	v_add_co_ci_u32_e32 v6, vcc_lo, v8, v6, vcc_lo
.LBB446_102:
	s_or_b32 exec_lo, exec_lo, s9
	v_cmp_gt_u32_e32 vcc_lo, 28, v54
	v_add_nc_u32_e32 v63, 4, v54
	s_mov_b32 s9, exec_lo
	s_waitcnt lgkmcnt(0)
	v_cndmask_b32_e64 v8, 0, 1, vcc_lo
	s_delay_alu instid0(VALU_DEP_1) | instskip(NEXT) | instid1(VALU_DEP_1)
	v_lshlrev_b32_e32 v8, 2, v8
	v_add_lshl_u32 v62, v8, v54, 2
	ds_bpermute_b32 v28, v62, v4
	ds_bpermute_b32 v8, v62, v6
	v_cmpx_le_u32_e64 v63, v3
	;; [unrolled: 22-line block ×4, first 2 shown]
	s_cbranch_execz .LBB446_108
; %bb.107:
	s_waitcnt lgkmcnt(1)
	v_add_co_u32 v3, vcc_lo, v5, v8
	v_add_co_ci_u32_e32 v6, vcc_lo, 0, v6, vcc_lo
	s_delay_alu instid0(VALU_DEP_2) | instskip(SKIP_1) | instid1(VALU_DEP_2)
	v_add_co_u32 v5, vcc_lo, v3, 0
	s_waitcnt lgkmcnt(0)
	v_add_co_ci_u32_e32 v6, vcc_lo, v6, v4, vcc_lo
.LBB446_108:
	s_or_b32 exec_lo, exec_lo, s9
	v_mov_b32_e32 v28, 0
	s_branch .LBB446_110
.LBB446_109:                            ;   in Loop: Header=BB446_110 Depth=1
	s_or_b32 exec_lo, exec_lo, s9
	v_add_co_u32 v5, vcc_lo, v5, v3
	v_subrev_nc_u32_e32 v27, 32, v27
	v_add_co_ci_u32_e32 v6, vcc_lo, v6, v4, vcc_lo
.LBB446_110:                            ; =>This Loop Header: Depth=1
                                        ;     Child Loop BB446_113 Depth 2
                                        ;       Child Loop BB446_114 Depth 3
	v_and_b32_e32 v3, 0xff, v7
	s_delay_alu instid0(VALU_DEP_1) | instskip(SKIP_2) | instid1(VALU_DEP_1)
	v_cmp_ne_u16_e32 vcc_lo, 2, v3
	v_cndmask_b32_e64 v3, 0, 1, vcc_lo
	;;#ASMSTART
	;;#ASMEND
	v_cmp_ne_u32_e32 vcc_lo, 0, v3
	s_waitcnt lgkmcnt(0)
	v_dual_mov_b32 v3, v5 :: v_dual_mov_b32 v4, v6
	s_cmp_lg_u32 vcc_lo, exec_lo
	s_cbranch_scc1 .LBB446_127
; %bb.111:                              ;   in Loop: Header=BB446_110 Depth=1
	v_lshlrev_b64 v[5:6], 4, v[27:28]
	s_mov_b32 s9, exec_lo
	s_delay_alu instid0(VALU_DEP_1) | instskip(NEXT) | instid1(VALU_DEP_2)
	v_add_co_u32 v29, vcc_lo, s10, v5
	v_add_co_ci_u32_e32 v30, vcc_lo, s11, v6, vcc_lo
	;;#ASMSTART
	global_load_dwordx4 v[5:8], v[29:30] off glc	
s_waitcnt vmcnt(0)
	;;#ASMEND
	v_and_b32_e32 v8, 0xff, v6
	v_and_b32_e32 v68, 0xff00, v6
	v_or3_b32 v5, v5, 0, 0
	v_and_b32_e32 v69, 0xff000000, v6
	v_and_b32_e32 v6, 0xff0000, v6
	s_delay_alu instid0(VALU_DEP_4) | instskip(SKIP_2) | instid1(VALU_DEP_3)
	v_or3_b32 v8, 0, v8, v68
	v_and_b32_e32 v68, 0xff, v7
	v_or3_b32 v5, v5, 0, 0
	v_or3_b32 v6, v8, v6, v69
	s_delay_alu instid0(VALU_DEP_3)
	v_cmpx_eq_u16_e32 0, v68
	s_cbranch_execz .LBB446_117
; %bb.112:                              ;   in Loop: Header=BB446_110 Depth=1
	s_mov_b32 s13, 1
	s_mov_b32 s12, 0
	.p2align	6
.LBB446_113:                            ;   Parent Loop BB446_110 Depth=1
                                        ; =>  This Loop Header: Depth=2
                                        ;       Child Loop BB446_114 Depth 3
	s_max_u32 s17, s13, 1
.LBB446_114:                            ;   Parent Loop BB446_110 Depth=1
                                        ;     Parent Loop BB446_113 Depth=2
                                        ; =>    This Inner Loop Header: Depth=3
	s_delay_alu instid0(SALU_CYCLE_1)
	s_add_i32 s17, s17, -1
	s_sleep 1
	s_cmp_eq_u32 s17, 0
	s_cbranch_scc0 .LBB446_114
; %bb.115:                              ;   in Loop: Header=BB446_113 Depth=2
	;;#ASMSTART
	global_load_dwordx4 v[5:8], v[29:30] off glc	
s_waitcnt vmcnt(0)
	;;#ASMEND
	v_and_b32_e32 v8, 0xff, v7
	s_cmp_lt_u32 s13, 32
	s_cselect_b32 s17, -1, 0
	s_delay_alu instid0(SALU_CYCLE_1) | instskip(NEXT) | instid1(VALU_DEP_1)
	s_cmp_lg_u32 s17, 0
	v_cmp_ne_u16_e32 vcc_lo, 0, v8
	s_addc_u32 s13, s13, 0
	s_or_b32 s12, vcc_lo, s12
	s_delay_alu instid0(SALU_CYCLE_1)
	s_and_not1_b32 exec_lo, exec_lo, s12
	s_cbranch_execnz .LBB446_113
; %bb.116:                              ;   in Loop: Header=BB446_110 Depth=1
	s_or_b32 exec_lo, exec_lo, s12
.LBB446_117:                            ;   in Loop: Header=BB446_110 Depth=1
	s_delay_alu instid0(SALU_CYCLE_1)
	s_or_b32 exec_lo, exec_lo, s9
	v_dual_mov_b32 v29, v5 :: v_dual_and_b32 v8, 0xff, v7
	ds_bpermute_b32 v68, v58, v5
	ds_bpermute_b32 v30, v58, v6
	s_mov_b32 s9, exec_lo
	v_cmp_eq_u16_e32 vcc_lo, 2, v8
	v_and_or_b32 v8, vcc_lo, v59, 0x80000000
	s_delay_alu instid0(VALU_DEP_1) | instskip(NEXT) | instid1(VALU_DEP_1)
	v_ctz_i32_b32_e32 v8, v8
	v_cmpx_lt_u32_e64 v54, v8
	s_cbranch_execz .LBB446_119
; %bb.118:                              ;   in Loop: Header=BB446_110 Depth=1
	s_waitcnt lgkmcnt(1)
	v_add_co_u32 v29, vcc_lo, v5, v68
	v_add_co_ci_u32_e32 v6, vcc_lo, 0, v6, vcc_lo
	s_delay_alu instid0(VALU_DEP_2) | instskip(SKIP_1) | instid1(VALU_DEP_2)
	v_add_co_u32 v5, vcc_lo, 0, v29
	s_waitcnt lgkmcnt(0)
	v_add_co_ci_u32_e32 v6, vcc_lo, v30, v6, vcc_lo
.LBB446_119:                            ;   in Loop: Header=BB446_110 Depth=1
	s_or_b32 exec_lo, exec_lo, s9
	s_waitcnt lgkmcnt(1)
	ds_bpermute_b32 v68, v60, v29
	s_waitcnt lgkmcnt(1)
	ds_bpermute_b32 v30, v60, v6
	s_mov_b32 s9, exec_lo
	v_cmpx_le_u32_e64 v61, v8
	s_cbranch_execz .LBB446_121
; %bb.120:                              ;   in Loop: Header=BB446_110 Depth=1
	s_waitcnt lgkmcnt(1)
	v_add_co_u32 v29, vcc_lo, v5, v68
	v_add_co_ci_u32_e32 v6, vcc_lo, 0, v6, vcc_lo
	s_delay_alu instid0(VALU_DEP_2) | instskip(SKIP_1) | instid1(VALU_DEP_2)
	v_add_co_u32 v5, vcc_lo, 0, v29
	s_waitcnt lgkmcnt(0)
	v_add_co_ci_u32_e32 v6, vcc_lo, v30, v6, vcc_lo
.LBB446_121:                            ;   in Loop: Header=BB446_110 Depth=1
	s_or_b32 exec_lo, exec_lo, s9
	s_waitcnt lgkmcnt(1)
	ds_bpermute_b32 v68, v62, v29
	s_waitcnt lgkmcnt(1)
	ds_bpermute_b32 v30, v62, v6
	s_mov_b32 s9, exec_lo
	v_cmpx_le_u32_e64 v63, v8
	;; [unrolled: 17-line block ×3, first 2 shown]
	s_cbranch_execz .LBB446_125
; %bb.124:                              ;   in Loop: Header=BB446_110 Depth=1
	s_waitcnt lgkmcnt(1)
	v_add_co_u32 v29, vcc_lo, v5, v68
	v_add_co_ci_u32_e32 v6, vcc_lo, 0, v6, vcc_lo
	s_delay_alu instid0(VALU_DEP_2) | instskip(SKIP_1) | instid1(VALU_DEP_2)
	v_add_co_u32 v5, vcc_lo, 0, v29
	s_waitcnt lgkmcnt(0)
	v_add_co_ci_u32_e32 v6, vcc_lo, v30, v6, vcc_lo
.LBB446_125:                            ;   in Loop: Header=BB446_110 Depth=1
	s_or_b32 exec_lo, exec_lo, s9
	s_waitcnt lgkmcnt(0)
	ds_bpermute_b32 v30, v66, v29
	ds_bpermute_b32 v29, v66, v6
	s_mov_b32 s9, exec_lo
	v_cmpx_le_u32_e64 v67, v8
	s_cbranch_execz .LBB446_109
; %bb.126:                              ;   in Loop: Header=BB446_110 Depth=1
	s_waitcnt lgkmcnt(1)
	v_add_co_u32 v5, vcc_lo, v5, v30
	v_add_co_ci_u32_e32 v6, vcc_lo, 0, v6, vcc_lo
	s_delay_alu instid0(VALU_DEP_2) | instskip(SKIP_1) | instid1(VALU_DEP_2)
	v_add_co_u32 v5, vcc_lo, v5, 0
	s_waitcnt lgkmcnt(0)
	v_add_co_ci_u32_e32 v6, vcc_lo, v6, v29, vcc_lo
	s_branch .LBB446_109
.LBB446_127:                            ;   in Loop: Header=BB446_110 Depth=1
                                        ; implicit-def: $vgpr5_vgpr6
	s_cbranch_execz .LBB446_110
; %bb.128:
	s_and_saveexec_b32 s9, s3
	s_cbranch_execz .LBB446_130
; %bb.129:
	s_add_i32 s12, s15, 32
	s_mov_b32 s13, 0
	v_add_co_u32 v5, vcc_lo, v3, v1
	s_lshl_b64 s[12:13], s[12:13], 4
	v_dual_mov_b32 v7, 2 :: v_dual_mov_b32 v8, 0
	s_add_u32 s12, s10, s12
	s_addc_u32 s13, s11, s13
	v_add_co_ci_u32_e32 v6, vcc_lo, v4, v2, vcc_lo
	v_dual_mov_b32 v28, s13 :: v_dual_mov_b32 v27, s12
	;;#ASMSTART
	global_store_dwordx4 v[27:28], v[5:8] off	
s_waitcnt vmcnt(0)
	;;#ASMEND
	ds_store_b128 v8, v[1:4] offset:7680
.LBB446_130:
	s_or_b32 exec_lo, exec_lo, s9
	v_cmp_eq_u32_e32 vcc_lo, 0, v0
	s_and_b32 exec_lo, exec_lo, vcc_lo
	s_cbranch_execz .LBB446_132
; %bb.131:
	v_mov_b32_e32 v1, 0
	ds_store_b64 v1, v[3:4] offset:24
.LBB446_132:
	s_or_b32 exec_lo, exec_lo, s8
	s_waitcnt lgkmcnt(0)
	v_cndmask_b32_e64 v8, v57, v26, s3
	v_cmp_ne_u32_e32 vcc_lo, 0, v0
	v_mov_b32_e32 v3, 0
	s_barrier
	buffer_gl0_inv
	v_cndmask_b32_e32 v8, 0, v8, vcc_lo
	ds_load_b64 v[1:2], v3 offset:24
	s_waitcnt lgkmcnt(0)
	s_barrier
	buffer_gl0_inv
	ds_load_b128 v[4:7], v3 offset:7680
	v_cndmask_b32_e64 v3, v56, v25, s3
	s_delay_alu instid0(VALU_DEP_1) | instskip(NEXT) | instid1(VALU_DEP_1)
	v_cndmask_b32_e32 v3, 0, v3, vcc_lo
	v_add_co_u32 v67, vcc_lo, v1, v3
	v_add_co_ci_u32_e32 v68, vcc_lo, v2, v8, vcc_lo
	s_waitcnt lgkmcnt(0)
	v_readfirstlane_b32 s13, v7
	v_readfirstlane_b32 s12, v6
	s_load_b64 s[8:9], s[0:1], 0x28
	s_branch .LBB446_157
.LBB446_133:
                                        ; implicit-def: $sgpr12_sgpr13
                                        ; implicit-def: $vgpr4_vgpr5
                                        ; implicit-def: $vgpr67_vgpr68
	s_load_b64 s[8:9], s[0:1], 0x28
	s_and_b32 vcc_lo, exec_lo, s3
	s_cbranch_vccz .LBB446_157
; %bb.134:
	v_dual_mov_b32 v2, 0 :: v_dual_mov_b32 v3, v23
	v_mov_b32_dpp v4, v23 row_shr:1 row_mask:0xf bank_mask:0xf
	s_delay_alu instid0(VALU_DEP_2)
	v_mov_b32_dpp v1, v2 row_shr:1 row_mask:0xf bank_mask:0xf
	s_and_saveexec_b32 s0, s2
; %bb.135:
	s_delay_alu instid0(VALU_DEP_2) | instskip(SKIP_1) | instid1(VALU_DEP_2)
	v_add_co_u32 v3, vcc_lo, v23, v4
	v_add_co_ci_u32_e32 v2, vcc_lo, 0, v24, vcc_lo
	v_add_co_u32 v23, vcc_lo, 0, v3
	s_delay_alu instid0(VALU_DEP_2) | instskip(NEXT) | instid1(VALU_DEP_1)
	v_add_co_ci_u32_e32 v24, vcc_lo, v1, v2, vcc_lo
	v_mov_b32_e32 v2, v24
; %bb.136:
	s_or_b32 exec_lo, exec_lo, s0
	v_mov_b32_dpp v1, v3 row_shr:2 row_mask:0xf bank_mask:0xf
	s_delay_alu instid0(VALU_DEP_2)
	v_mov_b32_dpp v4, v2 row_shr:2 row_mask:0xf bank_mask:0xf
	s_mov_b32 s0, exec_lo
	v_cmpx_lt_u32_e32 1, v55
; %bb.137:
	s_delay_alu instid0(VALU_DEP_3) | instskip(SKIP_1) | instid1(VALU_DEP_2)
	v_add_co_u32 v3, vcc_lo, v23, v1
	v_add_co_ci_u32_e32 v2, vcc_lo, 0, v24, vcc_lo
	v_add_co_u32 v1, vcc_lo, 0, v3
	s_delay_alu instid0(VALU_DEP_2) | instskip(NEXT) | instid1(VALU_DEP_1)
	v_add_co_ci_u32_e32 v2, vcc_lo, v4, v2, vcc_lo
	v_dual_mov_b32 v24, v2 :: v_dual_mov_b32 v23, v1
; %bb.138:
	s_or_b32 exec_lo, exec_lo, s0
	v_mov_b32_dpp v1, v3 row_shr:4 row_mask:0xf bank_mask:0xf
	v_mov_b32_dpp v4, v2 row_shr:4 row_mask:0xf bank_mask:0xf
	s_mov_b32 s0, exec_lo
	v_cmpx_lt_u32_e32 3, v55
; %bb.139:
	s_delay_alu instid0(VALU_DEP_3) | instskip(SKIP_1) | instid1(VALU_DEP_2)
	v_add_co_u32 v3, vcc_lo, v23, v1
	v_add_co_ci_u32_e32 v2, vcc_lo, 0, v24, vcc_lo
	v_add_co_u32 v1, vcc_lo, 0, v3
	s_delay_alu instid0(VALU_DEP_2) | instskip(NEXT) | instid1(VALU_DEP_1)
	v_add_co_ci_u32_e32 v2, vcc_lo, v4, v2, vcc_lo
	v_dual_mov_b32 v24, v2 :: v_dual_mov_b32 v23, v1
; %bb.140:
	s_or_b32 exec_lo, exec_lo, s0
	v_mov_b32_dpp v4, v3 row_shr:8 row_mask:0xf bank_mask:0xf
	v_mov_b32_dpp v1, v2 row_shr:8 row_mask:0xf bank_mask:0xf
	s_mov_b32 s0, exec_lo
	v_cmpx_lt_u32_e32 7, v55
; %bb.141:
	s_delay_alu instid0(VALU_DEP_3) | instskip(SKIP_1) | instid1(VALU_DEP_2)
	v_add_co_u32 v3, vcc_lo, v23, v4
	v_add_co_ci_u32_e32 v2, vcc_lo, 0, v24, vcc_lo
	v_add_co_u32 v23, vcc_lo, 0, v3
	s_delay_alu instid0(VALU_DEP_2) | instskip(NEXT) | instid1(VALU_DEP_1)
	v_add_co_ci_u32_e32 v24, vcc_lo, v1, v2, vcc_lo
	v_mov_b32_e32 v2, v24
; %bb.142:
	s_or_b32 exec_lo, exec_lo, s0
	ds_swizzle_b32 v3, v3 offset:swizzle(BROADCAST,32,15)
	ds_swizzle_b32 v1, v2 offset:swizzle(BROADCAST,32,15)
	v_and_b32_e32 v2, 16, v54
	s_mov_b32 s0, exec_lo
	s_delay_alu instid0(VALU_DEP_1)
	v_cmpx_ne_u32_e32 0, v2
	s_cbranch_execz .LBB446_144
; %bb.143:
	s_waitcnt lgkmcnt(0)
	v_add_co_u32 v2, vcc_lo, v23, v3
	v_add_co_ci_u32_e32 v3, vcc_lo, 0, v24, vcc_lo
	s_delay_alu instid0(VALU_DEP_2) | instskip(NEXT) | instid1(VALU_DEP_2)
	v_add_co_u32 v23, vcc_lo, v2, 0
	v_add_co_ci_u32_e32 v24, vcc_lo, v3, v1, vcc_lo
.LBB446_144:
	s_or_b32 exec_lo, exec_lo, s0
	s_waitcnt lgkmcnt(0)
	v_or_b32_e32 v1, 31, v0
	v_lshrrev_b32_e32 v3, 5, v0
	s_mov_b32 s0, exec_lo
	s_delay_alu instid0(VALU_DEP_2)
	v_cmpx_eq_u32_e64 v1, v0
	s_cbranch_execz .LBB446_146
; %bb.145:
	s_delay_alu instid0(VALU_DEP_2)
	v_lshlrev_b32_e32 v1, 3, v3
	ds_store_b64 v1, v[23:24]
.LBB446_146:
	s_or_b32 exec_lo, exec_lo, s0
	s_delay_alu instid0(SALU_CYCLE_1)
	s_mov_b32 s0, exec_lo
	s_waitcnt lgkmcnt(0)
	s_barrier
	buffer_gl0_inv
	v_cmpx_gt_u32_e32 4, v0
	s_cbranch_execz .LBB446_152
; %bb.147:
	v_lshlrev_b32_e32 v4, 3, v0
	s_mov_b32 s1, exec_lo
	ds_load_b64 v[1:2], v4
	s_waitcnt lgkmcnt(0)
	v_dual_mov_b32 v6, v1 :: v_dual_and_b32 v5, 3, v54
	v_mov_b32_dpp v8, v1 row_shr:1 row_mask:0xf bank_mask:0xf
	v_mov_b32_dpp v7, v2 row_shr:1 row_mask:0xf bank_mask:0xf
	s_delay_alu instid0(VALU_DEP_3)
	v_cmpx_ne_u32_e32 0, v5
; %bb.148:
	s_delay_alu instid0(VALU_DEP_3) | instskip(SKIP_1) | instid1(VALU_DEP_2)
	v_add_co_u32 v6, vcc_lo, v1, v8
	v_add_co_ci_u32_e32 v2, vcc_lo, 0, v2, vcc_lo
	v_add_co_u32 v1, vcc_lo, 0, v6
	s_delay_alu instid0(VALU_DEP_2)
	v_add_co_ci_u32_e32 v2, vcc_lo, v7, v2, vcc_lo
; %bb.149:
	s_or_b32 exec_lo, exec_lo, s1
	v_mov_b32_dpp v7, v6 row_shr:2 row_mask:0xf bank_mask:0xf
	s_delay_alu instid0(VALU_DEP_2)
	v_mov_b32_dpp v6, v2 row_shr:2 row_mask:0xf bank_mask:0xf
	s_mov_b32 s1, exec_lo
	v_cmpx_lt_u32_e32 1, v5
; %bb.150:
	s_delay_alu instid0(VALU_DEP_3) | instskip(SKIP_1) | instid1(VALU_DEP_2)
	v_add_co_u32 v1, vcc_lo, v1, v7
	v_add_co_ci_u32_e32 v2, vcc_lo, 0, v2, vcc_lo
	v_add_co_u32 v1, vcc_lo, v1, 0
	s_delay_alu instid0(VALU_DEP_2)
	v_add_co_ci_u32_e32 v2, vcc_lo, v2, v6, vcc_lo
; %bb.151:
	s_or_b32 exec_lo, exec_lo, s1
	ds_store_b64 v4, v[1:2]
.LBB446_152:
	s_or_b32 exec_lo, exec_lo, s0
	v_mov_b32_e32 v1, 0
	v_mov_b32_e32 v2, 0
	s_mov_b32 s0, exec_lo
	s_waitcnt lgkmcnt(0)
	s_barrier
	buffer_gl0_inv
	v_cmpx_lt_u32_e32 31, v0
	s_cbranch_execz .LBB446_154
; %bb.153:
	v_lshl_add_u32 v1, v3, 3, -8
	ds_load_b64 v[1:2], v1
.LBB446_154:
	s_or_b32 exec_lo, exec_lo, s0
	v_add_nc_u32_e32 v3, -1, v54
	v_mov_b32_e32 v7, 0
	s_delay_alu instid0(VALU_DEP_2) | instskip(SKIP_1) | instid1(VALU_DEP_1)
	v_cmp_gt_i32_e32 vcc_lo, 0, v3
	v_cndmask_b32_e32 v3, v3, v54, vcc_lo
	v_lshlrev_b32_e32 v4, 2, v3
	s_waitcnt lgkmcnt(0)
	v_add_co_u32 v3, vcc_lo, v1, v23
	v_add_co_ci_u32_e32 v5, vcc_lo, v2, v24, vcc_lo
	v_cmp_eq_u32_e32 vcc_lo, 0, v0
	ds_bpermute_b32 v3, v4, v3
	ds_bpermute_b32 v8, v4, v5
	ds_load_b64 v[4:5], v7 offset:24
	s_and_saveexec_b32 s0, vcc_lo
	s_cbranch_execz .LBB446_156
; %bb.155:
	s_add_u32 s2, s10, 0x200
	s_addc_u32 s3, s11, 0
	v_mov_b32_e32 v6, 2
	v_dual_mov_b32 v24, s3 :: v_dual_mov_b32 v23, s2
	s_waitcnt lgkmcnt(0)
	;;#ASMSTART
	global_store_dwordx4 v[23:24], v[4:7] off	
s_waitcnt vmcnt(0)
	;;#ASMEND
.LBB446_156:
	s_or_b32 exec_lo, exec_lo, s0
	v_cmp_eq_u32_e64 s0, 0, v54
	s_waitcnt lgkmcnt(0)
	s_barrier
	s_mov_b64 s[12:13], 0
	buffer_gl0_inv
	v_cndmask_b32_e64 v1, v3, v1, s0
	v_cndmask_b32_e64 v2, v8, v2, s0
	s_delay_alu instid0(VALU_DEP_2) | instskip(NEXT) | instid1(VALU_DEP_2)
	v_cndmask_b32_e64 v67, v1, 0, vcc_lo
	v_cndmask_b32_e64 v68, v2, 0, vcc_lo
.LBB446_157:
	s_delay_alu instid0(VALU_DEP_2) | instskip(NEXT) | instid1(VALU_DEP_2)
	v_add_co_u32 v77, vcc_lo, v67, v42
	v_add_co_ci_u32_e32 v78, vcc_lo, 0, v68, vcc_lo
	s_delay_alu instid0(VALU_DEP_2) | instskip(NEXT) | instid1(VALU_DEP_2)
	v_add_co_u32 v75, vcc_lo, v77, v53
	v_add_co_ci_u32_e32 v76, vcc_lo, 0, v78, vcc_lo
	;; [unrolled: 3-line block ×27, first 2 shown]
	v_cmp_gt_u64_e32 vcc_lo, 0x81, v[4:5]
	s_delay_alu instid0(VALU_DEP_3) | instskip(NEXT) | instid1(VALU_DEP_1)
	v_add_co_u32 v23, s0, v6, v80
	v_add_co_ci_u32_e64 v24, s0, 0, v7, s0
	s_delay_alu instid0(VALU_DEP_2) | instskip(NEXT) | instid1(VALU_DEP_1)
	v_add_co_u32 v1, s0, v23, v79
	v_add_co_ci_u32_e64 v2, s0, 0, v24, s0
	s_mov_b32 s0, -1
	s_cbranch_vccnz .LBB446_161
; %bb.158:
	s_and_b32 vcc_lo, exec_lo, s0
	s_cbranch_vccnz .LBB446_252
.LBB446_159:
	v_cmp_eq_u32_e32 vcc_lo, 0, v0
	s_and_b32 s0, vcc_lo, s14
	s_delay_alu instid0(SALU_CYCLE_1)
	s_and_saveexec_b32 s1, s0
	s_cbranch_execnz .LBB446_323
.LBB446_160:
	s_nop 0
	s_sendmsg sendmsg(MSG_DEALLOC_VGPRS)
	s_endpgm
.LBB446_161:
	v_add_co_u32 v79, vcc_lo, s12, v4
	v_add_co_ci_u32_e32 v80, vcc_lo, s13, v5, vcc_lo
	s_lshl_b64 s[0:1], s[6:7], 1
	s_waitcnt lgkmcnt(0)
	s_add_u32 s0, s8, s0
	s_delay_alu instid0(VALU_DEP_1) | instskip(SKIP_2) | instid1(SALU_CYCLE_1)
	v_cmp_lt_u64_e32 vcc_lo, v[67:68], v[79:80]
	s_addc_u32 s1, s9, s1
	s_or_b32 s3, s16, vcc_lo
	s_and_saveexec_b32 s2, s3
	s_cbranch_execz .LBB446_164
; %bb.162:
	v_and_b32_e32 v3, 1, v126
	s_delay_alu instid0(VALU_DEP_1)
	v_cmp_eq_u32_e32 vcc_lo, 1, v3
	s_and_b32 exec_lo, exec_lo, vcc_lo
	s_cbranch_execz .LBB446_164
; %bb.163:
	v_lshlrev_b64 v[127:128], 1, v[67:68]
	s_delay_alu instid0(VALU_DEP_1) | instskip(NEXT) | instid1(VALU_DEP_2)
	v_add_co_u32 v127, vcc_lo, s0, v127
	v_add_co_ci_u32_e32 v128, vcc_lo, s1, v128, vcc_lo
	global_store_b16 v[127:128], v21, off
.LBB446_164:
	s_or_b32 exec_lo, exec_lo, s2
	v_cmp_lt_u64_e32 vcc_lo, v[77:78], v[79:80]
	s_or_b32 s3, s16, vcc_lo
	s_delay_alu instid0(SALU_CYCLE_1)
	s_and_saveexec_b32 s2, s3
	s_cbranch_execz .LBB446_167
; %bb.165:
	v_and_b32_e32 v3, 1, v125
	s_delay_alu instid0(VALU_DEP_1)
	v_cmp_eq_u32_e32 vcc_lo, 1, v3
	s_and_b32 exec_lo, exec_lo, vcc_lo
	s_cbranch_execz .LBB446_167
; %bb.166:
	v_lshlrev_b64 v[127:128], 1, v[77:78]
	s_delay_alu instid0(VALU_DEP_1) | instskip(NEXT) | instid1(VALU_DEP_2)
	v_add_co_u32 v127, vcc_lo, s0, v127
	v_add_co_ci_u32_e32 v128, vcc_lo, s1, v128, vcc_lo
	global_store_b16 v[127:128], v109, off
.LBB446_167:
	s_or_b32 exec_lo, exec_lo, s2
	v_cmp_lt_u64_e32 vcc_lo, v[75:76], v[79:80]
	s_or_b32 s3, s16, vcc_lo
	s_delay_alu instid0(SALU_CYCLE_1)
	;; [unrolled: 19-line block ×29, first 2 shown]
	s_and_saveexec_b32 s2, s3
	s_cbranch_execz .LBB446_251
; %bb.249:
	v_and_b32_e32 v3, 1, v92
	s_delay_alu instid0(VALU_DEP_1)
	v_cmp_eq_u32_e32 vcc_lo, 1, v3
	s_and_b32 exec_lo, exec_lo, vcc_lo
	s_cbranch_execz .LBB446_251
; %bb.250:
	v_lshlrev_b64 v[2:3], 1, v[1:2]
	s_delay_alu instid0(VALU_DEP_1) | instskip(NEXT) | instid1(VALU_DEP_2)
	v_add_co_u32 v2, vcc_lo, s0, v2
	v_add_co_ci_u32_e32 v3, vcc_lo, s1, v3, vcc_lo
	global_store_b16 v[2:3], v82, off
.LBB446_251:
	s_or_b32 exec_lo, exec_lo, s2
	s_branch .LBB446_159
.LBB446_252:
	v_and_b32_e32 v2, 1, v126
	s_mov_b32 s0, exec_lo
	s_delay_alu instid0(VALU_DEP_1)
	v_cmpx_eq_u32_e32 1, v2
	s_cbranch_execz .LBB446_254
; %bb.253:
	v_subrev_nc_u32_e32 v2, s12, v67
	s_delay_alu instid0(VALU_DEP_1)
	v_lshlrev_b32_e32 v2, 1, v2
	ds_store_b16 v2, v21
.LBB446_254:
	s_or_b32 exec_lo, exec_lo, s0
	v_and_b32_e32 v2, 1, v125
	s_mov_b32 s0, exec_lo
	s_delay_alu instid0(VALU_DEP_1)
	v_cmpx_eq_u32_e32 1, v2
	s_cbranch_execz .LBB446_256
; %bb.255:
	v_subrev_nc_u32_e32 v2, s12, v77
	s_delay_alu instid0(VALU_DEP_1)
	v_lshlrev_b32_e32 v2, 1, v2
	ds_store_b16 v2, v109
.LBB446_256:
	s_or_b32 exec_lo, exec_lo, s0
	;; [unrolled: 12-line block ×30, first 2 shown]
	v_mov_b32_e32 v1, 0
	s_mov_b32 s15, exec_lo
	s_waitcnt lgkmcnt(0)
	s_waitcnt_vscnt null, 0x0
	s_barrier
	buffer_gl0_inv
	v_cmpx_gt_u64_e64 v[4:5], v[0:1]
	s_cbranch_execz .LBB446_322
; %bb.313:
	v_not_b32_e32 v2, v0
	v_not_b32_e32 v3, 0
	v_mov_b32_e32 v8, v0
	s_mov_b32 s16, exec_lo
	s_delay_alu instid0(VALU_DEP_3) | instskip(NEXT) | instid1(VALU_DEP_3)
	v_add_co_u32 v6, vcc_lo, v4, v2
	v_add_co_ci_u32_e32 v7, vcc_lo, v5, v3, vcc_lo
	v_dual_mov_b32 v3, v1 :: v_dual_mov_b32 v2, v0
	s_delay_alu instid0(VALU_DEP_2)
	v_cmp_gt_u64_e32 vcc_lo, 0x1a80, v[6:7]
	v_cmpx_lt_u64_e32 0x1a7f, v[6:7]
	s_cbranch_execz .LBB446_319
; %bb.314:
	v_alignbit_b32 v2, v7, v6, 7
	v_not_b32_e32 v3, v0
	v_xor_b32_e32 v8, 0xffffff7f, v0
	s_movk_i32 s11, 0x7f
	s_mov_b32 s10, -1
	v_lshlrev_b32_e32 v9, 7, v2
	v_cmp_lt_u64_e64 s0, s[10:11], v[6:7]
	v_cmp_lt_u32_e64 s1, 0x1ffffff, v2
	s_delay_alu instid0(VALU_DEP_3) | instskip(SKIP_2) | instid1(VALU_DEP_4)
	v_cmp_lt_u32_e64 s3, v8, v9
	v_mov_b32_e32 v8, v0
	v_cmp_gt_u32_e64 s2, v9, v3
	s_or_b32 s0, s1, s0
	v_dual_mov_b32 v3, v1 :: v_dual_mov_b32 v2, v0
	s_or_b32 s0, s0, s3
	s_delay_alu instid0(VALU_DEP_2) | instskip(NEXT) | instid1(SALU_CYCLE_1)
	s_or_b32 s1, s2, s1
	s_or_b32 s0, s1, s0
	s_delay_alu instid0(SALU_CYCLE_1) | instskip(NEXT) | instid1(SALU_CYCLE_1)
	s_xor_b32 s0, s0, -1
	s_and_saveexec_b32 s2, s0
	s_cbranch_execz .LBB446_318
; %bb.315:
	v_lshrrev_b64 v[6:7], 7, v[6:7]
	s_lshl_b64 s[10:11], s[12:13], 1
	v_or_b32_e32 v2, 0x80, v0
	s_mov_b32 s3, 0
	s_delay_alu instid0(VALU_DEP_2) | instskip(NEXT) | instid1(VALU_DEP_1)
	v_add_co_u32 v10, s0, v6, 1
	v_add_co_ci_u32_e64 v11, s0, 0, v7, s0
	s_lshl_b64 s[0:1], s[6:7], 1
	s_delay_alu instid0(VALU_DEP_2) | instskip(SKIP_1) | instid1(VALU_DEP_2)
	v_and_b32_e32 v12, -2, v10
	s_add_u32 s0, s10, s0
	v_mov_b32_e32 v13, v11
	v_lshlrev_b32_e32 v3, 1, v0
	s_addc_u32 s1, s11, s1
	s_add_u32 s0, s8, s0
	s_addc_u32 s1, s9, s1
	v_dual_mov_b32 v17, v13 :: v_dual_mov_b32 v16, v12
	v_add_co_u32 v6, s0, s0, v3
	s_delay_alu instid0(VALU_DEP_1) | instskip(SKIP_1) | instid1(VALU_DEP_3)
	v_add_co_ci_u32_e64 v7, null, s1, 0, s0
	v_mov_b32_e32 v3, v1
	v_add_co_u32 v14, s0, 0x100, v6
	s_delay_alu instid0(VALU_DEP_1) | instskip(NEXT) | instid1(VALU_DEP_3)
	v_add_co_ci_u32_e64 v15, s0, 0, v7, s0
	v_dual_mov_b32 v9, v3 :: v_dual_mov_b32 v6, v0
	v_dual_mov_b32 v8, v2 :: v_dual_mov_b32 v7, v1
	s_set_inst_prefetch_distance 0x1
	.p2align	6
.LBB446_316:                            ; =>This Inner Loop Header: Depth=1
	s_delay_alu instid0(VALU_DEP_2) | instskip(NEXT) | instid1(VALU_DEP_2)
	v_lshlrev_b32_e32 v1, 1, v6
	v_lshlrev_b32_e32 v2, 1, v8
	v_add_co_u32 v8, s0, 0x100, v8
	s_delay_alu instid0(VALU_DEP_1) | instskip(SKIP_3) | instid1(VALU_DEP_1)
	v_add_co_ci_u32_e64 v9, s0, 0, v9, s0
	ds_load_u16 v1, v1
	ds_load_u16 v2, v2
	v_add_co_u32 v16, s0, v16, -2
	v_add_co_ci_u32_e64 v17, s0, -1, v17, s0
	v_add_co_u32 v6, s0, 0x100, v6
	s_delay_alu instid0(VALU_DEP_1) | instskip(NEXT) | instid1(VALU_DEP_3)
	v_add_co_ci_u32_e64 v7, s0, 0, v7, s0
	v_cmp_eq_u64_e64 s0, 0, v[16:17]
	s_waitcnt lgkmcnt(1)
	global_store_b16 v[14:15], v1, off offset:-256
	s_waitcnt lgkmcnt(0)
	global_store_b16 v[14:15], v2, off
	v_add_co_u32 v14, s1, 0x200, v14
	s_delay_alu instid0(VALU_DEP_1) | instskip(SKIP_1) | instid1(SALU_CYCLE_1)
	v_add_co_ci_u32_e64 v15, s1, 0, v15, s1
	s_or_b32 s3, s0, s3
	s_and_not1_b32 exec_lo, exec_lo, s3
	s_cbranch_execnz .LBB446_316
; %bb.317:
	s_set_inst_prefetch_distance 0x2
	s_or_b32 exec_lo, exec_lo, s3
	v_lshlrev_b64 v[1:2], 7, v[12:13]
	v_cmp_ne_u64_e64 s0, v[10:11], v[12:13]
	v_lshl_or_b32 v8, v12, 7, v0
	s_delay_alu instid0(VALU_DEP_3) | instskip(NEXT) | instid1(VALU_DEP_4)
	v_or_b32_e32 v3, 0, v2
	v_or_b32_e32 v2, v1, v0
	s_delay_alu instid0(VALU_DEP_4)
	s_or_not1_b32 s10, s0, exec_lo
.LBB446_318:
	s_or_b32 exec_lo, exec_lo, s2
	s_delay_alu instid0(SALU_CYCLE_1) | instskip(SKIP_1) | instid1(SALU_CYCLE_1)
	s_and_not1_b32 s0, vcc_lo, exec_lo
	s_and_b32 s1, s10, exec_lo
	s_or_b32 vcc_lo, s0, s1
.LBB446_319:
	s_or_b32 exec_lo, exec_lo, s16
	s_delay_alu instid0(SALU_CYCLE_1)
	s_and_b32 exec_lo, exec_lo, vcc_lo
	s_cbranch_execz .LBB446_322
; %bb.320:
	s_lshl_b64 s[0:1], s[12:13], 1
	v_dual_mov_b32 v7, 0 :: v_dual_add_nc_u32 v6, 0x80, v8
	s_add_u32 s0, s8, s0
	s_addc_u32 s8, s9, s1
	s_lshl_b64 s[2:3], s[6:7], 1
	s_delay_alu instid0(SALU_CYCLE_1)
	s_add_u32 s1, s0, s2
	s_addc_u32 s2, s8, s3
	s_mov_b32 s3, 0
	.p2align	6
.LBB446_321:                            ; =>This Inner Loop Header: Depth=1
	v_lshlrev_b32_e32 v1, 1, v2
	v_lshlrev_b64 v[8:9], 1, v[2:3]
	v_mov_b32_e32 v2, v6
	v_cmp_le_u64_e32 vcc_lo, v[4:5], v[6:7]
	v_dual_mov_b32 v3, v7 :: v_dual_add_nc_u32 v6, 0x80, v6
	ds_load_u16 v1, v1
	v_add_co_u32 v8, s0, s1, v8
	s_delay_alu instid0(VALU_DEP_1)
	v_add_co_ci_u32_e64 v9, s0, s2, v9, s0
	s_or_b32 s3, vcc_lo, s3
	s_waitcnt lgkmcnt(0)
	global_store_b16 v[8:9], v1, off
	s_and_not1_b32 exec_lo, exec_lo, s3
	s_cbranch_execnz .LBB446_321
.LBB446_322:
	s_or_b32 exec_lo, exec_lo, s15
	v_cmp_eq_u32_e32 vcc_lo, 0, v0
	s_and_b32 s0, vcc_lo, s14
	s_delay_alu instid0(SALU_CYCLE_1)
	s_and_saveexec_b32 s1, s0
	s_cbranch_execz .LBB446_160
.LBB446_323:
	v_add_co_u32 v0, vcc_lo, s12, v4
	v_add_co_ci_u32_e32 v1, vcc_lo, s13, v5, vcc_lo
	v_mov_b32_e32 v2, 0
	s_delay_alu instid0(VALU_DEP_3) | instskip(NEXT) | instid1(VALU_DEP_3)
	v_add_co_u32 v0, vcc_lo, v0, s6
	v_add_co_ci_u32_e32 v1, vcc_lo, s7, v1, vcc_lo
	global_store_b64 v2, v[0:1], s[4:5]
	s_nop 0
	s_sendmsg sendmsg(MSG_DEALLOC_VGPRS)
	s_endpgm
	.section	.rodata,"a",@progbits
	.p2align	6, 0x0
	.amdhsa_kernel _ZN7rocprim17ROCPRIM_400000_NS6detail17trampoline_kernelINS0_14default_configENS1_25partition_config_selectorILNS1_17partition_subalgoE6EsNS0_10empty_typeEbEEZZNS1_14partition_implILS5_6ELb0ES3_mN6thrust23THRUST_200600_302600_NS6detail15normal_iteratorINSA_10device_ptrIsEEEEPS6_SG_NS0_5tupleIJSF_S6_EEENSH_IJSG_SG_EEES6_PlJ7is_evenIsEEEE10hipError_tPvRmT3_T4_T5_T6_T7_T9_mT8_P12ihipStream_tbDpT10_ENKUlT_T0_E_clISt17integral_constantIbLb1EES15_IbLb0EEEEDaS11_S12_EUlS11_E_NS1_11comp_targetILNS1_3genE9ELNS1_11target_archE1100ELNS1_3gpuE3ELNS1_3repE0EEENS1_30default_config_static_selectorELNS0_4arch9wavefront6targetE0EEEvT1_
		.amdhsa_group_segment_fixed_size 7696
		.amdhsa_private_segment_fixed_size 0
		.amdhsa_kernarg_size 112
		.amdhsa_user_sgpr_count 15
		.amdhsa_user_sgpr_dispatch_ptr 0
		.amdhsa_user_sgpr_queue_ptr 0
		.amdhsa_user_sgpr_kernarg_segment_ptr 1
		.amdhsa_user_sgpr_dispatch_id 0
		.amdhsa_user_sgpr_private_segment_size 0
		.amdhsa_wavefront_size32 1
		.amdhsa_uses_dynamic_stack 0
		.amdhsa_enable_private_segment 0
		.amdhsa_system_sgpr_workgroup_id_x 1
		.amdhsa_system_sgpr_workgroup_id_y 0
		.amdhsa_system_sgpr_workgroup_id_z 0
		.amdhsa_system_sgpr_workgroup_info 0
		.amdhsa_system_vgpr_workitem_id 0
		.amdhsa_next_free_vgpr 131
		.amdhsa_next_free_sgpr 19
		.amdhsa_reserve_vcc 1
		.amdhsa_float_round_mode_32 0
		.amdhsa_float_round_mode_16_64 0
		.amdhsa_float_denorm_mode_32 3
		.amdhsa_float_denorm_mode_16_64 3
		.amdhsa_dx10_clamp 1
		.amdhsa_ieee_mode 1
		.amdhsa_fp16_overflow 0
		.amdhsa_workgroup_processor_mode 1
		.amdhsa_memory_ordered 1
		.amdhsa_forward_progress 0
		.amdhsa_shared_vgpr_count 0
		.amdhsa_exception_fp_ieee_invalid_op 0
		.amdhsa_exception_fp_denorm_src 0
		.amdhsa_exception_fp_ieee_div_zero 0
		.amdhsa_exception_fp_ieee_overflow 0
		.amdhsa_exception_fp_ieee_underflow 0
		.amdhsa_exception_fp_ieee_inexact 0
		.amdhsa_exception_int_div_zero 0
	.end_amdhsa_kernel
	.section	.text._ZN7rocprim17ROCPRIM_400000_NS6detail17trampoline_kernelINS0_14default_configENS1_25partition_config_selectorILNS1_17partition_subalgoE6EsNS0_10empty_typeEbEEZZNS1_14partition_implILS5_6ELb0ES3_mN6thrust23THRUST_200600_302600_NS6detail15normal_iteratorINSA_10device_ptrIsEEEEPS6_SG_NS0_5tupleIJSF_S6_EEENSH_IJSG_SG_EEES6_PlJ7is_evenIsEEEE10hipError_tPvRmT3_T4_T5_T6_T7_T9_mT8_P12ihipStream_tbDpT10_ENKUlT_T0_E_clISt17integral_constantIbLb1EES15_IbLb0EEEEDaS11_S12_EUlS11_E_NS1_11comp_targetILNS1_3genE9ELNS1_11target_archE1100ELNS1_3gpuE3ELNS1_3repE0EEENS1_30default_config_static_selectorELNS0_4arch9wavefront6targetE0EEEvT1_,"axG",@progbits,_ZN7rocprim17ROCPRIM_400000_NS6detail17trampoline_kernelINS0_14default_configENS1_25partition_config_selectorILNS1_17partition_subalgoE6EsNS0_10empty_typeEbEEZZNS1_14partition_implILS5_6ELb0ES3_mN6thrust23THRUST_200600_302600_NS6detail15normal_iteratorINSA_10device_ptrIsEEEEPS6_SG_NS0_5tupleIJSF_S6_EEENSH_IJSG_SG_EEES6_PlJ7is_evenIsEEEE10hipError_tPvRmT3_T4_T5_T6_T7_T9_mT8_P12ihipStream_tbDpT10_ENKUlT_T0_E_clISt17integral_constantIbLb1EES15_IbLb0EEEEDaS11_S12_EUlS11_E_NS1_11comp_targetILNS1_3genE9ELNS1_11target_archE1100ELNS1_3gpuE3ELNS1_3repE0EEENS1_30default_config_static_selectorELNS0_4arch9wavefront6targetE0EEEvT1_,comdat
.Lfunc_end446:
	.size	_ZN7rocprim17ROCPRIM_400000_NS6detail17trampoline_kernelINS0_14default_configENS1_25partition_config_selectorILNS1_17partition_subalgoE6EsNS0_10empty_typeEbEEZZNS1_14partition_implILS5_6ELb0ES3_mN6thrust23THRUST_200600_302600_NS6detail15normal_iteratorINSA_10device_ptrIsEEEEPS6_SG_NS0_5tupleIJSF_S6_EEENSH_IJSG_SG_EEES6_PlJ7is_evenIsEEEE10hipError_tPvRmT3_T4_T5_T6_T7_T9_mT8_P12ihipStream_tbDpT10_ENKUlT_T0_E_clISt17integral_constantIbLb1EES15_IbLb0EEEEDaS11_S12_EUlS11_E_NS1_11comp_targetILNS1_3genE9ELNS1_11target_archE1100ELNS1_3gpuE3ELNS1_3repE0EEENS1_30default_config_static_selectorELNS0_4arch9wavefront6targetE0EEEvT1_, .Lfunc_end446-_ZN7rocprim17ROCPRIM_400000_NS6detail17trampoline_kernelINS0_14default_configENS1_25partition_config_selectorILNS1_17partition_subalgoE6EsNS0_10empty_typeEbEEZZNS1_14partition_implILS5_6ELb0ES3_mN6thrust23THRUST_200600_302600_NS6detail15normal_iteratorINSA_10device_ptrIsEEEEPS6_SG_NS0_5tupleIJSF_S6_EEENSH_IJSG_SG_EEES6_PlJ7is_evenIsEEEE10hipError_tPvRmT3_T4_T5_T6_T7_T9_mT8_P12ihipStream_tbDpT10_ENKUlT_T0_E_clISt17integral_constantIbLb1EES15_IbLb0EEEEDaS11_S12_EUlS11_E_NS1_11comp_targetILNS1_3genE9ELNS1_11target_archE1100ELNS1_3gpuE3ELNS1_3repE0EEENS1_30default_config_static_selectorELNS0_4arch9wavefront6targetE0EEEvT1_
                                        ; -- End function
	.section	.AMDGPU.csdata,"",@progbits
; Kernel info:
; codeLenInByte = 13348
; NumSgprs: 21
; NumVgprs: 131
; ScratchSize: 0
; MemoryBound: 0
; FloatMode: 240
; IeeeMode: 1
; LDSByteSize: 7696 bytes/workgroup (compile time only)
; SGPRBlocks: 2
; VGPRBlocks: 16
; NumSGPRsForWavesPerEU: 21
; NumVGPRsForWavesPerEU: 131
; Occupancy: 10
; WaveLimiterHint : 1
; COMPUTE_PGM_RSRC2:SCRATCH_EN: 0
; COMPUTE_PGM_RSRC2:USER_SGPR: 15
; COMPUTE_PGM_RSRC2:TRAP_HANDLER: 0
; COMPUTE_PGM_RSRC2:TGID_X_EN: 1
; COMPUTE_PGM_RSRC2:TGID_Y_EN: 0
; COMPUTE_PGM_RSRC2:TGID_Z_EN: 0
; COMPUTE_PGM_RSRC2:TIDIG_COMP_CNT: 0
	.section	.text._ZN7rocprim17ROCPRIM_400000_NS6detail17trampoline_kernelINS0_14default_configENS1_25partition_config_selectorILNS1_17partition_subalgoE6EsNS0_10empty_typeEbEEZZNS1_14partition_implILS5_6ELb0ES3_mN6thrust23THRUST_200600_302600_NS6detail15normal_iteratorINSA_10device_ptrIsEEEEPS6_SG_NS0_5tupleIJSF_S6_EEENSH_IJSG_SG_EEES6_PlJ7is_evenIsEEEE10hipError_tPvRmT3_T4_T5_T6_T7_T9_mT8_P12ihipStream_tbDpT10_ENKUlT_T0_E_clISt17integral_constantIbLb1EES15_IbLb0EEEEDaS11_S12_EUlS11_E_NS1_11comp_targetILNS1_3genE8ELNS1_11target_archE1030ELNS1_3gpuE2ELNS1_3repE0EEENS1_30default_config_static_selectorELNS0_4arch9wavefront6targetE0EEEvT1_,"axG",@progbits,_ZN7rocprim17ROCPRIM_400000_NS6detail17trampoline_kernelINS0_14default_configENS1_25partition_config_selectorILNS1_17partition_subalgoE6EsNS0_10empty_typeEbEEZZNS1_14partition_implILS5_6ELb0ES3_mN6thrust23THRUST_200600_302600_NS6detail15normal_iteratorINSA_10device_ptrIsEEEEPS6_SG_NS0_5tupleIJSF_S6_EEENSH_IJSG_SG_EEES6_PlJ7is_evenIsEEEE10hipError_tPvRmT3_T4_T5_T6_T7_T9_mT8_P12ihipStream_tbDpT10_ENKUlT_T0_E_clISt17integral_constantIbLb1EES15_IbLb0EEEEDaS11_S12_EUlS11_E_NS1_11comp_targetILNS1_3genE8ELNS1_11target_archE1030ELNS1_3gpuE2ELNS1_3repE0EEENS1_30default_config_static_selectorELNS0_4arch9wavefront6targetE0EEEvT1_,comdat
	.protected	_ZN7rocprim17ROCPRIM_400000_NS6detail17trampoline_kernelINS0_14default_configENS1_25partition_config_selectorILNS1_17partition_subalgoE6EsNS0_10empty_typeEbEEZZNS1_14partition_implILS5_6ELb0ES3_mN6thrust23THRUST_200600_302600_NS6detail15normal_iteratorINSA_10device_ptrIsEEEEPS6_SG_NS0_5tupleIJSF_S6_EEENSH_IJSG_SG_EEES6_PlJ7is_evenIsEEEE10hipError_tPvRmT3_T4_T5_T6_T7_T9_mT8_P12ihipStream_tbDpT10_ENKUlT_T0_E_clISt17integral_constantIbLb1EES15_IbLb0EEEEDaS11_S12_EUlS11_E_NS1_11comp_targetILNS1_3genE8ELNS1_11target_archE1030ELNS1_3gpuE2ELNS1_3repE0EEENS1_30default_config_static_selectorELNS0_4arch9wavefront6targetE0EEEvT1_ ; -- Begin function _ZN7rocprim17ROCPRIM_400000_NS6detail17trampoline_kernelINS0_14default_configENS1_25partition_config_selectorILNS1_17partition_subalgoE6EsNS0_10empty_typeEbEEZZNS1_14partition_implILS5_6ELb0ES3_mN6thrust23THRUST_200600_302600_NS6detail15normal_iteratorINSA_10device_ptrIsEEEEPS6_SG_NS0_5tupleIJSF_S6_EEENSH_IJSG_SG_EEES6_PlJ7is_evenIsEEEE10hipError_tPvRmT3_T4_T5_T6_T7_T9_mT8_P12ihipStream_tbDpT10_ENKUlT_T0_E_clISt17integral_constantIbLb1EES15_IbLb0EEEEDaS11_S12_EUlS11_E_NS1_11comp_targetILNS1_3genE8ELNS1_11target_archE1030ELNS1_3gpuE2ELNS1_3repE0EEENS1_30default_config_static_selectorELNS0_4arch9wavefront6targetE0EEEvT1_
	.globl	_ZN7rocprim17ROCPRIM_400000_NS6detail17trampoline_kernelINS0_14default_configENS1_25partition_config_selectorILNS1_17partition_subalgoE6EsNS0_10empty_typeEbEEZZNS1_14partition_implILS5_6ELb0ES3_mN6thrust23THRUST_200600_302600_NS6detail15normal_iteratorINSA_10device_ptrIsEEEEPS6_SG_NS0_5tupleIJSF_S6_EEENSH_IJSG_SG_EEES6_PlJ7is_evenIsEEEE10hipError_tPvRmT3_T4_T5_T6_T7_T9_mT8_P12ihipStream_tbDpT10_ENKUlT_T0_E_clISt17integral_constantIbLb1EES15_IbLb0EEEEDaS11_S12_EUlS11_E_NS1_11comp_targetILNS1_3genE8ELNS1_11target_archE1030ELNS1_3gpuE2ELNS1_3repE0EEENS1_30default_config_static_selectorELNS0_4arch9wavefront6targetE0EEEvT1_
	.p2align	8
	.type	_ZN7rocprim17ROCPRIM_400000_NS6detail17trampoline_kernelINS0_14default_configENS1_25partition_config_selectorILNS1_17partition_subalgoE6EsNS0_10empty_typeEbEEZZNS1_14partition_implILS5_6ELb0ES3_mN6thrust23THRUST_200600_302600_NS6detail15normal_iteratorINSA_10device_ptrIsEEEEPS6_SG_NS0_5tupleIJSF_S6_EEENSH_IJSG_SG_EEES6_PlJ7is_evenIsEEEE10hipError_tPvRmT3_T4_T5_T6_T7_T9_mT8_P12ihipStream_tbDpT10_ENKUlT_T0_E_clISt17integral_constantIbLb1EES15_IbLb0EEEEDaS11_S12_EUlS11_E_NS1_11comp_targetILNS1_3genE8ELNS1_11target_archE1030ELNS1_3gpuE2ELNS1_3repE0EEENS1_30default_config_static_selectorELNS0_4arch9wavefront6targetE0EEEvT1_,@function
_ZN7rocprim17ROCPRIM_400000_NS6detail17trampoline_kernelINS0_14default_configENS1_25partition_config_selectorILNS1_17partition_subalgoE6EsNS0_10empty_typeEbEEZZNS1_14partition_implILS5_6ELb0ES3_mN6thrust23THRUST_200600_302600_NS6detail15normal_iteratorINSA_10device_ptrIsEEEEPS6_SG_NS0_5tupleIJSF_S6_EEENSH_IJSG_SG_EEES6_PlJ7is_evenIsEEEE10hipError_tPvRmT3_T4_T5_T6_T7_T9_mT8_P12ihipStream_tbDpT10_ENKUlT_T0_E_clISt17integral_constantIbLb1EES15_IbLb0EEEEDaS11_S12_EUlS11_E_NS1_11comp_targetILNS1_3genE8ELNS1_11target_archE1030ELNS1_3gpuE2ELNS1_3repE0EEENS1_30default_config_static_selectorELNS0_4arch9wavefront6targetE0EEEvT1_: ; @_ZN7rocprim17ROCPRIM_400000_NS6detail17trampoline_kernelINS0_14default_configENS1_25partition_config_selectorILNS1_17partition_subalgoE6EsNS0_10empty_typeEbEEZZNS1_14partition_implILS5_6ELb0ES3_mN6thrust23THRUST_200600_302600_NS6detail15normal_iteratorINSA_10device_ptrIsEEEEPS6_SG_NS0_5tupleIJSF_S6_EEENSH_IJSG_SG_EEES6_PlJ7is_evenIsEEEE10hipError_tPvRmT3_T4_T5_T6_T7_T9_mT8_P12ihipStream_tbDpT10_ENKUlT_T0_E_clISt17integral_constantIbLb1EES15_IbLb0EEEEDaS11_S12_EUlS11_E_NS1_11comp_targetILNS1_3genE8ELNS1_11target_archE1030ELNS1_3gpuE2ELNS1_3repE0EEENS1_30default_config_static_selectorELNS0_4arch9wavefront6targetE0EEEvT1_
; %bb.0:
	.section	.rodata,"a",@progbits
	.p2align	6, 0x0
	.amdhsa_kernel _ZN7rocprim17ROCPRIM_400000_NS6detail17trampoline_kernelINS0_14default_configENS1_25partition_config_selectorILNS1_17partition_subalgoE6EsNS0_10empty_typeEbEEZZNS1_14partition_implILS5_6ELb0ES3_mN6thrust23THRUST_200600_302600_NS6detail15normal_iteratorINSA_10device_ptrIsEEEEPS6_SG_NS0_5tupleIJSF_S6_EEENSH_IJSG_SG_EEES6_PlJ7is_evenIsEEEE10hipError_tPvRmT3_T4_T5_T6_T7_T9_mT8_P12ihipStream_tbDpT10_ENKUlT_T0_E_clISt17integral_constantIbLb1EES15_IbLb0EEEEDaS11_S12_EUlS11_E_NS1_11comp_targetILNS1_3genE8ELNS1_11target_archE1030ELNS1_3gpuE2ELNS1_3repE0EEENS1_30default_config_static_selectorELNS0_4arch9wavefront6targetE0EEEvT1_
		.amdhsa_group_segment_fixed_size 0
		.amdhsa_private_segment_fixed_size 0
		.amdhsa_kernarg_size 112
		.amdhsa_user_sgpr_count 15
		.amdhsa_user_sgpr_dispatch_ptr 0
		.amdhsa_user_sgpr_queue_ptr 0
		.amdhsa_user_sgpr_kernarg_segment_ptr 1
		.amdhsa_user_sgpr_dispatch_id 0
		.amdhsa_user_sgpr_private_segment_size 0
		.amdhsa_wavefront_size32 1
		.amdhsa_uses_dynamic_stack 0
		.amdhsa_enable_private_segment 0
		.amdhsa_system_sgpr_workgroup_id_x 1
		.amdhsa_system_sgpr_workgroup_id_y 0
		.amdhsa_system_sgpr_workgroup_id_z 0
		.amdhsa_system_sgpr_workgroup_info 0
		.amdhsa_system_vgpr_workitem_id 0
		.amdhsa_next_free_vgpr 1
		.amdhsa_next_free_sgpr 1
		.amdhsa_reserve_vcc 0
		.amdhsa_float_round_mode_32 0
		.amdhsa_float_round_mode_16_64 0
		.amdhsa_float_denorm_mode_32 3
		.amdhsa_float_denorm_mode_16_64 3
		.amdhsa_dx10_clamp 1
		.amdhsa_ieee_mode 1
		.amdhsa_fp16_overflow 0
		.amdhsa_workgroup_processor_mode 1
		.amdhsa_memory_ordered 1
		.amdhsa_forward_progress 0
		.amdhsa_shared_vgpr_count 0
		.amdhsa_exception_fp_ieee_invalid_op 0
		.amdhsa_exception_fp_denorm_src 0
		.amdhsa_exception_fp_ieee_div_zero 0
		.amdhsa_exception_fp_ieee_overflow 0
		.amdhsa_exception_fp_ieee_underflow 0
		.amdhsa_exception_fp_ieee_inexact 0
		.amdhsa_exception_int_div_zero 0
	.end_amdhsa_kernel
	.section	.text._ZN7rocprim17ROCPRIM_400000_NS6detail17trampoline_kernelINS0_14default_configENS1_25partition_config_selectorILNS1_17partition_subalgoE6EsNS0_10empty_typeEbEEZZNS1_14partition_implILS5_6ELb0ES3_mN6thrust23THRUST_200600_302600_NS6detail15normal_iteratorINSA_10device_ptrIsEEEEPS6_SG_NS0_5tupleIJSF_S6_EEENSH_IJSG_SG_EEES6_PlJ7is_evenIsEEEE10hipError_tPvRmT3_T4_T5_T6_T7_T9_mT8_P12ihipStream_tbDpT10_ENKUlT_T0_E_clISt17integral_constantIbLb1EES15_IbLb0EEEEDaS11_S12_EUlS11_E_NS1_11comp_targetILNS1_3genE8ELNS1_11target_archE1030ELNS1_3gpuE2ELNS1_3repE0EEENS1_30default_config_static_selectorELNS0_4arch9wavefront6targetE0EEEvT1_,"axG",@progbits,_ZN7rocprim17ROCPRIM_400000_NS6detail17trampoline_kernelINS0_14default_configENS1_25partition_config_selectorILNS1_17partition_subalgoE6EsNS0_10empty_typeEbEEZZNS1_14partition_implILS5_6ELb0ES3_mN6thrust23THRUST_200600_302600_NS6detail15normal_iteratorINSA_10device_ptrIsEEEEPS6_SG_NS0_5tupleIJSF_S6_EEENSH_IJSG_SG_EEES6_PlJ7is_evenIsEEEE10hipError_tPvRmT3_T4_T5_T6_T7_T9_mT8_P12ihipStream_tbDpT10_ENKUlT_T0_E_clISt17integral_constantIbLb1EES15_IbLb0EEEEDaS11_S12_EUlS11_E_NS1_11comp_targetILNS1_3genE8ELNS1_11target_archE1030ELNS1_3gpuE2ELNS1_3repE0EEENS1_30default_config_static_selectorELNS0_4arch9wavefront6targetE0EEEvT1_,comdat
.Lfunc_end447:
	.size	_ZN7rocprim17ROCPRIM_400000_NS6detail17trampoline_kernelINS0_14default_configENS1_25partition_config_selectorILNS1_17partition_subalgoE6EsNS0_10empty_typeEbEEZZNS1_14partition_implILS5_6ELb0ES3_mN6thrust23THRUST_200600_302600_NS6detail15normal_iteratorINSA_10device_ptrIsEEEEPS6_SG_NS0_5tupleIJSF_S6_EEENSH_IJSG_SG_EEES6_PlJ7is_evenIsEEEE10hipError_tPvRmT3_T4_T5_T6_T7_T9_mT8_P12ihipStream_tbDpT10_ENKUlT_T0_E_clISt17integral_constantIbLb1EES15_IbLb0EEEEDaS11_S12_EUlS11_E_NS1_11comp_targetILNS1_3genE8ELNS1_11target_archE1030ELNS1_3gpuE2ELNS1_3repE0EEENS1_30default_config_static_selectorELNS0_4arch9wavefront6targetE0EEEvT1_, .Lfunc_end447-_ZN7rocprim17ROCPRIM_400000_NS6detail17trampoline_kernelINS0_14default_configENS1_25partition_config_selectorILNS1_17partition_subalgoE6EsNS0_10empty_typeEbEEZZNS1_14partition_implILS5_6ELb0ES3_mN6thrust23THRUST_200600_302600_NS6detail15normal_iteratorINSA_10device_ptrIsEEEEPS6_SG_NS0_5tupleIJSF_S6_EEENSH_IJSG_SG_EEES6_PlJ7is_evenIsEEEE10hipError_tPvRmT3_T4_T5_T6_T7_T9_mT8_P12ihipStream_tbDpT10_ENKUlT_T0_E_clISt17integral_constantIbLb1EES15_IbLb0EEEEDaS11_S12_EUlS11_E_NS1_11comp_targetILNS1_3genE8ELNS1_11target_archE1030ELNS1_3gpuE2ELNS1_3repE0EEENS1_30default_config_static_selectorELNS0_4arch9wavefront6targetE0EEEvT1_
                                        ; -- End function
	.section	.AMDGPU.csdata,"",@progbits
; Kernel info:
; codeLenInByte = 0
; NumSgprs: 0
; NumVgprs: 0
; ScratchSize: 0
; MemoryBound: 0
; FloatMode: 240
; IeeeMode: 1
; LDSByteSize: 0 bytes/workgroup (compile time only)
; SGPRBlocks: 0
; VGPRBlocks: 0
; NumSGPRsForWavesPerEU: 1
; NumVGPRsForWavesPerEU: 1
; Occupancy: 16
; WaveLimiterHint : 0
; COMPUTE_PGM_RSRC2:SCRATCH_EN: 0
; COMPUTE_PGM_RSRC2:USER_SGPR: 15
; COMPUTE_PGM_RSRC2:TRAP_HANDLER: 0
; COMPUTE_PGM_RSRC2:TGID_X_EN: 1
; COMPUTE_PGM_RSRC2:TGID_Y_EN: 0
; COMPUTE_PGM_RSRC2:TGID_Z_EN: 0
; COMPUTE_PGM_RSRC2:TIDIG_COMP_CNT: 0
	.section	.text._ZN7rocprim17ROCPRIM_400000_NS6detail17trampoline_kernelINS0_14default_configENS1_25partition_config_selectorILNS1_17partition_subalgoE6EsNS0_10empty_typeEbEEZZNS1_14partition_implILS5_6ELb0ES3_mN6thrust23THRUST_200600_302600_NS6detail15normal_iteratorINSA_10device_ptrIsEEEEPS6_SG_NS0_5tupleIJSF_S6_EEENSH_IJSG_SG_EEES6_PlJ7is_evenIsEEEE10hipError_tPvRmT3_T4_T5_T6_T7_T9_mT8_P12ihipStream_tbDpT10_ENKUlT_T0_E_clISt17integral_constantIbLb0EES15_IbLb1EEEEDaS11_S12_EUlS11_E_NS1_11comp_targetILNS1_3genE0ELNS1_11target_archE4294967295ELNS1_3gpuE0ELNS1_3repE0EEENS1_30default_config_static_selectorELNS0_4arch9wavefront6targetE0EEEvT1_,"axG",@progbits,_ZN7rocprim17ROCPRIM_400000_NS6detail17trampoline_kernelINS0_14default_configENS1_25partition_config_selectorILNS1_17partition_subalgoE6EsNS0_10empty_typeEbEEZZNS1_14partition_implILS5_6ELb0ES3_mN6thrust23THRUST_200600_302600_NS6detail15normal_iteratorINSA_10device_ptrIsEEEEPS6_SG_NS0_5tupleIJSF_S6_EEENSH_IJSG_SG_EEES6_PlJ7is_evenIsEEEE10hipError_tPvRmT3_T4_T5_T6_T7_T9_mT8_P12ihipStream_tbDpT10_ENKUlT_T0_E_clISt17integral_constantIbLb0EES15_IbLb1EEEEDaS11_S12_EUlS11_E_NS1_11comp_targetILNS1_3genE0ELNS1_11target_archE4294967295ELNS1_3gpuE0ELNS1_3repE0EEENS1_30default_config_static_selectorELNS0_4arch9wavefront6targetE0EEEvT1_,comdat
	.protected	_ZN7rocprim17ROCPRIM_400000_NS6detail17trampoline_kernelINS0_14default_configENS1_25partition_config_selectorILNS1_17partition_subalgoE6EsNS0_10empty_typeEbEEZZNS1_14partition_implILS5_6ELb0ES3_mN6thrust23THRUST_200600_302600_NS6detail15normal_iteratorINSA_10device_ptrIsEEEEPS6_SG_NS0_5tupleIJSF_S6_EEENSH_IJSG_SG_EEES6_PlJ7is_evenIsEEEE10hipError_tPvRmT3_T4_T5_T6_T7_T9_mT8_P12ihipStream_tbDpT10_ENKUlT_T0_E_clISt17integral_constantIbLb0EES15_IbLb1EEEEDaS11_S12_EUlS11_E_NS1_11comp_targetILNS1_3genE0ELNS1_11target_archE4294967295ELNS1_3gpuE0ELNS1_3repE0EEENS1_30default_config_static_selectorELNS0_4arch9wavefront6targetE0EEEvT1_ ; -- Begin function _ZN7rocprim17ROCPRIM_400000_NS6detail17trampoline_kernelINS0_14default_configENS1_25partition_config_selectorILNS1_17partition_subalgoE6EsNS0_10empty_typeEbEEZZNS1_14partition_implILS5_6ELb0ES3_mN6thrust23THRUST_200600_302600_NS6detail15normal_iteratorINSA_10device_ptrIsEEEEPS6_SG_NS0_5tupleIJSF_S6_EEENSH_IJSG_SG_EEES6_PlJ7is_evenIsEEEE10hipError_tPvRmT3_T4_T5_T6_T7_T9_mT8_P12ihipStream_tbDpT10_ENKUlT_T0_E_clISt17integral_constantIbLb0EES15_IbLb1EEEEDaS11_S12_EUlS11_E_NS1_11comp_targetILNS1_3genE0ELNS1_11target_archE4294967295ELNS1_3gpuE0ELNS1_3repE0EEENS1_30default_config_static_selectorELNS0_4arch9wavefront6targetE0EEEvT1_
	.globl	_ZN7rocprim17ROCPRIM_400000_NS6detail17trampoline_kernelINS0_14default_configENS1_25partition_config_selectorILNS1_17partition_subalgoE6EsNS0_10empty_typeEbEEZZNS1_14partition_implILS5_6ELb0ES3_mN6thrust23THRUST_200600_302600_NS6detail15normal_iteratorINSA_10device_ptrIsEEEEPS6_SG_NS0_5tupleIJSF_S6_EEENSH_IJSG_SG_EEES6_PlJ7is_evenIsEEEE10hipError_tPvRmT3_T4_T5_T6_T7_T9_mT8_P12ihipStream_tbDpT10_ENKUlT_T0_E_clISt17integral_constantIbLb0EES15_IbLb1EEEEDaS11_S12_EUlS11_E_NS1_11comp_targetILNS1_3genE0ELNS1_11target_archE4294967295ELNS1_3gpuE0ELNS1_3repE0EEENS1_30default_config_static_selectorELNS0_4arch9wavefront6targetE0EEEvT1_
	.p2align	8
	.type	_ZN7rocprim17ROCPRIM_400000_NS6detail17trampoline_kernelINS0_14default_configENS1_25partition_config_selectorILNS1_17partition_subalgoE6EsNS0_10empty_typeEbEEZZNS1_14partition_implILS5_6ELb0ES3_mN6thrust23THRUST_200600_302600_NS6detail15normal_iteratorINSA_10device_ptrIsEEEEPS6_SG_NS0_5tupleIJSF_S6_EEENSH_IJSG_SG_EEES6_PlJ7is_evenIsEEEE10hipError_tPvRmT3_T4_T5_T6_T7_T9_mT8_P12ihipStream_tbDpT10_ENKUlT_T0_E_clISt17integral_constantIbLb0EES15_IbLb1EEEEDaS11_S12_EUlS11_E_NS1_11comp_targetILNS1_3genE0ELNS1_11target_archE4294967295ELNS1_3gpuE0ELNS1_3repE0EEENS1_30default_config_static_selectorELNS0_4arch9wavefront6targetE0EEEvT1_,@function
_ZN7rocprim17ROCPRIM_400000_NS6detail17trampoline_kernelINS0_14default_configENS1_25partition_config_selectorILNS1_17partition_subalgoE6EsNS0_10empty_typeEbEEZZNS1_14partition_implILS5_6ELb0ES3_mN6thrust23THRUST_200600_302600_NS6detail15normal_iteratorINSA_10device_ptrIsEEEEPS6_SG_NS0_5tupleIJSF_S6_EEENSH_IJSG_SG_EEES6_PlJ7is_evenIsEEEE10hipError_tPvRmT3_T4_T5_T6_T7_T9_mT8_P12ihipStream_tbDpT10_ENKUlT_T0_E_clISt17integral_constantIbLb0EES15_IbLb1EEEEDaS11_S12_EUlS11_E_NS1_11comp_targetILNS1_3genE0ELNS1_11target_archE4294967295ELNS1_3gpuE0ELNS1_3repE0EEENS1_30default_config_static_selectorELNS0_4arch9wavefront6targetE0EEEvT1_: ; @_ZN7rocprim17ROCPRIM_400000_NS6detail17trampoline_kernelINS0_14default_configENS1_25partition_config_selectorILNS1_17partition_subalgoE6EsNS0_10empty_typeEbEEZZNS1_14partition_implILS5_6ELb0ES3_mN6thrust23THRUST_200600_302600_NS6detail15normal_iteratorINSA_10device_ptrIsEEEEPS6_SG_NS0_5tupleIJSF_S6_EEENSH_IJSG_SG_EEES6_PlJ7is_evenIsEEEE10hipError_tPvRmT3_T4_T5_T6_T7_T9_mT8_P12ihipStream_tbDpT10_ENKUlT_T0_E_clISt17integral_constantIbLb0EES15_IbLb1EEEEDaS11_S12_EUlS11_E_NS1_11comp_targetILNS1_3genE0ELNS1_11target_archE4294967295ELNS1_3gpuE0ELNS1_3repE0EEENS1_30default_config_static_selectorELNS0_4arch9wavefront6targetE0EEEvT1_
; %bb.0:
	.section	.rodata,"a",@progbits
	.p2align	6, 0x0
	.amdhsa_kernel _ZN7rocprim17ROCPRIM_400000_NS6detail17trampoline_kernelINS0_14default_configENS1_25partition_config_selectorILNS1_17partition_subalgoE6EsNS0_10empty_typeEbEEZZNS1_14partition_implILS5_6ELb0ES3_mN6thrust23THRUST_200600_302600_NS6detail15normal_iteratorINSA_10device_ptrIsEEEEPS6_SG_NS0_5tupleIJSF_S6_EEENSH_IJSG_SG_EEES6_PlJ7is_evenIsEEEE10hipError_tPvRmT3_T4_T5_T6_T7_T9_mT8_P12ihipStream_tbDpT10_ENKUlT_T0_E_clISt17integral_constantIbLb0EES15_IbLb1EEEEDaS11_S12_EUlS11_E_NS1_11comp_targetILNS1_3genE0ELNS1_11target_archE4294967295ELNS1_3gpuE0ELNS1_3repE0EEENS1_30default_config_static_selectorELNS0_4arch9wavefront6targetE0EEEvT1_
		.amdhsa_group_segment_fixed_size 0
		.amdhsa_private_segment_fixed_size 0
		.amdhsa_kernarg_size 128
		.amdhsa_user_sgpr_count 15
		.amdhsa_user_sgpr_dispatch_ptr 0
		.amdhsa_user_sgpr_queue_ptr 0
		.amdhsa_user_sgpr_kernarg_segment_ptr 1
		.amdhsa_user_sgpr_dispatch_id 0
		.amdhsa_user_sgpr_private_segment_size 0
		.amdhsa_wavefront_size32 1
		.amdhsa_uses_dynamic_stack 0
		.amdhsa_enable_private_segment 0
		.amdhsa_system_sgpr_workgroup_id_x 1
		.amdhsa_system_sgpr_workgroup_id_y 0
		.amdhsa_system_sgpr_workgroup_id_z 0
		.amdhsa_system_sgpr_workgroup_info 0
		.amdhsa_system_vgpr_workitem_id 0
		.amdhsa_next_free_vgpr 1
		.amdhsa_next_free_sgpr 1
		.amdhsa_reserve_vcc 0
		.amdhsa_float_round_mode_32 0
		.amdhsa_float_round_mode_16_64 0
		.amdhsa_float_denorm_mode_32 3
		.amdhsa_float_denorm_mode_16_64 3
		.amdhsa_dx10_clamp 1
		.amdhsa_ieee_mode 1
		.amdhsa_fp16_overflow 0
		.amdhsa_workgroup_processor_mode 1
		.amdhsa_memory_ordered 1
		.amdhsa_forward_progress 0
		.amdhsa_shared_vgpr_count 0
		.amdhsa_exception_fp_ieee_invalid_op 0
		.amdhsa_exception_fp_denorm_src 0
		.amdhsa_exception_fp_ieee_div_zero 0
		.amdhsa_exception_fp_ieee_overflow 0
		.amdhsa_exception_fp_ieee_underflow 0
		.amdhsa_exception_fp_ieee_inexact 0
		.amdhsa_exception_int_div_zero 0
	.end_amdhsa_kernel
	.section	.text._ZN7rocprim17ROCPRIM_400000_NS6detail17trampoline_kernelINS0_14default_configENS1_25partition_config_selectorILNS1_17partition_subalgoE6EsNS0_10empty_typeEbEEZZNS1_14partition_implILS5_6ELb0ES3_mN6thrust23THRUST_200600_302600_NS6detail15normal_iteratorINSA_10device_ptrIsEEEEPS6_SG_NS0_5tupleIJSF_S6_EEENSH_IJSG_SG_EEES6_PlJ7is_evenIsEEEE10hipError_tPvRmT3_T4_T5_T6_T7_T9_mT8_P12ihipStream_tbDpT10_ENKUlT_T0_E_clISt17integral_constantIbLb0EES15_IbLb1EEEEDaS11_S12_EUlS11_E_NS1_11comp_targetILNS1_3genE0ELNS1_11target_archE4294967295ELNS1_3gpuE0ELNS1_3repE0EEENS1_30default_config_static_selectorELNS0_4arch9wavefront6targetE0EEEvT1_,"axG",@progbits,_ZN7rocprim17ROCPRIM_400000_NS6detail17trampoline_kernelINS0_14default_configENS1_25partition_config_selectorILNS1_17partition_subalgoE6EsNS0_10empty_typeEbEEZZNS1_14partition_implILS5_6ELb0ES3_mN6thrust23THRUST_200600_302600_NS6detail15normal_iteratorINSA_10device_ptrIsEEEEPS6_SG_NS0_5tupleIJSF_S6_EEENSH_IJSG_SG_EEES6_PlJ7is_evenIsEEEE10hipError_tPvRmT3_T4_T5_T6_T7_T9_mT8_P12ihipStream_tbDpT10_ENKUlT_T0_E_clISt17integral_constantIbLb0EES15_IbLb1EEEEDaS11_S12_EUlS11_E_NS1_11comp_targetILNS1_3genE0ELNS1_11target_archE4294967295ELNS1_3gpuE0ELNS1_3repE0EEENS1_30default_config_static_selectorELNS0_4arch9wavefront6targetE0EEEvT1_,comdat
.Lfunc_end448:
	.size	_ZN7rocprim17ROCPRIM_400000_NS6detail17trampoline_kernelINS0_14default_configENS1_25partition_config_selectorILNS1_17partition_subalgoE6EsNS0_10empty_typeEbEEZZNS1_14partition_implILS5_6ELb0ES3_mN6thrust23THRUST_200600_302600_NS6detail15normal_iteratorINSA_10device_ptrIsEEEEPS6_SG_NS0_5tupleIJSF_S6_EEENSH_IJSG_SG_EEES6_PlJ7is_evenIsEEEE10hipError_tPvRmT3_T4_T5_T6_T7_T9_mT8_P12ihipStream_tbDpT10_ENKUlT_T0_E_clISt17integral_constantIbLb0EES15_IbLb1EEEEDaS11_S12_EUlS11_E_NS1_11comp_targetILNS1_3genE0ELNS1_11target_archE4294967295ELNS1_3gpuE0ELNS1_3repE0EEENS1_30default_config_static_selectorELNS0_4arch9wavefront6targetE0EEEvT1_, .Lfunc_end448-_ZN7rocprim17ROCPRIM_400000_NS6detail17trampoline_kernelINS0_14default_configENS1_25partition_config_selectorILNS1_17partition_subalgoE6EsNS0_10empty_typeEbEEZZNS1_14partition_implILS5_6ELb0ES3_mN6thrust23THRUST_200600_302600_NS6detail15normal_iteratorINSA_10device_ptrIsEEEEPS6_SG_NS0_5tupleIJSF_S6_EEENSH_IJSG_SG_EEES6_PlJ7is_evenIsEEEE10hipError_tPvRmT3_T4_T5_T6_T7_T9_mT8_P12ihipStream_tbDpT10_ENKUlT_T0_E_clISt17integral_constantIbLb0EES15_IbLb1EEEEDaS11_S12_EUlS11_E_NS1_11comp_targetILNS1_3genE0ELNS1_11target_archE4294967295ELNS1_3gpuE0ELNS1_3repE0EEENS1_30default_config_static_selectorELNS0_4arch9wavefront6targetE0EEEvT1_
                                        ; -- End function
	.section	.AMDGPU.csdata,"",@progbits
; Kernel info:
; codeLenInByte = 0
; NumSgprs: 0
; NumVgprs: 0
; ScratchSize: 0
; MemoryBound: 0
; FloatMode: 240
; IeeeMode: 1
; LDSByteSize: 0 bytes/workgroup (compile time only)
; SGPRBlocks: 0
; VGPRBlocks: 0
; NumSGPRsForWavesPerEU: 1
; NumVGPRsForWavesPerEU: 1
; Occupancy: 16
; WaveLimiterHint : 0
; COMPUTE_PGM_RSRC2:SCRATCH_EN: 0
; COMPUTE_PGM_RSRC2:USER_SGPR: 15
; COMPUTE_PGM_RSRC2:TRAP_HANDLER: 0
; COMPUTE_PGM_RSRC2:TGID_X_EN: 1
; COMPUTE_PGM_RSRC2:TGID_Y_EN: 0
; COMPUTE_PGM_RSRC2:TGID_Z_EN: 0
; COMPUTE_PGM_RSRC2:TIDIG_COMP_CNT: 0
	.section	.text._ZN7rocprim17ROCPRIM_400000_NS6detail17trampoline_kernelINS0_14default_configENS1_25partition_config_selectorILNS1_17partition_subalgoE6EsNS0_10empty_typeEbEEZZNS1_14partition_implILS5_6ELb0ES3_mN6thrust23THRUST_200600_302600_NS6detail15normal_iteratorINSA_10device_ptrIsEEEEPS6_SG_NS0_5tupleIJSF_S6_EEENSH_IJSG_SG_EEES6_PlJ7is_evenIsEEEE10hipError_tPvRmT3_T4_T5_T6_T7_T9_mT8_P12ihipStream_tbDpT10_ENKUlT_T0_E_clISt17integral_constantIbLb0EES15_IbLb1EEEEDaS11_S12_EUlS11_E_NS1_11comp_targetILNS1_3genE5ELNS1_11target_archE942ELNS1_3gpuE9ELNS1_3repE0EEENS1_30default_config_static_selectorELNS0_4arch9wavefront6targetE0EEEvT1_,"axG",@progbits,_ZN7rocprim17ROCPRIM_400000_NS6detail17trampoline_kernelINS0_14default_configENS1_25partition_config_selectorILNS1_17partition_subalgoE6EsNS0_10empty_typeEbEEZZNS1_14partition_implILS5_6ELb0ES3_mN6thrust23THRUST_200600_302600_NS6detail15normal_iteratorINSA_10device_ptrIsEEEEPS6_SG_NS0_5tupleIJSF_S6_EEENSH_IJSG_SG_EEES6_PlJ7is_evenIsEEEE10hipError_tPvRmT3_T4_T5_T6_T7_T9_mT8_P12ihipStream_tbDpT10_ENKUlT_T0_E_clISt17integral_constantIbLb0EES15_IbLb1EEEEDaS11_S12_EUlS11_E_NS1_11comp_targetILNS1_3genE5ELNS1_11target_archE942ELNS1_3gpuE9ELNS1_3repE0EEENS1_30default_config_static_selectorELNS0_4arch9wavefront6targetE0EEEvT1_,comdat
	.protected	_ZN7rocprim17ROCPRIM_400000_NS6detail17trampoline_kernelINS0_14default_configENS1_25partition_config_selectorILNS1_17partition_subalgoE6EsNS0_10empty_typeEbEEZZNS1_14partition_implILS5_6ELb0ES3_mN6thrust23THRUST_200600_302600_NS6detail15normal_iteratorINSA_10device_ptrIsEEEEPS6_SG_NS0_5tupleIJSF_S6_EEENSH_IJSG_SG_EEES6_PlJ7is_evenIsEEEE10hipError_tPvRmT3_T4_T5_T6_T7_T9_mT8_P12ihipStream_tbDpT10_ENKUlT_T0_E_clISt17integral_constantIbLb0EES15_IbLb1EEEEDaS11_S12_EUlS11_E_NS1_11comp_targetILNS1_3genE5ELNS1_11target_archE942ELNS1_3gpuE9ELNS1_3repE0EEENS1_30default_config_static_selectorELNS0_4arch9wavefront6targetE0EEEvT1_ ; -- Begin function _ZN7rocprim17ROCPRIM_400000_NS6detail17trampoline_kernelINS0_14default_configENS1_25partition_config_selectorILNS1_17partition_subalgoE6EsNS0_10empty_typeEbEEZZNS1_14partition_implILS5_6ELb0ES3_mN6thrust23THRUST_200600_302600_NS6detail15normal_iteratorINSA_10device_ptrIsEEEEPS6_SG_NS0_5tupleIJSF_S6_EEENSH_IJSG_SG_EEES6_PlJ7is_evenIsEEEE10hipError_tPvRmT3_T4_T5_T6_T7_T9_mT8_P12ihipStream_tbDpT10_ENKUlT_T0_E_clISt17integral_constantIbLb0EES15_IbLb1EEEEDaS11_S12_EUlS11_E_NS1_11comp_targetILNS1_3genE5ELNS1_11target_archE942ELNS1_3gpuE9ELNS1_3repE0EEENS1_30default_config_static_selectorELNS0_4arch9wavefront6targetE0EEEvT1_
	.globl	_ZN7rocprim17ROCPRIM_400000_NS6detail17trampoline_kernelINS0_14default_configENS1_25partition_config_selectorILNS1_17partition_subalgoE6EsNS0_10empty_typeEbEEZZNS1_14partition_implILS5_6ELb0ES3_mN6thrust23THRUST_200600_302600_NS6detail15normal_iteratorINSA_10device_ptrIsEEEEPS6_SG_NS0_5tupleIJSF_S6_EEENSH_IJSG_SG_EEES6_PlJ7is_evenIsEEEE10hipError_tPvRmT3_T4_T5_T6_T7_T9_mT8_P12ihipStream_tbDpT10_ENKUlT_T0_E_clISt17integral_constantIbLb0EES15_IbLb1EEEEDaS11_S12_EUlS11_E_NS1_11comp_targetILNS1_3genE5ELNS1_11target_archE942ELNS1_3gpuE9ELNS1_3repE0EEENS1_30default_config_static_selectorELNS0_4arch9wavefront6targetE0EEEvT1_
	.p2align	8
	.type	_ZN7rocprim17ROCPRIM_400000_NS6detail17trampoline_kernelINS0_14default_configENS1_25partition_config_selectorILNS1_17partition_subalgoE6EsNS0_10empty_typeEbEEZZNS1_14partition_implILS5_6ELb0ES3_mN6thrust23THRUST_200600_302600_NS6detail15normal_iteratorINSA_10device_ptrIsEEEEPS6_SG_NS0_5tupleIJSF_S6_EEENSH_IJSG_SG_EEES6_PlJ7is_evenIsEEEE10hipError_tPvRmT3_T4_T5_T6_T7_T9_mT8_P12ihipStream_tbDpT10_ENKUlT_T0_E_clISt17integral_constantIbLb0EES15_IbLb1EEEEDaS11_S12_EUlS11_E_NS1_11comp_targetILNS1_3genE5ELNS1_11target_archE942ELNS1_3gpuE9ELNS1_3repE0EEENS1_30default_config_static_selectorELNS0_4arch9wavefront6targetE0EEEvT1_,@function
_ZN7rocprim17ROCPRIM_400000_NS6detail17trampoline_kernelINS0_14default_configENS1_25partition_config_selectorILNS1_17partition_subalgoE6EsNS0_10empty_typeEbEEZZNS1_14partition_implILS5_6ELb0ES3_mN6thrust23THRUST_200600_302600_NS6detail15normal_iteratorINSA_10device_ptrIsEEEEPS6_SG_NS0_5tupleIJSF_S6_EEENSH_IJSG_SG_EEES6_PlJ7is_evenIsEEEE10hipError_tPvRmT3_T4_T5_T6_T7_T9_mT8_P12ihipStream_tbDpT10_ENKUlT_T0_E_clISt17integral_constantIbLb0EES15_IbLb1EEEEDaS11_S12_EUlS11_E_NS1_11comp_targetILNS1_3genE5ELNS1_11target_archE942ELNS1_3gpuE9ELNS1_3repE0EEENS1_30default_config_static_selectorELNS0_4arch9wavefront6targetE0EEEvT1_: ; @_ZN7rocprim17ROCPRIM_400000_NS6detail17trampoline_kernelINS0_14default_configENS1_25partition_config_selectorILNS1_17partition_subalgoE6EsNS0_10empty_typeEbEEZZNS1_14partition_implILS5_6ELb0ES3_mN6thrust23THRUST_200600_302600_NS6detail15normal_iteratorINSA_10device_ptrIsEEEEPS6_SG_NS0_5tupleIJSF_S6_EEENSH_IJSG_SG_EEES6_PlJ7is_evenIsEEEE10hipError_tPvRmT3_T4_T5_T6_T7_T9_mT8_P12ihipStream_tbDpT10_ENKUlT_T0_E_clISt17integral_constantIbLb0EES15_IbLb1EEEEDaS11_S12_EUlS11_E_NS1_11comp_targetILNS1_3genE5ELNS1_11target_archE942ELNS1_3gpuE9ELNS1_3repE0EEENS1_30default_config_static_selectorELNS0_4arch9wavefront6targetE0EEEvT1_
; %bb.0:
	.section	.rodata,"a",@progbits
	.p2align	6, 0x0
	.amdhsa_kernel _ZN7rocprim17ROCPRIM_400000_NS6detail17trampoline_kernelINS0_14default_configENS1_25partition_config_selectorILNS1_17partition_subalgoE6EsNS0_10empty_typeEbEEZZNS1_14partition_implILS5_6ELb0ES3_mN6thrust23THRUST_200600_302600_NS6detail15normal_iteratorINSA_10device_ptrIsEEEEPS6_SG_NS0_5tupleIJSF_S6_EEENSH_IJSG_SG_EEES6_PlJ7is_evenIsEEEE10hipError_tPvRmT3_T4_T5_T6_T7_T9_mT8_P12ihipStream_tbDpT10_ENKUlT_T0_E_clISt17integral_constantIbLb0EES15_IbLb1EEEEDaS11_S12_EUlS11_E_NS1_11comp_targetILNS1_3genE5ELNS1_11target_archE942ELNS1_3gpuE9ELNS1_3repE0EEENS1_30default_config_static_selectorELNS0_4arch9wavefront6targetE0EEEvT1_
		.amdhsa_group_segment_fixed_size 0
		.amdhsa_private_segment_fixed_size 0
		.amdhsa_kernarg_size 128
		.amdhsa_user_sgpr_count 15
		.amdhsa_user_sgpr_dispatch_ptr 0
		.amdhsa_user_sgpr_queue_ptr 0
		.amdhsa_user_sgpr_kernarg_segment_ptr 1
		.amdhsa_user_sgpr_dispatch_id 0
		.amdhsa_user_sgpr_private_segment_size 0
		.amdhsa_wavefront_size32 1
		.amdhsa_uses_dynamic_stack 0
		.amdhsa_enable_private_segment 0
		.amdhsa_system_sgpr_workgroup_id_x 1
		.amdhsa_system_sgpr_workgroup_id_y 0
		.amdhsa_system_sgpr_workgroup_id_z 0
		.amdhsa_system_sgpr_workgroup_info 0
		.amdhsa_system_vgpr_workitem_id 0
		.amdhsa_next_free_vgpr 1
		.amdhsa_next_free_sgpr 1
		.amdhsa_reserve_vcc 0
		.amdhsa_float_round_mode_32 0
		.amdhsa_float_round_mode_16_64 0
		.amdhsa_float_denorm_mode_32 3
		.amdhsa_float_denorm_mode_16_64 3
		.amdhsa_dx10_clamp 1
		.amdhsa_ieee_mode 1
		.amdhsa_fp16_overflow 0
		.amdhsa_workgroup_processor_mode 1
		.amdhsa_memory_ordered 1
		.amdhsa_forward_progress 0
		.amdhsa_shared_vgpr_count 0
		.amdhsa_exception_fp_ieee_invalid_op 0
		.amdhsa_exception_fp_denorm_src 0
		.amdhsa_exception_fp_ieee_div_zero 0
		.amdhsa_exception_fp_ieee_overflow 0
		.amdhsa_exception_fp_ieee_underflow 0
		.amdhsa_exception_fp_ieee_inexact 0
		.amdhsa_exception_int_div_zero 0
	.end_amdhsa_kernel
	.section	.text._ZN7rocprim17ROCPRIM_400000_NS6detail17trampoline_kernelINS0_14default_configENS1_25partition_config_selectorILNS1_17partition_subalgoE6EsNS0_10empty_typeEbEEZZNS1_14partition_implILS5_6ELb0ES3_mN6thrust23THRUST_200600_302600_NS6detail15normal_iteratorINSA_10device_ptrIsEEEEPS6_SG_NS0_5tupleIJSF_S6_EEENSH_IJSG_SG_EEES6_PlJ7is_evenIsEEEE10hipError_tPvRmT3_T4_T5_T6_T7_T9_mT8_P12ihipStream_tbDpT10_ENKUlT_T0_E_clISt17integral_constantIbLb0EES15_IbLb1EEEEDaS11_S12_EUlS11_E_NS1_11comp_targetILNS1_3genE5ELNS1_11target_archE942ELNS1_3gpuE9ELNS1_3repE0EEENS1_30default_config_static_selectorELNS0_4arch9wavefront6targetE0EEEvT1_,"axG",@progbits,_ZN7rocprim17ROCPRIM_400000_NS6detail17trampoline_kernelINS0_14default_configENS1_25partition_config_selectorILNS1_17partition_subalgoE6EsNS0_10empty_typeEbEEZZNS1_14partition_implILS5_6ELb0ES3_mN6thrust23THRUST_200600_302600_NS6detail15normal_iteratorINSA_10device_ptrIsEEEEPS6_SG_NS0_5tupleIJSF_S6_EEENSH_IJSG_SG_EEES6_PlJ7is_evenIsEEEE10hipError_tPvRmT3_T4_T5_T6_T7_T9_mT8_P12ihipStream_tbDpT10_ENKUlT_T0_E_clISt17integral_constantIbLb0EES15_IbLb1EEEEDaS11_S12_EUlS11_E_NS1_11comp_targetILNS1_3genE5ELNS1_11target_archE942ELNS1_3gpuE9ELNS1_3repE0EEENS1_30default_config_static_selectorELNS0_4arch9wavefront6targetE0EEEvT1_,comdat
.Lfunc_end449:
	.size	_ZN7rocprim17ROCPRIM_400000_NS6detail17trampoline_kernelINS0_14default_configENS1_25partition_config_selectorILNS1_17partition_subalgoE6EsNS0_10empty_typeEbEEZZNS1_14partition_implILS5_6ELb0ES3_mN6thrust23THRUST_200600_302600_NS6detail15normal_iteratorINSA_10device_ptrIsEEEEPS6_SG_NS0_5tupleIJSF_S6_EEENSH_IJSG_SG_EEES6_PlJ7is_evenIsEEEE10hipError_tPvRmT3_T4_T5_T6_T7_T9_mT8_P12ihipStream_tbDpT10_ENKUlT_T0_E_clISt17integral_constantIbLb0EES15_IbLb1EEEEDaS11_S12_EUlS11_E_NS1_11comp_targetILNS1_3genE5ELNS1_11target_archE942ELNS1_3gpuE9ELNS1_3repE0EEENS1_30default_config_static_selectorELNS0_4arch9wavefront6targetE0EEEvT1_, .Lfunc_end449-_ZN7rocprim17ROCPRIM_400000_NS6detail17trampoline_kernelINS0_14default_configENS1_25partition_config_selectorILNS1_17partition_subalgoE6EsNS0_10empty_typeEbEEZZNS1_14partition_implILS5_6ELb0ES3_mN6thrust23THRUST_200600_302600_NS6detail15normal_iteratorINSA_10device_ptrIsEEEEPS6_SG_NS0_5tupleIJSF_S6_EEENSH_IJSG_SG_EEES6_PlJ7is_evenIsEEEE10hipError_tPvRmT3_T4_T5_T6_T7_T9_mT8_P12ihipStream_tbDpT10_ENKUlT_T0_E_clISt17integral_constantIbLb0EES15_IbLb1EEEEDaS11_S12_EUlS11_E_NS1_11comp_targetILNS1_3genE5ELNS1_11target_archE942ELNS1_3gpuE9ELNS1_3repE0EEENS1_30default_config_static_selectorELNS0_4arch9wavefront6targetE0EEEvT1_
                                        ; -- End function
	.section	.AMDGPU.csdata,"",@progbits
; Kernel info:
; codeLenInByte = 0
; NumSgprs: 0
; NumVgprs: 0
; ScratchSize: 0
; MemoryBound: 0
; FloatMode: 240
; IeeeMode: 1
; LDSByteSize: 0 bytes/workgroup (compile time only)
; SGPRBlocks: 0
; VGPRBlocks: 0
; NumSGPRsForWavesPerEU: 1
; NumVGPRsForWavesPerEU: 1
; Occupancy: 16
; WaveLimiterHint : 0
; COMPUTE_PGM_RSRC2:SCRATCH_EN: 0
; COMPUTE_PGM_RSRC2:USER_SGPR: 15
; COMPUTE_PGM_RSRC2:TRAP_HANDLER: 0
; COMPUTE_PGM_RSRC2:TGID_X_EN: 1
; COMPUTE_PGM_RSRC2:TGID_Y_EN: 0
; COMPUTE_PGM_RSRC2:TGID_Z_EN: 0
; COMPUTE_PGM_RSRC2:TIDIG_COMP_CNT: 0
	.section	.text._ZN7rocprim17ROCPRIM_400000_NS6detail17trampoline_kernelINS0_14default_configENS1_25partition_config_selectorILNS1_17partition_subalgoE6EsNS0_10empty_typeEbEEZZNS1_14partition_implILS5_6ELb0ES3_mN6thrust23THRUST_200600_302600_NS6detail15normal_iteratorINSA_10device_ptrIsEEEEPS6_SG_NS0_5tupleIJSF_S6_EEENSH_IJSG_SG_EEES6_PlJ7is_evenIsEEEE10hipError_tPvRmT3_T4_T5_T6_T7_T9_mT8_P12ihipStream_tbDpT10_ENKUlT_T0_E_clISt17integral_constantIbLb0EES15_IbLb1EEEEDaS11_S12_EUlS11_E_NS1_11comp_targetILNS1_3genE4ELNS1_11target_archE910ELNS1_3gpuE8ELNS1_3repE0EEENS1_30default_config_static_selectorELNS0_4arch9wavefront6targetE0EEEvT1_,"axG",@progbits,_ZN7rocprim17ROCPRIM_400000_NS6detail17trampoline_kernelINS0_14default_configENS1_25partition_config_selectorILNS1_17partition_subalgoE6EsNS0_10empty_typeEbEEZZNS1_14partition_implILS5_6ELb0ES3_mN6thrust23THRUST_200600_302600_NS6detail15normal_iteratorINSA_10device_ptrIsEEEEPS6_SG_NS0_5tupleIJSF_S6_EEENSH_IJSG_SG_EEES6_PlJ7is_evenIsEEEE10hipError_tPvRmT3_T4_T5_T6_T7_T9_mT8_P12ihipStream_tbDpT10_ENKUlT_T0_E_clISt17integral_constantIbLb0EES15_IbLb1EEEEDaS11_S12_EUlS11_E_NS1_11comp_targetILNS1_3genE4ELNS1_11target_archE910ELNS1_3gpuE8ELNS1_3repE0EEENS1_30default_config_static_selectorELNS0_4arch9wavefront6targetE0EEEvT1_,comdat
	.protected	_ZN7rocprim17ROCPRIM_400000_NS6detail17trampoline_kernelINS0_14default_configENS1_25partition_config_selectorILNS1_17partition_subalgoE6EsNS0_10empty_typeEbEEZZNS1_14partition_implILS5_6ELb0ES3_mN6thrust23THRUST_200600_302600_NS6detail15normal_iteratorINSA_10device_ptrIsEEEEPS6_SG_NS0_5tupleIJSF_S6_EEENSH_IJSG_SG_EEES6_PlJ7is_evenIsEEEE10hipError_tPvRmT3_T4_T5_T6_T7_T9_mT8_P12ihipStream_tbDpT10_ENKUlT_T0_E_clISt17integral_constantIbLb0EES15_IbLb1EEEEDaS11_S12_EUlS11_E_NS1_11comp_targetILNS1_3genE4ELNS1_11target_archE910ELNS1_3gpuE8ELNS1_3repE0EEENS1_30default_config_static_selectorELNS0_4arch9wavefront6targetE0EEEvT1_ ; -- Begin function _ZN7rocprim17ROCPRIM_400000_NS6detail17trampoline_kernelINS0_14default_configENS1_25partition_config_selectorILNS1_17partition_subalgoE6EsNS0_10empty_typeEbEEZZNS1_14partition_implILS5_6ELb0ES3_mN6thrust23THRUST_200600_302600_NS6detail15normal_iteratorINSA_10device_ptrIsEEEEPS6_SG_NS0_5tupleIJSF_S6_EEENSH_IJSG_SG_EEES6_PlJ7is_evenIsEEEE10hipError_tPvRmT3_T4_T5_T6_T7_T9_mT8_P12ihipStream_tbDpT10_ENKUlT_T0_E_clISt17integral_constantIbLb0EES15_IbLb1EEEEDaS11_S12_EUlS11_E_NS1_11comp_targetILNS1_3genE4ELNS1_11target_archE910ELNS1_3gpuE8ELNS1_3repE0EEENS1_30default_config_static_selectorELNS0_4arch9wavefront6targetE0EEEvT1_
	.globl	_ZN7rocprim17ROCPRIM_400000_NS6detail17trampoline_kernelINS0_14default_configENS1_25partition_config_selectorILNS1_17partition_subalgoE6EsNS0_10empty_typeEbEEZZNS1_14partition_implILS5_6ELb0ES3_mN6thrust23THRUST_200600_302600_NS6detail15normal_iteratorINSA_10device_ptrIsEEEEPS6_SG_NS0_5tupleIJSF_S6_EEENSH_IJSG_SG_EEES6_PlJ7is_evenIsEEEE10hipError_tPvRmT3_T4_T5_T6_T7_T9_mT8_P12ihipStream_tbDpT10_ENKUlT_T0_E_clISt17integral_constantIbLb0EES15_IbLb1EEEEDaS11_S12_EUlS11_E_NS1_11comp_targetILNS1_3genE4ELNS1_11target_archE910ELNS1_3gpuE8ELNS1_3repE0EEENS1_30default_config_static_selectorELNS0_4arch9wavefront6targetE0EEEvT1_
	.p2align	8
	.type	_ZN7rocprim17ROCPRIM_400000_NS6detail17trampoline_kernelINS0_14default_configENS1_25partition_config_selectorILNS1_17partition_subalgoE6EsNS0_10empty_typeEbEEZZNS1_14partition_implILS5_6ELb0ES3_mN6thrust23THRUST_200600_302600_NS6detail15normal_iteratorINSA_10device_ptrIsEEEEPS6_SG_NS0_5tupleIJSF_S6_EEENSH_IJSG_SG_EEES6_PlJ7is_evenIsEEEE10hipError_tPvRmT3_T4_T5_T6_T7_T9_mT8_P12ihipStream_tbDpT10_ENKUlT_T0_E_clISt17integral_constantIbLb0EES15_IbLb1EEEEDaS11_S12_EUlS11_E_NS1_11comp_targetILNS1_3genE4ELNS1_11target_archE910ELNS1_3gpuE8ELNS1_3repE0EEENS1_30default_config_static_selectorELNS0_4arch9wavefront6targetE0EEEvT1_,@function
_ZN7rocprim17ROCPRIM_400000_NS6detail17trampoline_kernelINS0_14default_configENS1_25partition_config_selectorILNS1_17partition_subalgoE6EsNS0_10empty_typeEbEEZZNS1_14partition_implILS5_6ELb0ES3_mN6thrust23THRUST_200600_302600_NS6detail15normal_iteratorINSA_10device_ptrIsEEEEPS6_SG_NS0_5tupleIJSF_S6_EEENSH_IJSG_SG_EEES6_PlJ7is_evenIsEEEE10hipError_tPvRmT3_T4_T5_T6_T7_T9_mT8_P12ihipStream_tbDpT10_ENKUlT_T0_E_clISt17integral_constantIbLb0EES15_IbLb1EEEEDaS11_S12_EUlS11_E_NS1_11comp_targetILNS1_3genE4ELNS1_11target_archE910ELNS1_3gpuE8ELNS1_3repE0EEENS1_30default_config_static_selectorELNS0_4arch9wavefront6targetE0EEEvT1_: ; @_ZN7rocprim17ROCPRIM_400000_NS6detail17trampoline_kernelINS0_14default_configENS1_25partition_config_selectorILNS1_17partition_subalgoE6EsNS0_10empty_typeEbEEZZNS1_14partition_implILS5_6ELb0ES3_mN6thrust23THRUST_200600_302600_NS6detail15normal_iteratorINSA_10device_ptrIsEEEEPS6_SG_NS0_5tupleIJSF_S6_EEENSH_IJSG_SG_EEES6_PlJ7is_evenIsEEEE10hipError_tPvRmT3_T4_T5_T6_T7_T9_mT8_P12ihipStream_tbDpT10_ENKUlT_T0_E_clISt17integral_constantIbLb0EES15_IbLb1EEEEDaS11_S12_EUlS11_E_NS1_11comp_targetILNS1_3genE4ELNS1_11target_archE910ELNS1_3gpuE8ELNS1_3repE0EEENS1_30default_config_static_selectorELNS0_4arch9wavefront6targetE0EEEvT1_
; %bb.0:
	.section	.rodata,"a",@progbits
	.p2align	6, 0x0
	.amdhsa_kernel _ZN7rocprim17ROCPRIM_400000_NS6detail17trampoline_kernelINS0_14default_configENS1_25partition_config_selectorILNS1_17partition_subalgoE6EsNS0_10empty_typeEbEEZZNS1_14partition_implILS5_6ELb0ES3_mN6thrust23THRUST_200600_302600_NS6detail15normal_iteratorINSA_10device_ptrIsEEEEPS6_SG_NS0_5tupleIJSF_S6_EEENSH_IJSG_SG_EEES6_PlJ7is_evenIsEEEE10hipError_tPvRmT3_T4_T5_T6_T7_T9_mT8_P12ihipStream_tbDpT10_ENKUlT_T0_E_clISt17integral_constantIbLb0EES15_IbLb1EEEEDaS11_S12_EUlS11_E_NS1_11comp_targetILNS1_3genE4ELNS1_11target_archE910ELNS1_3gpuE8ELNS1_3repE0EEENS1_30default_config_static_selectorELNS0_4arch9wavefront6targetE0EEEvT1_
		.amdhsa_group_segment_fixed_size 0
		.amdhsa_private_segment_fixed_size 0
		.amdhsa_kernarg_size 128
		.amdhsa_user_sgpr_count 15
		.amdhsa_user_sgpr_dispatch_ptr 0
		.amdhsa_user_sgpr_queue_ptr 0
		.amdhsa_user_sgpr_kernarg_segment_ptr 1
		.amdhsa_user_sgpr_dispatch_id 0
		.amdhsa_user_sgpr_private_segment_size 0
		.amdhsa_wavefront_size32 1
		.amdhsa_uses_dynamic_stack 0
		.amdhsa_enable_private_segment 0
		.amdhsa_system_sgpr_workgroup_id_x 1
		.amdhsa_system_sgpr_workgroup_id_y 0
		.amdhsa_system_sgpr_workgroup_id_z 0
		.amdhsa_system_sgpr_workgroup_info 0
		.amdhsa_system_vgpr_workitem_id 0
		.amdhsa_next_free_vgpr 1
		.amdhsa_next_free_sgpr 1
		.amdhsa_reserve_vcc 0
		.amdhsa_float_round_mode_32 0
		.amdhsa_float_round_mode_16_64 0
		.amdhsa_float_denorm_mode_32 3
		.amdhsa_float_denorm_mode_16_64 3
		.amdhsa_dx10_clamp 1
		.amdhsa_ieee_mode 1
		.amdhsa_fp16_overflow 0
		.amdhsa_workgroup_processor_mode 1
		.amdhsa_memory_ordered 1
		.amdhsa_forward_progress 0
		.amdhsa_shared_vgpr_count 0
		.amdhsa_exception_fp_ieee_invalid_op 0
		.amdhsa_exception_fp_denorm_src 0
		.amdhsa_exception_fp_ieee_div_zero 0
		.amdhsa_exception_fp_ieee_overflow 0
		.amdhsa_exception_fp_ieee_underflow 0
		.amdhsa_exception_fp_ieee_inexact 0
		.amdhsa_exception_int_div_zero 0
	.end_amdhsa_kernel
	.section	.text._ZN7rocprim17ROCPRIM_400000_NS6detail17trampoline_kernelINS0_14default_configENS1_25partition_config_selectorILNS1_17partition_subalgoE6EsNS0_10empty_typeEbEEZZNS1_14partition_implILS5_6ELb0ES3_mN6thrust23THRUST_200600_302600_NS6detail15normal_iteratorINSA_10device_ptrIsEEEEPS6_SG_NS0_5tupleIJSF_S6_EEENSH_IJSG_SG_EEES6_PlJ7is_evenIsEEEE10hipError_tPvRmT3_T4_T5_T6_T7_T9_mT8_P12ihipStream_tbDpT10_ENKUlT_T0_E_clISt17integral_constantIbLb0EES15_IbLb1EEEEDaS11_S12_EUlS11_E_NS1_11comp_targetILNS1_3genE4ELNS1_11target_archE910ELNS1_3gpuE8ELNS1_3repE0EEENS1_30default_config_static_selectorELNS0_4arch9wavefront6targetE0EEEvT1_,"axG",@progbits,_ZN7rocprim17ROCPRIM_400000_NS6detail17trampoline_kernelINS0_14default_configENS1_25partition_config_selectorILNS1_17partition_subalgoE6EsNS0_10empty_typeEbEEZZNS1_14partition_implILS5_6ELb0ES3_mN6thrust23THRUST_200600_302600_NS6detail15normal_iteratorINSA_10device_ptrIsEEEEPS6_SG_NS0_5tupleIJSF_S6_EEENSH_IJSG_SG_EEES6_PlJ7is_evenIsEEEE10hipError_tPvRmT3_T4_T5_T6_T7_T9_mT8_P12ihipStream_tbDpT10_ENKUlT_T0_E_clISt17integral_constantIbLb0EES15_IbLb1EEEEDaS11_S12_EUlS11_E_NS1_11comp_targetILNS1_3genE4ELNS1_11target_archE910ELNS1_3gpuE8ELNS1_3repE0EEENS1_30default_config_static_selectorELNS0_4arch9wavefront6targetE0EEEvT1_,comdat
.Lfunc_end450:
	.size	_ZN7rocprim17ROCPRIM_400000_NS6detail17trampoline_kernelINS0_14default_configENS1_25partition_config_selectorILNS1_17partition_subalgoE6EsNS0_10empty_typeEbEEZZNS1_14partition_implILS5_6ELb0ES3_mN6thrust23THRUST_200600_302600_NS6detail15normal_iteratorINSA_10device_ptrIsEEEEPS6_SG_NS0_5tupleIJSF_S6_EEENSH_IJSG_SG_EEES6_PlJ7is_evenIsEEEE10hipError_tPvRmT3_T4_T5_T6_T7_T9_mT8_P12ihipStream_tbDpT10_ENKUlT_T0_E_clISt17integral_constantIbLb0EES15_IbLb1EEEEDaS11_S12_EUlS11_E_NS1_11comp_targetILNS1_3genE4ELNS1_11target_archE910ELNS1_3gpuE8ELNS1_3repE0EEENS1_30default_config_static_selectorELNS0_4arch9wavefront6targetE0EEEvT1_, .Lfunc_end450-_ZN7rocprim17ROCPRIM_400000_NS6detail17trampoline_kernelINS0_14default_configENS1_25partition_config_selectorILNS1_17partition_subalgoE6EsNS0_10empty_typeEbEEZZNS1_14partition_implILS5_6ELb0ES3_mN6thrust23THRUST_200600_302600_NS6detail15normal_iteratorINSA_10device_ptrIsEEEEPS6_SG_NS0_5tupleIJSF_S6_EEENSH_IJSG_SG_EEES6_PlJ7is_evenIsEEEE10hipError_tPvRmT3_T4_T5_T6_T7_T9_mT8_P12ihipStream_tbDpT10_ENKUlT_T0_E_clISt17integral_constantIbLb0EES15_IbLb1EEEEDaS11_S12_EUlS11_E_NS1_11comp_targetILNS1_3genE4ELNS1_11target_archE910ELNS1_3gpuE8ELNS1_3repE0EEENS1_30default_config_static_selectorELNS0_4arch9wavefront6targetE0EEEvT1_
                                        ; -- End function
	.section	.AMDGPU.csdata,"",@progbits
; Kernel info:
; codeLenInByte = 0
; NumSgprs: 0
; NumVgprs: 0
; ScratchSize: 0
; MemoryBound: 0
; FloatMode: 240
; IeeeMode: 1
; LDSByteSize: 0 bytes/workgroup (compile time only)
; SGPRBlocks: 0
; VGPRBlocks: 0
; NumSGPRsForWavesPerEU: 1
; NumVGPRsForWavesPerEU: 1
; Occupancy: 16
; WaveLimiterHint : 0
; COMPUTE_PGM_RSRC2:SCRATCH_EN: 0
; COMPUTE_PGM_RSRC2:USER_SGPR: 15
; COMPUTE_PGM_RSRC2:TRAP_HANDLER: 0
; COMPUTE_PGM_RSRC2:TGID_X_EN: 1
; COMPUTE_PGM_RSRC2:TGID_Y_EN: 0
; COMPUTE_PGM_RSRC2:TGID_Z_EN: 0
; COMPUTE_PGM_RSRC2:TIDIG_COMP_CNT: 0
	.section	.text._ZN7rocprim17ROCPRIM_400000_NS6detail17trampoline_kernelINS0_14default_configENS1_25partition_config_selectorILNS1_17partition_subalgoE6EsNS0_10empty_typeEbEEZZNS1_14partition_implILS5_6ELb0ES3_mN6thrust23THRUST_200600_302600_NS6detail15normal_iteratorINSA_10device_ptrIsEEEEPS6_SG_NS0_5tupleIJSF_S6_EEENSH_IJSG_SG_EEES6_PlJ7is_evenIsEEEE10hipError_tPvRmT3_T4_T5_T6_T7_T9_mT8_P12ihipStream_tbDpT10_ENKUlT_T0_E_clISt17integral_constantIbLb0EES15_IbLb1EEEEDaS11_S12_EUlS11_E_NS1_11comp_targetILNS1_3genE3ELNS1_11target_archE908ELNS1_3gpuE7ELNS1_3repE0EEENS1_30default_config_static_selectorELNS0_4arch9wavefront6targetE0EEEvT1_,"axG",@progbits,_ZN7rocprim17ROCPRIM_400000_NS6detail17trampoline_kernelINS0_14default_configENS1_25partition_config_selectorILNS1_17partition_subalgoE6EsNS0_10empty_typeEbEEZZNS1_14partition_implILS5_6ELb0ES3_mN6thrust23THRUST_200600_302600_NS6detail15normal_iteratorINSA_10device_ptrIsEEEEPS6_SG_NS0_5tupleIJSF_S6_EEENSH_IJSG_SG_EEES6_PlJ7is_evenIsEEEE10hipError_tPvRmT3_T4_T5_T6_T7_T9_mT8_P12ihipStream_tbDpT10_ENKUlT_T0_E_clISt17integral_constantIbLb0EES15_IbLb1EEEEDaS11_S12_EUlS11_E_NS1_11comp_targetILNS1_3genE3ELNS1_11target_archE908ELNS1_3gpuE7ELNS1_3repE0EEENS1_30default_config_static_selectorELNS0_4arch9wavefront6targetE0EEEvT1_,comdat
	.protected	_ZN7rocprim17ROCPRIM_400000_NS6detail17trampoline_kernelINS0_14default_configENS1_25partition_config_selectorILNS1_17partition_subalgoE6EsNS0_10empty_typeEbEEZZNS1_14partition_implILS5_6ELb0ES3_mN6thrust23THRUST_200600_302600_NS6detail15normal_iteratorINSA_10device_ptrIsEEEEPS6_SG_NS0_5tupleIJSF_S6_EEENSH_IJSG_SG_EEES6_PlJ7is_evenIsEEEE10hipError_tPvRmT3_T4_T5_T6_T7_T9_mT8_P12ihipStream_tbDpT10_ENKUlT_T0_E_clISt17integral_constantIbLb0EES15_IbLb1EEEEDaS11_S12_EUlS11_E_NS1_11comp_targetILNS1_3genE3ELNS1_11target_archE908ELNS1_3gpuE7ELNS1_3repE0EEENS1_30default_config_static_selectorELNS0_4arch9wavefront6targetE0EEEvT1_ ; -- Begin function _ZN7rocprim17ROCPRIM_400000_NS6detail17trampoline_kernelINS0_14default_configENS1_25partition_config_selectorILNS1_17partition_subalgoE6EsNS0_10empty_typeEbEEZZNS1_14partition_implILS5_6ELb0ES3_mN6thrust23THRUST_200600_302600_NS6detail15normal_iteratorINSA_10device_ptrIsEEEEPS6_SG_NS0_5tupleIJSF_S6_EEENSH_IJSG_SG_EEES6_PlJ7is_evenIsEEEE10hipError_tPvRmT3_T4_T5_T6_T7_T9_mT8_P12ihipStream_tbDpT10_ENKUlT_T0_E_clISt17integral_constantIbLb0EES15_IbLb1EEEEDaS11_S12_EUlS11_E_NS1_11comp_targetILNS1_3genE3ELNS1_11target_archE908ELNS1_3gpuE7ELNS1_3repE0EEENS1_30default_config_static_selectorELNS0_4arch9wavefront6targetE0EEEvT1_
	.globl	_ZN7rocprim17ROCPRIM_400000_NS6detail17trampoline_kernelINS0_14default_configENS1_25partition_config_selectorILNS1_17partition_subalgoE6EsNS0_10empty_typeEbEEZZNS1_14partition_implILS5_6ELb0ES3_mN6thrust23THRUST_200600_302600_NS6detail15normal_iteratorINSA_10device_ptrIsEEEEPS6_SG_NS0_5tupleIJSF_S6_EEENSH_IJSG_SG_EEES6_PlJ7is_evenIsEEEE10hipError_tPvRmT3_T4_T5_T6_T7_T9_mT8_P12ihipStream_tbDpT10_ENKUlT_T0_E_clISt17integral_constantIbLb0EES15_IbLb1EEEEDaS11_S12_EUlS11_E_NS1_11comp_targetILNS1_3genE3ELNS1_11target_archE908ELNS1_3gpuE7ELNS1_3repE0EEENS1_30default_config_static_selectorELNS0_4arch9wavefront6targetE0EEEvT1_
	.p2align	8
	.type	_ZN7rocprim17ROCPRIM_400000_NS6detail17trampoline_kernelINS0_14default_configENS1_25partition_config_selectorILNS1_17partition_subalgoE6EsNS0_10empty_typeEbEEZZNS1_14partition_implILS5_6ELb0ES3_mN6thrust23THRUST_200600_302600_NS6detail15normal_iteratorINSA_10device_ptrIsEEEEPS6_SG_NS0_5tupleIJSF_S6_EEENSH_IJSG_SG_EEES6_PlJ7is_evenIsEEEE10hipError_tPvRmT3_T4_T5_T6_T7_T9_mT8_P12ihipStream_tbDpT10_ENKUlT_T0_E_clISt17integral_constantIbLb0EES15_IbLb1EEEEDaS11_S12_EUlS11_E_NS1_11comp_targetILNS1_3genE3ELNS1_11target_archE908ELNS1_3gpuE7ELNS1_3repE0EEENS1_30default_config_static_selectorELNS0_4arch9wavefront6targetE0EEEvT1_,@function
_ZN7rocprim17ROCPRIM_400000_NS6detail17trampoline_kernelINS0_14default_configENS1_25partition_config_selectorILNS1_17partition_subalgoE6EsNS0_10empty_typeEbEEZZNS1_14partition_implILS5_6ELb0ES3_mN6thrust23THRUST_200600_302600_NS6detail15normal_iteratorINSA_10device_ptrIsEEEEPS6_SG_NS0_5tupleIJSF_S6_EEENSH_IJSG_SG_EEES6_PlJ7is_evenIsEEEE10hipError_tPvRmT3_T4_T5_T6_T7_T9_mT8_P12ihipStream_tbDpT10_ENKUlT_T0_E_clISt17integral_constantIbLb0EES15_IbLb1EEEEDaS11_S12_EUlS11_E_NS1_11comp_targetILNS1_3genE3ELNS1_11target_archE908ELNS1_3gpuE7ELNS1_3repE0EEENS1_30default_config_static_selectorELNS0_4arch9wavefront6targetE0EEEvT1_: ; @_ZN7rocprim17ROCPRIM_400000_NS6detail17trampoline_kernelINS0_14default_configENS1_25partition_config_selectorILNS1_17partition_subalgoE6EsNS0_10empty_typeEbEEZZNS1_14partition_implILS5_6ELb0ES3_mN6thrust23THRUST_200600_302600_NS6detail15normal_iteratorINSA_10device_ptrIsEEEEPS6_SG_NS0_5tupleIJSF_S6_EEENSH_IJSG_SG_EEES6_PlJ7is_evenIsEEEE10hipError_tPvRmT3_T4_T5_T6_T7_T9_mT8_P12ihipStream_tbDpT10_ENKUlT_T0_E_clISt17integral_constantIbLb0EES15_IbLb1EEEEDaS11_S12_EUlS11_E_NS1_11comp_targetILNS1_3genE3ELNS1_11target_archE908ELNS1_3gpuE7ELNS1_3repE0EEENS1_30default_config_static_selectorELNS0_4arch9wavefront6targetE0EEEvT1_
; %bb.0:
	.section	.rodata,"a",@progbits
	.p2align	6, 0x0
	.amdhsa_kernel _ZN7rocprim17ROCPRIM_400000_NS6detail17trampoline_kernelINS0_14default_configENS1_25partition_config_selectorILNS1_17partition_subalgoE6EsNS0_10empty_typeEbEEZZNS1_14partition_implILS5_6ELb0ES3_mN6thrust23THRUST_200600_302600_NS6detail15normal_iteratorINSA_10device_ptrIsEEEEPS6_SG_NS0_5tupleIJSF_S6_EEENSH_IJSG_SG_EEES6_PlJ7is_evenIsEEEE10hipError_tPvRmT3_T4_T5_T6_T7_T9_mT8_P12ihipStream_tbDpT10_ENKUlT_T0_E_clISt17integral_constantIbLb0EES15_IbLb1EEEEDaS11_S12_EUlS11_E_NS1_11comp_targetILNS1_3genE3ELNS1_11target_archE908ELNS1_3gpuE7ELNS1_3repE0EEENS1_30default_config_static_selectorELNS0_4arch9wavefront6targetE0EEEvT1_
		.amdhsa_group_segment_fixed_size 0
		.amdhsa_private_segment_fixed_size 0
		.amdhsa_kernarg_size 128
		.amdhsa_user_sgpr_count 15
		.amdhsa_user_sgpr_dispatch_ptr 0
		.amdhsa_user_sgpr_queue_ptr 0
		.amdhsa_user_sgpr_kernarg_segment_ptr 1
		.amdhsa_user_sgpr_dispatch_id 0
		.amdhsa_user_sgpr_private_segment_size 0
		.amdhsa_wavefront_size32 1
		.amdhsa_uses_dynamic_stack 0
		.amdhsa_enable_private_segment 0
		.amdhsa_system_sgpr_workgroup_id_x 1
		.amdhsa_system_sgpr_workgroup_id_y 0
		.amdhsa_system_sgpr_workgroup_id_z 0
		.amdhsa_system_sgpr_workgroup_info 0
		.amdhsa_system_vgpr_workitem_id 0
		.amdhsa_next_free_vgpr 1
		.amdhsa_next_free_sgpr 1
		.amdhsa_reserve_vcc 0
		.amdhsa_float_round_mode_32 0
		.amdhsa_float_round_mode_16_64 0
		.amdhsa_float_denorm_mode_32 3
		.amdhsa_float_denorm_mode_16_64 3
		.amdhsa_dx10_clamp 1
		.amdhsa_ieee_mode 1
		.amdhsa_fp16_overflow 0
		.amdhsa_workgroup_processor_mode 1
		.amdhsa_memory_ordered 1
		.amdhsa_forward_progress 0
		.amdhsa_shared_vgpr_count 0
		.amdhsa_exception_fp_ieee_invalid_op 0
		.amdhsa_exception_fp_denorm_src 0
		.amdhsa_exception_fp_ieee_div_zero 0
		.amdhsa_exception_fp_ieee_overflow 0
		.amdhsa_exception_fp_ieee_underflow 0
		.amdhsa_exception_fp_ieee_inexact 0
		.amdhsa_exception_int_div_zero 0
	.end_amdhsa_kernel
	.section	.text._ZN7rocprim17ROCPRIM_400000_NS6detail17trampoline_kernelINS0_14default_configENS1_25partition_config_selectorILNS1_17partition_subalgoE6EsNS0_10empty_typeEbEEZZNS1_14partition_implILS5_6ELb0ES3_mN6thrust23THRUST_200600_302600_NS6detail15normal_iteratorINSA_10device_ptrIsEEEEPS6_SG_NS0_5tupleIJSF_S6_EEENSH_IJSG_SG_EEES6_PlJ7is_evenIsEEEE10hipError_tPvRmT3_T4_T5_T6_T7_T9_mT8_P12ihipStream_tbDpT10_ENKUlT_T0_E_clISt17integral_constantIbLb0EES15_IbLb1EEEEDaS11_S12_EUlS11_E_NS1_11comp_targetILNS1_3genE3ELNS1_11target_archE908ELNS1_3gpuE7ELNS1_3repE0EEENS1_30default_config_static_selectorELNS0_4arch9wavefront6targetE0EEEvT1_,"axG",@progbits,_ZN7rocprim17ROCPRIM_400000_NS6detail17trampoline_kernelINS0_14default_configENS1_25partition_config_selectorILNS1_17partition_subalgoE6EsNS0_10empty_typeEbEEZZNS1_14partition_implILS5_6ELb0ES3_mN6thrust23THRUST_200600_302600_NS6detail15normal_iteratorINSA_10device_ptrIsEEEEPS6_SG_NS0_5tupleIJSF_S6_EEENSH_IJSG_SG_EEES6_PlJ7is_evenIsEEEE10hipError_tPvRmT3_T4_T5_T6_T7_T9_mT8_P12ihipStream_tbDpT10_ENKUlT_T0_E_clISt17integral_constantIbLb0EES15_IbLb1EEEEDaS11_S12_EUlS11_E_NS1_11comp_targetILNS1_3genE3ELNS1_11target_archE908ELNS1_3gpuE7ELNS1_3repE0EEENS1_30default_config_static_selectorELNS0_4arch9wavefront6targetE0EEEvT1_,comdat
.Lfunc_end451:
	.size	_ZN7rocprim17ROCPRIM_400000_NS6detail17trampoline_kernelINS0_14default_configENS1_25partition_config_selectorILNS1_17partition_subalgoE6EsNS0_10empty_typeEbEEZZNS1_14partition_implILS5_6ELb0ES3_mN6thrust23THRUST_200600_302600_NS6detail15normal_iteratorINSA_10device_ptrIsEEEEPS6_SG_NS0_5tupleIJSF_S6_EEENSH_IJSG_SG_EEES6_PlJ7is_evenIsEEEE10hipError_tPvRmT3_T4_T5_T6_T7_T9_mT8_P12ihipStream_tbDpT10_ENKUlT_T0_E_clISt17integral_constantIbLb0EES15_IbLb1EEEEDaS11_S12_EUlS11_E_NS1_11comp_targetILNS1_3genE3ELNS1_11target_archE908ELNS1_3gpuE7ELNS1_3repE0EEENS1_30default_config_static_selectorELNS0_4arch9wavefront6targetE0EEEvT1_, .Lfunc_end451-_ZN7rocprim17ROCPRIM_400000_NS6detail17trampoline_kernelINS0_14default_configENS1_25partition_config_selectorILNS1_17partition_subalgoE6EsNS0_10empty_typeEbEEZZNS1_14partition_implILS5_6ELb0ES3_mN6thrust23THRUST_200600_302600_NS6detail15normal_iteratorINSA_10device_ptrIsEEEEPS6_SG_NS0_5tupleIJSF_S6_EEENSH_IJSG_SG_EEES6_PlJ7is_evenIsEEEE10hipError_tPvRmT3_T4_T5_T6_T7_T9_mT8_P12ihipStream_tbDpT10_ENKUlT_T0_E_clISt17integral_constantIbLb0EES15_IbLb1EEEEDaS11_S12_EUlS11_E_NS1_11comp_targetILNS1_3genE3ELNS1_11target_archE908ELNS1_3gpuE7ELNS1_3repE0EEENS1_30default_config_static_selectorELNS0_4arch9wavefront6targetE0EEEvT1_
                                        ; -- End function
	.section	.AMDGPU.csdata,"",@progbits
; Kernel info:
; codeLenInByte = 0
; NumSgprs: 0
; NumVgprs: 0
; ScratchSize: 0
; MemoryBound: 0
; FloatMode: 240
; IeeeMode: 1
; LDSByteSize: 0 bytes/workgroup (compile time only)
; SGPRBlocks: 0
; VGPRBlocks: 0
; NumSGPRsForWavesPerEU: 1
; NumVGPRsForWavesPerEU: 1
; Occupancy: 16
; WaveLimiterHint : 0
; COMPUTE_PGM_RSRC2:SCRATCH_EN: 0
; COMPUTE_PGM_RSRC2:USER_SGPR: 15
; COMPUTE_PGM_RSRC2:TRAP_HANDLER: 0
; COMPUTE_PGM_RSRC2:TGID_X_EN: 1
; COMPUTE_PGM_RSRC2:TGID_Y_EN: 0
; COMPUTE_PGM_RSRC2:TGID_Z_EN: 0
; COMPUTE_PGM_RSRC2:TIDIG_COMP_CNT: 0
	.section	.text._ZN7rocprim17ROCPRIM_400000_NS6detail17trampoline_kernelINS0_14default_configENS1_25partition_config_selectorILNS1_17partition_subalgoE6EsNS0_10empty_typeEbEEZZNS1_14partition_implILS5_6ELb0ES3_mN6thrust23THRUST_200600_302600_NS6detail15normal_iteratorINSA_10device_ptrIsEEEEPS6_SG_NS0_5tupleIJSF_S6_EEENSH_IJSG_SG_EEES6_PlJ7is_evenIsEEEE10hipError_tPvRmT3_T4_T5_T6_T7_T9_mT8_P12ihipStream_tbDpT10_ENKUlT_T0_E_clISt17integral_constantIbLb0EES15_IbLb1EEEEDaS11_S12_EUlS11_E_NS1_11comp_targetILNS1_3genE2ELNS1_11target_archE906ELNS1_3gpuE6ELNS1_3repE0EEENS1_30default_config_static_selectorELNS0_4arch9wavefront6targetE0EEEvT1_,"axG",@progbits,_ZN7rocprim17ROCPRIM_400000_NS6detail17trampoline_kernelINS0_14default_configENS1_25partition_config_selectorILNS1_17partition_subalgoE6EsNS0_10empty_typeEbEEZZNS1_14partition_implILS5_6ELb0ES3_mN6thrust23THRUST_200600_302600_NS6detail15normal_iteratorINSA_10device_ptrIsEEEEPS6_SG_NS0_5tupleIJSF_S6_EEENSH_IJSG_SG_EEES6_PlJ7is_evenIsEEEE10hipError_tPvRmT3_T4_T5_T6_T7_T9_mT8_P12ihipStream_tbDpT10_ENKUlT_T0_E_clISt17integral_constantIbLb0EES15_IbLb1EEEEDaS11_S12_EUlS11_E_NS1_11comp_targetILNS1_3genE2ELNS1_11target_archE906ELNS1_3gpuE6ELNS1_3repE0EEENS1_30default_config_static_selectorELNS0_4arch9wavefront6targetE0EEEvT1_,comdat
	.protected	_ZN7rocprim17ROCPRIM_400000_NS6detail17trampoline_kernelINS0_14default_configENS1_25partition_config_selectorILNS1_17partition_subalgoE6EsNS0_10empty_typeEbEEZZNS1_14partition_implILS5_6ELb0ES3_mN6thrust23THRUST_200600_302600_NS6detail15normal_iteratorINSA_10device_ptrIsEEEEPS6_SG_NS0_5tupleIJSF_S6_EEENSH_IJSG_SG_EEES6_PlJ7is_evenIsEEEE10hipError_tPvRmT3_T4_T5_T6_T7_T9_mT8_P12ihipStream_tbDpT10_ENKUlT_T0_E_clISt17integral_constantIbLb0EES15_IbLb1EEEEDaS11_S12_EUlS11_E_NS1_11comp_targetILNS1_3genE2ELNS1_11target_archE906ELNS1_3gpuE6ELNS1_3repE0EEENS1_30default_config_static_selectorELNS0_4arch9wavefront6targetE0EEEvT1_ ; -- Begin function _ZN7rocprim17ROCPRIM_400000_NS6detail17trampoline_kernelINS0_14default_configENS1_25partition_config_selectorILNS1_17partition_subalgoE6EsNS0_10empty_typeEbEEZZNS1_14partition_implILS5_6ELb0ES3_mN6thrust23THRUST_200600_302600_NS6detail15normal_iteratorINSA_10device_ptrIsEEEEPS6_SG_NS0_5tupleIJSF_S6_EEENSH_IJSG_SG_EEES6_PlJ7is_evenIsEEEE10hipError_tPvRmT3_T4_T5_T6_T7_T9_mT8_P12ihipStream_tbDpT10_ENKUlT_T0_E_clISt17integral_constantIbLb0EES15_IbLb1EEEEDaS11_S12_EUlS11_E_NS1_11comp_targetILNS1_3genE2ELNS1_11target_archE906ELNS1_3gpuE6ELNS1_3repE0EEENS1_30default_config_static_selectorELNS0_4arch9wavefront6targetE0EEEvT1_
	.globl	_ZN7rocprim17ROCPRIM_400000_NS6detail17trampoline_kernelINS0_14default_configENS1_25partition_config_selectorILNS1_17partition_subalgoE6EsNS0_10empty_typeEbEEZZNS1_14partition_implILS5_6ELb0ES3_mN6thrust23THRUST_200600_302600_NS6detail15normal_iteratorINSA_10device_ptrIsEEEEPS6_SG_NS0_5tupleIJSF_S6_EEENSH_IJSG_SG_EEES6_PlJ7is_evenIsEEEE10hipError_tPvRmT3_T4_T5_T6_T7_T9_mT8_P12ihipStream_tbDpT10_ENKUlT_T0_E_clISt17integral_constantIbLb0EES15_IbLb1EEEEDaS11_S12_EUlS11_E_NS1_11comp_targetILNS1_3genE2ELNS1_11target_archE906ELNS1_3gpuE6ELNS1_3repE0EEENS1_30default_config_static_selectorELNS0_4arch9wavefront6targetE0EEEvT1_
	.p2align	8
	.type	_ZN7rocprim17ROCPRIM_400000_NS6detail17trampoline_kernelINS0_14default_configENS1_25partition_config_selectorILNS1_17partition_subalgoE6EsNS0_10empty_typeEbEEZZNS1_14partition_implILS5_6ELb0ES3_mN6thrust23THRUST_200600_302600_NS6detail15normal_iteratorINSA_10device_ptrIsEEEEPS6_SG_NS0_5tupleIJSF_S6_EEENSH_IJSG_SG_EEES6_PlJ7is_evenIsEEEE10hipError_tPvRmT3_T4_T5_T6_T7_T9_mT8_P12ihipStream_tbDpT10_ENKUlT_T0_E_clISt17integral_constantIbLb0EES15_IbLb1EEEEDaS11_S12_EUlS11_E_NS1_11comp_targetILNS1_3genE2ELNS1_11target_archE906ELNS1_3gpuE6ELNS1_3repE0EEENS1_30default_config_static_selectorELNS0_4arch9wavefront6targetE0EEEvT1_,@function
_ZN7rocprim17ROCPRIM_400000_NS6detail17trampoline_kernelINS0_14default_configENS1_25partition_config_selectorILNS1_17partition_subalgoE6EsNS0_10empty_typeEbEEZZNS1_14partition_implILS5_6ELb0ES3_mN6thrust23THRUST_200600_302600_NS6detail15normal_iteratorINSA_10device_ptrIsEEEEPS6_SG_NS0_5tupleIJSF_S6_EEENSH_IJSG_SG_EEES6_PlJ7is_evenIsEEEE10hipError_tPvRmT3_T4_T5_T6_T7_T9_mT8_P12ihipStream_tbDpT10_ENKUlT_T0_E_clISt17integral_constantIbLb0EES15_IbLb1EEEEDaS11_S12_EUlS11_E_NS1_11comp_targetILNS1_3genE2ELNS1_11target_archE906ELNS1_3gpuE6ELNS1_3repE0EEENS1_30default_config_static_selectorELNS0_4arch9wavefront6targetE0EEEvT1_: ; @_ZN7rocprim17ROCPRIM_400000_NS6detail17trampoline_kernelINS0_14default_configENS1_25partition_config_selectorILNS1_17partition_subalgoE6EsNS0_10empty_typeEbEEZZNS1_14partition_implILS5_6ELb0ES3_mN6thrust23THRUST_200600_302600_NS6detail15normal_iteratorINSA_10device_ptrIsEEEEPS6_SG_NS0_5tupleIJSF_S6_EEENSH_IJSG_SG_EEES6_PlJ7is_evenIsEEEE10hipError_tPvRmT3_T4_T5_T6_T7_T9_mT8_P12ihipStream_tbDpT10_ENKUlT_T0_E_clISt17integral_constantIbLb0EES15_IbLb1EEEEDaS11_S12_EUlS11_E_NS1_11comp_targetILNS1_3genE2ELNS1_11target_archE906ELNS1_3gpuE6ELNS1_3repE0EEENS1_30default_config_static_selectorELNS0_4arch9wavefront6targetE0EEEvT1_
; %bb.0:
	.section	.rodata,"a",@progbits
	.p2align	6, 0x0
	.amdhsa_kernel _ZN7rocprim17ROCPRIM_400000_NS6detail17trampoline_kernelINS0_14default_configENS1_25partition_config_selectorILNS1_17partition_subalgoE6EsNS0_10empty_typeEbEEZZNS1_14partition_implILS5_6ELb0ES3_mN6thrust23THRUST_200600_302600_NS6detail15normal_iteratorINSA_10device_ptrIsEEEEPS6_SG_NS0_5tupleIJSF_S6_EEENSH_IJSG_SG_EEES6_PlJ7is_evenIsEEEE10hipError_tPvRmT3_T4_T5_T6_T7_T9_mT8_P12ihipStream_tbDpT10_ENKUlT_T0_E_clISt17integral_constantIbLb0EES15_IbLb1EEEEDaS11_S12_EUlS11_E_NS1_11comp_targetILNS1_3genE2ELNS1_11target_archE906ELNS1_3gpuE6ELNS1_3repE0EEENS1_30default_config_static_selectorELNS0_4arch9wavefront6targetE0EEEvT1_
		.amdhsa_group_segment_fixed_size 0
		.amdhsa_private_segment_fixed_size 0
		.amdhsa_kernarg_size 128
		.amdhsa_user_sgpr_count 15
		.amdhsa_user_sgpr_dispatch_ptr 0
		.amdhsa_user_sgpr_queue_ptr 0
		.amdhsa_user_sgpr_kernarg_segment_ptr 1
		.amdhsa_user_sgpr_dispatch_id 0
		.amdhsa_user_sgpr_private_segment_size 0
		.amdhsa_wavefront_size32 1
		.amdhsa_uses_dynamic_stack 0
		.amdhsa_enable_private_segment 0
		.amdhsa_system_sgpr_workgroup_id_x 1
		.amdhsa_system_sgpr_workgroup_id_y 0
		.amdhsa_system_sgpr_workgroup_id_z 0
		.amdhsa_system_sgpr_workgroup_info 0
		.amdhsa_system_vgpr_workitem_id 0
		.amdhsa_next_free_vgpr 1
		.amdhsa_next_free_sgpr 1
		.amdhsa_reserve_vcc 0
		.amdhsa_float_round_mode_32 0
		.amdhsa_float_round_mode_16_64 0
		.amdhsa_float_denorm_mode_32 3
		.amdhsa_float_denorm_mode_16_64 3
		.amdhsa_dx10_clamp 1
		.amdhsa_ieee_mode 1
		.amdhsa_fp16_overflow 0
		.amdhsa_workgroup_processor_mode 1
		.amdhsa_memory_ordered 1
		.amdhsa_forward_progress 0
		.amdhsa_shared_vgpr_count 0
		.amdhsa_exception_fp_ieee_invalid_op 0
		.amdhsa_exception_fp_denorm_src 0
		.amdhsa_exception_fp_ieee_div_zero 0
		.amdhsa_exception_fp_ieee_overflow 0
		.amdhsa_exception_fp_ieee_underflow 0
		.amdhsa_exception_fp_ieee_inexact 0
		.amdhsa_exception_int_div_zero 0
	.end_amdhsa_kernel
	.section	.text._ZN7rocprim17ROCPRIM_400000_NS6detail17trampoline_kernelINS0_14default_configENS1_25partition_config_selectorILNS1_17partition_subalgoE6EsNS0_10empty_typeEbEEZZNS1_14partition_implILS5_6ELb0ES3_mN6thrust23THRUST_200600_302600_NS6detail15normal_iteratorINSA_10device_ptrIsEEEEPS6_SG_NS0_5tupleIJSF_S6_EEENSH_IJSG_SG_EEES6_PlJ7is_evenIsEEEE10hipError_tPvRmT3_T4_T5_T6_T7_T9_mT8_P12ihipStream_tbDpT10_ENKUlT_T0_E_clISt17integral_constantIbLb0EES15_IbLb1EEEEDaS11_S12_EUlS11_E_NS1_11comp_targetILNS1_3genE2ELNS1_11target_archE906ELNS1_3gpuE6ELNS1_3repE0EEENS1_30default_config_static_selectorELNS0_4arch9wavefront6targetE0EEEvT1_,"axG",@progbits,_ZN7rocprim17ROCPRIM_400000_NS6detail17trampoline_kernelINS0_14default_configENS1_25partition_config_selectorILNS1_17partition_subalgoE6EsNS0_10empty_typeEbEEZZNS1_14partition_implILS5_6ELb0ES3_mN6thrust23THRUST_200600_302600_NS6detail15normal_iteratorINSA_10device_ptrIsEEEEPS6_SG_NS0_5tupleIJSF_S6_EEENSH_IJSG_SG_EEES6_PlJ7is_evenIsEEEE10hipError_tPvRmT3_T4_T5_T6_T7_T9_mT8_P12ihipStream_tbDpT10_ENKUlT_T0_E_clISt17integral_constantIbLb0EES15_IbLb1EEEEDaS11_S12_EUlS11_E_NS1_11comp_targetILNS1_3genE2ELNS1_11target_archE906ELNS1_3gpuE6ELNS1_3repE0EEENS1_30default_config_static_selectorELNS0_4arch9wavefront6targetE0EEEvT1_,comdat
.Lfunc_end452:
	.size	_ZN7rocprim17ROCPRIM_400000_NS6detail17trampoline_kernelINS0_14default_configENS1_25partition_config_selectorILNS1_17partition_subalgoE6EsNS0_10empty_typeEbEEZZNS1_14partition_implILS5_6ELb0ES3_mN6thrust23THRUST_200600_302600_NS6detail15normal_iteratorINSA_10device_ptrIsEEEEPS6_SG_NS0_5tupleIJSF_S6_EEENSH_IJSG_SG_EEES6_PlJ7is_evenIsEEEE10hipError_tPvRmT3_T4_T5_T6_T7_T9_mT8_P12ihipStream_tbDpT10_ENKUlT_T0_E_clISt17integral_constantIbLb0EES15_IbLb1EEEEDaS11_S12_EUlS11_E_NS1_11comp_targetILNS1_3genE2ELNS1_11target_archE906ELNS1_3gpuE6ELNS1_3repE0EEENS1_30default_config_static_selectorELNS0_4arch9wavefront6targetE0EEEvT1_, .Lfunc_end452-_ZN7rocprim17ROCPRIM_400000_NS6detail17trampoline_kernelINS0_14default_configENS1_25partition_config_selectorILNS1_17partition_subalgoE6EsNS0_10empty_typeEbEEZZNS1_14partition_implILS5_6ELb0ES3_mN6thrust23THRUST_200600_302600_NS6detail15normal_iteratorINSA_10device_ptrIsEEEEPS6_SG_NS0_5tupleIJSF_S6_EEENSH_IJSG_SG_EEES6_PlJ7is_evenIsEEEE10hipError_tPvRmT3_T4_T5_T6_T7_T9_mT8_P12ihipStream_tbDpT10_ENKUlT_T0_E_clISt17integral_constantIbLb0EES15_IbLb1EEEEDaS11_S12_EUlS11_E_NS1_11comp_targetILNS1_3genE2ELNS1_11target_archE906ELNS1_3gpuE6ELNS1_3repE0EEENS1_30default_config_static_selectorELNS0_4arch9wavefront6targetE0EEEvT1_
                                        ; -- End function
	.section	.AMDGPU.csdata,"",@progbits
; Kernel info:
; codeLenInByte = 0
; NumSgprs: 0
; NumVgprs: 0
; ScratchSize: 0
; MemoryBound: 0
; FloatMode: 240
; IeeeMode: 1
; LDSByteSize: 0 bytes/workgroup (compile time only)
; SGPRBlocks: 0
; VGPRBlocks: 0
; NumSGPRsForWavesPerEU: 1
; NumVGPRsForWavesPerEU: 1
; Occupancy: 16
; WaveLimiterHint : 0
; COMPUTE_PGM_RSRC2:SCRATCH_EN: 0
; COMPUTE_PGM_RSRC2:USER_SGPR: 15
; COMPUTE_PGM_RSRC2:TRAP_HANDLER: 0
; COMPUTE_PGM_RSRC2:TGID_X_EN: 1
; COMPUTE_PGM_RSRC2:TGID_Y_EN: 0
; COMPUTE_PGM_RSRC2:TGID_Z_EN: 0
; COMPUTE_PGM_RSRC2:TIDIG_COMP_CNT: 0
	.section	.text._ZN7rocprim17ROCPRIM_400000_NS6detail17trampoline_kernelINS0_14default_configENS1_25partition_config_selectorILNS1_17partition_subalgoE6EsNS0_10empty_typeEbEEZZNS1_14partition_implILS5_6ELb0ES3_mN6thrust23THRUST_200600_302600_NS6detail15normal_iteratorINSA_10device_ptrIsEEEEPS6_SG_NS0_5tupleIJSF_S6_EEENSH_IJSG_SG_EEES6_PlJ7is_evenIsEEEE10hipError_tPvRmT3_T4_T5_T6_T7_T9_mT8_P12ihipStream_tbDpT10_ENKUlT_T0_E_clISt17integral_constantIbLb0EES15_IbLb1EEEEDaS11_S12_EUlS11_E_NS1_11comp_targetILNS1_3genE10ELNS1_11target_archE1200ELNS1_3gpuE4ELNS1_3repE0EEENS1_30default_config_static_selectorELNS0_4arch9wavefront6targetE0EEEvT1_,"axG",@progbits,_ZN7rocprim17ROCPRIM_400000_NS6detail17trampoline_kernelINS0_14default_configENS1_25partition_config_selectorILNS1_17partition_subalgoE6EsNS0_10empty_typeEbEEZZNS1_14partition_implILS5_6ELb0ES3_mN6thrust23THRUST_200600_302600_NS6detail15normal_iteratorINSA_10device_ptrIsEEEEPS6_SG_NS0_5tupleIJSF_S6_EEENSH_IJSG_SG_EEES6_PlJ7is_evenIsEEEE10hipError_tPvRmT3_T4_T5_T6_T7_T9_mT8_P12ihipStream_tbDpT10_ENKUlT_T0_E_clISt17integral_constantIbLb0EES15_IbLb1EEEEDaS11_S12_EUlS11_E_NS1_11comp_targetILNS1_3genE10ELNS1_11target_archE1200ELNS1_3gpuE4ELNS1_3repE0EEENS1_30default_config_static_selectorELNS0_4arch9wavefront6targetE0EEEvT1_,comdat
	.protected	_ZN7rocprim17ROCPRIM_400000_NS6detail17trampoline_kernelINS0_14default_configENS1_25partition_config_selectorILNS1_17partition_subalgoE6EsNS0_10empty_typeEbEEZZNS1_14partition_implILS5_6ELb0ES3_mN6thrust23THRUST_200600_302600_NS6detail15normal_iteratorINSA_10device_ptrIsEEEEPS6_SG_NS0_5tupleIJSF_S6_EEENSH_IJSG_SG_EEES6_PlJ7is_evenIsEEEE10hipError_tPvRmT3_T4_T5_T6_T7_T9_mT8_P12ihipStream_tbDpT10_ENKUlT_T0_E_clISt17integral_constantIbLb0EES15_IbLb1EEEEDaS11_S12_EUlS11_E_NS1_11comp_targetILNS1_3genE10ELNS1_11target_archE1200ELNS1_3gpuE4ELNS1_3repE0EEENS1_30default_config_static_selectorELNS0_4arch9wavefront6targetE0EEEvT1_ ; -- Begin function _ZN7rocprim17ROCPRIM_400000_NS6detail17trampoline_kernelINS0_14default_configENS1_25partition_config_selectorILNS1_17partition_subalgoE6EsNS0_10empty_typeEbEEZZNS1_14partition_implILS5_6ELb0ES3_mN6thrust23THRUST_200600_302600_NS6detail15normal_iteratorINSA_10device_ptrIsEEEEPS6_SG_NS0_5tupleIJSF_S6_EEENSH_IJSG_SG_EEES6_PlJ7is_evenIsEEEE10hipError_tPvRmT3_T4_T5_T6_T7_T9_mT8_P12ihipStream_tbDpT10_ENKUlT_T0_E_clISt17integral_constantIbLb0EES15_IbLb1EEEEDaS11_S12_EUlS11_E_NS1_11comp_targetILNS1_3genE10ELNS1_11target_archE1200ELNS1_3gpuE4ELNS1_3repE0EEENS1_30default_config_static_selectorELNS0_4arch9wavefront6targetE0EEEvT1_
	.globl	_ZN7rocprim17ROCPRIM_400000_NS6detail17trampoline_kernelINS0_14default_configENS1_25partition_config_selectorILNS1_17partition_subalgoE6EsNS0_10empty_typeEbEEZZNS1_14partition_implILS5_6ELb0ES3_mN6thrust23THRUST_200600_302600_NS6detail15normal_iteratorINSA_10device_ptrIsEEEEPS6_SG_NS0_5tupleIJSF_S6_EEENSH_IJSG_SG_EEES6_PlJ7is_evenIsEEEE10hipError_tPvRmT3_T4_T5_T6_T7_T9_mT8_P12ihipStream_tbDpT10_ENKUlT_T0_E_clISt17integral_constantIbLb0EES15_IbLb1EEEEDaS11_S12_EUlS11_E_NS1_11comp_targetILNS1_3genE10ELNS1_11target_archE1200ELNS1_3gpuE4ELNS1_3repE0EEENS1_30default_config_static_selectorELNS0_4arch9wavefront6targetE0EEEvT1_
	.p2align	8
	.type	_ZN7rocprim17ROCPRIM_400000_NS6detail17trampoline_kernelINS0_14default_configENS1_25partition_config_selectorILNS1_17partition_subalgoE6EsNS0_10empty_typeEbEEZZNS1_14partition_implILS5_6ELb0ES3_mN6thrust23THRUST_200600_302600_NS6detail15normal_iteratorINSA_10device_ptrIsEEEEPS6_SG_NS0_5tupleIJSF_S6_EEENSH_IJSG_SG_EEES6_PlJ7is_evenIsEEEE10hipError_tPvRmT3_T4_T5_T6_T7_T9_mT8_P12ihipStream_tbDpT10_ENKUlT_T0_E_clISt17integral_constantIbLb0EES15_IbLb1EEEEDaS11_S12_EUlS11_E_NS1_11comp_targetILNS1_3genE10ELNS1_11target_archE1200ELNS1_3gpuE4ELNS1_3repE0EEENS1_30default_config_static_selectorELNS0_4arch9wavefront6targetE0EEEvT1_,@function
_ZN7rocprim17ROCPRIM_400000_NS6detail17trampoline_kernelINS0_14default_configENS1_25partition_config_selectorILNS1_17partition_subalgoE6EsNS0_10empty_typeEbEEZZNS1_14partition_implILS5_6ELb0ES3_mN6thrust23THRUST_200600_302600_NS6detail15normal_iteratorINSA_10device_ptrIsEEEEPS6_SG_NS0_5tupleIJSF_S6_EEENSH_IJSG_SG_EEES6_PlJ7is_evenIsEEEE10hipError_tPvRmT3_T4_T5_T6_T7_T9_mT8_P12ihipStream_tbDpT10_ENKUlT_T0_E_clISt17integral_constantIbLb0EES15_IbLb1EEEEDaS11_S12_EUlS11_E_NS1_11comp_targetILNS1_3genE10ELNS1_11target_archE1200ELNS1_3gpuE4ELNS1_3repE0EEENS1_30default_config_static_selectorELNS0_4arch9wavefront6targetE0EEEvT1_: ; @_ZN7rocprim17ROCPRIM_400000_NS6detail17trampoline_kernelINS0_14default_configENS1_25partition_config_selectorILNS1_17partition_subalgoE6EsNS0_10empty_typeEbEEZZNS1_14partition_implILS5_6ELb0ES3_mN6thrust23THRUST_200600_302600_NS6detail15normal_iteratorINSA_10device_ptrIsEEEEPS6_SG_NS0_5tupleIJSF_S6_EEENSH_IJSG_SG_EEES6_PlJ7is_evenIsEEEE10hipError_tPvRmT3_T4_T5_T6_T7_T9_mT8_P12ihipStream_tbDpT10_ENKUlT_T0_E_clISt17integral_constantIbLb0EES15_IbLb1EEEEDaS11_S12_EUlS11_E_NS1_11comp_targetILNS1_3genE10ELNS1_11target_archE1200ELNS1_3gpuE4ELNS1_3repE0EEENS1_30default_config_static_selectorELNS0_4arch9wavefront6targetE0EEEvT1_
; %bb.0:
	.section	.rodata,"a",@progbits
	.p2align	6, 0x0
	.amdhsa_kernel _ZN7rocprim17ROCPRIM_400000_NS6detail17trampoline_kernelINS0_14default_configENS1_25partition_config_selectorILNS1_17partition_subalgoE6EsNS0_10empty_typeEbEEZZNS1_14partition_implILS5_6ELb0ES3_mN6thrust23THRUST_200600_302600_NS6detail15normal_iteratorINSA_10device_ptrIsEEEEPS6_SG_NS0_5tupleIJSF_S6_EEENSH_IJSG_SG_EEES6_PlJ7is_evenIsEEEE10hipError_tPvRmT3_T4_T5_T6_T7_T9_mT8_P12ihipStream_tbDpT10_ENKUlT_T0_E_clISt17integral_constantIbLb0EES15_IbLb1EEEEDaS11_S12_EUlS11_E_NS1_11comp_targetILNS1_3genE10ELNS1_11target_archE1200ELNS1_3gpuE4ELNS1_3repE0EEENS1_30default_config_static_selectorELNS0_4arch9wavefront6targetE0EEEvT1_
		.amdhsa_group_segment_fixed_size 0
		.amdhsa_private_segment_fixed_size 0
		.amdhsa_kernarg_size 128
		.amdhsa_user_sgpr_count 15
		.amdhsa_user_sgpr_dispatch_ptr 0
		.amdhsa_user_sgpr_queue_ptr 0
		.amdhsa_user_sgpr_kernarg_segment_ptr 1
		.amdhsa_user_sgpr_dispatch_id 0
		.amdhsa_user_sgpr_private_segment_size 0
		.amdhsa_wavefront_size32 1
		.amdhsa_uses_dynamic_stack 0
		.amdhsa_enable_private_segment 0
		.amdhsa_system_sgpr_workgroup_id_x 1
		.amdhsa_system_sgpr_workgroup_id_y 0
		.amdhsa_system_sgpr_workgroup_id_z 0
		.amdhsa_system_sgpr_workgroup_info 0
		.amdhsa_system_vgpr_workitem_id 0
		.amdhsa_next_free_vgpr 1
		.amdhsa_next_free_sgpr 1
		.amdhsa_reserve_vcc 0
		.amdhsa_float_round_mode_32 0
		.amdhsa_float_round_mode_16_64 0
		.amdhsa_float_denorm_mode_32 3
		.amdhsa_float_denorm_mode_16_64 3
		.amdhsa_dx10_clamp 1
		.amdhsa_ieee_mode 1
		.amdhsa_fp16_overflow 0
		.amdhsa_workgroup_processor_mode 1
		.amdhsa_memory_ordered 1
		.amdhsa_forward_progress 0
		.amdhsa_shared_vgpr_count 0
		.amdhsa_exception_fp_ieee_invalid_op 0
		.amdhsa_exception_fp_denorm_src 0
		.amdhsa_exception_fp_ieee_div_zero 0
		.amdhsa_exception_fp_ieee_overflow 0
		.amdhsa_exception_fp_ieee_underflow 0
		.amdhsa_exception_fp_ieee_inexact 0
		.amdhsa_exception_int_div_zero 0
	.end_amdhsa_kernel
	.section	.text._ZN7rocprim17ROCPRIM_400000_NS6detail17trampoline_kernelINS0_14default_configENS1_25partition_config_selectorILNS1_17partition_subalgoE6EsNS0_10empty_typeEbEEZZNS1_14partition_implILS5_6ELb0ES3_mN6thrust23THRUST_200600_302600_NS6detail15normal_iteratorINSA_10device_ptrIsEEEEPS6_SG_NS0_5tupleIJSF_S6_EEENSH_IJSG_SG_EEES6_PlJ7is_evenIsEEEE10hipError_tPvRmT3_T4_T5_T6_T7_T9_mT8_P12ihipStream_tbDpT10_ENKUlT_T0_E_clISt17integral_constantIbLb0EES15_IbLb1EEEEDaS11_S12_EUlS11_E_NS1_11comp_targetILNS1_3genE10ELNS1_11target_archE1200ELNS1_3gpuE4ELNS1_3repE0EEENS1_30default_config_static_selectorELNS0_4arch9wavefront6targetE0EEEvT1_,"axG",@progbits,_ZN7rocprim17ROCPRIM_400000_NS6detail17trampoline_kernelINS0_14default_configENS1_25partition_config_selectorILNS1_17partition_subalgoE6EsNS0_10empty_typeEbEEZZNS1_14partition_implILS5_6ELb0ES3_mN6thrust23THRUST_200600_302600_NS6detail15normal_iteratorINSA_10device_ptrIsEEEEPS6_SG_NS0_5tupleIJSF_S6_EEENSH_IJSG_SG_EEES6_PlJ7is_evenIsEEEE10hipError_tPvRmT3_T4_T5_T6_T7_T9_mT8_P12ihipStream_tbDpT10_ENKUlT_T0_E_clISt17integral_constantIbLb0EES15_IbLb1EEEEDaS11_S12_EUlS11_E_NS1_11comp_targetILNS1_3genE10ELNS1_11target_archE1200ELNS1_3gpuE4ELNS1_3repE0EEENS1_30default_config_static_selectorELNS0_4arch9wavefront6targetE0EEEvT1_,comdat
.Lfunc_end453:
	.size	_ZN7rocprim17ROCPRIM_400000_NS6detail17trampoline_kernelINS0_14default_configENS1_25partition_config_selectorILNS1_17partition_subalgoE6EsNS0_10empty_typeEbEEZZNS1_14partition_implILS5_6ELb0ES3_mN6thrust23THRUST_200600_302600_NS6detail15normal_iteratorINSA_10device_ptrIsEEEEPS6_SG_NS0_5tupleIJSF_S6_EEENSH_IJSG_SG_EEES6_PlJ7is_evenIsEEEE10hipError_tPvRmT3_T4_T5_T6_T7_T9_mT8_P12ihipStream_tbDpT10_ENKUlT_T0_E_clISt17integral_constantIbLb0EES15_IbLb1EEEEDaS11_S12_EUlS11_E_NS1_11comp_targetILNS1_3genE10ELNS1_11target_archE1200ELNS1_3gpuE4ELNS1_3repE0EEENS1_30default_config_static_selectorELNS0_4arch9wavefront6targetE0EEEvT1_, .Lfunc_end453-_ZN7rocprim17ROCPRIM_400000_NS6detail17trampoline_kernelINS0_14default_configENS1_25partition_config_selectorILNS1_17partition_subalgoE6EsNS0_10empty_typeEbEEZZNS1_14partition_implILS5_6ELb0ES3_mN6thrust23THRUST_200600_302600_NS6detail15normal_iteratorINSA_10device_ptrIsEEEEPS6_SG_NS0_5tupleIJSF_S6_EEENSH_IJSG_SG_EEES6_PlJ7is_evenIsEEEE10hipError_tPvRmT3_T4_T5_T6_T7_T9_mT8_P12ihipStream_tbDpT10_ENKUlT_T0_E_clISt17integral_constantIbLb0EES15_IbLb1EEEEDaS11_S12_EUlS11_E_NS1_11comp_targetILNS1_3genE10ELNS1_11target_archE1200ELNS1_3gpuE4ELNS1_3repE0EEENS1_30default_config_static_selectorELNS0_4arch9wavefront6targetE0EEEvT1_
                                        ; -- End function
	.section	.AMDGPU.csdata,"",@progbits
; Kernel info:
; codeLenInByte = 0
; NumSgprs: 0
; NumVgprs: 0
; ScratchSize: 0
; MemoryBound: 0
; FloatMode: 240
; IeeeMode: 1
; LDSByteSize: 0 bytes/workgroup (compile time only)
; SGPRBlocks: 0
; VGPRBlocks: 0
; NumSGPRsForWavesPerEU: 1
; NumVGPRsForWavesPerEU: 1
; Occupancy: 15
; WaveLimiterHint : 0
; COMPUTE_PGM_RSRC2:SCRATCH_EN: 0
; COMPUTE_PGM_RSRC2:USER_SGPR: 15
; COMPUTE_PGM_RSRC2:TRAP_HANDLER: 0
; COMPUTE_PGM_RSRC2:TGID_X_EN: 1
; COMPUTE_PGM_RSRC2:TGID_Y_EN: 0
; COMPUTE_PGM_RSRC2:TGID_Z_EN: 0
; COMPUTE_PGM_RSRC2:TIDIG_COMP_CNT: 0
	.section	.text._ZN7rocprim17ROCPRIM_400000_NS6detail17trampoline_kernelINS0_14default_configENS1_25partition_config_selectorILNS1_17partition_subalgoE6EsNS0_10empty_typeEbEEZZNS1_14partition_implILS5_6ELb0ES3_mN6thrust23THRUST_200600_302600_NS6detail15normal_iteratorINSA_10device_ptrIsEEEEPS6_SG_NS0_5tupleIJSF_S6_EEENSH_IJSG_SG_EEES6_PlJ7is_evenIsEEEE10hipError_tPvRmT3_T4_T5_T6_T7_T9_mT8_P12ihipStream_tbDpT10_ENKUlT_T0_E_clISt17integral_constantIbLb0EES15_IbLb1EEEEDaS11_S12_EUlS11_E_NS1_11comp_targetILNS1_3genE9ELNS1_11target_archE1100ELNS1_3gpuE3ELNS1_3repE0EEENS1_30default_config_static_selectorELNS0_4arch9wavefront6targetE0EEEvT1_,"axG",@progbits,_ZN7rocprim17ROCPRIM_400000_NS6detail17trampoline_kernelINS0_14default_configENS1_25partition_config_selectorILNS1_17partition_subalgoE6EsNS0_10empty_typeEbEEZZNS1_14partition_implILS5_6ELb0ES3_mN6thrust23THRUST_200600_302600_NS6detail15normal_iteratorINSA_10device_ptrIsEEEEPS6_SG_NS0_5tupleIJSF_S6_EEENSH_IJSG_SG_EEES6_PlJ7is_evenIsEEEE10hipError_tPvRmT3_T4_T5_T6_T7_T9_mT8_P12ihipStream_tbDpT10_ENKUlT_T0_E_clISt17integral_constantIbLb0EES15_IbLb1EEEEDaS11_S12_EUlS11_E_NS1_11comp_targetILNS1_3genE9ELNS1_11target_archE1100ELNS1_3gpuE3ELNS1_3repE0EEENS1_30default_config_static_selectorELNS0_4arch9wavefront6targetE0EEEvT1_,comdat
	.protected	_ZN7rocprim17ROCPRIM_400000_NS6detail17trampoline_kernelINS0_14default_configENS1_25partition_config_selectorILNS1_17partition_subalgoE6EsNS0_10empty_typeEbEEZZNS1_14partition_implILS5_6ELb0ES3_mN6thrust23THRUST_200600_302600_NS6detail15normal_iteratorINSA_10device_ptrIsEEEEPS6_SG_NS0_5tupleIJSF_S6_EEENSH_IJSG_SG_EEES6_PlJ7is_evenIsEEEE10hipError_tPvRmT3_T4_T5_T6_T7_T9_mT8_P12ihipStream_tbDpT10_ENKUlT_T0_E_clISt17integral_constantIbLb0EES15_IbLb1EEEEDaS11_S12_EUlS11_E_NS1_11comp_targetILNS1_3genE9ELNS1_11target_archE1100ELNS1_3gpuE3ELNS1_3repE0EEENS1_30default_config_static_selectorELNS0_4arch9wavefront6targetE0EEEvT1_ ; -- Begin function _ZN7rocprim17ROCPRIM_400000_NS6detail17trampoline_kernelINS0_14default_configENS1_25partition_config_selectorILNS1_17partition_subalgoE6EsNS0_10empty_typeEbEEZZNS1_14partition_implILS5_6ELb0ES3_mN6thrust23THRUST_200600_302600_NS6detail15normal_iteratorINSA_10device_ptrIsEEEEPS6_SG_NS0_5tupleIJSF_S6_EEENSH_IJSG_SG_EEES6_PlJ7is_evenIsEEEE10hipError_tPvRmT3_T4_T5_T6_T7_T9_mT8_P12ihipStream_tbDpT10_ENKUlT_T0_E_clISt17integral_constantIbLb0EES15_IbLb1EEEEDaS11_S12_EUlS11_E_NS1_11comp_targetILNS1_3genE9ELNS1_11target_archE1100ELNS1_3gpuE3ELNS1_3repE0EEENS1_30default_config_static_selectorELNS0_4arch9wavefront6targetE0EEEvT1_
	.globl	_ZN7rocprim17ROCPRIM_400000_NS6detail17trampoline_kernelINS0_14default_configENS1_25partition_config_selectorILNS1_17partition_subalgoE6EsNS0_10empty_typeEbEEZZNS1_14partition_implILS5_6ELb0ES3_mN6thrust23THRUST_200600_302600_NS6detail15normal_iteratorINSA_10device_ptrIsEEEEPS6_SG_NS0_5tupleIJSF_S6_EEENSH_IJSG_SG_EEES6_PlJ7is_evenIsEEEE10hipError_tPvRmT3_T4_T5_T6_T7_T9_mT8_P12ihipStream_tbDpT10_ENKUlT_T0_E_clISt17integral_constantIbLb0EES15_IbLb1EEEEDaS11_S12_EUlS11_E_NS1_11comp_targetILNS1_3genE9ELNS1_11target_archE1100ELNS1_3gpuE3ELNS1_3repE0EEENS1_30default_config_static_selectorELNS0_4arch9wavefront6targetE0EEEvT1_
	.p2align	8
	.type	_ZN7rocprim17ROCPRIM_400000_NS6detail17trampoline_kernelINS0_14default_configENS1_25partition_config_selectorILNS1_17partition_subalgoE6EsNS0_10empty_typeEbEEZZNS1_14partition_implILS5_6ELb0ES3_mN6thrust23THRUST_200600_302600_NS6detail15normal_iteratorINSA_10device_ptrIsEEEEPS6_SG_NS0_5tupleIJSF_S6_EEENSH_IJSG_SG_EEES6_PlJ7is_evenIsEEEE10hipError_tPvRmT3_T4_T5_T6_T7_T9_mT8_P12ihipStream_tbDpT10_ENKUlT_T0_E_clISt17integral_constantIbLb0EES15_IbLb1EEEEDaS11_S12_EUlS11_E_NS1_11comp_targetILNS1_3genE9ELNS1_11target_archE1100ELNS1_3gpuE3ELNS1_3repE0EEENS1_30default_config_static_selectorELNS0_4arch9wavefront6targetE0EEEvT1_,@function
_ZN7rocprim17ROCPRIM_400000_NS6detail17trampoline_kernelINS0_14default_configENS1_25partition_config_selectorILNS1_17partition_subalgoE6EsNS0_10empty_typeEbEEZZNS1_14partition_implILS5_6ELb0ES3_mN6thrust23THRUST_200600_302600_NS6detail15normal_iteratorINSA_10device_ptrIsEEEEPS6_SG_NS0_5tupleIJSF_S6_EEENSH_IJSG_SG_EEES6_PlJ7is_evenIsEEEE10hipError_tPvRmT3_T4_T5_T6_T7_T9_mT8_P12ihipStream_tbDpT10_ENKUlT_T0_E_clISt17integral_constantIbLb0EES15_IbLb1EEEEDaS11_S12_EUlS11_E_NS1_11comp_targetILNS1_3genE9ELNS1_11target_archE1100ELNS1_3gpuE3ELNS1_3repE0EEENS1_30default_config_static_selectorELNS0_4arch9wavefront6targetE0EEEvT1_: ; @_ZN7rocprim17ROCPRIM_400000_NS6detail17trampoline_kernelINS0_14default_configENS1_25partition_config_selectorILNS1_17partition_subalgoE6EsNS0_10empty_typeEbEEZZNS1_14partition_implILS5_6ELb0ES3_mN6thrust23THRUST_200600_302600_NS6detail15normal_iteratorINSA_10device_ptrIsEEEEPS6_SG_NS0_5tupleIJSF_S6_EEENSH_IJSG_SG_EEES6_PlJ7is_evenIsEEEE10hipError_tPvRmT3_T4_T5_T6_T7_T9_mT8_P12ihipStream_tbDpT10_ENKUlT_T0_E_clISt17integral_constantIbLb0EES15_IbLb1EEEEDaS11_S12_EUlS11_E_NS1_11comp_targetILNS1_3genE9ELNS1_11target_archE1100ELNS1_3gpuE3ELNS1_3repE0EEENS1_30default_config_static_selectorELNS0_4arch9wavefront6targetE0EEEvT1_
; %bb.0:
	s_clause 0x3
	s_load_b64 s[12:13], s[0:1], 0x28
	s_load_b128 s[8:11], s[0:1], 0x40
	s_load_b64 s[16:17], s[0:1], 0x50
	s_load_b64 s[14:15], s[0:1], 0x60
	v_cmp_eq_u32_e64 s2, 0, v0
	s_delay_alu instid0(VALU_DEP_1)
	s_and_saveexec_b32 s3, s2
	s_cbranch_execz .LBB454_4
; %bb.1:
	s_mov_b32 s5, exec_lo
	s_mov_b32 s4, exec_lo
	v_mbcnt_lo_u32_b32 v1, s5, 0
                                        ; implicit-def: $vgpr2
	s_delay_alu instid0(VALU_DEP_1)
	v_cmpx_eq_u32_e32 0, v1
	s_cbranch_execz .LBB454_3
; %bb.2:
	s_load_b64 s[6:7], s[0:1], 0x70
	s_bcnt1_i32_b32 s5, s5
	s_delay_alu instid0(SALU_CYCLE_1)
	v_dual_mov_b32 v2, 0 :: v_dual_mov_b32 v3, s5
	s_waitcnt lgkmcnt(0)
	global_atomic_add_u32 v2, v2, v3, s[6:7] glc
.LBB454_3:
	s_or_b32 exec_lo, exec_lo, s4
	s_waitcnt vmcnt(0)
	v_readfirstlane_b32 s4, v2
	s_delay_alu instid0(VALU_DEP_1)
	v_dual_mov_b32 v2, 0 :: v_dual_add_nc_u32 v1, s4, v1
	ds_store_b32 v2, v1
.LBB454_4:
	s_or_b32 exec_lo, exec_lo, s3
	v_mov_b32_e32 v2, 0
	s_clause 0x1
	s_load_b128 s[4:7], s[0:1], 0x8
	s_load_b32 s0, s[0:1], 0x68
	s_waitcnt lgkmcnt(0)
	s_barrier
	buffer_gl0_inv
	ds_load_b32 v1, v2
	s_waitcnt lgkmcnt(0)
	s_barrier
	buffer_gl0_inv
	global_load_b64 v[12:13], v2, s[10:11]
	s_lshl_b64 s[10:11], s[6:7], 1
	s_mul_i32 s3, s0, 0xf00
	s_add_u32 s1, s4, s10
	s_addc_u32 s10, s5, s11
	s_add_i32 s5, s3, s6
	v_readfirstlane_b32 s4, v1
	v_mul_lo_u32 v1, 0xf00, v1
	s_add_i32 s11, s0, -1
	s_sub_i32 s0, s16, s5
	s_add_u32 s6, s6, s3
	s_addc_u32 s7, s7, 0
	s_cmp_eq_u32 s4, s11
	v_cmp_ge_u64_e64 s3, s[6:7], s[16:17]
	s_cselect_b32 s5, -1, 0
	v_lshlrev_b64 v[2:3], 1, v[1:2]
	v_lshlrev_b32_e32 v1, 1, v0
	s_delay_alu instid0(VALU_DEP_3) | instskip(NEXT) | instid1(VALU_DEP_2)
	s_and_b32 s3, s3, s5
	v_add_co_u32 v2, vcc_lo, s1, v2
	s_delay_alu instid0(VALU_DEP_3)
	v_add_co_ci_u32_e32 v3, vcc_lo, s10, v3, vcc_lo
	s_xor_b32 s3, s3, -1
	s_mov_b32 s1, -1
	s_and_b32 vcc_lo, exec_lo, s3
	s_cbranch_vccz .LBB454_6
; %bb.5:
	v_add_co_u32 v4, vcc_lo, v2, v1
	v_add_co_ci_u32_e32 v5, vcc_lo, 0, v3, vcc_lo
	s_mov_b32 s1, 0
	s_delay_alu instid0(VALU_DEP_2)
	v_add_co_u32 v6, vcc_lo, 0x1000, v4
	s_clause 0x7
	flat_load_u16 v8, v[4:5]
	flat_load_u16 v9, v[4:5] offset:256
	flat_load_u16 v10, v[4:5] offset:512
	;; [unrolled: 1-line block ×7, first 2 shown]
	v_add_co_ci_u32_e32 v7, vcc_lo, 0, v5, vcc_lo
	s_clause 0x15
	flat_load_u16 v18, v[4:5] offset:2048
	flat_load_u16 v19, v[4:5] offset:2304
	flat_load_u16 v20, v[4:5] offset:2560
	flat_load_u16 v21, v[4:5] offset:2816
	flat_load_u16 v22, v[4:5] offset:3072
	flat_load_u16 v23, v[4:5] offset:3328
	flat_load_u16 v24, v[4:5] offset:3584
	flat_load_u16 v4, v[4:5] offset:3840
	flat_load_u16 v5, v[6:7]
	flat_load_u16 v25, v[6:7] offset:256
	flat_load_u16 v26, v[6:7] offset:512
	;; [unrolled: 1-line block ×13, first 2 shown]
	s_waitcnt vmcnt(29) lgkmcnt(29)
	ds_store_b16 v1, v8
	s_waitcnt vmcnt(28) lgkmcnt(29)
	ds_store_b16 v1, v9 offset:256
	s_waitcnt vmcnt(27) lgkmcnt(29)
	ds_store_b16 v1, v10 offset:512
	;; [unrolled: 2-line block ×29, first 2 shown]
	s_waitcnt lgkmcnt(0)
	s_barrier
.LBB454_6:
	s_and_not1_b32 vcc_lo, exec_lo, s1
	s_addk_i32 s0, 0xf00
	s_cbranch_vccnz .LBB454_68
; %bb.7:
	s_mov_b32 s1, exec_lo
                                        ; implicit-def: $vgpr4
	v_cmpx_gt_u32_e64 s0, v0
	s_cbranch_execz .LBB454_9
; %bb.8:
	v_add_co_u32 v4, vcc_lo, v2, v1
	v_add_co_ci_u32_e32 v5, vcc_lo, 0, v3, vcc_lo
	flat_load_u16 v4, v[4:5]
.LBB454_9:
	s_or_b32 exec_lo, exec_lo, s1
	v_or_b32_e32 v5, 0x80, v0
	s_delay_alu instid0(VALU_DEP_1)
	v_cmp_gt_u32_e32 vcc_lo, s0, v5
                                        ; implicit-def: $vgpr5
	s_and_saveexec_b32 s1, vcc_lo
	s_cbranch_execz .LBB454_11
; %bb.10:
	v_add_co_u32 v5, vcc_lo, v2, v1
	v_add_co_ci_u32_e32 v6, vcc_lo, 0, v3, vcc_lo
	flat_load_u16 v5, v[5:6] offset:256
.LBB454_11:
	s_or_b32 exec_lo, exec_lo, s1
	v_or_b32_e32 v6, 0x100, v0
	s_delay_alu instid0(VALU_DEP_1)
	v_cmp_gt_u32_e32 vcc_lo, s0, v6
                                        ; implicit-def: $vgpr6
	s_and_saveexec_b32 s1, vcc_lo
	s_cbranch_execz .LBB454_13
; %bb.12:
	v_add_co_u32 v6, vcc_lo, v2, v1
	v_add_co_ci_u32_e32 v7, vcc_lo, 0, v3, vcc_lo
	flat_load_u16 v6, v[6:7] offset:512
.LBB454_13:
	s_or_b32 exec_lo, exec_lo, s1
	v_or_b32_e32 v7, 0x180, v0
	s_delay_alu instid0(VALU_DEP_1)
	v_cmp_gt_u32_e32 vcc_lo, s0, v7
                                        ; implicit-def: $vgpr7
	s_and_saveexec_b32 s1, vcc_lo
	s_cbranch_execz .LBB454_15
; %bb.14:
	v_add_co_u32 v7, vcc_lo, v2, v1
	v_add_co_ci_u32_e32 v8, vcc_lo, 0, v3, vcc_lo
	flat_load_u16 v7, v[7:8] offset:768
.LBB454_15:
	s_or_b32 exec_lo, exec_lo, s1
	v_or_b32_e32 v8, 0x200, v0
	s_delay_alu instid0(VALU_DEP_1)
	v_cmp_gt_u32_e32 vcc_lo, s0, v8
                                        ; implicit-def: $vgpr8
	s_and_saveexec_b32 s1, vcc_lo
	s_cbranch_execz .LBB454_17
; %bb.16:
	v_add_co_u32 v8, vcc_lo, v2, v1
	v_add_co_ci_u32_e32 v9, vcc_lo, 0, v3, vcc_lo
	flat_load_u16 v8, v[8:9] offset:1024
.LBB454_17:
	s_or_b32 exec_lo, exec_lo, s1
	v_or_b32_e32 v9, 0x280, v0
	s_delay_alu instid0(VALU_DEP_1)
	v_cmp_gt_u32_e32 vcc_lo, s0, v9
                                        ; implicit-def: $vgpr9
	s_and_saveexec_b32 s1, vcc_lo
	s_cbranch_execz .LBB454_19
; %bb.18:
	v_add_co_u32 v9, vcc_lo, v2, v1
	v_add_co_ci_u32_e32 v10, vcc_lo, 0, v3, vcc_lo
	flat_load_u16 v9, v[9:10] offset:1280
.LBB454_19:
	s_or_b32 exec_lo, exec_lo, s1
	v_or_b32_e32 v10, 0x300, v0
	s_delay_alu instid0(VALU_DEP_1)
	v_cmp_gt_u32_e32 vcc_lo, s0, v10
                                        ; implicit-def: $vgpr10
	s_and_saveexec_b32 s1, vcc_lo
	s_cbranch_execz .LBB454_21
; %bb.20:
	v_add_co_u32 v10, vcc_lo, v2, v1
	v_add_co_ci_u32_e32 v11, vcc_lo, 0, v3, vcc_lo
	flat_load_u16 v10, v[10:11] offset:1536
.LBB454_21:
	s_or_b32 exec_lo, exec_lo, s1
	v_or_b32_e32 v11, 0x380, v0
	s_delay_alu instid0(VALU_DEP_1)
	v_cmp_gt_u32_e32 vcc_lo, s0, v11
                                        ; implicit-def: $vgpr11
	s_and_saveexec_b32 s1, vcc_lo
	s_cbranch_execz .LBB454_23
; %bb.22:
	v_add_co_u32 v14, vcc_lo, v2, v1
	v_add_co_ci_u32_e32 v15, vcc_lo, 0, v3, vcc_lo
	flat_load_u16 v11, v[14:15] offset:1792
.LBB454_23:
	s_or_b32 exec_lo, exec_lo, s1
	v_or_b32_e32 v14, 0x400, v0
	s_delay_alu instid0(VALU_DEP_1)
	v_cmp_gt_u32_e32 vcc_lo, s0, v14
                                        ; implicit-def: $vgpr14
	s_and_saveexec_b32 s1, vcc_lo
	s_cbranch_execz .LBB454_25
; %bb.24:
	v_add_co_u32 v14, vcc_lo, v2, v1
	v_add_co_ci_u32_e32 v15, vcc_lo, 0, v3, vcc_lo
	flat_load_u16 v14, v[14:15] offset:2048
.LBB454_25:
	s_or_b32 exec_lo, exec_lo, s1
	v_or_b32_e32 v15, 0x480, v0
	s_delay_alu instid0(VALU_DEP_1)
	v_cmp_gt_u32_e32 vcc_lo, s0, v15
                                        ; implicit-def: $vgpr15
	s_and_saveexec_b32 s1, vcc_lo
	s_cbranch_execz .LBB454_27
; %bb.26:
	v_add_co_u32 v15, vcc_lo, v2, v1
	v_add_co_ci_u32_e32 v16, vcc_lo, 0, v3, vcc_lo
	flat_load_u16 v15, v[15:16] offset:2304
.LBB454_27:
	s_or_b32 exec_lo, exec_lo, s1
	v_or_b32_e32 v16, 0x500, v0
	s_delay_alu instid0(VALU_DEP_1)
	v_cmp_gt_u32_e32 vcc_lo, s0, v16
                                        ; implicit-def: $vgpr16
	s_and_saveexec_b32 s1, vcc_lo
	s_cbranch_execz .LBB454_29
; %bb.28:
	v_add_co_u32 v16, vcc_lo, v2, v1
	v_add_co_ci_u32_e32 v17, vcc_lo, 0, v3, vcc_lo
	flat_load_u16 v16, v[16:17] offset:2560
.LBB454_29:
	s_or_b32 exec_lo, exec_lo, s1
	v_or_b32_e32 v17, 0x580, v0
	s_delay_alu instid0(VALU_DEP_1)
	v_cmp_gt_u32_e32 vcc_lo, s0, v17
                                        ; implicit-def: $vgpr17
	s_and_saveexec_b32 s1, vcc_lo
	s_cbranch_execz .LBB454_31
; %bb.30:
	v_add_co_u32 v17, vcc_lo, v2, v1
	v_add_co_ci_u32_e32 v18, vcc_lo, 0, v3, vcc_lo
	flat_load_u16 v17, v[17:18] offset:2816
.LBB454_31:
	s_or_b32 exec_lo, exec_lo, s1
	v_or_b32_e32 v18, 0x600, v0
	s_delay_alu instid0(VALU_DEP_1)
	v_cmp_gt_u32_e32 vcc_lo, s0, v18
                                        ; implicit-def: $vgpr18
	s_and_saveexec_b32 s1, vcc_lo
	s_cbranch_execz .LBB454_33
; %bb.32:
	v_add_co_u32 v18, vcc_lo, v2, v1
	v_add_co_ci_u32_e32 v19, vcc_lo, 0, v3, vcc_lo
	flat_load_u16 v18, v[18:19] offset:3072
.LBB454_33:
	s_or_b32 exec_lo, exec_lo, s1
	v_or_b32_e32 v19, 0x680, v0
	s_delay_alu instid0(VALU_DEP_1)
	v_cmp_gt_u32_e32 vcc_lo, s0, v19
                                        ; implicit-def: $vgpr19
	s_and_saveexec_b32 s1, vcc_lo
	s_cbranch_execz .LBB454_35
; %bb.34:
	v_add_co_u32 v19, vcc_lo, v2, v1
	v_add_co_ci_u32_e32 v20, vcc_lo, 0, v3, vcc_lo
	flat_load_u16 v19, v[19:20] offset:3328
.LBB454_35:
	s_or_b32 exec_lo, exec_lo, s1
	v_or_b32_e32 v20, 0x700, v0
	s_delay_alu instid0(VALU_DEP_1)
	v_cmp_gt_u32_e32 vcc_lo, s0, v20
                                        ; implicit-def: $vgpr20
	s_and_saveexec_b32 s1, vcc_lo
	s_cbranch_execz .LBB454_37
; %bb.36:
	v_add_co_u32 v20, vcc_lo, v2, v1
	v_add_co_ci_u32_e32 v21, vcc_lo, 0, v3, vcc_lo
	flat_load_u16 v20, v[20:21] offset:3584
.LBB454_37:
	s_or_b32 exec_lo, exec_lo, s1
	v_or_b32_e32 v21, 0x780, v0
	s_delay_alu instid0(VALU_DEP_1)
	v_cmp_gt_u32_e32 vcc_lo, s0, v21
                                        ; implicit-def: $vgpr21
	s_and_saveexec_b32 s1, vcc_lo
	s_cbranch_execz .LBB454_39
; %bb.38:
	v_add_co_u32 v21, vcc_lo, v2, v1
	v_add_co_ci_u32_e32 v22, vcc_lo, 0, v3, vcc_lo
	flat_load_u16 v21, v[21:22] offset:3840
.LBB454_39:
	s_or_b32 exec_lo, exec_lo, s1
	v_or_b32_e32 v23, 0x800, v0
	s_mov_b32 s1, exec_lo
                                        ; implicit-def: $vgpr22
	s_delay_alu instid0(VALU_DEP_1)
	v_cmpx_gt_u32_e64 s0, v23
	s_cbranch_execz .LBB454_41
; %bb.40:
	v_lshlrev_b32_e32 v22, 1, v23
	s_delay_alu instid0(VALU_DEP_1)
	v_add_co_u32 v22, vcc_lo, v2, v22
	v_add_co_ci_u32_e32 v23, vcc_lo, 0, v3, vcc_lo
	flat_load_u16 v22, v[22:23]
.LBB454_41:
	s_or_b32 exec_lo, exec_lo, s1
	v_or_b32_e32 v24, 0x880, v0
	s_mov_b32 s1, exec_lo
                                        ; implicit-def: $vgpr23
	s_delay_alu instid0(VALU_DEP_1)
	v_cmpx_gt_u32_e64 s0, v24
	s_cbranch_execz .LBB454_43
; %bb.42:
	v_lshlrev_b32_e32 v23, 1, v24
	s_delay_alu instid0(VALU_DEP_1)
	v_add_co_u32 v23, vcc_lo, v2, v23
	v_add_co_ci_u32_e32 v24, vcc_lo, 0, v3, vcc_lo
	flat_load_u16 v23, v[23:24]
.LBB454_43:
	s_or_b32 exec_lo, exec_lo, s1
	v_or_b32_e32 v25, 0x900, v0
	s_mov_b32 s1, exec_lo
                                        ; implicit-def: $vgpr24
	s_delay_alu instid0(VALU_DEP_1)
	v_cmpx_gt_u32_e64 s0, v25
	s_cbranch_execz .LBB454_45
; %bb.44:
	v_lshlrev_b32_e32 v24, 1, v25
	s_delay_alu instid0(VALU_DEP_1)
	v_add_co_u32 v24, vcc_lo, v2, v24
	v_add_co_ci_u32_e32 v25, vcc_lo, 0, v3, vcc_lo
	flat_load_u16 v24, v[24:25]
.LBB454_45:
	s_or_b32 exec_lo, exec_lo, s1
	v_or_b32_e32 v26, 0x980, v0
	s_mov_b32 s1, exec_lo
                                        ; implicit-def: $vgpr25
	s_delay_alu instid0(VALU_DEP_1)
	v_cmpx_gt_u32_e64 s0, v26
	s_cbranch_execz .LBB454_47
; %bb.46:
	v_lshlrev_b32_e32 v25, 1, v26
	s_delay_alu instid0(VALU_DEP_1)
	v_add_co_u32 v25, vcc_lo, v2, v25
	v_add_co_ci_u32_e32 v26, vcc_lo, 0, v3, vcc_lo
	flat_load_u16 v25, v[25:26]
.LBB454_47:
	s_or_b32 exec_lo, exec_lo, s1
	v_or_b32_e32 v27, 0xa00, v0
	s_mov_b32 s1, exec_lo
                                        ; implicit-def: $vgpr26
	s_delay_alu instid0(VALU_DEP_1)
	v_cmpx_gt_u32_e64 s0, v27
	s_cbranch_execz .LBB454_49
; %bb.48:
	v_lshlrev_b32_e32 v26, 1, v27
	s_delay_alu instid0(VALU_DEP_1)
	v_add_co_u32 v26, vcc_lo, v2, v26
	v_add_co_ci_u32_e32 v27, vcc_lo, 0, v3, vcc_lo
	flat_load_u16 v26, v[26:27]
.LBB454_49:
	s_or_b32 exec_lo, exec_lo, s1
	v_or_b32_e32 v28, 0xa80, v0
	s_mov_b32 s1, exec_lo
                                        ; implicit-def: $vgpr27
	s_delay_alu instid0(VALU_DEP_1)
	v_cmpx_gt_u32_e64 s0, v28
	s_cbranch_execz .LBB454_51
; %bb.50:
	v_lshlrev_b32_e32 v27, 1, v28
	s_delay_alu instid0(VALU_DEP_1)
	v_add_co_u32 v27, vcc_lo, v2, v27
	v_add_co_ci_u32_e32 v28, vcc_lo, 0, v3, vcc_lo
	flat_load_u16 v27, v[27:28]
.LBB454_51:
	s_or_b32 exec_lo, exec_lo, s1
	v_or_b32_e32 v29, 0xb00, v0
	s_mov_b32 s1, exec_lo
                                        ; implicit-def: $vgpr28
	s_delay_alu instid0(VALU_DEP_1)
	v_cmpx_gt_u32_e64 s0, v29
	s_cbranch_execz .LBB454_53
; %bb.52:
	v_lshlrev_b32_e32 v28, 1, v29
	s_delay_alu instid0(VALU_DEP_1)
	v_add_co_u32 v28, vcc_lo, v2, v28
	v_add_co_ci_u32_e32 v29, vcc_lo, 0, v3, vcc_lo
	flat_load_u16 v28, v[28:29]
.LBB454_53:
	s_or_b32 exec_lo, exec_lo, s1
	v_or_b32_e32 v30, 0xb80, v0
	s_mov_b32 s1, exec_lo
                                        ; implicit-def: $vgpr29
	s_delay_alu instid0(VALU_DEP_1)
	v_cmpx_gt_u32_e64 s0, v30
	s_cbranch_execz .LBB454_55
; %bb.54:
	v_lshlrev_b32_e32 v29, 1, v30
	s_delay_alu instid0(VALU_DEP_1)
	v_add_co_u32 v29, vcc_lo, v2, v29
	v_add_co_ci_u32_e32 v30, vcc_lo, 0, v3, vcc_lo
	flat_load_u16 v29, v[29:30]
.LBB454_55:
	s_or_b32 exec_lo, exec_lo, s1
	v_or_b32_e32 v31, 0xc00, v0
	s_mov_b32 s1, exec_lo
                                        ; implicit-def: $vgpr30
	s_delay_alu instid0(VALU_DEP_1)
	v_cmpx_gt_u32_e64 s0, v31
	s_cbranch_execz .LBB454_57
; %bb.56:
	v_lshlrev_b32_e32 v30, 1, v31
	s_delay_alu instid0(VALU_DEP_1)
	v_add_co_u32 v30, vcc_lo, v2, v30
	v_add_co_ci_u32_e32 v31, vcc_lo, 0, v3, vcc_lo
	flat_load_u16 v30, v[30:31]
.LBB454_57:
	s_or_b32 exec_lo, exec_lo, s1
	v_or_b32_e32 v32, 0xc80, v0
	s_mov_b32 s1, exec_lo
                                        ; implicit-def: $vgpr31
	s_delay_alu instid0(VALU_DEP_1)
	v_cmpx_gt_u32_e64 s0, v32
	s_cbranch_execz .LBB454_59
; %bb.58:
	v_lshlrev_b32_e32 v31, 1, v32
	s_delay_alu instid0(VALU_DEP_1)
	v_add_co_u32 v31, vcc_lo, v2, v31
	v_add_co_ci_u32_e32 v32, vcc_lo, 0, v3, vcc_lo
	flat_load_u16 v31, v[31:32]
.LBB454_59:
	s_or_b32 exec_lo, exec_lo, s1
	v_or_b32_e32 v33, 0xd00, v0
	s_mov_b32 s1, exec_lo
                                        ; implicit-def: $vgpr32
	s_delay_alu instid0(VALU_DEP_1)
	v_cmpx_gt_u32_e64 s0, v33
	s_cbranch_execz .LBB454_61
; %bb.60:
	v_lshlrev_b32_e32 v32, 1, v33
	s_delay_alu instid0(VALU_DEP_1)
	v_add_co_u32 v32, vcc_lo, v2, v32
	v_add_co_ci_u32_e32 v33, vcc_lo, 0, v3, vcc_lo
	flat_load_u16 v32, v[32:33]
.LBB454_61:
	s_or_b32 exec_lo, exec_lo, s1
	v_or_b32_e32 v34, 0xd80, v0
	s_mov_b32 s1, exec_lo
                                        ; implicit-def: $vgpr33
	s_delay_alu instid0(VALU_DEP_1)
	v_cmpx_gt_u32_e64 s0, v34
	s_cbranch_execz .LBB454_63
; %bb.62:
	v_lshlrev_b32_e32 v33, 1, v34
	s_delay_alu instid0(VALU_DEP_1)
	v_add_co_u32 v33, vcc_lo, v2, v33
	v_add_co_ci_u32_e32 v34, vcc_lo, 0, v3, vcc_lo
	flat_load_u16 v33, v[33:34]
.LBB454_63:
	s_or_b32 exec_lo, exec_lo, s1
	v_or_b32_e32 v35, 0xe00, v0
	s_mov_b32 s1, exec_lo
                                        ; implicit-def: $vgpr34
	s_delay_alu instid0(VALU_DEP_1)
	v_cmpx_gt_u32_e64 s0, v35
	s_cbranch_execz .LBB454_65
; %bb.64:
	v_lshlrev_b32_e32 v34, 1, v35
	s_delay_alu instid0(VALU_DEP_1)
	v_add_co_u32 v34, vcc_lo, v2, v34
	v_add_co_ci_u32_e32 v35, vcc_lo, 0, v3, vcc_lo
	flat_load_u16 v34, v[34:35]
.LBB454_65:
	s_or_b32 exec_lo, exec_lo, s1
	v_or_b32_e32 v36, 0xe80, v0
	s_mov_b32 s1, exec_lo
                                        ; implicit-def: $vgpr35
	s_delay_alu instid0(VALU_DEP_1)
	v_cmpx_gt_u32_e64 s0, v36
	s_cbranch_execz .LBB454_67
; %bb.66:
	v_lshlrev_b32_e32 v35, 1, v36
	s_delay_alu instid0(VALU_DEP_1)
	v_add_co_u32 v2, vcc_lo, v2, v35
	v_add_co_ci_u32_e32 v3, vcc_lo, 0, v3, vcc_lo
	flat_load_u16 v35, v[2:3]
.LBB454_67:
	s_or_b32 exec_lo, exec_lo, s1
	s_waitcnt vmcnt(0) lgkmcnt(0)
	ds_store_b16 v1, v4
	ds_store_b16 v1, v5 offset:256
	ds_store_b16 v1, v6 offset:512
	;; [unrolled: 1-line block ×29, first 2 shown]
	s_waitcnt lgkmcnt(0)
	s_barrier
.LBB454_68:
	v_mul_u32_u24_e32 v33, 30, v0
	s_waitcnt vmcnt(0)
	buffer_gl0_inv
	s_and_not1_b32 vcc_lo, exec_lo, s3
	v_lshlrev_b32_e32 v1, 1, v33
	ds_load_b32 v11, v1 offset:56
	ds_load_2addr_b32 v[9:10], v1 offset0:12 offset1:13
	ds_load_2addr_b32 v[14:15], v1 offset0:10 offset1:11
	ds_load_2addr_b32 v[24:25], v1 offset1:1
	ds_load_2addr_b32 v[22:23], v1 offset0:2 offset1:3
	ds_load_2addr_b32 v[20:21], v1 offset0:4 offset1:5
	;; [unrolled: 1-line block ×4, first 2 shown]
	s_waitcnt lgkmcnt(0)
	s_barrier
	buffer_gl0_inv
	v_lshrrev_b32_e32 v86, 16, v11
	v_lshrrev_b32_e32 v88, 16, v9
	;; [unrolled: 1-line block ×15, first 2 shown]
	v_xor_b32_e32 v44, -1, v24
	v_xor_b32_e32 v45, -1, v25
	;; [unrolled: 1-line block ×30, first 2 shown]
	s_cbranch_vccnz .LBB454_70
; %bb.69:
	v_and_b32_e32 v130, 1, v44
	v_and_b32_e32 v129, 1, v48
	;; [unrolled: 1-line block ×30, first 2 shown]
	s_cbranch_execz .LBB454_71
	s_branch .LBB454_72
.LBB454_70:
                                        ; implicit-def: $vgpr130
                                        ; implicit-def: $vgpr129
                                        ; implicit-def: $vgpr128
                                        ; implicit-def: $vgpr127
                                        ; implicit-def: $vgpr125
                                        ; implicit-def: $vgpr126
                                        ; implicit-def: $vgpr124
                                        ; implicit-def: $vgpr123
                                        ; implicit-def: $vgpr122
                                        ; implicit-def: $vgpr120
                                        ; implicit-def: $vgpr121
                                        ; implicit-def: $vgpr119
                                        ; implicit-def: $vgpr118
                                        ; implicit-def: $vgpr117
                                        ; implicit-def: $vgpr115
                                        ; implicit-def: $vgpr116
                                        ; implicit-def: $vgpr114
                                        ; implicit-def: $vgpr112
                                        ; implicit-def: $vgpr111
                                        ; implicit-def: $vgpr108
                                        ; implicit-def: $vgpr110
                                        ; implicit-def: $vgpr107
                                        ; implicit-def: $vgpr106
                                        ; implicit-def: $vgpr104
                                        ; implicit-def: $vgpr102
                                        ; implicit-def: $vgpr103
                                        ; implicit-def: $vgpr101
                                        ; implicit-def: $vgpr99
                                        ; implicit-def: $vgpr98
                                        ; implicit-def: $vgpr96
.LBB454_71:
	v_or_b32_e32 v58, 1, v33
	v_cmp_gt_u32_e32 vcc_lo, s0, v33
	v_add_nc_u32_e32 v49, 29, v33
	v_add_nc_u32_e32 v50, 28, v33
	;; [unrolled: 1-line block ×28, first 2 shown]
	v_cndmask_b32_e64 v33, 0, 1, vcc_lo
	v_cmp_gt_u32_e32 vcc_lo, s0, v58
	s_delay_alu instid0(VALU_DEP_2) | instskip(SKIP_2) | instid1(VALU_DEP_2)
	v_and_b32_e32 v130, v33, v44
	v_cndmask_b32_e64 v58, 0, 1, vcc_lo
	v_cmp_gt_u32_e32 vcc_lo, s0, v59
	v_and_b32_e32 v129, v58, v48
	v_cndmask_b32_e64 v59, 0, 1, vcc_lo
	v_cmp_gt_u32_e32 vcc_lo, s0, v60
	s_delay_alu instid0(VALU_DEP_2) | instskip(SKIP_2) | instid1(VALU_DEP_2)
	v_and_b32_e32 v128, v59, v45
	v_cndmask_b32_e64 v60, 0, 1, vcc_lo
	v_cmp_gt_u32_e32 vcc_lo, s0, v61
	v_and_b32_e32 v127, v60, v47
	;; [unrolled: 7-line block ×14, first 2 shown]
	v_cndmask_b32_e64 v26, 0, 1, vcc_lo
	v_cmp_gt_u32_e32 vcc_lo, s0, v49
	s_delay_alu instid0(VALU_DEP_2) | instskip(SKIP_1) | instid1(VALU_DEP_1)
	v_and_b32_e32 v98, v26, v4
	v_cndmask_b32_e64 v27, 0, 1, vcc_lo
	v_and_b32_e32 v96, v27, v5
.LBB454_72:
	s_delay_alu instid0(VALU_DEP_2) | instskip(NEXT) | instid1(VALU_DEP_2)
	v_and_b32_e32 v84, 0xff, v98
	v_dual_mov_b32 v2, 0 :: v_dual_and_b32 v1, 0xff, v96
	v_and_b32_e32 v85, 0xff, v99
	v_and_b32_e32 v131, 0xff, v101
	;; [unrolled: 1-line block ×3, first 2 shown]
	s_delay_alu instid0(VALU_DEP_4) | instskip(NEXT) | instid1(VALU_DEP_1)
	v_add_co_u32 v1, s0, v84, v1
	v_add_co_ci_u32_e64 v3, null, 0, 0, s0
	v_and_b32_e32 v133, 0xff, v102
	s_delay_alu instid0(VALU_DEP_3) | instskip(NEXT) | instid1(VALU_DEP_3)
	v_add_co_u32 v1, vcc_lo, v1, v85
	v_add_co_ci_u32_e32 v3, vcc_lo, 0, v3, vcc_lo
	v_and_b32_e32 v34, 0xff, v104
	s_delay_alu instid0(VALU_DEP_3) | instskip(NEXT) | instid1(VALU_DEP_3)
	v_add_co_u32 v1, vcc_lo, v1, v131
	v_add_co_ci_u32_e32 v3, vcc_lo, 0, v3, vcc_lo
	;; [unrolled: 4-line block ×24, first 2 shown]
	v_mbcnt_lo_u32_b32 v58, -1, 0
	s_delay_alu instid0(VALU_DEP_3) | instskip(NEXT) | instid1(VALU_DEP_3)
	v_add_co_u32 v1, vcc_lo, v1, v55
	v_add_co_ci_u32_e32 v3, vcc_lo, 0, v3, vcc_lo
	v_and_b32_e32 v46, 0xff, v130
	s_delay_alu instid0(VALU_DEP_3) | instskip(NEXT) | instid1(VALU_DEP_3)
	v_add_co_u32 v1, vcc_lo, v1, v56
	v_add_co_ci_u32_e32 v3, vcc_lo, 0, v3, vcc_lo
	v_and_b32_e32 v59, 15, v58
	s_delay_alu instid0(VALU_DEP_3) | instskip(NEXT) | instid1(VALU_DEP_3)
	v_add_co_u32 v1, vcc_lo, v1, v57
	v_add_co_ci_u32_e32 v3, vcc_lo, 0, v3, vcc_lo
	s_delay_alu instid0(VALU_DEP_3) | instskip(NEXT) | instid1(VALU_DEP_3)
	v_cmp_ne_u32_e64 s0, 0, v59
	v_add_co_u32 v26, vcc_lo, v1, v46
	s_delay_alu instid0(VALU_DEP_3)
	v_add_co_ci_u32_e32 v27, vcc_lo, 0, v3, vcc_lo
	s_cmp_lg_u32 s4, 0
	s_mov_b32 s1, -1
	s_cbranch_scc0 .LBB454_132
; %bb.73:
	v_mov_b32_e32 v3, v26
	v_mov_b32_dpp v1, v26 row_shr:1 row_mask:0xf bank_mask:0xf
	v_mov_b32_dpp v6, v2 row_shr:1 row_mask:0xf bank_mask:0xf
	v_dual_mov_b32 v5, v26 :: v_dual_mov_b32 v4, v27
	s_and_saveexec_b32 s1, s0
; %bb.74:
	s_delay_alu instid0(VALU_DEP_3) | instskip(SKIP_1) | instid1(VALU_DEP_2)
	v_add_co_u32 v5, vcc_lo, v26, v1
	v_add_co_ci_u32_e32 v2, vcc_lo, 0, v27, vcc_lo
	v_add_co_u32 v1, vcc_lo, 0, v5
	s_delay_alu instid0(VALU_DEP_2) | instskip(NEXT) | instid1(VALU_DEP_1)
	v_add_co_ci_u32_e32 v2, vcc_lo, v6, v2, vcc_lo
	v_dual_mov_b32 v4, v2 :: v_dual_mov_b32 v3, v1
; %bb.75:
	s_or_b32 exec_lo, exec_lo, s1
	v_mov_b32_dpp v1, v5 row_shr:2 row_mask:0xf bank_mask:0xf
	v_mov_b32_dpp v6, v2 row_shr:2 row_mask:0xf bank_mask:0xf
	s_mov_b32 s1, exec_lo
	v_cmpx_lt_u32_e32 1, v59
; %bb.76:
	s_delay_alu instid0(VALU_DEP_3) | instskip(SKIP_1) | instid1(VALU_DEP_2)
	v_add_co_u32 v5, vcc_lo, v3, v1
	v_add_co_ci_u32_e32 v2, vcc_lo, 0, v4, vcc_lo
	v_add_co_u32 v1, vcc_lo, 0, v5
	s_delay_alu instid0(VALU_DEP_2) | instskip(NEXT) | instid1(VALU_DEP_1)
	v_add_co_ci_u32_e32 v2, vcc_lo, v6, v2, vcc_lo
	v_dual_mov_b32 v4, v2 :: v_dual_mov_b32 v3, v1
; %bb.77:
	s_or_b32 exec_lo, exec_lo, s1
	v_mov_b32_dpp v1, v5 row_shr:4 row_mask:0xf bank_mask:0xf
	v_mov_b32_dpp v6, v2 row_shr:4 row_mask:0xf bank_mask:0xf
	s_mov_b32 s1, exec_lo
	v_cmpx_lt_u32_e32 3, v59
	;; [unrolled: 14-line block ×3, first 2 shown]
; %bb.80:
	s_delay_alu instid0(VALU_DEP_3) | instskip(SKIP_1) | instid1(VALU_DEP_2)
	v_add_co_u32 v5, vcc_lo, v3, v6
	v_add_co_ci_u32_e32 v2, vcc_lo, 0, v4, vcc_lo
	v_add_co_u32 v3, vcc_lo, 0, v5
	s_delay_alu instid0(VALU_DEP_2) | instskip(NEXT) | instid1(VALU_DEP_1)
	v_add_co_ci_u32_e32 v4, vcc_lo, v1, v2, vcc_lo
	v_mov_b32_e32 v2, v4
; %bb.81:
	s_or_b32 exec_lo, exec_lo, s1
	ds_swizzle_b32 v1, v5 offset:swizzle(BROADCAST,32,15)
	ds_swizzle_b32 v6, v2 offset:swizzle(BROADCAST,32,15)
	v_and_b32_e32 v7, 16, v58
	s_mov_b32 s1, exec_lo
	s_delay_alu instid0(VALU_DEP_1)
	v_cmpx_ne_u32_e32 0, v7
	s_cbranch_execz .LBB454_83
; %bb.82:
	s_waitcnt lgkmcnt(1)
	v_add_co_u32 v5, vcc_lo, v3, v1
	v_add_co_ci_u32_e32 v2, vcc_lo, 0, v4, vcc_lo
	s_delay_alu instid0(VALU_DEP_2) | instskip(SKIP_1) | instid1(VALU_DEP_2)
	v_add_co_u32 v1, vcc_lo, 0, v5
	s_waitcnt lgkmcnt(0)
	v_add_co_ci_u32_e32 v2, vcc_lo, v6, v2, vcc_lo
	s_delay_alu instid0(VALU_DEP_1)
	v_dual_mov_b32 v4, v2 :: v_dual_mov_b32 v3, v1
.LBB454_83:
	s_or_b32 exec_lo, exec_lo, s1
	s_waitcnt lgkmcnt(0)
	v_or_b32_e32 v6, 31, v0
	v_lshrrev_b32_e32 v1, 5, v0
	s_mov_b32 s1, exec_lo
	s_delay_alu instid0(VALU_DEP_2)
	v_cmpx_eq_u32_e64 v6, v0
	s_cbranch_execz .LBB454_85
; %bb.84:
	s_delay_alu instid0(VALU_DEP_2)
	v_lshlrev_b32_e32 v6, 3, v1
	ds_store_b64 v6, v[3:4]
.LBB454_85:
	s_or_b32 exec_lo, exec_lo, s1
	s_delay_alu instid0(SALU_CYCLE_1)
	s_mov_b32 s1, exec_lo
	s_waitcnt lgkmcnt(0)
	s_barrier
	buffer_gl0_inv
	v_cmpx_gt_u32_e32 4, v0
	s_cbranch_execz .LBB454_91
; %bb.86:
	v_lshlrev_b32_e32 v6, 3, v0
	s_mov_b32 s6, exec_lo
	ds_load_b64 v[3:4], v6
	s_waitcnt lgkmcnt(0)
	v_dual_mov_b32 v8, v3 :: v_dual_and_b32 v7, 3, v58
	v_mov_b32_dpp v29, v3 row_shr:1 row_mask:0xf bank_mask:0xf
	v_mov_b32_dpp v28, v4 row_shr:1 row_mask:0xf bank_mask:0xf
	s_delay_alu instid0(VALU_DEP_3)
	v_cmpx_ne_u32_e32 0, v7
; %bb.87:
	s_delay_alu instid0(VALU_DEP_3) | instskip(SKIP_1) | instid1(VALU_DEP_2)
	v_add_co_u32 v8, vcc_lo, v3, v29
	v_add_co_ci_u32_e32 v4, vcc_lo, 0, v4, vcc_lo
	v_add_co_u32 v3, vcc_lo, 0, v8
	s_delay_alu instid0(VALU_DEP_2)
	v_add_co_ci_u32_e32 v4, vcc_lo, v28, v4, vcc_lo
; %bb.88:
	s_or_b32 exec_lo, exec_lo, s6
	v_mov_b32_dpp v28, v8 row_shr:2 row_mask:0xf bank_mask:0xf
	s_delay_alu instid0(VALU_DEP_2)
	v_mov_b32_dpp v8, v4 row_shr:2 row_mask:0xf bank_mask:0xf
	s_mov_b32 s6, exec_lo
	v_cmpx_lt_u32_e32 1, v7
; %bb.89:
	s_delay_alu instid0(VALU_DEP_3) | instskip(SKIP_1) | instid1(VALU_DEP_2)
	v_add_co_u32 v3, vcc_lo, v3, v28
	v_add_co_ci_u32_e32 v4, vcc_lo, 0, v4, vcc_lo
	v_add_co_u32 v3, vcc_lo, v3, 0
	s_delay_alu instid0(VALU_DEP_2)
	v_add_co_ci_u32_e32 v4, vcc_lo, v4, v8, vcc_lo
; %bb.90:
	s_or_b32 exec_lo, exec_lo, s6
	ds_store_b64 v6, v[3:4]
.LBB454_91:
	s_or_b32 exec_lo, exec_lo, s1
	v_cmp_gt_u32_e32 vcc_lo, 32, v0
	s_mov_b32 s6, exec_lo
	s_waitcnt lgkmcnt(0)
	s_barrier
	buffer_gl0_inv
                                        ; implicit-def: $vgpr28_vgpr29
	v_cmpx_lt_u32_e32 31, v0
	s_cbranch_execz .LBB454_93
; %bb.92:
	v_lshl_add_u32 v1, v1, 3, -8
	ds_load_b64 v[28:29], v1
	s_waitcnt lgkmcnt(0)
	v_add_co_u32 v5, s1, v5, v28
	s_delay_alu instid0(VALU_DEP_1)
	v_add_co_ci_u32_e64 v2, s1, v2, v29, s1
.LBB454_93:
	s_or_b32 exec_lo, exec_lo, s6
	v_add_nc_u32_e32 v1, -1, v58
	s_delay_alu instid0(VALU_DEP_1) | instskip(NEXT) | instid1(VALU_DEP_1)
	v_cmp_gt_i32_e64 s1, 0, v1
	v_cndmask_b32_e64 v1, v1, v58, s1
	v_cmp_eq_u32_e64 s1, 0, v58
	s_delay_alu instid0(VALU_DEP_2)
	v_lshlrev_b32_e32 v1, 2, v1
	ds_bpermute_b32 v60, v1, v5
	ds_bpermute_b32 v61, v1, v2
	s_and_saveexec_b32 s6, vcc_lo
	s_cbranch_execz .LBB454_131
; %bb.94:
	v_mov_b32_e32 v4, 0
	ds_load_b64 v[1:2], v4 offset:24
	s_and_saveexec_b32 s7, s1
	s_cbranch_execz .LBB454_96
; %bb.95:
	s_add_i32 s10, s4, 32
	s_mov_b32 s11, 0
	s_delay_alu instid0(SALU_CYCLE_1) | instskip(NEXT) | instid1(SALU_CYCLE_1)
	s_lshl_b64 s[10:11], s[10:11], 4
	s_add_u32 s10, s14, s10
	s_addc_u32 s11, s15, s11
	v_mov_b32_e32 v5, s10
	v_dual_mov_b32 v3, 1 :: v_dual_mov_b32 v6, s11
	s_waitcnt lgkmcnt(0)
	;;#ASMSTART
	global_store_dwordx4 v[5:6], v[1:4] off	
s_waitcnt vmcnt(0)
	;;#ASMEND
.LBB454_96:
	s_or_b32 exec_lo, exec_lo, s7
	v_xad_u32 v30, v58, -1, s4
	s_mov_b32 s10, 0
	s_mov_b32 s7, exec_lo
	s_delay_alu instid0(VALU_DEP_1) | instskip(NEXT) | instid1(VALU_DEP_1)
	v_add_nc_u32_e32 v3, 32, v30
	v_lshlrev_b64 v[3:4], 4, v[3:4]
	s_delay_alu instid0(VALU_DEP_1) | instskip(NEXT) | instid1(VALU_DEP_2)
	v_add_co_u32 v3, vcc_lo, s14, v3
	v_add_co_ci_u32_e32 v4, vcc_lo, s15, v4, vcc_lo
	;;#ASMSTART
	global_load_dwordx4 v[5:8], v[3:4] off glc	
s_waitcnt vmcnt(0)
	;;#ASMEND
	v_and_b32_e32 v8, 0xff, v6
	v_and_b32_e32 v31, 0xff00, v6
	v_or3_b32 v5, v5, 0, 0
	v_and_b32_e32 v32, 0xff000000, v6
	v_and_b32_e32 v6, 0xff0000, v6
	s_delay_alu instid0(VALU_DEP_4) | instskip(SKIP_2) | instid1(VALU_DEP_3)
	v_or3_b32 v8, 0, v8, v31
	v_and_b32_e32 v31, 0xff, v7
	v_or3_b32 v5, v5, 0, 0
	v_or3_b32 v6, v8, v6, v32
	s_delay_alu instid0(VALU_DEP_3)
	v_cmpx_eq_u16_e32 0, v31
	s_cbranch_execz .LBB454_99
.LBB454_97:                             ; =>This Inner Loop Header: Depth=1
	;;#ASMSTART
	global_load_dwordx4 v[5:8], v[3:4] off glc	
s_waitcnt vmcnt(0)
	;;#ASMEND
	v_and_b32_e32 v8, 0xff, v7
	s_delay_alu instid0(VALU_DEP_1) | instskip(SKIP_1) | instid1(SALU_CYCLE_1)
	v_cmp_ne_u16_e32 vcc_lo, 0, v8
	s_or_b32 s10, vcc_lo, s10
	s_and_not1_b32 exec_lo, exec_lo, s10
	s_cbranch_execnz .LBB454_97
; %bb.98:
	s_or_b32 exec_lo, exec_lo, s10
.LBB454_99:
	s_delay_alu instid0(SALU_CYCLE_1)
	s_or_b32 exec_lo, exec_lo, s7
	v_cmp_ne_u32_e32 vcc_lo, 31, v58
	v_and_b32_e32 v4, 0xff, v7
	v_lshlrev_b32_e64 v63, v58, -1
	s_mov_b32 s7, exec_lo
	v_add_co_ci_u32_e32 v3, vcc_lo, 0, v58, vcc_lo
	s_delay_alu instid0(VALU_DEP_3) | instskip(SKIP_1) | instid1(VALU_DEP_3)
	v_cmp_eq_u16_e32 vcc_lo, 2, v4
	v_mov_b32_e32 v4, v5
	v_lshlrev_b32_e32 v62, 2, v3
	v_and_or_b32 v3, vcc_lo, v63, 0x80000000
	ds_bpermute_b32 v31, v62, v5
	ds_bpermute_b32 v8, v62, v6
	v_ctz_i32_b32_e32 v3, v3
	s_delay_alu instid0(VALU_DEP_1)
	v_cmpx_lt_u32_e64 v58, v3
	s_cbranch_execz .LBB454_101
; %bb.100:
	s_waitcnt lgkmcnt(1)
	v_add_co_u32 v4, vcc_lo, v5, v31
	v_add_co_ci_u32_e32 v6, vcc_lo, 0, v6, vcc_lo
	s_delay_alu instid0(VALU_DEP_2) | instskip(SKIP_1) | instid1(VALU_DEP_2)
	v_add_co_u32 v5, vcc_lo, 0, v4
	s_waitcnt lgkmcnt(0)
	v_add_co_ci_u32_e32 v6, vcc_lo, v8, v6, vcc_lo
.LBB454_101:
	s_or_b32 exec_lo, exec_lo, s7
	v_cmp_gt_u32_e32 vcc_lo, 30, v58
	v_add_nc_u32_e32 v65, 2, v58
	s_mov_b32 s7, exec_lo
	s_waitcnt lgkmcnt(0)
	v_cndmask_b32_e64 v8, 0, 1, vcc_lo
	s_delay_alu instid0(VALU_DEP_1) | instskip(NEXT) | instid1(VALU_DEP_1)
	v_lshlrev_b32_e32 v8, 1, v8
	v_add_lshl_u32 v64, v8, v58, 2
	ds_bpermute_b32 v31, v64, v4
	ds_bpermute_b32 v8, v64, v6
	v_cmpx_le_u32_e64 v65, v3
	s_cbranch_execz .LBB454_103
; %bb.102:
	s_waitcnt lgkmcnt(1)
	v_add_co_u32 v4, vcc_lo, v5, v31
	v_add_co_ci_u32_e32 v6, vcc_lo, 0, v6, vcc_lo
	s_delay_alu instid0(VALU_DEP_2) | instskip(SKIP_1) | instid1(VALU_DEP_2)
	v_add_co_u32 v5, vcc_lo, 0, v4
	s_waitcnt lgkmcnt(0)
	v_add_co_ci_u32_e32 v6, vcc_lo, v8, v6, vcc_lo
.LBB454_103:
	s_or_b32 exec_lo, exec_lo, s7
	v_cmp_gt_u32_e32 vcc_lo, 28, v58
	v_add_nc_u32_e32 v67, 4, v58
	s_mov_b32 s7, exec_lo
	s_waitcnt lgkmcnt(0)
	v_cndmask_b32_e64 v8, 0, 1, vcc_lo
	s_delay_alu instid0(VALU_DEP_1) | instskip(NEXT) | instid1(VALU_DEP_1)
	v_lshlrev_b32_e32 v8, 2, v8
	v_add_lshl_u32 v66, v8, v58, 2
	ds_bpermute_b32 v31, v66, v4
	ds_bpermute_b32 v8, v66, v6
	v_cmpx_le_u32_e64 v67, v3
	;; [unrolled: 22-line block ×4, first 2 shown]
	s_cbranch_execz .LBB454_109
; %bb.108:
	s_waitcnt lgkmcnt(1)
	v_add_co_u32 v3, vcc_lo, v5, v8
	v_add_co_ci_u32_e32 v6, vcc_lo, 0, v6, vcc_lo
	s_delay_alu instid0(VALU_DEP_2) | instskip(SKIP_1) | instid1(VALU_DEP_2)
	v_add_co_u32 v5, vcc_lo, v3, 0
	s_waitcnt lgkmcnt(0)
	v_add_co_ci_u32_e32 v6, vcc_lo, v6, v4, vcc_lo
.LBB454_109:
	s_or_b32 exec_lo, exec_lo, s7
	v_mov_b32_e32 v31, 0
	s_branch .LBB454_111
.LBB454_110:                            ;   in Loop: Header=BB454_111 Depth=1
	s_or_b32 exec_lo, exec_lo, s7
	v_add_co_u32 v5, vcc_lo, v5, v3
	v_subrev_nc_u32_e32 v30, 32, v30
	v_add_co_ci_u32_e32 v6, vcc_lo, v6, v4, vcc_lo
.LBB454_111:                            ; =>This Loop Header: Depth=1
                                        ;     Child Loop BB454_114 Depth 2
	v_and_b32_e32 v3, 0xff, v7
	s_delay_alu instid0(VALU_DEP_1) | instskip(SKIP_2) | instid1(VALU_DEP_1)
	v_cmp_ne_u16_e32 vcc_lo, 2, v3
	v_cndmask_b32_e64 v3, 0, 1, vcc_lo
	;;#ASMSTART
	;;#ASMEND
	v_cmp_ne_u32_e32 vcc_lo, 0, v3
	s_waitcnt lgkmcnt(0)
	v_dual_mov_b32 v3, v5 :: v_dual_mov_b32 v4, v6
	s_cmp_lg_u32 vcc_lo, exec_lo
	s_cbranch_scc1 .LBB454_126
; %bb.112:                              ;   in Loop: Header=BB454_111 Depth=1
	v_lshlrev_b64 v[5:6], 4, v[30:31]
	s_mov_b32 s7, exec_lo
	s_delay_alu instid0(VALU_DEP_1) | instskip(NEXT) | instid1(VALU_DEP_2)
	v_add_co_u32 v32, vcc_lo, s14, v5
	v_add_co_ci_u32_e32 v33, vcc_lo, s15, v6, vcc_lo
	;;#ASMSTART
	global_load_dwordx4 v[5:8], v[32:33] off glc	
s_waitcnt vmcnt(0)
	;;#ASMEND
	v_and_b32_e32 v8, 0xff, v6
	v_and_b32_e32 v72, 0xff00, v6
	v_or3_b32 v5, v5, 0, 0
	v_and_b32_e32 v73, 0xff000000, v6
	v_and_b32_e32 v6, 0xff0000, v6
	s_delay_alu instid0(VALU_DEP_4) | instskip(SKIP_2) | instid1(VALU_DEP_3)
	v_or3_b32 v8, 0, v8, v72
	v_and_b32_e32 v72, 0xff, v7
	v_or3_b32 v5, v5, 0, 0
	v_or3_b32 v6, v8, v6, v73
	s_delay_alu instid0(VALU_DEP_3)
	v_cmpx_eq_u16_e32 0, v72
	s_cbranch_execz .LBB454_116
; %bb.113:                              ;   in Loop: Header=BB454_111 Depth=1
	s_mov_b32 s10, 0
.LBB454_114:                            ;   Parent Loop BB454_111 Depth=1
                                        ; =>  This Inner Loop Header: Depth=2
	;;#ASMSTART
	global_load_dwordx4 v[5:8], v[32:33] off glc	
s_waitcnt vmcnt(0)
	;;#ASMEND
	v_and_b32_e32 v8, 0xff, v7
	s_delay_alu instid0(VALU_DEP_1) | instskip(SKIP_1) | instid1(SALU_CYCLE_1)
	v_cmp_ne_u16_e32 vcc_lo, 0, v8
	s_or_b32 s10, vcc_lo, s10
	s_and_not1_b32 exec_lo, exec_lo, s10
	s_cbranch_execnz .LBB454_114
; %bb.115:                              ;   in Loop: Header=BB454_111 Depth=1
	s_or_b32 exec_lo, exec_lo, s10
.LBB454_116:                            ;   in Loop: Header=BB454_111 Depth=1
	s_delay_alu instid0(SALU_CYCLE_1)
	s_or_b32 exec_lo, exec_lo, s7
	v_and_b32_e32 v8, 0xff, v7
	ds_bpermute_b32 v72, v62, v5
	ds_bpermute_b32 v33, v62, v6
	v_mov_b32_e32 v32, v5
	s_mov_b32 s7, exec_lo
	v_cmp_eq_u16_e32 vcc_lo, 2, v8
	v_and_or_b32 v8, vcc_lo, v63, 0x80000000
	s_delay_alu instid0(VALU_DEP_1) | instskip(NEXT) | instid1(VALU_DEP_1)
	v_ctz_i32_b32_e32 v8, v8
	v_cmpx_lt_u32_e64 v58, v8
	s_cbranch_execz .LBB454_118
; %bb.117:                              ;   in Loop: Header=BB454_111 Depth=1
	s_waitcnt lgkmcnt(1)
	v_add_co_u32 v32, vcc_lo, v5, v72
	v_add_co_ci_u32_e32 v6, vcc_lo, 0, v6, vcc_lo
	s_delay_alu instid0(VALU_DEP_2) | instskip(SKIP_1) | instid1(VALU_DEP_2)
	v_add_co_u32 v5, vcc_lo, 0, v32
	s_waitcnt lgkmcnt(0)
	v_add_co_ci_u32_e32 v6, vcc_lo, v33, v6, vcc_lo
.LBB454_118:                            ;   in Loop: Header=BB454_111 Depth=1
	s_or_b32 exec_lo, exec_lo, s7
	s_waitcnt lgkmcnt(1)
	ds_bpermute_b32 v72, v64, v32
	s_waitcnt lgkmcnt(1)
	ds_bpermute_b32 v33, v64, v6
	s_mov_b32 s7, exec_lo
	v_cmpx_le_u32_e64 v65, v8
	s_cbranch_execz .LBB454_120
; %bb.119:                              ;   in Loop: Header=BB454_111 Depth=1
	s_waitcnt lgkmcnt(1)
	v_add_co_u32 v32, vcc_lo, v5, v72
	v_add_co_ci_u32_e32 v6, vcc_lo, 0, v6, vcc_lo
	s_delay_alu instid0(VALU_DEP_2) | instskip(SKIP_1) | instid1(VALU_DEP_2)
	v_add_co_u32 v5, vcc_lo, 0, v32
	s_waitcnt lgkmcnt(0)
	v_add_co_ci_u32_e32 v6, vcc_lo, v33, v6, vcc_lo
.LBB454_120:                            ;   in Loop: Header=BB454_111 Depth=1
	s_or_b32 exec_lo, exec_lo, s7
	s_waitcnt lgkmcnt(1)
	ds_bpermute_b32 v72, v66, v32
	s_waitcnt lgkmcnt(1)
	ds_bpermute_b32 v33, v66, v6
	s_mov_b32 s7, exec_lo
	v_cmpx_le_u32_e64 v67, v8
	;; [unrolled: 17-line block ×3, first 2 shown]
	s_cbranch_execz .LBB454_124
; %bb.123:                              ;   in Loop: Header=BB454_111 Depth=1
	s_waitcnt lgkmcnt(1)
	v_add_co_u32 v32, vcc_lo, v5, v72
	v_add_co_ci_u32_e32 v6, vcc_lo, 0, v6, vcc_lo
	s_delay_alu instid0(VALU_DEP_2) | instskip(SKIP_1) | instid1(VALU_DEP_2)
	v_add_co_u32 v5, vcc_lo, 0, v32
	s_waitcnt lgkmcnt(0)
	v_add_co_ci_u32_e32 v6, vcc_lo, v33, v6, vcc_lo
.LBB454_124:                            ;   in Loop: Header=BB454_111 Depth=1
	s_or_b32 exec_lo, exec_lo, s7
	s_waitcnt lgkmcnt(0)
	ds_bpermute_b32 v33, v70, v32
	ds_bpermute_b32 v32, v70, v6
	s_mov_b32 s7, exec_lo
	v_cmpx_le_u32_e64 v71, v8
	s_cbranch_execz .LBB454_110
; %bb.125:                              ;   in Loop: Header=BB454_111 Depth=1
	s_waitcnt lgkmcnt(1)
	v_add_co_u32 v5, vcc_lo, v5, v33
	v_add_co_ci_u32_e32 v6, vcc_lo, 0, v6, vcc_lo
	s_delay_alu instid0(VALU_DEP_2) | instskip(SKIP_1) | instid1(VALU_DEP_2)
	v_add_co_u32 v5, vcc_lo, v5, 0
	s_waitcnt lgkmcnt(0)
	v_add_co_ci_u32_e32 v6, vcc_lo, v6, v32, vcc_lo
	s_branch .LBB454_110
.LBB454_126:                            ;   in Loop: Header=BB454_111 Depth=1
                                        ; implicit-def: $vgpr5_vgpr6
	s_cbranch_execz .LBB454_111
; %bb.127:
	s_and_saveexec_b32 s7, s1
	s_cbranch_execz .LBB454_129
; %bb.128:
	s_add_i32 s10, s4, 32
	s_mov_b32 s11, 0
	v_add_co_u32 v5, vcc_lo, v3, v1
	s_lshl_b64 s[10:11], s[10:11], 4
	v_dual_mov_b32 v7, 2 :: v_dual_mov_b32 v8, 0
	s_add_u32 s10, s14, s10
	s_addc_u32 s11, s15, s11
	v_add_co_ci_u32_e32 v6, vcc_lo, v4, v2, vcc_lo
	v_dual_mov_b32 v31, s11 :: v_dual_mov_b32 v30, s10
	;;#ASMSTART
	global_store_dwordx4 v[30:31], v[5:8] off	
s_waitcnt vmcnt(0)
	;;#ASMEND
	ds_store_b128 v8, v[1:4] offset:7680
.LBB454_129:
	s_or_b32 exec_lo, exec_lo, s7
	s_delay_alu instid0(SALU_CYCLE_1)
	s_and_b32 exec_lo, exec_lo, s2
	s_cbranch_execz .LBB454_131
; %bb.130:
	v_mov_b32_e32 v1, 0
	ds_store_b64 v1, v[3:4] offset:24
.LBB454_131:
	s_or_b32 exec_lo, exec_lo, s6
	v_mov_b32_e32 v3, 0
	s_waitcnt lgkmcnt(0)
	s_barrier
	buffer_gl0_inv
	v_cndmask_b32_e64 v8, v61, v29, s1
	ds_load_b64 v[1:2], v3 offset:24
	s_waitcnt lgkmcnt(0)
	s_barrier
	buffer_gl0_inv
	ds_load_b128 v[4:7], v3 offset:7680
	v_cndmask_b32_e64 v3, v60, v28, s1
	v_cndmask_b32_e64 v8, v8, 0, s2
	s_delay_alu instid0(VALU_DEP_2) | instskip(NEXT) | instid1(VALU_DEP_1)
	v_cndmask_b32_e64 v3, v3, 0, s2
	v_add_co_u32 v74, vcc_lo, v1, v3
	s_delay_alu instid0(VALU_DEP_3)
	v_add_co_ci_u32_e32 v75, vcc_lo, v2, v8, vcc_lo
	s_branch .LBB454_156
.LBB454_132:
                                        ; implicit-def: $vgpr6_vgpr7
                                        ; implicit-def: $vgpr74_vgpr75
	s_and_b32 vcc_lo, exec_lo, s1
	s_cbranch_vccz .LBB454_156
; %bb.133:
	v_dual_mov_b32 v2, 0 :: v_dual_mov_b32 v3, v26
	s_waitcnt lgkmcnt(0)
	v_mov_b32_dpp v4, v26 row_shr:1 row_mask:0xf bank_mask:0xf
	s_delay_alu instid0(VALU_DEP_2)
	v_mov_b32_dpp v1, v2 row_shr:1 row_mask:0xf bank_mask:0xf
	s_and_saveexec_b32 s1, s0
; %bb.134:
	s_delay_alu instid0(VALU_DEP_2) | instskip(SKIP_1) | instid1(VALU_DEP_2)
	v_add_co_u32 v3, vcc_lo, v26, v4
	v_add_co_ci_u32_e32 v2, vcc_lo, 0, v27, vcc_lo
	v_add_co_u32 v26, vcc_lo, 0, v3
	s_delay_alu instid0(VALU_DEP_2) | instskip(NEXT) | instid1(VALU_DEP_1)
	v_add_co_ci_u32_e32 v27, vcc_lo, v1, v2, vcc_lo
	v_mov_b32_e32 v2, v27
; %bb.135:
	s_or_b32 exec_lo, exec_lo, s1
	v_mov_b32_dpp v1, v3 row_shr:2 row_mask:0xf bank_mask:0xf
	s_delay_alu instid0(VALU_DEP_2)
	v_mov_b32_dpp v4, v2 row_shr:2 row_mask:0xf bank_mask:0xf
	s_mov_b32 s0, exec_lo
	v_cmpx_lt_u32_e32 1, v59
; %bb.136:
	s_delay_alu instid0(VALU_DEP_3) | instskip(SKIP_1) | instid1(VALU_DEP_2)
	v_add_co_u32 v3, vcc_lo, v26, v1
	v_add_co_ci_u32_e32 v2, vcc_lo, 0, v27, vcc_lo
	v_add_co_u32 v1, vcc_lo, 0, v3
	s_delay_alu instid0(VALU_DEP_2) | instskip(NEXT) | instid1(VALU_DEP_1)
	v_add_co_ci_u32_e32 v2, vcc_lo, v4, v2, vcc_lo
	v_dual_mov_b32 v27, v2 :: v_dual_mov_b32 v26, v1
; %bb.137:
	s_or_b32 exec_lo, exec_lo, s0
	v_mov_b32_dpp v1, v3 row_shr:4 row_mask:0xf bank_mask:0xf
	v_mov_b32_dpp v4, v2 row_shr:4 row_mask:0xf bank_mask:0xf
	s_mov_b32 s0, exec_lo
	v_cmpx_lt_u32_e32 3, v59
; %bb.138:
	s_delay_alu instid0(VALU_DEP_3) | instskip(SKIP_1) | instid1(VALU_DEP_2)
	v_add_co_u32 v3, vcc_lo, v26, v1
	v_add_co_ci_u32_e32 v2, vcc_lo, 0, v27, vcc_lo
	v_add_co_u32 v1, vcc_lo, 0, v3
	s_delay_alu instid0(VALU_DEP_2) | instskip(NEXT) | instid1(VALU_DEP_1)
	v_add_co_ci_u32_e32 v2, vcc_lo, v4, v2, vcc_lo
	v_dual_mov_b32 v27, v2 :: v_dual_mov_b32 v26, v1
; %bb.139:
	s_or_b32 exec_lo, exec_lo, s0
	v_mov_b32_dpp v4, v3 row_shr:8 row_mask:0xf bank_mask:0xf
	v_mov_b32_dpp v1, v2 row_shr:8 row_mask:0xf bank_mask:0xf
	s_mov_b32 s0, exec_lo
	v_cmpx_lt_u32_e32 7, v59
; %bb.140:
	s_delay_alu instid0(VALU_DEP_3) | instskip(SKIP_1) | instid1(VALU_DEP_2)
	v_add_co_u32 v3, vcc_lo, v26, v4
	v_add_co_ci_u32_e32 v2, vcc_lo, 0, v27, vcc_lo
	v_add_co_u32 v26, vcc_lo, 0, v3
	s_delay_alu instid0(VALU_DEP_2) | instskip(NEXT) | instid1(VALU_DEP_1)
	v_add_co_ci_u32_e32 v27, vcc_lo, v1, v2, vcc_lo
	v_mov_b32_e32 v2, v27
; %bb.141:
	s_or_b32 exec_lo, exec_lo, s0
	ds_swizzle_b32 v3, v3 offset:swizzle(BROADCAST,32,15)
	ds_swizzle_b32 v1, v2 offset:swizzle(BROADCAST,32,15)
	v_and_b32_e32 v2, 16, v58
	s_mov_b32 s0, exec_lo
	s_delay_alu instid0(VALU_DEP_1)
	v_cmpx_ne_u32_e32 0, v2
	s_cbranch_execz .LBB454_143
; %bb.142:
	s_waitcnt lgkmcnt(1)
	v_add_co_u32 v2, vcc_lo, v26, v3
	v_add_co_ci_u32_e32 v3, vcc_lo, 0, v27, vcc_lo
	s_delay_alu instid0(VALU_DEP_2) | instskip(SKIP_1) | instid1(VALU_DEP_2)
	v_add_co_u32 v26, vcc_lo, v2, 0
	s_waitcnt lgkmcnt(0)
	v_add_co_ci_u32_e32 v27, vcc_lo, v3, v1, vcc_lo
.LBB454_143:
	s_or_b32 exec_lo, exec_lo, s0
	s_waitcnt lgkmcnt(0)
	v_or_b32_e32 v1, 31, v0
	v_lshrrev_b32_e32 v3, 5, v0
	s_mov_b32 s0, exec_lo
	s_delay_alu instid0(VALU_DEP_2)
	v_cmpx_eq_u32_e64 v1, v0
	s_cbranch_execz .LBB454_145
; %bb.144:
	s_delay_alu instid0(VALU_DEP_2)
	v_lshlrev_b32_e32 v1, 3, v3
	ds_store_b64 v1, v[26:27]
.LBB454_145:
	s_or_b32 exec_lo, exec_lo, s0
	s_delay_alu instid0(SALU_CYCLE_1)
	s_mov_b32 s0, exec_lo
	s_waitcnt lgkmcnt(0)
	s_barrier
	buffer_gl0_inv
	v_cmpx_gt_u32_e32 4, v0
	s_cbranch_execz .LBB454_151
; %bb.146:
	v_lshlrev_b32_e32 v4, 3, v0
	s_mov_b32 s1, exec_lo
	ds_load_b64 v[1:2], v4
	s_waitcnt lgkmcnt(0)
	v_dual_mov_b32 v6, v1 :: v_dual_and_b32 v5, 3, v58
	v_mov_b32_dpp v8, v1 row_shr:1 row_mask:0xf bank_mask:0xf
	v_mov_b32_dpp v7, v2 row_shr:1 row_mask:0xf bank_mask:0xf
	s_delay_alu instid0(VALU_DEP_3)
	v_cmpx_ne_u32_e32 0, v5
; %bb.147:
	s_delay_alu instid0(VALU_DEP_3) | instskip(SKIP_1) | instid1(VALU_DEP_2)
	v_add_co_u32 v6, vcc_lo, v1, v8
	v_add_co_ci_u32_e32 v2, vcc_lo, 0, v2, vcc_lo
	v_add_co_u32 v1, vcc_lo, 0, v6
	s_delay_alu instid0(VALU_DEP_2)
	v_add_co_ci_u32_e32 v2, vcc_lo, v7, v2, vcc_lo
; %bb.148:
	s_or_b32 exec_lo, exec_lo, s1
	v_mov_b32_dpp v7, v6 row_shr:2 row_mask:0xf bank_mask:0xf
	s_delay_alu instid0(VALU_DEP_2)
	v_mov_b32_dpp v6, v2 row_shr:2 row_mask:0xf bank_mask:0xf
	s_mov_b32 s1, exec_lo
	v_cmpx_lt_u32_e32 1, v5
; %bb.149:
	s_delay_alu instid0(VALU_DEP_3) | instskip(SKIP_1) | instid1(VALU_DEP_2)
	v_add_co_u32 v1, vcc_lo, v1, v7
	v_add_co_ci_u32_e32 v2, vcc_lo, 0, v2, vcc_lo
	v_add_co_u32 v1, vcc_lo, v1, 0
	s_delay_alu instid0(VALU_DEP_2)
	v_add_co_ci_u32_e32 v2, vcc_lo, v2, v6, vcc_lo
; %bb.150:
	s_or_b32 exec_lo, exec_lo, s1
	ds_store_b64 v4, v[1:2]
.LBB454_151:
	s_or_b32 exec_lo, exec_lo, s0
	v_mov_b32_e32 v1, 0
	v_mov_b32_e32 v2, 0
	s_mov_b32 s0, exec_lo
	s_waitcnt lgkmcnt(0)
	s_barrier
	buffer_gl0_inv
	v_cmpx_lt_u32_e32 31, v0
	s_cbranch_execz .LBB454_153
; %bb.152:
	v_lshl_add_u32 v1, v3, 3, -8
	ds_load_b64 v[1:2], v1
.LBB454_153:
	s_or_b32 exec_lo, exec_lo, s0
	v_add_nc_u32_e32 v3, -1, v58
	v_mov_b32_e32 v7, 0
	s_delay_alu instid0(VALU_DEP_2) | instskip(SKIP_1) | instid1(VALU_DEP_1)
	v_cmp_gt_i32_e32 vcc_lo, 0, v3
	v_cndmask_b32_e32 v3, v3, v58, vcc_lo
	v_lshlrev_b32_e32 v4, 2, v3
	s_waitcnt lgkmcnt(0)
	v_add_co_u32 v3, vcc_lo, v1, v26
	v_add_co_ci_u32_e32 v5, vcc_lo, v2, v27, vcc_lo
	ds_bpermute_b32 v3, v4, v3
	ds_bpermute_b32 v8, v4, v5
	ds_load_b64 v[4:5], v7 offset:24
	s_and_saveexec_b32 s0, s2
	s_cbranch_execz .LBB454_155
; %bb.154:
	s_add_u32 s6, s14, 0x200
	s_addc_u32 s7, s15, 0
	s_delay_alu instid0(SALU_CYCLE_1)
	v_dual_mov_b32 v6, 2 :: v_dual_mov_b32 v27, s7
	v_mov_b32_e32 v26, s6
	s_waitcnt lgkmcnt(0)
	;;#ASMSTART
	global_store_dwordx4 v[26:27], v[4:7] off	
s_waitcnt vmcnt(0)
	;;#ASMEND
.LBB454_155:
	s_or_b32 exec_lo, exec_lo, s0
	v_cmp_eq_u32_e32 vcc_lo, 0, v58
	v_mov_b32_e32 v6, 0
	v_mov_b32_e32 v7, 0
	s_waitcnt lgkmcnt(0)
	s_barrier
	v_dual_cndmask_b32 v1, v3, v1 :: v_dual_cndmask_b32 v2, v8, v2
	buffer_gl0_inv
	v_cndmask_b32_e64 v74, v1, 0, s2
	v_cndmask_b32_e64 v75, v2, 0, s2
.LBB454_156:
	s_delay_alu instid0(VALU_DEP_2) | instskip(NEXT) | instid1(VALU_DEP_2)
	v_add_co_u32 v82, vcc_lo, v74, v46
	v_add_co_ci_u32_e32 v83, vcc_lo, 0, v75, vcc_lo
	s_delay_alu instid0(VALU_DEP_2) | instskip(NEXT) | instid1(VALU_DEP_2)
	v_add_co_u32 v80, vcc_lo, v82, v57
	v_add_co_ci_u32_e32 v81, vcc_lo, 0, v83, vcc_lo
	;; [unrolled: 3-line block ×27, first 2 shown]
	s_waitcnt lgkmcnt(0)
	v_cmp_gt_u64_e32 vcc_lo, 0x81, v[4:5]
	s_delay_alu instid0(VALU_DEP_3) | instskip(NEXT) | instid1(VALU_DEP_1)
	v_add_co_u32 v28, s0, v26, v85
	v_add_co_ci_u32_e64 v29, s0, 0, v27, s0
	s_delay_alu instid0(VALU_DEP_2) | instskip(NEXT) | instid1(VALU_DEP_1)
	v_add_co_u32 v1, s0, v28, v84
	v_add_co_ci_u32_e64 v2, s0, 0, v29, s0
	s_mov_b32 s0, -1
	s_cbranch_vccnz .LBB454_160
; %bb.157:
	s_and_b32 vcc_lo, exec_lo, s0
	s_cbranch_vccnz .LBB454_251
.LBB454_158:
	s_and_b32 s0, s2, s5
	s_delay_alu instid0(SALU_CYCLE_1)
	s_and_saveexec_b32 s1, s0
	s_cbranch_execnz .LBB454_322
.LBB454_159:
	s_nop 0
	s_sendmsg sendmsg(MSG_DEALLOC_VGPRS)
	s_endpgm
.LBB454_160:
	v_add_co_u32 v84, vcc_lo, v6, v4
	v_add_co_ci_u32_e32 v85, vcc_lo, v7, v5, vcc_lo
	v_lshlrev_b64 v[131:132], 1, v[12:13]
	s_delay_alu instid0(VALU_DEP_2) | instskip(NEXT) | instid1(VALU_DEP_2)
	v_cmp_lt_u64_e32 vcc_lo, v[74:75], v[84:85]
	v_add_co_u32 v3, s0, s12, v131
	s_delay_alu instid0(VALU_DEP_1) | instskip(SKIP_1) | instid1(SALU_CYCLE_1)
	v_add_co_ci_u32_e64 v8, s0, s13, v132, s0
	s_or_b32 s1, s3, vcc_lo
	s_and_saveexec_b32 s0, s1
	s_cbranch_execz .LBB454_163
; %bb.161:
	v_and_b32_e32 v131, 1, v130
	s_delay_alu instid0(VALU_DEP_1)
	v_cmp_eq_u32_e32 vcc_lo, 1, v131
	s_and_b32 exec_lo, exec_lo, vcc_lo
	s_cbranch_execz .LBB454_163
; %bb.162:
	v_lshlrev_b64 v[131:132], 1, v[74:75]
	s_delay_alu instid0(VALU_DEP_1) | instskip(NEXT) | instid1(VALU_DEP_2)
	v_add_co_u32 v131, vcc_lo, v3, v131
	v_add_co_ci_u32_e32 v132, vcc_lo, v8, v132, vcc_lo
	global_store_b16 v[131:132], v24, off
.LBB454_163:
	s_or_b32 exec_lo, exec_lo, s0
	v_cmp_lt_u64_e32 vcc_lo, v[82:83], v[84:85]
	s_or_b32 s1, s3, vcc_lo
	s_delay_alu instid0(SALU_CYCLE_1)
	s_and_saveexec_b32 s0, s1
	s_cbranch_execz .LBB454_166
; %bb.164:
	v_and_b32_e32 v75, 1, v129
	s_delay_alu instid0(VALU_DEP_1)
	v_cmp_eq_u32_e32 vcc_lo, 1, v75
	s_and_b32 exec_lo, exec_lo, vcc_lo
	s_cbranch_execz .LBB454_166
; %bb.165:
	v_lshlrev_b64 v[131:132], 1, v[82:83]
	s_delay_alu instid0(VALU_DEP_1) | instskip(NEXT) | instid1(VALU_DEP_2)
	v_add_co_u32 v131, vcc_lo, v3, v131
	v_add_co_ci_u32_e32 v132, vcc_lo, v8, v132, vcc_lo
	global_store_b16 v[131:132], v113, off
.LBB454_166:
	s_or_b32 exec_lo, exec_lo, s0
	v_cmp_lt_u64_e32 vcc_lo, v[80:81], v[84:85]
	s_or_b32 s1, s3, vcc_lo
	s_delay_alu instid0(SALU_CYCLE_1)
	;; [unrolled: 19-line block ×29, first 2 shown]
	s_and_saveexec_b32 s0, s1
	s_cbranch_execz .LBB454_250
; %bb.248:
	v_and_b32_e32 v27, 1, v96
	s_delay_alu instid0(VALU_DEP_1)
	v_cmp_eq_u32_e32 vcc_lo, 1, v27
	s_and_b32 exec_lo, exec_lo, vcc_lo
	s_cbranch_execz .LBB454_250
; %bb.249:
	v_lshlrev_b64 v[83:84], 1, v[1:2]
	s_delay_alu instid0(VALU_DEP_1) | instskip(NEXT) | instid1(VALU_DEP_2)
	v_add_co_u32 v2, vcc_lo, v3, v83
	v_add_co_ci_u32_e32 v3, vcc_lo, v8, v84, vcc_lo
	global_store_b16 v[2:3], v86, off
.LBB454_250:
	s_or_b32 exec_lo, exec_lo, s0
	s_branch .LBB454_158
.LBB454_251:
	v_and_b32_e32 v2, 1, v130
	s_mov_b32 s0, exec_lo
	s_delay_alu instid0(VALU_DEP_1)
	v_cmpx_eq_u32_e32 1, v2
	s_cbranch_execz .LBB454_253
; %bb.252:
	v_sub_nc_u32_e32 v2, v74, v6
	s_delay_alu instid0(VALU_DEP_1)
	v_lshlrev_b32_e32 v2, 1, v2
	ds_store_b16 v2, v24
.LBB454_253:
	s_or_b32 exec_lo, exec_lo, s0
	v_and_b32_e32 v2, 1, v129
	s_mov_b32 s0, exec_lo
	s_delay_alu instid0(VALU_DEP_1)
	v_cmpx_eq_u32_e32 1, v2
	s_cbranch_execz .LBB454_255
; %bb.254:
	v_sub_nc_u32_e32 v2, v82, v6
	s_delay_alu instid0(VALU_DEP_1)
	v_lshlrev_b32_e32 v2, 1, v2
	ds_store_b16 v2, v113
.LBB454_255:
	s_or_b32 exec_lo, exec_lo, s0
	;; [unrolled: 12-line block ×30, first 2 shown]
	v_mov_b32_e32 v1, 0
	s_mov_b32 s10, exec_lo
	s_waitcnt lgkmcnt(0)
	s_waitcnt_vscnt null, 0x0
	s_barrier
	buffer_gl0_inv
	v_cmpx_gt_u64_e64 v[4:5], v[0:1]
	s_cbranch_execz .LBB454_321
; %bb.312:
	v_not_b32_e32 v2, v0
	v_not_b32_e32 v3, 0
	s_mov_b32 s11, exec_lo
	s_delay_alu instid0(VALU_DEP_2) | instskip(NEXT) | instid1(VALU_DEP_2)
	v_add_co_u32 v8, vcc_lo, v4, v2
	v_add_co_ci_u32_e32 v9, vcc_lo, v5, v3, vcc_lo
	v_dual_mov_b32 v3, v1 :: v_dual_mov_b32 v2, v0
	s_delay_alu instid0(VALU_DEP_2)
	v_cmp_gt_u64_e32 vcc_lo, 0x1a80, v[8:9]
	v_cmpx_lt_u64_e32 0x1a7f, v[8:9]
	s_cbranch_execz .LBB454_318
; %bb.313:
	v_alignbit_b32 v2, v9, v8, 7
	v_not_b32_e32 v3, v0
	v_xor_b32_e32 v10, 0xffffff7f, v0
	s_movk_i32 s7, 0x7f
	s_mov_b32 s6, -1
	v_lshlrev_b32_e32 v11, 7, v2
	v_cmp_lt_u64_e64 s0, s[6:7], v[8:9]
	v_cmp_lt_u32_e64 s1, 0x1ffffff, v2
	s_delay_alu instid0(VALU_DEP_3) | instskip(SKIP_2) | instid1(VALU_DEP_4)
	v_cmp_gt_u32_e64 s3, v11, v3
	v_dual_mov_b32 v3, v1 :: v_dual_mov_b32 v2, v0
	v_cmp_lt_u32_e64 s4, v10, v11
	s_or_b32 s0, s1, s0
	s_delay_alu instid0(VALU_DEP_3) | instskip(NEXT) | instid1(VALU_DEP_1)
	s_or_b32 s1, s3, s1
	s_or_b32 s0, s0, s4
	s_delay_alu instid0(SALU_CYCLE_1) | instskip(NEXT) | instid1(SALU_CYCLE_1)
	s_or_b32 s0, s1, s0
	s_xor_b32 s0, s0, -1
	s_delay_alu instid0(SALU_CYCLE_1)
	s_and_saveexec_b32 s3, s0
	s_cbranch_execz .LBB454_317
; %bb.314:
	v_lshrrev_b64 v[2:3], 7, v[8:9]
	v_lshlrev_b64 v[8:9], 1, v[6:7]
	s_mov_b32 s4, 0
	s_delay_alu instid0(VALU_DEP_2) | instskip(NEXT) | instid1(VALU_DEP_1)
	v_add_co_u32 v14, s0, v2, 1
	v_add_co_ci_u32_e64 v15, s0, 0, v3, s0
	v_lshlrev_b64 v[2:3], 1, v[12:13]
	s_delay_alu instid0(VALU_DEP_2) | instskip(NEXT) | instid1(VALU_DEP_2)
	v_dual_mov_b32 v17, v15 :: v_dual_and_b32 v16, -2, v14
	v_add_co_u32 v2, s0, v8, v2
	s_delay_alu instid0(VALU_DEP_1) | instskip(SKIP_1) | instid1(VALU_DEP_3)
	v_add_co_ci_u32_e64 v3, s0, v9, v3, s0
	v_lshlrev_b32_e32 v8, 1, v0
	v_add_co_u32 v9, s0, s12, v2
	s_delay_alu instid0(VALU_DEP_1) | instskip(SKIP_1) | instid1(VALU_DEP_3)
	v_add_co_ci_u32_e64 v3, s0, s13, v3, s0
	v_or_b32_e32 v2, 0x80, v0
	v_add_co_u32 v8, s0, v9, v8
	s_delay_alu instid0(VALU_DEP_1) | instskip(SKIP_1) | instid1(VALU_DEP_3)
	v_add_co_ci_u32_e64 v9, s0, 0, v3, s0
	v_mov_b32_e32 v3, v1
	v_add_co_u32 v18, s0, 0x100, v8
	s_delay_alu instid0(VALU_DEP_1) | instskip(NEXT) | instid1(VALU_DEP_3)
	v_add_co_ci_u32_e64 v19, s0, 0, v9, s0
	v_dual_mov_b32 v11, v3 :: v_dual_mov_b32 v10, v2
	v_dual_mov_b32 v21, v17 :: v_dual_mov_b32 v20, v16
	;; [unrolled: 1-line block ×3, first 2 shown]
	s_set_inst_prefetch_distance 0x1
	.p2align	6
.LBB454_315:                            ; =>This Inner Loop Header: Depth=1
	s_delay_alu instid0(VALU_DEP_1) | instskip(SKIP_2) | instid1(VALU_DEP_1)
	v_lshlrev_b32_e32 v1, 1, v8
	v_lshlrev_b32_e32 v2, 1, v10
	v_add_co_u32 v10, s0, 0x100, v10
	v_add_co_ci_u32_e64 v11, s0, 0, v11, s0
	ds_load_u16 v1, v1
	ds_load_u16 v2, v2
	v_add_co_u32 v20, s0, v20, -2
	s_delay_alu instid0(VALU_DEP_1) | instskip(SKIP_1) | instid1(VALU_DEP_1)
	v_add_co_ci_u32_e64 v21, s0, -1, v21, s0
	v_add_co_u32 v8, s0, 0x100, v8
	v_add_co_ci_u32_e64 v9, s0, 0, v9, s0
	s_delay_alu instid0(VALU_DEP_3)
	v_cmp_eq_u64_e64 s0, 0, v[20:21]
	s_waitcnt lgkmcnt(1)
	global_store_b16 v[18:19], v1, off offset:-256
	s_waitcnt lgkmcnt(0)
	global_store_b16 v[18:19], v2, off
	v_add_co_u32 v18, s1, 0x200, v18
	s_delay_alu instid0(VALU_DEP_1) | instskip(SKIP_1) | instid1(SALU_CYCLE_1)
	v_add_co_ci_u32_e64 v19, s1, 0, v19, s1
	s_or_b32 s4, s0, s4
	s_and_not1_b32 exec_lo, exec_lo, s4
	s_cbranch_execnz .LBB454_315
; %bb.316:
	s_set_inst_prefetch_distance 0x2
	s_or_b32 exec_lo, exec_lo, s4
	v_lshlrev_b64 v[1:2], 7, v[16:17]
	v_cmp_ne_u64_e64 s0, v[14:15], v[16:17]
	s_delay_alu instid0(VALU_DEP_2) | instskip(NEXT) | instid1(VALU_DEP_3)
	v_or_b32_e32 v3, 0, v2
	v_or_b32_e32 v2, v1, v0
	v_lshl_or_b32 v0, v16, 7, v0
	s_delay_alu instid0(VALU_DEP_4)
	s_or_not1_b32 s6, s0, exec_lo
.LBB454_317:
	s_or_b32 exec_lo, exec_lo, s3
	s_delay_alu instid0(SALU_CYCLE_1) | instskip(SKIP_1) | instid1(SALU_CYCLE_1)
	s_and_not1_b32 s0, vcc_lo, exec_lo
	s_and_b32 s1, s6, exec_lo
	s_or_b32 vcc_lo, s0, s1
.LBB454_318:
	s_or_b32 exec_lo, exec_lo, s11
	s_delay_alu instid0(SALU_CYCLE_1)
	s_and_b32 exec_lo, exec_lo, vcc_lo
	s_cbranch_execz .LBB454_321
; %bb.319:
	v_lshlrev_b64 v[8:9], 1, v[6:7]
	v_lshlrev_b64 v[10:11], 1, v[12:13]
	v_add_nc_u32_e32 v0, 0x80, v0
	s_mov_b32 s1, 0
	s_delay_alu instid0(VALU_DEP_3) | instskip(NEXT) | instid1(VALU_DEP_4)
	v_add_co_u32 v1, vcc_lo, s12, v8
	v_add_co_ci_u32_e32 v9, vcc_lo, s13, v9, vcc_lo
	s_delay_alu instid0(VALU_DEP_2) | instskip(SKIP_1) | instid1(VALU_DEP_3)
	v_add_co_u32 v8, vcc_lo, v1, v10
	v_mov_b32_e32 v1, 0
	v_add_co_ci_u32_e32 v9, vcc_lo, v9, v11, vcc_lo
	.p2align	6
.LBB454_320:                            ; =>This Inner Loop Header: Depth=1
	v_lshlrev_b32_e32 v10, 1, v2
	s_delay_alu instid0(VALU_DEP_3)
	v_cmp_le_u64_e32 vcc_lo, v[4:5], v[0:1]
	ds_load_u16 v14, v10
	v_lshlrev_b64 v[10:11], 1, v[2:3]
	v_dual_mov_b32 v3, v1 :: v_dual_mov_b32 v2, v0
	v_add_nc_u32_e32 v0, 0x80, v0
	s_or_b32 s1, vcc_lo, s1
	s_delay_alu instid0(VALU_DEP_3) | instskip(NEXT) | instid1(VALU_DEP_1)
	v_add_co_u32 v10, s0, v8, v10
	v_add_co_ci_u32_e64 v11, s0, v9, v11, s0
	s_waitcnt lgkmcnt(0)
	global_store_b16 v[10:11], v14, off
	s_and_not1_b32 exec_lo, exec_lo, s1
	s_cbranch_execnz .LBB454_320
.LBB454_321:
	s_or_b32 exec_lo, exec_lo, s10
	s_and_b32 s0, s2, s5
	s_delay_alu instid0(SALU_CYCLE_1)
	s_and_saveexec_b32 s1, s0
	s_cbranch_execz .LBB454_159
.LBB454_322:
	v_add_co_u32 v0, vcc_lo, v6, v4
	v_add_co_ci_u32_e32 v1, vcc_lo, v7, v5, vcc_lo
	v_mov_b32_e32 v2, 0
	s_delay_alu instid0(VALU_DEP_3) | instskip(NEXT) | instid1(VALU_DEP_3)
	v_add_co_u32 v0, vcc_lo, v0, v12
	v_add_co_ci_u32_e32 v1, vcc_lo, v1, v13, vcc_lo
	global_store_b64 v2, v[0:1], s[8:9]
	s_nop 0
	s_sendmsg sendmsg(MSG_DEALLOC_VGPRS)
	s_endpgm
	.section	.rodata,"a",@progbits
	.p2align	6, 0x0
	.amdhsa_kernel _ZN7rocprim17ROCPRIM_400000_NS6detail17trampoline_kernelINS0_14default_configENS1_25partition_config_selectorILNS1_17partition_subalgoE6EsNS0_10empty_typeEbEEZZNS1_14partition_implILS5_6ELb0ES3_mN6thrust23THRUST_200600_302600_NS6detail15normal_iteratorINSA_10device_ptrIsEEEEPS6_SG_NS0_5tupleIJSF_S6_EEENSH_IJSG_SG_EEES6_PlJ7is_evenIsEEEE10hipError_tPvRmT3_T4_T5_T6_T7_T9_mT8_P12ihipStream_tbDpT10_ENKUlT_T0_E_clISt17integral_constantIbLb0EES15_IbLb1EEEEDaS11_S12_EUlS11_E_NS1_11comp_targetILNS1_3genE9ELNS1_11target_archE1100ELNS1_3gpuE3ELNS1_3repE0EEENS1_30default_config_static_selectorELNS0_4arch9wavefront6targetE0EEEvT1_
		.amdhsa_group_segment_fixed_size 7696
		.amdhsa_private_segment_fixed_size 0
		.amdhsa_kernarg_size 128
		.amdhsa_user_sgpr_count 15
		.amdhsa_user_sgpr_dispatch_ptr 0
		.amdhsa_user_sgpr_queue_ptr 0
		.amdhsa_user_sgpr_kernarg_segment_ptr 1
		.amdhsa_user_sgpr_dispatch_id 0
		.amdhsa_user_sgpr_private_segment_size 0
		.amdhsa_wavefront_size32 1
		.amdhsa_uses_dynamic_stack 0
		.amdhsa_enable_private_segment 0
		.amdhsa_system_sgpr_workgroup_id_x 1
		.amdhsa_system_sgpr_workgroup_id_y 0
		.amdhsa_system_sgpr_workgroup_id_z 0
		.amdhsa_system_sgpr_workgroup_info 0
		.amdhsa_system_vgpr_workitem_id 0
		.amdhsa_next_free_vgpr 134
		.amdhsa_next_free_sgpr 18
		.amdhsa_reserve_vcc 1
		.amdhsa_float_round_mode_32 0
		.amdhsa_float_round_mode_16_64 0
		.amdhsa_float_denorm_mode_32 3
		.amdhsa_float_denorm_mode_16_64 3
		.amdhsa_dx10_clamp 1
		.amdhsa_ieee_mode 1
		.amdhsa_fp16_overflow 0
		.amdhsa_workgroup_processor_mode 1
		.amdhsa_memory_ordered 1
		.amdhsa_forward_progress 0
		.amdhsa_shared_vgpr_count 0
		.amdhsa_exception_fp_ieee_invalid_op 0
		.amdhsa_exception_fp_denorm_src 0
		.amdhsa_exception_fp_ieee_div_zero 0
		.amdhsa_exception_fp_ieee_overflow 0
		.amdhsa_exception_fp_ieee_underflow 0
		.amdhsa_exception_fp_ieee_inexact 0
		.amdhsa_exception_int_div_zero 0
	.end_amdhsa_kernel
	.section	.text._ZN7rocprim17ROCPRIM_400000_NS6detail17trampoline_kernelINS0_14default_configENS1_25partition_config_selectorILNS1_17partition_subalgoE6EsNS0_10empty_typeEbEEZZNS1_14partition_implILS5_6ELb0ES3_mN6thrust23THRUST_200600_302600_NS6detail15normal_iteratorINSA_10device_ptrIsEEEEPS6_SG_NS0_5tupleIJSF_S6_EEENSH_IJSG_SG_EEES6_PlJ7is_evenIsEEEE10hipError_tPvRmT3_T4_T5_T6_T7_T9_mT8_P12ihipStream_tbDpT10_ENKUlT_T0_E_clISt17integral_constantIbLb0EES15_IbLb1EEEEDaS11_S12_EUlS11_E_NS1_11comp_targetILNS1_3genE9ELNS1_11target_archE1100ELNS1_3gpuE3ELNS1_3repE0EEENS1_30default_config_static_selectorELNS0_4arch9wavefront6targetE0EEEvT1_,"axG",@progbits,_ZN7rocprim17ROCPRIM_400000_NS6detail17trampoline_kernelINS0_14default_configENS1_25partition_config_selectorILNS1_17partition_subalgoE6EsNS0_10empty_typeEbEEZZNS1_14partition_implILS5_6ELb0ES3_mN6thrust23THRUST_200600_302600_NS6detail15normal_iteratorINSA_10device_ptrIsEEEEPS6_SG_NS0_5tupleIJSF_S6_EEENSH_IJSG_SG_EEES6_PlJ7is_evenIsEEEE10hipError_tPvRmT3_T4_T5_T6_T7_T9_mT8_P12ihipStream_tbDpT10_ENKUlT_T0_E_clISt17integral_constantIbLb0EES15_IbLb1EEEEDaS11_S12_EUlS11_E_NS1_11comp_targetILNS1_3genE9ELNS1_11target_archE1100ELNS1_3gpuE3ELNS1_3repE0EEENS1_30default_config_static_selectorELNS0_4arch9wavefront6targetE0EEEvT1_,comdat
.Lfunc_end454:
	.size	_ZN7rocprim17ROCPRIM_400000_NS6detail17trampoline_kernelINS0_14default_configENS1_25partition_config_selectorILNS1_17partition_subalgoE6EsNS0_10empty_typeEbEEZZNS1_14partition_implILS5_6ELb0ES3_mN6thrust23THRUST_200600_302600_NS6detail15normal_iteratorINSA_10device_ptrIsEEEEPS6_SG_NS0_5tupleIJSF_S6_EEENSH_IJSG_SG_EEES6_PlJ7is_evenIsEEEE10hipError_tPvRmT3_T4_T5_T6_T7_T9_mT8_P12ihipStream_tbDpT10_ENKUlT_T0_E_clISt17integral_constantIbLb0EES15_IbLb1EEEEDaS11_S12_EUlS11_E_NS1_11comp_targetILNS1_3genE9ELNS1_11target_archE1100ELNS1_3gpuE3ELNS1_3repE0EEENS1_30default_config_static_selectorELNS0_4arch9wavefront6targetE0EEEvT1_, .Lfunc_end454-_ZN7rocprim17ROCPRIM_400000_NS6detail17trampoline_kernelINS0_14default_configENS1_25partition_config_selectorILNS1_17partition_subalgoE6EsNS0_10empty_typeEbEEZZNS1_14partition_implILS5_6ELb0ES3_mN6thrust23THRUST_200600_302600_NS6detail15normal_iteratorINSA_10device_ptrIsEEEEPS6_SG_NS0_5tupleIJSF_S6_EEENSH_IJSG_SG_EEES6_PlJ7is_evenIsEEEE10hipError_tPvRmT3_T4_T5_T6_T7_T9_mT8_P12ihipStream_tbDpT10_ENKUlT_T0_E_clISt17integral_constantIbLb0EES15_IbLb1EEEEDaS11_S12_EUlS11_E_NS1_11comp_targetILNS1_3genE9ELNS1_11target_archE1100ELNS1_3gpuE3ELNS1_3repE0EEENS1_30default_config_static_selectorELNS0_4arch9wavefront6targetE0EEEvT1_
                                        ; -- End function
	.section	.AMDGPU.csdata,"",@progbits
; Kernel info:
; codeLenInByte = 13276
; NumSgprs: 20
; NumVgprs: 134
; ScratchSize: 0
; MemoryBound: 0
; FloatMode: 240
; IeeeMode: 1
; LDSByteSize: 7696 bytes/workgroup (compile time only)
; SGPRBlocks: 2
; VGPRBlocks: 16
; NumSGPRsForWavesPerEU: 20
; NumVGPRsForWavesPerEU: 134
; Occupancy: 10
; WaveLimiterHint : 1
; COMPUTE_PGM_RSRC2:SCRATCH_EN: 0
; COMPUTE_PGM_RSRC2:USER_SGPR: 15
; COMPUTE_PGM_RSRC2:TRAP_HANDLER: 0
; COMPUTE_PGM_RSRC2:TGID_X_EN: 1
; COMPUTE_PGM_RSRC2:TGID_Y_EN: 0
; COMPUTE_PGM_RSRC2:TGID_Z_EN: 0
; COMPUTE_PGM_RSRC2:TIDIG_COMP_CNT: 0
	.section	.text._ZN7rocprim17ROCPRIM_400000_NS6detail17trampoline_kernelINS0_14default_configENS1_25partition_config_selectorILNS1_17partition_subalgoE6EsNS0_10empty_typeEbEEZZNS1_14partition_implILS5_6ELb0ES3_mN6thrust23THRUST_200600_302600_NS6detail15normal_iteratorINSA_10device_ptrIsEEEEPS6_SG_NS0_5tupleIJSF_S6_EEENSH_IJSG_SG_EEES6_PlJ7is_evenIsEEEE10hipError_tPvRmT3_T4_T5_T6_T7_T9_mT8_P12ihipStream_tbDpT10_ENKUlT_T0_E_clISt17integral_constantIbLb0EES15_IbLb1EEEEDaS11_S12_EUlS11_E_NS1_11comp_targetILNS1_3genE8ELNS1_11target_archE1030ELNS1_3gpuE2ELNS1_3repE0EEENS1_30default_config_static_selectorELNS0_4arch9wavefront6targetE0EEEvT1_,"axG",@progbits,_ZN7rocprim17ROCPRIM_400000_NS6detail17trampoline_kernelINS0_14default_configENS1_25partition_config_selectorILNS1_17partition_subalgoE6EsNS0_10empty_typeEbEEZZNS1_14partition_implILS5_6ELb0ES3_mN6thrust23THRUST_200600_302600_NS6detail15normal_iteratorINSA_10device_ptrIsEEEEPS6_SG_NS0_5tupleIJSF_S6_EEENSH_IJSG_SG_EEES6_PlJ7is_evenIsEEEE10hipError_tPvRmT3_T4_T5_T6_T7_T9_mT8_P12ihipStream_tbDpT10_ENKUlT_T0_E_clISt17integral_constantIbLb0EES15_IbLb1EEEEDaS11_S12_EUlS11_E_NS1_11comp_targetILNS1_3genE8ELNS1_11target_archE1030ELNS1_3gpuE2ELNS1_3repE0EEENS1_30default_config_static_selectorELNS0_4arch9wavefront6targetE0EEEvT1_,comdat
	.protected	_ZN7rocprim17ROCPRIM_400000_NS6detail17trampoline_kernelINS0_14default_configENS1_25partition_config_selectorILNS1_17partition_subalgoE6EsNS0_10empty_typeEbEEZZNS1_14partition_implILS5_6ELb0ES3_mN6thrust23THRUST_200600_302600_NS6detail15normal_iteratorINSA_10device_ptrIsEEEEPS6_SG_NS0_5tupleIJSF_S6_EEENSH_IJSG_SG_EEES6_PlJ7is_evenIsEEEE10hipError_tPvRmT3_T4_T5_T6_T7_T9_mT8_P12ihipStream_tbDpT10_ENKUlT_T0_E_clISt17integral_constantIbLb0EES15_IbLb1EEEEDaS11_S12_EUlS11_E_NS1_11comp_targetILNS1_3genE8ELNS1_11target_archE1030ELNS1_3gpuE2ELNS1_3repE0EEENS1_30default_config_static_selectorELNS0_4arch9wavefront6targetE0EEEvT1_ ; -- Begin function _ZN7rocprim17ROCPRIM_400000_NS6detail17trampoline_kernelINS0_14default_configENS1_25partition_config_selectorILNS1_17partition_subalgoE6EsNS0_10empty_typeEbEEZZNS1_14partition_implILS5_6ELb0ES3_mN6thrust23THRUST_200600_302600_NS6detail15normal_iteratorINSA_10device_ptrIsEEEEPS6_SG_NS0_5tupleIJSF_S6_EEENSH_IJSG_SG_EEES6_PlJ7is_evenIsEEEE10hipError_tPvRmT3_T4_T5_T6_T7_T9_mT8_P12ihipStream_tbDpT10_ENKUlT_T0_E_clISt17integral_constantIbLb0EES15_IbLb1EEEEDaS11_S12_EUlS11_E_NS1_11comp_targetILNS1_3genE8ELNS1_11target_archE1030ELNS1_3gpuE2ELNS1_3repE0EEENS1_30default_config_static_selectorELNS0_4arch9wavefront6targetE0EEEvT1_
	.globl	_ZN7rocprim17ROCPRIM_400000_NS6detail17trampoline_kernelINS0_14default_configENS1_25partition_config_selectorILNS1_17partition_subalgoE6EsNS0_10empty_typeEbEEZZNS1_14partition_implILS5_6ELb0ES3_mN6thrust23THRUST_200600_302600_NS6detail15normal_iteratorINSA_10device_ptrIsEEEEPS6_SG_NS0_5tupleIJSF_S6_EEENSH_IJSG_SG_EEES6_PlJ7is_evenIsEEEE10hipError_tPvRmT3_T4_T5_T6_T7_T9_mT8_P12ihipStream_tbDpT10_ENKUlT_T0_E_clISt17integral_constantIbLb0EES15_IbLb1EEEEDaS11_S12_EUlS11_E_NS1_11comp_targetILNS1_3genE8ELNS1_11target_archE1030ELNS1_3gpuE2ELNS1_3repE0EEENS1_30default_config_static_selectorELNS0_4arch9wavefront6targetE0EEEvT1_
	.p2align	8
	.type	_ZN7rocprim17ROCPRIM_400000_NS6detail17trampoline_kernelINS0_14default_configENS1_25partition_config_selectorILNS1_17partition_subalgoE6EsNS0_10empty_typeEbEEZZNS1_14partition_implILS5_6ELb0ES3_mN6thrust23THRUST_200600_302600_NS6detail15normal_iteratorINSA_10device_ptrIsEEEEPS6_SG_NS0_5tupleIJSF_S6_EEENSH_IJSG_SG_EEES6_PlJ7is_evenIsEEEE10hipError_tPvRmT3_T4_T5_T6_T7_T9_mT8_P12ihipStream_tbDpT10_ENKUlT_T0_E_clISt17integral_constantIbLb0EES15_IbLb1EEEEDaS11_S12_EUlS11_E_NS1_11comp_targetILNS1_3genE8ELNS1_11target_archE1030ELNS1_3gpuE2ELNS1_3repE0EEENS1_30default_config_static_selectorELNS0_4arch9wavefront6targetE0EEEvT1_,@function
_ZN7rocprim17ROCPRIM_400000_NS6detail17trampoline_kernelINS0_14default_configENS1_25partition_config_selectorILNS1_17partition_subalgoE6EsNS0_10empty_typeEbEEZZNS1_14partition_implILS5_6ELb0ES3_mN6thrust23THRUST_200600_302600_NS6detail15normal_iteratorINSA_10device_ptrIsEEEEPS6_SG_NS0_5tupleIJSF_S6_EEENSH_IJSG_SG_EEES6_PlJ7is_evenIsEEEE10hipError_tPvRmT3_T4_T5_T6_T7_T9_mT8_P12ihipStream_tbDpT10_ENKUlT_T0_E_clISt17integral_constantIbLb0EES15_IbLb1EEEEDaS11_S12_EUlS11_E_NS1_11comp_targetILNS1_3genE8ELNS1_11target_archE1030ELNS1_3gpuE2ELNS1_3repE0EEENS1_30default_config_static_selectorELNS0_4arch9wavefront6targetE0EEEvT1_: ; @_ZN7rocprim17ROCPRIM_400000_NS6detail17trampoline_kernelINS0_14default_configENS1_25partition_config_selectorILNS1_17partition_subalgoE6EsNS0_10empty_typeEbEEZZNS1_14partition_implILS5_6ELb0ES3_mN6thrust23THRUST_200600_302600_NS6detail15normal_iteratorINSA_10device_ptrIsEEEEPS6_SG_NS0_5tupleIJSF_S6_EEENSH_IJSG_SG_EEES6_PlJ7is_evenIsEEEE10hipError_tPvRmT3_T4_T5_T6_T7_T9_mT8_P12ihipStream_tbDpT10_ENKUlT_T0_E_clISt17integral_constantIbLb0EES15_IbLb1EEEEDaS11_S12_EUlS11_E_NS1_11comp_targetILNS1_3genE8ELNS1_11target_archE1030ELNS1_3gpuE2ELNS1_3repE0EEENS1_30default_config_static_selectorELNS0_4arch9wavefront6targetE0EEEvT1_
; %bb.0:
	.section	.rodata,"a",@progbits
	.p2align	6, 0x0
	.amdhsa_kernel _ZN7rocprim17ROCPRIM_400000_NS6detail17trampoline_kernelINS0_14default_configENS1_25partition_config_selectorILNS1_17partition_subalgoE6EsNS0_10empty_typeEbEEZZNS1_14partition_implILS5_6ELb0ES3_mN6thrust23THRUST_200600_302600_NS6detail15normal_iteratorINSA_10device_ptrIsEEEEPS6_SG_NS0_5tupleIJSF_S6_EEENSH_IJSG_SG_EEES6_PlJ7is_evenIsEEEE10hipError_tPvRmT3_T4_T5_T6_T7_T9_mT8_P12ihipStream_tbDpT10_ENKUlT_T0_E_clISt17integral_constantIbLb0EES15_IbLb1EEEEDaS11_S12_EUlS11_E_NS1_11comp_targetILNS1_3genE8ELNS1_11target_archE1030ELNS1_3gpuE2ELNS1_3repE0EEENS1_30default_config_static_selectorELNS0_4arch9wavefront6targetE0EEEvT1_
		.amdhsa_group_segment_fixed_size 0
		.amdhsa_private_segment_fixed_size 0
		.amdhsa_kernarg_size 128
		.amdhsa_user_sgpr_count 15
		.amdhsa_user_sgpr_dispatch_ptr 0
		.amdhsa_user_sgpr_queue_ptr 0
		.amdhsa_user_sgpr_kernarg_segment_ptr 1
		.amdhsa_user_sgpr_dispatch_id 0
		.amdhsa_user_sgpr_private_segment_size 0
		.amdhsa_wavefront_size32 1
		.amdhsa_uses_dynamic_stack 0
		.amdhsa_enable_private_segment 0
		.amdhsa_system_sgpr_workgroup_id_x 1
		.amdhsa_system_sgpr_workgroup_id_y 0
		.amdhsa_system_sgpr_workgroup_id_z 0
		.amdhsa_system_sgpr_workgroup_info 0
		.amdhsa_system_vgpr_workitem_id 0
		.amdhsa_next_free_vgpr 1
		.amdhsa_next_free_sgpr 1
		.amdhsa_reserve_vcc 0
		.amdhsa_float_round_mode_32 0
		.amdhsa_float_round_mode_16_64 0
		.amdhsa_float_denorm_mode_32 3
		.amdhsa_float_denorm_mode_16_64 3
		.amdhsa_dx10_clamp 1
		.amdhsa_ieee_mode 1
		.amdhsa_fp16_overflow 0
		.amdhsa_workgroup_processor_mode 1
		.amdhsa_memory_ordered 1
		.amdhsa_forward_progress 0
		.amdhsa_shared_vgpr_count 0
		.amdhsa_exception_fp_ieee_invalid_op 0
		.amdhsa_exception_fp_denorm_src 0
		.amdhsa_exception_fp_ieee_div_zero 0
		.amdhsa_exception_fp_ieee_overflow 0
		.amdhsa_exception_fp_ieee_underflow 0
		.amdhsa_exception_fp_ieee_inexact 0
		.amdhsa_exception_int_div_zero 0
	.end_amdhsa_kernel
	.section	.text._ZN7rocprim17ROCPRIM_400000_NS6detail17trampoline_kernelINS0_14default_configENS1_25partition_config_selectorILNS1_17partition_subalgoE6EsNS0_10empty_typeEbEEZZNS1_14partition_implILS5_6ELb0ES3_mN6thrust23THRUST_200600_302600_NS6detail15normal_iteratorINSA_10device_ptrIsEEEEPS6_SG_NS0_5tupleIJSF_S6_EEENSH_IJSG_SG_EEES6_PlJ7is_evenIsEEEE10hipError_tPvRmT3_T4_T5_T6_T7_T9_mT8_P12ihipStream_tbDpT10_ENKUlT_T0_E_clISt17integral_constantIbLb0EES15_IbLb1EEEEDaS11_S12_EUlS11_E_NS1_11comp_targetILNS1_3genE8ELNS1_11target_archE1030ELNS1_3gpuE2ELNS1_3repE0EEENS1_30default_config_static_selectorELNS0_4arch9wavefront6targetE0EEEvT1_,"axG",@progbits,_ZN7rocprim17ROCPRIM_400000_NS6detail17trampoline_kernelINS0_14default_configENS1_25partition_config_selectorILNS1_17partition_subalgoE6EsNS0_10empty_typeEbEEZZNS1_14partition_implILS5_6ELb0ES3_mN6thrust23THRUST_200600_302600_NS6detail15normal_iteratorINSA_10device_ptrIsEEEEPS6_SG_NS0_5tupleIJSF_S6_EEENSH_IJSG_SG_EEES6_PlJ7is_evenIsEEEE10hipError_tPvRmT3_T4_T5_T6_T7_T9_mT8_P12ihipStream_tbDpT10_ENKUlT_T0_E_clISt17integral_constantIbLb0EES15_IbLb1EEEEDaS11_S12_EUlS11_E_NS1_11comp_targetILNS1_3genE8ELNS1_11target_archE1030ELNS1_3gpuE2ELNS1_3repE0EEENS1_30default_config_static_selectorELNS0_4arch9wavefront6targetE0EEEvT1_,comdat
.Lfunc_end455:
	.size	_ZN7rocprim17ROCPRIM_400000_NS6detail17trampoline_kernelINS0_14default_configENS1_25partition_config_selectorILNS1_17partition_subalgoE6EsNS0_10empty_typeEbEEZZNS1_14partition_implILS5_6ELb0ES3_mN6thrust23THRUST_200600_302600_NS6detail15normal_iteratorINSA_10device_ptrIsEEEEPS6_SG_NS0_5tupleIJSF_S6_EEENSH_IJSG_SG_EEES6_PlJ7is_evenIsEEEE10hipError_tPvRmT3_T4_T5_T6_T7_T9_mT8_P12ihipStream_tbDpT10_ENKUlT_T0_E_clISt17integral_constantIbLb0EES15_IbLb1EEEEDaS11_S12_EUlS11_E_NS1_11comp_targetILNS1_3genE8ELNS1_11target_archE1030ELNS1_3gpuE2ELNS1_3repE0EEENS1_30default_config_static_selectorELNS0_4arch9wavefront6targetE0EEEvT1_, .Lfunc_end455-_ZN7rocprim17ROCPRIM_400000_NS6detail17trampoline_kernelINS0_14default_configENS1_25partition_config_selectorILNS1_17partition_subalgoE6EsNS0_10empty_typeEbEEZZNS1_14partition_implILS5_6ELb0ES3_mN6thrust23THRUST_200600_302600_NS6detail15normal_iteratorINSA_10device_ptrIsEEEEPS6_SG_NS0_5tupleIJSF_S6_EEENSH_IJSG_SG_EEES6_PlJ7is_evenIsEEEE10hipError_tPvRmT3_T4_T5_T6_T7_T9_mT8_P12ihipStream_tbDpT10_ENKUlT_T0_E_clISt17integral_constantIbLb0EES15_IbLb1EEEEDaS11_S12_EUlS11_E_NS1_11comp_targetILNS1_3genE8ELNS1_11target_archE1030ELNS1_3gpuE2ELNS1_3repE0EEENS1_30default_config_static_selectorELNS0_4arch9wavefront6targetE0EEEvT1_
                                        ; -- End function
	.section	.AMDGPU.csdata,"",@progbits
; Kernel info:
; codeLenInByte = 0
; NumSgprs: 0
; NumVgprs: 0
; ScratchSize: 0
; MemoryBound: 0
; FloatMode: 240
; IeeeMode: 1
; LDSByteSize: 0 bytes/workgroup (compile time only)
; SGPRBlocks: 0
; VGPRBlocks: 0
; NumSGPRsForWavesPerEU: 1
; NumVGPRsForWavesPerEU: 1
; Occupancy: 16
; WaveLimiterHint : 0
; COMPUTE_PGM_RSRC2:SCRATCH_EN: 0
; COMPUTE_PGM_RSRC2:USER_SGPR: 15
; COMPUTE_PGM_RSRC2:TRAP_HANDLER: 0
; COMPUTE_PGM_RSRC2:TGID_X_EN: 1
; COMPUTE_PGM_RSRC2:TGID_Y_EN: 0
; COMPUTE_PGM_RSRC2:TGID_Z_EN: 0
; COMPUTE_PGM_RSRC2:TIDIG_COMP_CNT: 0
	.section	.text._ZN7rocprim17ROCPRIM_400000_NS6detail17trampoline_kernelINS0_14default_configENS1_25partition_config_selectorILNS1_17partition_subalgoE6EyNS0_10empty_typeEbEEZZNS1_14partition_implILS5_6ELb0ES3_mN6thrust23THRUST_200600_302600_NS6detail15normal_iteratorINSA_10device_ptrIyEEEEPS6_SG_NS0_5tupleIJSF_S6_EEENSH_IJSG_SG_EEES6_PlJ5mod_3IyEEEE10hipError_tPvRmT3_T4_T5_T6_T7_T9_mT8_P12ihipStream_tbDpT10_ENKUlT_T0_E_clISt17integral_constantIbLb0EES16_EEDaS11_S12_EUlS11_E_NS1_11comp_targetILNS1_3genE0ELNS1_11target_archE4294967295ELNS1_3gpuE0ELNS1_3repE0EEENS1_30default_config_static_selectorELNS0_4arch9wavefront6targetE0EEEvT1_,"axG",@progbits,_ZN7rocprim17ROCPRIM_400000_NS6detail17trampoline_kernelINS0_14default_configENS1_25partition_config_selectorILNS1_17partition_subalgoE6EyNS0_10empty_typeEbEEZZNS1_14partition_implILS5_6ELb0ES3_mN6thrust23THRUST_200600_302600_NS6detail15normal_iteratorINSA_10device_ptrIyEEEEPS6_SG_NS0_5tupleIJSF_S6_EEENSH_IJSG_SG_EEES6_PlJ5mod_3IyEEEE10hipError_tPvRmT3_T4_T5_T6_T7_T9_mT8_P12ihipStream_tbDpT10_ENKUlT_T0_E_clISt17integral_constantIbLb0EES16_EEDaS11_S12_EUlS11_E_NS1_11comp_targetILNS1_3genE0ELNS1_11target_archE4294967295ELNS1_3gpuE0ELNS1_3repE0EEENS1_30default_config_static_selectorELNS0_4arch9wavefront6targetE0EEEvT1_,comdat
	.protected	_ZN7rocprim17ROCPRIM_400000_NS6detail17trampoline_kernelINS0_14default_configENS1_25partition_config_selectorILNS1_17partition_subalgoE6EyNS0_10empty_typeEbEEZZNS1_14partition_implILS5_6ELb0ES3_mN6thrust23THRUST_200600_302600_NS6detail15normal_iteratorINSA_10device_ptrIyEEEEPS6_SG_NS0_5tupleIJSF_S6_EEENSH_IJSG_SG_EEES6_PlJ5mod_3IyEEEE10hipError_tPvRmT3_T4_T5_T6_T7_T9_mT8_P12ihipStream_tbDpT10_ENKUlT_T0_E_clISt17integral_constantIbLb0EES16_EEDaS11_S12_EUlS11_E_NS1_11comp_targetILNS1_3genE0ELNS1_11target_archE4294967295ELNS1_3gpuE0ELNS1_3repE0EEENS1_30default_config_static_selectorELNS0_4arch9wavefront6targetE0EEEvT1_ ; -- Begin function _ZN7rocprim17ROCPRIM_400000_NS6detail17trampoline_kernelINS0_14default_configENS1_25partition_config_selectorILNS1_17partition_subalgoE6EyNS0_10empty_typeEbEEZZNS1_14partition_implILS5_6ELb0ES3_mN6thrust23THRUST_200600_302600_NS6detail15normal_iteratorINSA_10device_ptrIyEEEEPS6_SG_NS0_5tupleIJSF_S6_EEENSH_IJSG_SG_EEES6_PlJ5mod_3IyEEEE10hipError_tPvRmT3_T4_T5_T6_T7_T9_mT8_P12ihipStream_tbDpT10_ENKUlT_T0_E_clISt17integral_constantIbLb0EES16_EEDaS11_S12_EUlS11_E_NS1_11comp_targetILNS1_3genE0ELNS1_11target_archE4294967295ELNS1_3gpuE0ELNS1_3repE0EEENS1_30default_config_static_selectorELNS0_4arch9wavefront6targetE0EEEvT1_
	.globl	_ZN7rocprim17ROCPRIM_400000_NS6detail17trampoline_kernelINS0_14default_configENS1_25partition_config_selectorILNS1_17partition_subalgoE6EyNS0_10empty_typeEbEEZZNS1_14partition_implILS5_6ELb0ES3_mN6thrust23THRUST_200600_302600_NS6detail15normal_iteratorINSA_10device_ptrIyEEEEPS6_SG_NS0_5tupleIJSF_S6_EEENSH_IJSG_SG_EEES6_PlJ5mod_3IyEEEE10hipError_tPvRmT3_T4_T5_T6_T7_T9_mT8_P12ihipStream_tbDpT10_ENKUlT_T0_E_clISt17integral_constantIbLb0EES16_EEDaS11_S12_EUlS11_E_NS1_11comp_targetILNS1_3genE0ELNS1_11target_archE4294967295ELNS1_3gpuE0ELNS1_3repE0EEENS1_30default_config_static_selectorELNS0_4arch9wavefront6targetE0EEEvT1_
	.p2align	8
	.type	_ZN7rocprim17ROCPRIM_400000_NS6detail17trampoline_kernelINS0_14default_configENS1_25partition_config_selectorILNS1_17partition_subalgoE6EyNS0_10empty_typeEbEEZZNS1_14partition_implILS5_6ELb0ES3_mN6thrust23THRUST_200600_302600_NS6detail15normal_iteratorINSA_10device_ptrIyEEEEPS6_SG_NS0_5tupleIJSF_S6_EEENSH_IJSG_SG_EEES6_PlJ5mod_3IyEEEE10hipError_tPvRmT3_T4_T5_T6_T7_T9_mT8_P12ihipStream_tbDpT10_ENKUlT_T0_E_clISt17integral_constantIbLb0EES16_EEDaS11_S12_EUlS11_E_NS1_11comp_targetILNS1_3genE0ELNS1_11target_archE4294967295ELNS1_3gpuE0ELNS1_3repE0EEENS1_30default_config_static_selectorELNS0_4arch9wavefront6targetE0EEEvT1_,@function
_ZN7rocprim17ROCPRIM_400000_NS6detail17trampoline_kernelINS0_14default_configENS1_25partition_config_selectorILNS1_17partition_subalgoE6EyNS0_10empty_typeEbEEZZNS1_14partition_implILS5_6ELb0ES3_mN6thrust23THRUST_200600_302600_NS6detail15normal_iteratorINSA_10device_ptrIyEEEEPS6_SG_NS0_5tupleIJSF_S6_EEENSH_IJSG_SG_EEES6_PlJ5mod_3IyEEEE10hipError_tPvRmT3_T4_T5_T6_T7_T9_mT8_P12ihipStream_tbDpT10_ENKUlT_T0_E_clISt17integral_constantIbLb0EES16_EEDaS11_S12_EUlS11_E_NS1_11comp_targetILNS1_3genE0ELNS1_11target_archE4294967295ELNS1_3gpuE0ELNS1_3repE0EEENS1_30default_config_static_selectorELNS0_4arch9wavefront6targetE0EEEvT1_: ; @_ZN7rocprim17ROCPRIM_400000_NS6detail17trampoline_kernelINS0_14default_configENS1_25partition_config_selectorILNS1_17partition_subalgoE6EyNS0_10empty_typeEbEEZZNS1_14partition_implILS5_6ELb0ES3_mN6thrust23THRUST_200600_302600_NS6detail15normal_iteratorINSA_10device_ptrIyEEEEPS6_SG_NS0_5tupleIJSF_S6_EEENSH_IJSG_SG_EEES6_PlJ5mod_3IyEEEE10hipError_tPvRmT3_T4_T5_T6_T7_T9_mT8_P12ihipStream_tbDpT10_ENKUlT_T0_E_clISt17integral_constantIbLb0EES16_EEDaS11_S12_EUlS11_E_NS1_11comp_targetILNS1_3genE0ELNS1_11target_archE4294967295ELNS1_3gpuE0ELNS1_3repE0EEENS1_30default_config_static_selectorELNS0_4arch9wavefront6targetE0EEEvT1_
; %bb.0:
	.section	.rodata,"a",@progbits
	.p2align	6, 0x0
	.amdhsa_kernel _ZN7rocprim17ROCPRIM_400000_NS6detail17trampoline_kernelINS0_14default_configENS1_25partition_config_selectorILNS1_17partition_subalgoE6EyNS0_10empty_typeEbEEZZNS1_14partition_implILS5_6ELb0ES3_mN6thrust23THRUST_200600_302600_NS6detail15normal_iteratorINSA_10device_ptrIyEEEEPS6_SG_NS0_5tupleIJSF_S6_EEENSH_IJSG_SG_EEES6_PlJ5mod_3IyEEEE10hipError_tPvRmT3_T4_T5_T6_T7_T9_mT8_P12ihipStream_tbDpT10_ENKUlT_T0_E_clISt17integral_constantIbLb0EES16_EEDaS11_S12_EUlS11_E_NS1_11comp_targetILNS1_3genE0ELNS1_11target_archE4294967295ELNS1_3gpuE0ELNS1_3repE0EEENS1_30default_config_static_selectorELNS0_4arch9wavefront6targetE0EEEvT1_
		.amdhsa_group_segment_fixed_size 0
		.amdhsa_private_segment_fixed_size 0
		.amdhsa_kernarg_size 112
		.amdhsa_user_sgpr_count 15
		.amdhsa_user_sgpr_dispatch_ptr 0
		.amdhsa_user_sgpr_queue_ptr 0
		.amdhsa_user_sgpr_kernarg_segment_ptr 1
		.amdhsa_user_sgpr_dispatch_id 0
		.amdhsa_user_sgpr_private_segment_size 0
		.amdhsa_wavefront_size32 1
		.amdhsa_uses_dynamic_stack 0
		.amdhsa_enable_private_segment 0
		.amdhsa_system_sgpr_workgroup_id_x 1
		.amdhsa_system_sgpr_workgroup_id_y 0
		.amdhsa_system_sgpr_workgroup_id_z 0
		.amdhsa_system_sgpr_workgroup_info 0
		.amdhsa_system_vgpr_workitem_id 0
		.amdhsa_next_free_vgpr 1
		.amdhsa_next_free_sgpr 1
		.amdhsa_reserve_vcc 0
		.amdhsa_float_round_mode_32 0
		.amdhsa_float_round_mode_16_64 0
		.amdhsa_float_denorm_mode_32 3
		.amdhsa_float_denorm_mode_16_64 3
		.amdhsa_dx10_clamp 1
		.amdhsa_ieee_mode 1
		.amdhsa_fp16_overflow 0
		.amdhsa_workgroup_processor_mode 1
		.amdhsa_memory_ordered 1
		.amdhsa_forward_progress 0
		.amdhsa_shared_vgpr_count 0
		.amdhsa_exception_fp_ieee_invalid_op 0
		.amdhsa_exception_fp_denorm_src 0
		.amdhsa_exception_fp_ieee_div_zero 0
		.amdhsa_exception_fp_ieee_overflow 0
		.amdhsa_exception_fp_ieee_underflow 0
		.amdhsa_exception_fp_ieee_inexact 0
		.amdhsa_exception_int_div_zero 0
	.end_amdhsa_kernel
	.section	.text._ZN7rocprim17ROCPRIM_400000_NS6detail17trampoline_kernelINS0_14default_configENS1_25partition_config_selectorILNS1_17partition_subalgoE6EyNS0_10empty_typeEbEEZZNS1_14partition_implILS5_6ELb0ES3_mN6thrust23THRUST_200600_302600_NS6detail15normal_iteratorINSA_10device_ptrIyEEEEPS6_SG_NS0_5tupleIJSF_S6_EEENSH_IJSG_SG_EEES6_PlJ5mod_3IyEEEE10hipError_tPvRmT3_T4_T5_T6_T7_T9_mT8_P12ihipStream_tbDpT10_ENKUlT_T0_E_clISt17integral_constantIbLb0EES16_EEDaS11_S12_EUlS11_E_NS1_11comp_targetILNS1_3genE0ELNS1_11target_archE4294967295ELNS1_3gpuE0ELNS1_3repE0EEENS1_30default_config_static_selectorELNS0_4arch9wavefront6targetE0EEEvT1_,"axG",@progbits,_ZN7rocprim17ROCPRIM_400000_NS6detail17trampoline_kernelINS0_14default_configENS1_25partition_config_selectorILNS1_17partition_subalgoE6EyNS0_10empty_typeEbEEZZNS1_14partition_implILS5_6ELb0ES3_mN6thrust23THRUST_200600_302600_NS6detail15normal_iteratorINSA_10device_ptrIyEEEEPS6_SG_NS0_5tupleIJSF_S6_EEENSH_IJSG_SG_EEES6_PlJ5mod_3IyEEEE10hipError_tPvRmT3_T4_T5_T6_T7_T9_mT8_P12ihipStream_tbDpT10_ENKUlT_T0_E_clISt17integral_constantIbLb0EES16_EEDaS11_S12_EUlS11_E_NS1_11comp_targetILNS1_3genE0ELNS1_11target_archE4294967295ELNS1_3gpuE0ELNS1_3repE0EEENS1_30default_config_static_selectorELNS0_4arch9wavefront6targetE0EEEvT1_,comdat
.Lfunc_end456:
	.size	_ZN7rocprim17ROCPRIM_400000_NS6detail17trampoline_kernelINS0_14default_configENS1_25partition_config_selectorILNS1_17partition_subalgoE6EyNS0_10empty_typeEbEEZZNS1_14partition_implILS5_6ELb0ES3_mN6thrust23THRUST_200600_302600_NS6detail15normal_iteratorINSA_10device_ptrIyEEEEPS6_SG_NS0_5tupleIJSF_S6_EEENSH_IJSG_SG_EEES6_PlJ5mod_3IyEEEE10hipError_tPvRmT3_T4_T5_T6_T7_T9_mT8_P12ihipStream_tbDpT10_ENKUlT_T0_E_clISt17integral_constantIbLb0EES16_EEDaS11_S12_EUlS11_E_NS1_11comp_targetILNS1_3genE0ELNS1_11target_archE4294967295ELNS1_3gpuE0ELNS1_3repE0EEENS1_30default_config_static_selectorELNS0_4arch9wavefront6targetE0EEEvT1_, .Lfunc_end456-_ZN7rocprim17ROCPRIM_400000_NS6detail17trampoline_kernelINS0_14default_configENS1_25partition_config_selectorILNS1_17partition_subalgoE6EyNS0_10empty_typeEbEEZZNS1_14partition_implILS5_6ELb0ES3_mN6thrust23THRUST_200600_302600_NS6detail15normal_iteratorINSA_10device_ptrIyEEEEPS6_SG_NS0_5tupleIJSF_S6_EEENSH_IJSG_SG_EEES6_PlJ5mod_3IyEEEE10hipError_tPvRmT3_T4_T5_T6_T7_T9_mT8_P12ihipStream_tbDpT10_ENKUlT_T0_E_clISt17integral_constantIbLb0EES16_EEDaS11_S12_EUlS11_E_NS1_11comp_targetILNS1_3genE0ELNS1_11target_archE4294967295ELNS1_3gpuE0ELNS1_3repE0EEENS1_30default_config_static_selectorELNS0_4arch9wavefront6targetE0EEEvT1_
                                        ; -- End function
	.section	.AMDGPU.csdata,"",@progbits
; Kernel info:
; codeLenInByte = 0
; NumSgprs: 0
; NumVgprs: 0
; ScratchSize: 0
; MemoryBound: 0
; FloatMode: 240
; IeeeMode: 1
; LDSByteSize: 0 bytes/workgroup (compile time only)
; SGPRBlocks: 0
; VGPRBlocks: 0
; NumSGPRsForWavesPerEU: 1
; NumVGPRsForWavesPerEU: 1
; Occupancy: 16
; WaveLimiterHint : 0
; COMPUTE_PGM_RSRC2:SCRATCH_EN: 0
; COMPUTE_PGM_RSRC2:USER_SGPR: 15
; COMPUTE_PGM_RSRC2:TRAP_HANDLER: 0
; COMPUTE_PGM_RSRC2:TGID_X_EN: 1
; COMPUTE_PGM_RSRC2:TGID_Y_EN: 0
; COMPUTE_PGM_RSRC2:TGID_Z_EN: 0
; COMPUTE_PGM_RSRC2:TIDIG_COMP_CNT: 0
	.section	.text._ZN7rocprim17ROCPRIM_400000_NS6detail17trampoline_kernelINS0_14default_configENS1_25partition_config_selectorILNS1_17partition_subalgoE6EyNS0_10empty_typeEbEEZZNS1_14partition_implILS5_6ELb0ES3_mN6thrust23THRUST_200600_302600_NS6detail15normal_iteratorINSA_10device_ptrIyEEEEPS6_SG_NS0_5tupleIJSF_S6_EEENSH_IJSG_SG_EEES6_PlJ5mod_3IyEEEE10hipError_tPvRmT3_T4_T5_T6_T7_T9_mT8_P12ihipStream_tbDpT10_ENKUlT_T0_E_clISt17integral_constantIbLb0EES16_EEDaS11_S12_EUlS11_E_NS1_11comp_targetILNS1_3genE5ELNS1_11target_archE942ELNS1_3gpuE9ELNS1_3repE0EEENS1_30default_config_static_selectorELNS0_4arch9wavefront6targetE0EEEvT1_,"axG",@progbits,_ZN7rocprim17ROCPRIM_400000_NS6detail17trampoline_kernelINS0_14default_configENS1_25partition_config_selectorILNS1_17partition_subalgoE6EyNS0_10empty_typeEbEEZZNS1_14partition_implILS5_6ELb0ES3_mN6thrust23THRUST_200600_302600_NS6detail15normal_iteratorINSA_10device_ptrIyEEEEPS6_SG_NS0_5tupleIJSF_S6_EEENSH_IJSG_SG_EEES6_PlJ5mod_3IyEEEE10hipError_tPvRmT3_T4_T5_T6_T7_T9_mT8_P12ihipStream_tbDpT10_ENKUlT_T0_E_clISt17integral_constantIbLb0EES16_EEDaS11_S12_EUlS11_E_NS1_11comp_targetILNS1_3genE5ELNS1_11target_archE942ELNS1_3gpuE9ELNS1_3repE0EEENS1_30default_config_static_selectorELNS0_4arch9wavefront6targetE0EEEvT1_,comdat
	.protected	_ZN7rocprim17ROCPRIM_400000_NS6detail17trampoline_kernelINS0_14default_configENS1_25partition_config_selectorILNS1_17partition_subalgoE6EyNS0_10empty_typeEbEEZZNS1_14partition_implILS5_6ELb0ES3_mN6thrust23THRUST_200600_302600_NS6detail15normal_iteratorINSA_10device_ptrIyEEEEPS6_SG_NS0_5tupleIJSF_S6_EEENSH_IJSG_SG_EEES6_PlJ5mod_3IyEEEE10hipError_tPvRmT3_T4_T5_T6_T7_T9_mT8_P12ihipStream_tbDpT10_ENKUlT_T0_E_clISt17integral_constantIbLb0EES16_EEDaS11_S12_EUlS11_E_NS1_11comp_targetILNS1_3genE5ELNS1_11target_archE942ELNS1_3gpuE9ELNS1_3repE0EEENS1_30default_config_static_selectorELNS0_4arch9wavefront6targetE0EEEvT1_ ; -- Begin function _ZN7rocprim17ROCPRIM_400000_NS6detail17trampoline_kernelINS0_14default_configENS1_25partition_config_selectorILNS1_17partition_subalgoE6EyNS0_10empty_typeEbEEZZNS1_14partition_implILS5_6ELb0ES3_mN6thrust23THRUST_200600_302600_NS6detail15normal_iteratorINSA_10device_ptrIyEEEEPS6_SG_NS0_5tupleIJSF_S6_EEENSH_IJSG_SG_EEES6_PlJ5mod_3IyEEEE10hipError_tPvRmT3_T4_T5_T6_T7_T9_mT8_P12ihipStream_tbDpT10_ENKUlT_T0_E_clISt17integral_constantIbLb0EES16_EEDaS11_S12_EUlS11_E_NS1_11comp_targetILNS1_3genE5ELNS1_11target_archE942ELNS1_3gpuE9ELNS1_3repE0EEENS1_30default_config_static_selectorELNS0_4arch9wavefront6targetE0EEEvT1_
	.globl	_ZN7rocprim17ROCPRIM_400000_NS6detail17trampoline_kernelINS0_14default_configENS1_25partition_config_selectorILNS1_17partition_subalgoE6EyNS0_10empty_typeEbEEZZNS1_14partition_implILS5_6ELb0ES3_mN6thrust23THRUST_200600_302600_NS6detail15normal_iteratorINSA_10device_ptrIyEEEEPS6_SG_NS0_5tupleIJSF_S6_EEENSH_IJSG_SG_EEES6_PlJ5mod_3IyEEEE10hipError_tPvRmT3_T4_T5_T6_T7_T9_mT8_P12ihipStream_tbDpT10_ENKUlT_T0_E_clISt17integral_constantIbLb0EES16_EEDaS11_S12_EUlS11_E_NS1_11comp_targetILNS1_3genE5ELNS1_11target_archE942ELNS1_3gpuE9ELNS1_3repE0EEENS1_30default_config_static_selectorELNS0_4arch9wavefront6targetE0EEEvT1_
	.p2align	8
	.type	_ZN7rocprim17ROCPRIM_400000_NS6detail17trampoline_kernelINS0_14default_configENS1_25partition_config_selectorILNS1_17partition_subalgoE6EyNS0_10empty_typeEbEEZZNS1_14partition_implILS5_6ELb0ES3_mN6thrust23THRUST_200600_302600_NS6detail15normal_iteratorINSA_10device_ptrIyEEEEPS6_SG_NS0_5tupleIJSF_S6_EEENSH_IJSG_SG_EEES6_PlJ5mod_3IyEEEE10hipError_tPvRmT3_T4_T5_T6_T7_T9_mT8_P12ihipStream_tbDpT10_ENKUlT_T0_E_clISt17integral_constantIbLb0EES16_EEDaS11_S12_EUlS11_E_NS1_11comp_targetILNS1_3genE5ELNS1_11target_archE942ELNS1_3gpuE9ELNS1_3repE0EEENS1_30default_config_static_selectorELNS0_4arch9wavefront6targetE0EEEvT1_,@function
_ZN7rocprim17ROCPRIM_400000_NS6detail17trampoline_kernelINS0_14default_configENS1_25partition_config_selectorILNS1_17partition_subalgoE6EyNS0_10empty_typeEbEEZZNS1_14partition_implILS5_6ELb0ES3_mN6thrust23THRUST_200600_302600_NS6detail15normal_iteratorINSA_10device_ptrIyEEEEPS6_SG_NS0_5tupleIJSF_S6_EEENSH_IJSG_SG_EEES6_PlJ5mod_3IyEEEE10hipError_tPvRmT3_T4_T5_T6_T7_T9_mT8_P12ihipStream_tbDpT10_ENKUlT_T0_E_clISt17integral_constantIbLb0EES16_EEDaS11_S12_EUlS11_E_NS1_11comp_targetILNS1_3genE5ELNS1_11target_archE942ELNS1_3gpuE9ELNS1_3repE0EEENS1_30default_config_static_selectorELNS0_4arch9wavefront6targetE0EEEvT1_: ; @_ZN7rocprim17ROCPRIM_400000_NS6detail17trampoline_kernelINS0_14default_configENS1_25partition_config_selectorILNS1_17partition_subalgoE6EyNS0_10empty_typeEbEEZZNS1_14partition_implILS5_6ELb0ES3_mN6thrust23THRUST_200600_302600_NS6detail15normal_iteratorINSA_10device_ptrIyEEEEPS6_SG_NS0_5tupleIJSF_S6_EEENSH_IJSG_SG_EEES6_PlJ5mod_3IyEEEE10hipError_tPvRmT3_T4_T5_T6_T7_T9_mT8_P12ihipStream_tbDpT10_ENKUlT_T0_E_clISt17integral_constantIbLb0EES16_EEDaS11_S12_EUlS11_E_NS1_11comp_targetILNS1_3genE5ELNS1_11target_archE942ELNS1_3gpuE9ELNS1_3repE0EEENS1_30default_config_static_selectorELNS0_4arch9wavefront6targetE0EEEvT1_
; %bb.0:
	.section	.rodata,"a",@progbits
	.p2align	6, 0x0
	.amdhsa_kernel _ZN7rocprim17ROCPRIM_400000_NS6detail17trampoline_kernelINS0_14default_configENS1_25partition_config_selectorILNS1_17partition_subalgoE6EyNS0_10empty_typeEbEEZZNS1_14partition_implILS5_6ELb0ES3_mN6thrust23THRUST_200600_302600_NS6detail15normal_iteratorINSA_10device_ptrIyEEEEPS6_SG_NS0_5tupleIJSF_S6_EEENSH_IJSG_SG_EEES6_PlJ5mod_3IyEEEE10hipError_tPvRmT3_T4_T5_T6_T7_T9_mT8_P12ihipStream_tbDpT10_ENKUlT_T0_E_clISt17integral_constantIbLb0EES16_EEDaS11_S12_EUlS11_E_NS1_11comp_targetILNS1_3genE5ELNS1_11target_archE942ELNS1_3gpuE9ELNS1_3repE0EEENS1_30default_config_static_selectorELNS0_4arch9wavefront6targetE0EEEvT1_
		.amdhsa_group_segment_fixed_size 0
		.amdhsa_private_segment_fixed_size 0
		.amdhsa_kernarg_size 112
		.amdhsa_user_sgpr_count 15
		.amdhsa_user_sgpr_dispatch_ptr 0
		.amdhsa_user_sgpr_queue_ptr 0
		.amdhsa_user_sgpr_kernarg_segment_ptr 1
		.amdhsa_user_sgpr_dispatch_id 0
		.amdhsa_user_sgpr_private_segment_size 0
		.amdhsa_wavefront_size32 1
		.amdhsa_uses_dynamic_stack 0
		.amdhsa_enable_private_segment 0
		.amdhsa_system_sgpr_workgroup_id_x 1
		.amdhsa_system_sgpr_workgroup_id_y 0
		.amdhsa_system_sgpr_workgroup_id_z 0
		.amdhsa_system_sgpr_workgroup_info 0
		.amdhsa_system_vgpr_workitem_id 0
		.amdhsa_next_free_vgpr 1
		.amdhsa_next_free_sgpr 1
		.amdhsa_reserve_vcc 0
		.amdhsa_float_round_mode_32 0
		.amdhsa_float_round_mode_16_64 0
		.amdhsa_float_denorm_mode_32 3
		.amdhsa_float_denorm_mode_16_64 3
		.amdhsa_dx10_clamp 1
		.amdhsa_ieee_mode 1
		.amdhsa_fp16_overflow 0
		.amdhsa_workgroup_processor_mode 1
		.amdhsa_memory_ordered 1
		.amdhsa_forward_progress 0
		.amdhsa_shared_vgpr_count 0
		.amdhsa_exception_fp_ieee_invalid_op 0
		.amdhsa_exception_fp_denorm_src 0
		.amdhsa_exception_fp_ieee_div_zero 0
		.amdhsa_exception_fp_ieee_overflow 0
		.amdhsa_exception_fp_ieee_underflow 0
		.amdhsa_exception_fp_ieee_inexact 0
		.amdhsa_exception_int_div_zero 0
	.end_amdhsa_kernel
	.section	.text._ZN7rocprim17ROCPRIM_400000_NS6detail17trampoline_kernelINS0_14default_configENS1_25partition_config_selectorILNS1_17partition_subalgoE6EyNS0_10empty_typeEbEEZZNS1_14partition_implILS5_6ELb0ES3_mN6thrust23THRUST_200600_302600_NS6detail15normal_iteratorINSA_10device_ptrIyEEEEPS6_SG_NS0_5tupleIJSF_S6_EEENSH_IJSG_SG_EEES6_PlJ5mod_3IyEEEE10hipError_tPvRmT3_T4_T5_T6_T7_T9_mT8_P12ihipStream_tbDpT10_ENKUlT_T0_E_clISt17integral_constantIbLb0EES16_EEDaS11_S12_EUlS11_E_NS1_11comp_targetILNS1_3genE5ELNS1_11target_archE942ELNS1_3gpuE9ELNS1_3repE0EEENS1_30default_config_static_selectorELNS0_4arch9wavefront6targetE0EEEvT1_,"axG",@progbits,_ZN7rocprim17ROCPRIM_400000_NS6detail17trampoline_kernelINS0_14default_configENS1_25partition_config_selectorILNS1_17partition_subalgoE6EyNS0_10empty_typeEbEEZZNS1_14partition_implILS5_6ELb0ES3_mN6thrust23THRUST_200600_302600_NS6detail15normal_iteratorINSA_10device_ptrIyEEEEPS6_SG_NS0_5tupleIJSF_S6_EEENSH_IJSG_SG_EEES6_PlJ5mod_3IyEEEE10hipError_tPvRmT3_T4_T5_T6_T7_T9_mT8_P12ihipStream_tbDpT10_ENKUlT_T0_E_clISt17integral_constantIbLb0EES16_EEDaS11_S12_EUlS11_E_NS1_11comp_targetILNS1_3genE5ELNS1_11target_archE942ELNS1_3gpuE9ELNS1_3repE0EEENS1_30default_config_static_selectorELNS0_4arch9wavefront6targetE0EEEvT1_,comdat
.Lfunc_end457:
	.size	_ZN7rocprim17ROCPRIM_400000_NS6detail17trampoline_kernelINS0_14default_configENS1_25partition_config_selectorILNS1_17partition_subalgoE6EyNS0_10empty_typeEbEEZZNS1_14partition_implILS5_6ELb0ES3_mN6thrust23THRUST_200600_302600_NS6detail15normal_iteratorINSA_10device_ptrIyEEEEPS6_SG_NS0_5tupleIJSF_S6_EEENSH_IJSG_SG_EEES6_PlJ5mod_3IyEEEE10hipError_tPvRmT3_T4_T5_T6_T7_T9_mT8_P12ihipStream_tbDpT10_ENKUlT_T0_E_clISt17integral_constantIbLb0EES16_EEDaS11_S12_EUlS11_E_NS1_11comp_targetILNS1_3genE5ELNS1_11target_archE942ELNS1_3gpuE9ELNS1_3repE0EEENS1_30default_config_static_selectorELNS0_4arch9wavefront6targetE0EEEvT1_, .Lfunc_end457-_ZN7rocprim17ROCPRIM_400000_NS6detail17trampoline_kernelINS0_14default_configENS1_25partition_config_selectorILNS1_17partition_subalgoE6EyNS0_10empty_typeEbEEZZNS1_14partition_implILS5_6ELb0ES3_mN6thrust23THRUST_200600_302600_NS6detail15normal_iteratorINSA_10device_ptrIyEEEEPS6_SG_NS0_5tupleIJSF_S6_EEENSH_IJSG_SG_EEES6_PlJ5mod_3IyEEEE10hipError_tPvRmT3_T4_T5_T6_T7_T9_mT8_P12ihipStream_tbDpT10_ENKUlT_T0_E_clISt17integral_constantIbLb0EES16_EEDaS11_S12_EUlS11_E_NS1_11comp_targetILNS1_3genE5ELNS1_11target_archE942ELNS1_3gpuE9ELNS1_3repE0EEENS1_30default_config_static_selectorELNS0_4arch9wavefront6targetE0EEEvT1_
                                        ; -- End function
	.section	.AMDGPU.csdata,"",@progbits
; Kernel info:
; codeLenInByte = 0
; NumSgprs: 0
; NumVgprs: 0
; ScratchSize: 0
; MemoryBound: 0
; FloatMode: 240
; IeeeMode: 1
; LDSByteSize: 0 bytes/workgroup (compile time only)
; SGPRBlocks: 0
; VGPRBlocks: 0
; NumSGPRsForWavesPerEU: 1
; NumVGPRsForWavesPerEU: 1
; Occupancy: 16
; WaveLimiterHint : 0
; COMPUTE_PGM_RSRC2:SCRATCH_EN: 0
; COMPUTE_PGM_RSRC2:USER_SGPR: 15
; COMPUTE_PGM_RSRC2:TRAP_HANDLER: 0
; COMPUTE_PGM_RSRC2:TGID_X_EN: 1
; COMPUTE_PGM_RSRC2:TGID_Y_EN: 0
; COMPUTE_PGM_RSRC2:TGID_Z_EN: 0
; COMPUTE_PGM_RSRC2:TIDIG_COMP_CNT: 0
	.section	.text._ZN7rocprim17ROCPRIM_400000_NS6detail17trampoline_kernelINS0_14default_configENS1_25partition_config_selectorILNS1_17partition_subalgoE6EyNS0_10empty_typeEbEEZZNS1_14partition_implILS5_6ELb0ES3_mN6thrust23THRUST_200600_302600_NS6detail15normal_iteratorINSA_10device_ptrIyEEEEPS6_SG_NS0_5tupleIJSF_S6_EEENSH_IJSG_SG_EEES6_PlJ5mod_3IyEEEE10hipError_tPvRmT3_T4_T5_T6_T7_T9_mT8_P12ihipStream_tbDpT10_ENKUlT_T0_E_clISt17integral_constantIbLb0EES16_EEDaS11_S12_EUlS11_E_NS1_11comp_targetILNS1_3genE4ELNS1_11target_archE910ELNS1_3gpuE8ELNS1_3repE0EEENS1_30default_config_static_selectorELNS0_4arch9wavefront6targetE0EEEvT1_,"axG",@progbits,_ZN7rocprim17ROCPRIM_400000_NS6detail17trampoline_kernelINS0_14default_configENS1_25partition_config_selectorILNS1_17partition_subalgoE6EyNS0_10empty_typeEbEEZZNS1_14partition_implILS5_6ELb0ES3_mN6thrust23THRUST_200600_302600_NS6detail15normal_iteratorINSA_10device_ptrIyEEEEPS6_SG_NS0_5tupleIJSF_S6_EEENSH_IJSG_SG_EEES6_PlJ5mod_3IyEEEE10hipError_tPvRmT3_T4_T5_T6_T7_T9_mT8_P12ihipStream_tbDpT10_ENKUlT_T0_E_clISt17integral_constantIbLb0EES16_EEDaS11_S12_EUlS11_E_NS1_11comp_targetILNS1_3genE4ELNS1_11target_archE910ELNS1_3gpuE8ELNS1_3repE0EEENS1_30default_config_static_selectorELNS0_4arch9wavefront6targetE0EEEvT1_,comdat
	.protected	_ZN7rocprim17ROCPRIM_400000_NS6detail17trampoline_kernelINS0_14default_configENS1_25partition_config_selectorILNS1_17partition_subalgoE6EyNS0_10empty_typeEbEEZZNS1_14partition_implILS5_6ELb0ES3_mN6thrust23THRUST_200600_302600_NS6detail15normal_iteratorINSA_10device_ptrIyEEEEPS6_SG_NS0_5tupleIJSF_S6_EEENSH_IJSG_SG_EEES6_PlJ5mod_3IyEEEE10hipError_tPvRmT3_T4_T5_T6_T7_T9_mT8_P12ihipStream_tbDpT10_ENKUlT_T0_E_clISt17integral_constantIbLb0EES16_EEDaS11_S12_EUlS11_E_NS1_11comp_targetILNS1_3genE4ELNS1_11target_archE910ELNS1_3gpuE8ELNS1_3repE0EEENS1_30default_config_static_selectorELNS0_4arch9wavefront6targetE0EEEvT1_ ; -- Begin function _ZN7rocprim17ROCPRIM_400000_NS6detail17trampoline_kernelINS0_14default_configENS1_25partition_config_selectorILNS1_17partition_subalgoE6EyNS0_10empty_typeEbEEZZNS1_14partition_implILS5_6ELb0ES3_mN6thrust23THRUST_200600_302600_NS6detail15normal_iteratorINSA_10device_ptrIyEEEEPS6_SG_NS0_5tupleIJSF_S6_EEENSH_IJSG_SG_EEES6_PlJ5mod_3IyEEEE10hipError_tPvRmT3_T4_T5_T6_T7_T9_mT8_P12ihipStream_tbDpT10_ENKUlT_T0_E_clISt17integral_constantIbLb0EES16_EEDaS11_S12_EUlS11_E_NS1_11comp_targetILNS1_3genE4ELNS1_11target_archE910ELNS1_3gpuE8ELNS1_3repE0EEENS1_30default_config_static_selectorELNS0_4arch9wavefront6targetE0EEEvT1_
	.globl	_ZN7rocprim17ROCPRIM_400000_NS6detail17trampoline_kernelINS0_14default_configENS1_25partition_config_selectorILNS1_17partition_subalgoE6EyNS0_10empty_typeEbEEZZNS1_14partition_implILS5_6ELb0ES3_mN6thrust23THRUST_200600_302600_NS6detail15normal_iteratorINSA_10device_ptrIyEEEEPS6_SG_NS0_5tupleIJSF_S6_EEENSH_IJSG_SG_EEES6_PlJ5mod_3IyEEEE10hipError_tPvRmT3_T4_T5_T6_T7_T9_mT8_P12ihipStream_tbDpT10_ENKUlT_T0_E_clISt17integral_constantIbLb0EES16_EEDaS11_S12_EUlS11_E_NS1_11comp_targetILNS1_3genE4ELNS1_11target_archE910ELNS1_3gpuE8ELNS1_3repE0EEENS1_30default_config_static_selectorELNS0_4arch9wavefront6targetE0EEEvT1_
	.p2align	8
	.type	_ZN7rocprim17ROCPRIM_400000_NS6detail17trampoline_kernelINS0_14default_configENS1_25partition_config_selectorILNS1_17partition_subalgoE6EyNS0_10empty_typeEbEEZZNS1_14partition_implILS5_6ELb0ES3_mN6thrust23THRUST_200600_302600_NS6detail15normal_iteratorINSA_10device_ptrIyEEEEPS6_SG_NS0_5tupleIJSF_S6_EEENSH_IJSG_SG_EEES6_PlJ5mod_3IyEEEE10hipError_tPvRmT3_T4_T5_T6_T7_T9_mT8_P12ihipStream_tbDpT10_ENKUlT_T0_E_clISt17integral_constantIbLb0EES16_EEDaS11_S12_EUlS11_E_NS1_11comp_targetILNS1_3genE4ELNS1_11target_archE910ELNS1_3gpuE8ELNS1_3repE0EEENS1_30default_config_static_selectorELNS0_4arch9wavefront6targetE0EEEvT1_,@function
_ZN7rocprim17ROCPRIM_400000_NS6detail17trampoline_kernelINS0_14default_configENS1_25partition_config_selectorILNS1_17partition_subalgoE6EyNS0_10empty_typeEbEEZZNS1_14partition_implILS5_6ELb0ES3_mN6thrust23THRUST_200600_302600_NS6detail15normal_iteratorINSA_10device_ptrIyEEEEPS6_SG_NS0_5tupleIJSF_S6_EEENSH_IJSG_SG_EEES6_PlJ5mod_3IyEEEE10hipError_tPvRmT3_T4_T5_T6_T7_T9_mT8_P12ihipStream_tbDpT10_ENKUlT_T0_E_clISt17integral_constantIbLb0EES16_EEDaS11_S12_EUlS11_E_NS1_11comp_targetILNS1_3genE4ELNS1_11target_archE910ELNS1_3gpuE8ELNS1_3repE0EEENS1_30default_config_static_selectorELNS0_4arch9wavefront6targetE0EEEvT1_: ; @_ZN7rocprim17ROCPRIM_400000_NS6detail17trampoline_kernelINS0_14default_configENS1_25partition_config_selectorILNS1_17partition_subalgoE6EyNS0_10empty_typeEbEEZZNS1_14partition_implILS5_6ELb0ES3_mN6thrust23THRUST_200600_302600_NS6detail15normal_iteratorINSA_10device_ptrIyEEEEPS6_SG_NS0_5tupleIJSF_S6_EEENSH_IJSG_SG_EEES6_PlJ5mod_3IyEEEE10hipError_tPvRmT3_T4_T5_T6_T7_T9_mT8_P12ihipStream_tbDpT10_ENKUlT_T0_E_clISt17integral_constantIbLb0EES16_EEDaS11_S12_EUlS11_E_NS1_11comp_targetILNS1_3genE4ELNS1_11target_archE910ELNS1_3gpuE8ELNS1_3repE0EEENS1_30default_config_static_selectorELNS0_4arch9wavefront6targetE0EEEvT1_
; %bb.0:
	.section	.rodata,"a",@progbits
	.p2align	6, 0x0
	.amdhsa_kernel _ZN7rocprim17ROCPRIM_400000_NS6detail17trampoline_kernelINS0_14default_configENS1_25partition_config_selectorILNS1_17partition_subalgoE6EyNS0_10empty_typeEbEEZZNS1_14partition_implILS5_6ELb0ES3_mN6thrust23THRUST_200600_302600_NS6detail15normal_iteratorINSA_10device_ptrIyEEEEPS6_SG_NS0_5tupleIJSF_S6_EEENSH_IJSG_SG_EEES6_PlJ5mod_3IyEEEE10hipError_tPvRmT3_T4_T5_T6_T7_T9_mT8_P12ihipStream_tbDpT10_ENKUlT_T0_E_clISt17integral_constantIbLb0EES16_EEDaS11_S12_EUlS11_E_NS1_11comp_targetILNS1_3genE4ELNS1_11target_archE910ELNS1_3gpuE8ELNS1_3repE0EEENS1_30default_config_static_selectorELNS0_4arch9wavefront6targetE0EEEvT1_
		.amdhsa_group_segment_fixed_size 0
		.amdhsa_private_segment_fixed_size 0
		.amdhsa_kernarg_size 112
		.amdhsa_user_sgpr_count 15
		.amdhsa_user_sgpr_dispatch_ptr 0
		.amdhsa_user_sgpr_queue_ptr 0
		.amdhsa_user_sgpr_kernarg_segment_ptr 1
		.amdhsa_user_sgpr_dispatch_id 0
		.amdhsa_user_sgpr_private_segment_size 0
		.amdhsa_wavefront_size32 1
		.amdhsa_uses_dynamic_stack 0
		.amdhsa_enable_private_segment 0
		.amdhsa_system_sgpr_workgroup_id_x 1
		.amdhsa_system_sgpr_workgroup_id_y 0
		.amdhsa_system_sgpr_workgroup_id_z 0
		.amdhsa_system_sgpr_workgroup_info 0
		.amdhsa_system_vgpr_workitem_id 0
		.amdhsa_next_free_vgpr 1
		.amdhsa_next_free_sgpr 1
		.amdhsa_reserve_vcc 0
		.amdhsa_float_round_mode_32 0
		.amdhsa_float_round_mode_16_64 0
		.amdhsa_float_denorm_mode_32 3
		.amdhsa_float_denorm_mode_16_64 3
		.amdhsa_dx10_clamp 1
		.amdhsa_ieee_mode 1
		.amdhsa_fp16_overflow 0
		.amdhsa_workgroup_processor_mode 1
		.amdhsa_memory_ordered 1
		.amdhsa_forward_progress 0
		.amdhsa_shared_vgpr_count 0
		.amdhsa_exception_fp_ieee_invalid_op 0
		.amdhsa_exception_fp_denorm_src 0
		.amdhsa_exception_fp_ieee_div_zero 0
		.amdhsa_exception_fp_ieee_overflow 0
		.amdhsa_exception_fp_ieee_underflow 0
		.amdhsa_exception_fp_ieee_inexact 0
		.amdhsa_exception_int_div_zero 0
	.end_amdhsa_kernel
	.section	.text._ZN7rocprim17ROCPRIM_400000_NS6detail17trampoline_kernelINS0_14default_configENS1_25partition_config_selectorILNS1_17partition_subalgoE6EyNS0_10empty_typeEbEEZZNS1_14partition_implILS5_6ELb0ES3_mN6thrust23THRUST_200600_302600_NS6detail15normal_iteratorINSA_10device_ptrIyEEEEPS6_SG_NS0_5tupleIJSF_S6_EEENSH_IJSG_SG_EEES6_PlJ5mod_3IyEEEE10hipError_tPvRmT3_T4_T5_T6_T7_T9_mT8_P12ihipStream_tbDpT10_ENKUlT_T0_E_clISt17integral_constantIbLb0EES16_EEDaS11_S12_EUlS11_E_NS1_11comp_targetILNS1_3genE4ELNS1_11target_archE910ELNS1_3gpuE8ELNS1_3repE0EEENS1_30default_config_static_selectorELNS0_4arch9wavefront6targetE0EEEvT1_,"axG",@progbits,_ZN7rocprim17ROCPRIM_400000_NS6detail17trampoline_kernelINS0_14default_configENS1_25partition_config_selectorILNS1_17partition_subalgoE6EyNS0_10empty_typeEbEEZZNS1_14partition_implILS5_6ELb0ES3_mN6thrust23THRUST_200600_302600_NS6detail15normal_iteratorINSA_10device_ptrIyEEEEPS6_SG_NS0_5tupleIJSF_S6_EEENSH_IJSG_SG_EEES6_PlJ5mod_3IyEEEE10hipError_tPvRmT3_T4_T5_T6_T7_T9_mT8_P12ihipStream_tbDpT10_ENKUlT_T0_E_clISt17integral_constantIbLb0EES16_EEDaS11_S12_EUlS11_E_NS1_11comp_targetILNS1_3genE4ELNS1_11target_archE910ELNS1_3gpuE8ELNS1_3repE0EEENS1_30default_config_static_selectorELNS0_4arch9wavefront6targetE0EEEvT1_,comdat
.Lfunc_end458:
	.size	_ZN7rocprim17ROCPRIM_400000_NS6detail17trampoline_kernelINS0_14default_configENS1_25partition_config_selectorILNS1_17partition_subalgoE6EyNS0_10empty_typeEbEEZZNS1_14partition_implILS5_6ELb0ES3_mN6thrust23THRUST_200600_302600_NS6detail15normal_iteratorINSA_10device_ptrIyEEEEPS6_SG_NS0_5tupleIJSF_S6_EEENSH_IJSG_SG_EEES6_PlJ5mod_3IyEEEE10hipError_tPvRmT3_T4_T5_T6_T7_T9_mT8_P12ihipStream_tbDpT10_ENKUlT_T0_E_clISt17integral_constantIbLb0EES16_EEDaS11_S12_EUlS11_E_NS1_11comp_targetILNS1_3genE4ELNS1_11target_archE910ELNS1_3gpuE8ELNS1_3repE0EEENS1_30default_config_static_selectorELNS0_4arch9wavefront6targetE0EEEvT1_, .Lfunc_end458-_ZN7rocprim17ROCPRIM_400000_NS6detail17trampoline_kernelINS0_14default_configENS1_25partition_config_selectorILNS1_17partition_subalgoE6EyNS0_10empty_typeEbEEZZNS1_14partition_implILS5_6ELb0ES3_mN6thrust23THRUST_200600_302600_NS6detail15normal_iteratorINSA_10device_ptrIyEEEEPS6_SG_NS0_5tupleIJSF_S6_EEENSH_IJSG_SG_EEES6_PlJ5mod_3IyEEEE10hipError_tPvRmT3_T4_T5_T6_T7_T9_mT8_P12ihipStream_tbDpT10_ENKUlT_T0_E_clISt17integral_constantIbLb0EES16_EEDaS11_S12_EUlS11_E_NS1_11comp_targetILNS1_3genE4ELNS1_11target_archE910ELNS1_3gpuE8ELNS1_3repE0EEENS1_30default_config_static_selectorELNS0_4arch9wavefront6targetE0EEEvT1_
                                        ; -- End function
	.section	.AMDGPU.csdata,"",@progbits
; Kernel info:
; codeLenInByte = 0
; NumSgprs: 0
; NumVgprs: 0
; ScratchSize: 0
; MemoryBound: 0
; FloatMode: 240
; IeeeMode: 1
; LDSByteSize: 0 bytes/workgroup (compile time only)
; SGPRBlocks: 0
; VGPRBlocks: 0
; NumSGPRsForWavesPerEU: 1
; NumVGPRsForWavesPerEU: 1
; Occupancy: 16
; WaveLimiterHint : 0
; COMPUTE_PGM_RSRC2:SCRATCH_EN: 0
; COMPUTE_PGM_RSRC2:USER_SGPR: 15
; COMPUTE_PGM_RSRC2:TRAP_HANDLER: 0
; COMPUTE_PGM_RSRC2:TGID_X_EN: 1
; COMPUTE_PGM_RSRC2:TGID_Y_EN: 0
; COMPUTE_PGM_RSRC2:TGID_Z_EN: 0
; COMPUTE_PGM_RSRC2:TIDIG_COMP_CNT: 0
	.section	.text._ZN7rocprim17ROCPRIM_400000_NS6detail17trampoline_kernelINS0_14default_configENS1_25partition_config_selectorILNS1_17partition_subalgoE6EyNS0_10empty_typeEbEEZZNS1_14partition_implILS5_6ELb0ES3_mN6thrust23THRUST_200600_302600_NS6detail15normal_iteratorINSA_10device_ptrIyEEEEPS6_SG_NS0_5tupleIJSF_S6_EEENSH_IJSG_SG_EEES6_PlJ5mod_3IyEEEE10hipError_tPvRmT3_T4_T5_T6_T7_T9_mT8_P12ihipStream_tbDpT10_ENKUlT_T0_E_clISt17integral_constantIbLb0EES16_EEDaS11_S12_EUlS11_E_NS1_11comp_targetILNS1_3genE3ELNS1_11target_archE908ELNS1_3gpuE7ELNS1_3repE0EEENS1_30default_config_static_selectorELNS0_4arch9wavefront6targetE0EEEvT1_,"axG",@progbits,_ZN7rocprim17ROCPRIM_400000_NS6detail17trampoline_kernelINS0_14default_configENS1_25partition_config_selectorILNS1_17partition_subalgoE6EyNS0_10empty_typeEbEEZZNS1_14partition_implILS5_6ELb0ES3_mN6thrust23THRUST_200600_302600_NS6detail15normal_iteratorINSA_10device_ptrIyEEEEPS6_SG_NS0_5tupleIJSF_S6_EEENSH_IJSG_SG_EEES6_PlJ5mod_3IyEEEE10hipError_tPvRmT3_T4_T5_T6_T7_T9_mT8_P12ihipStream_tbDpT10_ENKUlT_T0_E_clISt17integral_constantIbLb0EES16_EEDaS11_S12_EUlS11_E_NS1_11comp_targetILNS1_3genE3ELNS1_11target_archE908ELNS1_3gpuE7ELNS1_3repE0EEENS1_30default_config_static_selectorELNS0_4arch9wavefront6targetE0EEEvT1_,comdat
	.protected	_ZN7rocprim17ROCPRIM_400000_NS6detail17trampoline_kernelINS0_14default_configENS1_25partition_config_selectorILNS1_17partition_subalgoE6EyNS0_10empty_typeEbEEZZNS1_14partition_implILS5_6ELb0ES3_mN6thrust23THRUST_200600_302600_NS6detail15normal_iteratorINSA_10device_ptrIyEEEEPS6_SG_NS0_5tupleIJSF_S6_EEENSH_IJSG_SG_EEES6_PlJ5mod_3IyEEEE10hipError_tPvRmT3_T4_T5_T6_T7_T9_mT8_P12ihipStream_tbDpT10_ENKUlT_T0_E_clISt17integral_constantIbLb0EES16_EEDaS11_S12_EUlS11_E_NS1_11comp_targetILNS1_3genE3ELNS1_11target_archE908ELNS1_3gpuE7ELNS1_3repE0EEENS1_30default_config_static_selectorELNS0_4arch9wavefront6targetE0EEEvT1_ ; -- Begin function _ZN7rocprim17ROCPRIM_400000_NS6detail17trampoline_kernelINS0_14default_configENS1_25partition_config_selectorILNS1_17partition_subalgoE6EyNS0_10empty_typeEbEEZZNS1_14partition_implILS5_6ELb0ES3_mN6thrust23THRUST_200600_302600_NS6detail15normal_iteratorINSA_10device_ptrIyEEEEPS6_SG_NS0_5tupleIJSF_S6_EEENSH_IJSG_SG_EEES6_PlJ5mod_3IyEEEE10hipError_tPvRmT3_T4_T5_T6_T7_T9_mT8_P12ihipStream_tbDpT10_ENKUlT_T0_E_clISt17integral_constantIbLb0EES16_EEDaS11_S12_EUlS11_E_NS1_11comp_targetILNS1_3genE3ELNS1_11target_archE908ELNS1_3gpuE7ELNS1_3repE0EEENS1_30default_config_static_selectorELNS0_4arch9wavefront6targetE0EEEvT1_
	.globl	_ZN7rocprim17ROCPRIM_400000_NS6detail17trampoline_kernelINS0_14default_configENS1_25partition_config_selectorILNS1_17partition_subalgoE6EyNS0_10empty_typeEbEEZZNS1_14partition_implILS5_6ELb0ES3_mN6thrust23THRUST_200600_302600_NS6detail15normal_iteratorINSA_10device_ptrIyEEEEPS6_SG_NS0_5tupleIJSF_S6_EEENSH_IJSG_SG_EEES6_PlJ5mod_3IyEEEE10hipError_tPvRmT3_T4_T5_T6_T7_T9_mT8_P12ihipStream_tbDpT10_ENKUlT_T0_E_clISt17integral_constantIbLb0EES16_EEDaS11_S12_EUlS11_E_NS1_11comp_targetILNS1_3genE3ELNS1_11target_archE908ELNS1_3gpuE7ELNS1_3repE0EEENS1_30default_config_static_selectorELNS0_4arch9wavefront6targetE0EEEvT1_
	.p2align	8
	.type	_ZN7rocprim17ROCPRIM_400000_NS6detail17trampoline_kernelINS0_14default_configENS1_25partition_config_selectorILNS1_17partition_subalgoE6EyNS0_10empty_typeEbEEZZNS1_14partition_implILS5_6ELb0ES3_mN6thrust23THRUST_200600_302600_NS6detail15normal_iteratorINSA_10device_ptrIyEEEEPS6_SG_NS0_5tupleIJSF_S6_EEENSH_IJSG_SG_EEES6_PlJ5mod_3IyEEEE10hipError_tPvRmT3_T4_T5_T6_T7_T9_mT8_P12ihipStream_tbDpT10_ENKUlT_T0_E_clISt17integral_constantIbLb0EES16_EEDaS11_S12_EUlS11_E_NS1_11comp_targetILNS1_3genE3ELNS1_11target_archE908ELNS1_3gpuE7ELNS1_3repE0EEENS1_30default_config_static_selectorELNS0_4arch9wavefront6targetE0EEEvT1_,@function
_ZN7rocprim17ROCPRIM_400000_NS6detail17trampoline_kernelINS0_14default_configENS1_25partition_config_selectorILNS1_17partition_subalgoE6EyNS0_10empty_typeEbEEZZNS1_14partition_implILS5_6ELb0ES3_mN6thrust23THRUST_200600_302600_NS6detail15normal_iteratorINSA_10device_ptrIyEEEEPS6_SG_NS0_5tupleIJSF_S6_EEENSH_IJSG_SG_EEES6_PlJ5mod_3IyEEEE10hipError_tPvRmT3_T4_T5_T6_T7_T9_mT8_P12ihipStream_tbDpT10_ENKUlT_T0_E_clISt17integral_constantIbLb0EES16_EEDaS11_S12_EUlS11_E_NS1_11comp_targetILNS1_3genE3ELNS1_11target_archE908ELNS1_3gpuE7ELNS1_3repE0EEENS1_30default_config_static_selectorELNS0_4arch9wavefront6targetE0EEEvT1_: ; @_ZN7rocprim17ROCPRIM_400000_NS6detail17trampoline_kernelINS0_14default_configENS1_25partition_config_selectorILNS1_17partition_subalgoE6EyNS0_10empty_typeEbEEZZNS1_14partition_implILS5_6ELb0ES3_mN6thrust23THRUST_200600_302600_NS6detail15normal_iteratorINSA_10device_ptrIyEEEEPS6_SG_NS0_5tupleIJSF_S6_EEENSH_IJSG_SG_EEES6_PlJ5mod_3IyEEEE10hipError_tPvRmT3_T4_T5_T6_T7_T9_mT8_P12ihipStream_tbDpT10_ENKUlT_T0_E_clISt17integral_constantIbLb0EES16_EEDaS11_S12_EUlS11_E_NS1_11comp_targetILNS1_3genE3ELNS1_11target_archE908ELNS1_3gpuE7ELNS1_3repE0EEENS1_30default_config_static_selectorELNS0_4arch9wavefront6targetE0EEEvT1_
; %bb.0:
	.section	.rodata,"a",@progbits
	.p2align	6, 0x0
	.amdhsa_kernel _ZN7rocprim17ROCPRIM_400000_NS6detail17trampoline_kernelINS0_14default_configENS1_25partition_config_selectorILNS1_17partition_subalgoE6EyNS0_10empty_typeEbEEZZNS1_14partition_implILS5_6ELb0ES3_mN6thrust23THRUST_200600_302600_NS6detail15normal_iteratorINSA_10device_ptrIyEEEEPS6_SG_NS0_5tupleIJSF_S6_EEENSH_IJSG_SG_EEES6_PlJ5mod_3IyEEEE10hipError_tPvRmT3_T4_T5_T6_T7_T9_mT8_P12ihipStream_tbDpT10_ENKUlT_T0_E_clISt17integral_constantIbLb0EES16_EEDaS11_S12_EUlS11_E_NS1_11comp_targetILNS1_3genE3ELNS1_11target_archE908ELNS1_3gpuE7ELNS1_3repE0EEENS1_30default_config_static_selectorELNS0_4arch9wavefront6targetE0EEEvT1_
		.amdhsa_group_segment_fixed_size 0
		.amdhsa_private_segment_fixed_size 0
		.amdhsa_kernarg_size 112
		.amdhsa_user_sgpr_count 15
		.amdhsa_user_sgpr_dispatch_ptr 0
		.amdhsa_user_sgpr_queue_ptr 0
		.amdhsa_user_sgpr_kernarg_segment_ptr 1
		.amdhsa_user_sgpr_dispatch_id 0
		.amdhsa_user_sgpr_private_segment_size 0
		.amdhsa_wavefront_size32 1
		.amdhsa_uses_dynamic_stack 0
		.amdhsa_enable_private_segment 0
		.amdhsa_system_sgpr_workgroup_id_x 1
		.amdhsa_system_sgpr_workgroup_id_y 0
		.amdhsa_system_sgpr_workgroup_id_z 0
		.amdhsa_system_sgpr_workgroup_info 0
		.amdhsa_system_vgpr_workitem_id 0
		.amdhsa_next_free_vgpr 1
		.amdhsa_next_free_sgpr 1
		.amdhsa_reserve_vcc 0
		.amdhsa_float_round_mode_32 0
		.amdhsa_float_round_mode_16_64 0
		.amdhsa_float_denorm_mode_32 3
		.amdhsa_float_denorm_mode_16_64 3
		.amdhsa_dx10_clamp 1
		.amdhsa_ieee_mode 1
		.amdhsa_fp16_overflow 0
		.amdhsa_workgroup_processor_mode 1
		.amdhsa_memory_ordered 1
		.amdhsa_forward_progress 0
		.amdhsa_shared_vgpr_count 0
		.amdhsa_exception_fp_ieee_invalid_op 0
		.amdhsa_exception_fp_denorm_src 0
		.amdhsa_exception_fp_ieee_div_zero 0
		.amdhsa_exception_fp_ieee_overflow 0
		.amdhsa_exception_fp_ieee_underflow 0
		.amdhsa_exception_fp_ieee_inexact 0
		.amdhsa_exception_int_div_zero 0
	.end_amdhsa_kernel
	.section	.text._ZN7rocprim17ROCPRIM_400000_NS6detail17trampoline_kernelINS0_14default_configENS1_25partition_config_selectorILNS1_17partition_subalgoE6EyNS0_10empty_typeEbEEZZNS1_14partition_implILS5_6ELb0ES3_mN6thrust23THRUST_200600_302600_NS6detail15normal_iteratorINSA_10device_ptrIyEEEEPS6_SG_NS0_5tupleIJSF_S6_EEENSH_IJSG_SG_EEES6_PlJ5mod_3IyEEEE10hipError_tPvRmT3_T4_T5_T6_T7_T9_mT8_P12ihipStream_tbDpT10_ENKUlT_T0_E_clISt17integral_constantIbLb0EES16_EEDaS11_S12_EUlS11_E_NS1_11comp_targetILNS1_3genE3ELNS1_11target_archE908ELNS1_3gpuE7ELNS1_3repE0EEENS1_30default_config_static_selectorELNS0_4arch9wavefront6targetE0EEEvT1_,"axG",@progbits,_ZN7rocprim17ROCPRIM_400000_NS6detail17trampoline_kernelINS0_14default_configENS1_25partition_config_selectorILNS1_17partition_subalgoE6EyNS0_10empty_typeEbEEZZNS1_14partition_implILS5_6ELb0ES3_mN6thrust23THRUST_200600_302600_NS6detail15normal_iteratorINSA_10device_ptrIyEEEEPS6_SG_NS0_5tupleIJSF_S6_EEENSH_IJSG_SG_EEES6_PlJ5mod_3IyEEEE10hipError_tPvRmT3_T4_T5_T6_T7_T9_mT8_P12ihipStream_tbDpT10_ENKUlT_T0_E_clISt17integral_constantIbLb0EES16_EEDaS11_S12_EUlS11_E_NS1_11comp_targetILNS1_3genE3ELNS1_11target_archE908ELNS1_3gpuE7ELNS1_3repE0EEENS1_30default_config_static_selectorELNS0_4arch9wavefront6targetE0EEEvT1_,comdat
.Lfunc_end459:
	.size	_ZN7rocprim17ROCPRIM_400000_NS6detail17trampoline_kernelINS0_14default_configENS1_25partition_config_selectorILNS1_17partition_subalgoE6EyNS0_10empty_typeEbEEZZNS1_14partition_implILS5_6ELb0ES3_mN6thrust23THRUST_200600_302600_NS6detail15normal_iteratorINSA_10device_ptrIyEEEEPS6_SG_NS0_5tupleIJSF_S6_EEENSH_IJSG_SG_EEES6_PlJ5mod_3IyEEEE10hipError_tPvRmT3_T4_T5_T6_T7_T9_mT8_P12ihipStream_tbDpT10_ENKUlT_T0_E_clISt17integral_constantIbLb0EES16_EEDaS11_S12_EUlS11_E_NS1_11comp_targetILNS1_3genE3ELNS1_11target_archE908ELNS1_3gpuE7ELNS1_3repE0EEENS1_30default_config_static_selectorELNS0_4arch9wavefront6targetE0EEEvT1_, .Lfunc_end459-_ZN7rocprim17ROCPRIM_400000_NS6detail17trampoline_kernelINS0_14default_configENS1_25partition_config_selectorILNS1_17partition_subalgoE6EyNS0_10empty_typeEbEEZZNS1_14partition_implILS5_6ELb0ES3_mN6thrust23THRUST_200600_302600_NS6detail15normal_iteratorINSA_10device_ptrIyEEEEPS6_SG_NS0_5tupleIJSF_S6_EEENSH_IJSG_SG_EEES6_PlJ5mod_3IyEEEE10hipError_tPvRmT3_T4_T5_T6_T7_T9_mT8_P12ihipStream_tbDpT10_ENKUlT_T0_E_clISt17integral_constantIbLb0EES16_EEDaS11_S12_EUlS11_E_NS1_11comp_targetILNS1_3genE3ELNS1_11target_archE908ELNS1_3gpuE7ELNS1_3repE0EEENS1_30default_config_static_selectorELNS0_4arch9wavefront6targetE0EEEvT1_
                                        ; -- End function
	.section	.AMDGPU.csdata,"",@progbits
; Kernel info:
; codeLenInByte = 0
; NumSgprs: 0
; NumVgprs: 0
; ScratchSize: 0
; MemoryBound: 0
; FloatMode: 240
; IeeeMode: 1
; LDSByteSize: 0 bytes/workgroup (compile time only)
; SGPRBlocks: 0
; VGPRBlocks: 0
; NumSGPRsForWavesPerEU: 1
; NumVGPRsForWavesPerEU: 1
; Occupancy: 16
; WaveLimiterHint : 0
; COMPUTE_PGM_RSRC2:SCRATCH_EN: 0
; COMPUTE_PGM_RSRC2:USER_SGPR: 15
; COMPUTE_PGM_RSRC2:TRAP_HANDLER: 0
; COMPUTE_PGM_RSRC2:TGID_X_EN: 1
; COMPUTE_PGM_RSRC2:TGID_Y_EN: 0
; COMPUTE_PGM_RSRC2:TGID_Z_EN: 0
; COMPUTE_PGM_RSRC2:TIDIG_COMP_CNT: 0
	.section	.text._ZN7rocprim17ROCPRIM_400000_NS6detail17trampoline_kernelINS0_14default_configENS1_25partition_config_selectorILNS1_17partition_subalgoE6EyNS0_10empty_typeEbEEZZNS1_14partition_implILS5_6ELb0ES3_mN6thrust23THRUST_200600_302600_NS6detail15normal_iteratorINSA_10device_ptrIyEEEEPS6_SG_NS0_5tupleIJSF_S6_EEENSH_IJSG_SG_EEES6_PlJ5mod_3IyEEEE10hipError_tPvRmT3_T4_T5_T6_T7_T9_mT8_P12ihipStream_tbDpT10_ENKUlT_T0_E_clISt17integral_constantIbLb0EES16_EEDaS11_S12_EUlS11_E_NS1_11comp_targetILNS1_3genE2ELNS1_11target_archE906ELNS1_3gpuE6ELNS1_3repE0EEENS1_30default_config_static_selectorELNS0_4arch9wavefront6targetE0EEEvT1_,"axG",@progbits,_ZN7rocprim17ROCPRIM_400000_NS6detail17trampoline_kernelINS0_14default_configENS1_25partition_config_selectorILNS1_17partition_subalgoE6EyNS0_10empty_typeEbEEZZNS1_14partition_implILS5_6ELb0ES3_mN6thrust23THRUST_200600_302600_NS6detail15normal_iteratorINSA_10device_ptrIyEEEEPS6_SG_NS0_5tupleIJSF_S6_EEENSH_IJSG_SG_EEES6_PlJ5mod_3IyEEEE10hipError_tPvRmT3_T4_T5_T6_T7_T9_mT8_P12ihipStream_tbDpT10_ENKUlT_T0_E_clISt17integral_constantIbLb0EES16_EEDaS11_S12_EUlS11_E_NS1_11comp_targetILNS1_3genE2ELNS1_11target_archE906ELNS1_3gpuE6ELNS1_3repE0EEENS1_30default_config_static_selectorELNS0_4arch9wavefront6targetE0EEEvT1_,comdat
	.protected	_ZN7rocprim17ROCPRIM_400000_NS6detail17trampoline_kernelINS0_14default_configENS1_25partition_config_selectorILNS1_17partition_subalgoE6EyNS0_10empty_typeEbEEZZNS1_14partition_implILS5_6ELb0ES3_mN6thrust23THRUST_200600_302600_NS6detail15normal_iteratorINSA_10device_ptrIyEEEEPS6_SG_NS0_5tupleIJSF_S6_EEENSH_IJSG_SG_EEES6_PlJ5mod_3IyEEEE10hipError_tPvRmT3_T4_T5_T6_T7_T9_mT8_P12ihipStream_tbDpT10_ENKUlT_T0_E_clISt17integral_constantIbLb0EES16_EEDaS11_S12_EUlS11_E_NS1_11comp_targetILNS1_3genE2ELNS1_11target_archE906ELNS1_3gpuE6ELNS1_3repE0EEENS1_30default_config_static_selectorELNS0_4arch9wavefront6targetE0EEEvT1_ ; -- Begin function _ZN7rocprim17ROCPRIM_400000_NS6detail17trampoline_kernelINS0_14default_configENS1_25partition_config_selectorILNS1_17partition_subalgoE6EyNS0_10empty_typeEbEEZZNS1_14partition_implILS5_6ELb0ES3_mN6thrust23THRUST_200600_302600_NS6detail15normal_iteratorINSA_10device_ptrIyEEEEPS6_SG_NS0_5tupleIJSF_S6_EEENSH_IJSG_SG_EEES6_PlJ5mod_3IyEEEE10hipError_tPvRmT3_T4_T5_T6_T7_T9_mT8_P12ihipStream_tbDpT10_ENKUlT_T0_E_clISt17integral_constantIbLb0EES16_EEDaS11_S12_EUlS11_E_NS1_11comp_targetILNS1_3genE2ELNS1_11target_archE906ELNS1_3gpuE6ELNS1_3repE0EEENS1_30default_config_static_selectorELNS0_4arch9wavefront6targetE0EEEvT1_
	.globl	_ZN7rocprim17ROCPRIM_400000_NS6detail17trampoline_kernelINS0_14default_configENS1_25partition_config_selectorILNS1_17partition_subalgoE6EyNS0_10empty_typeEbEEZZNS1_14partition_implILS5_6ELb0ES3_mN6thrust23THRUST_200600_302600_NS6detail15normal_iteratorINSA_10device_ptrIyEEEEPS6_SG_NS0_5tupleIJSF_S6_EEENSH_IJSG_SG_EEES6_PlJ5mod_3IyEEEE10hipError_tPvRmT3_T4_T5_T6_T7_T9_mT8_P12ihipStream_tbDpT10_ENKUlT_T0_E_clISt17integral_constantIbLb0EES16_EEDaS11_S12_EUlS11_E_NS1_11comp_targetILNS1_3genE2ELNS1_11target_archE906ELNS1_3gpuE6ELNS1_3repE0EEENS1_30default_config_static_selectorELNS0_4arch9wavefront6targetE0EEEvT1_
	.p2align	8
	.type	_ZN7rocprim17ROCPRIM_400000_NS6detail17trampoline_kernelINS0_14default_configENS1_25partition_config_selectorILNS1_17partition_subalgoE6EyNS0_10empty_typeEbEEZZNS1_14partition_implILS5_6ELb0ES3_mN6thrust23THRUST_200600_302600_NS6detail15normal_iteratorINSA_10device_ptrIyEEEEPS6_SG_NS0_5tupleIJSF_S6_EEENSH_IJSG_SG_EEES6_PlJ5mod_3IyEEEE10hipError_tPvRmT3_T4_T5_T6_T7_T9_mT8_P12ihipStream_tbDpT10_ENKUlT_T0_E_clISt17integral_constantIbLb0EES16_EEDaS11_S12_EUlS11_E_NS1_11comp_targetILNS1_3genE2ELNS1_11target_archE906ELNS1_3gpuE6ELNS1_3repE0EEENS1_30default_config_static_selectorELNS0_4arch9wavefront6targetE0EEEvT1_,@function
_ZN7rocprim17ROCPRIM_400000_NS6detail17trampoline_kernelINS0_14default_configENS1_25partition_config_selectorILNS1_17partition_subalgoE6EyNS0_10empty_typeEbEEZZNS1_14partition_implILS5_6ELb0ES3_mN6thrust23THRUST_200600_302600_NS6detail15normal_iteratorINSA_10device_ptrIyEEEEPS6_SG_NS0_5tupleIJSF_S6_EEENSH_IJSG_SG_EEES6_PlJ5mod_3IyEEEE10hipError_tPvRmT3_T4_T5_T6_T7_T9_mT8_P12ihipStream_tbDpT10_ENKUlT_T0_E_clISt17integral_constantIbLb0EES16_EEDaS11_S12_EUlS11_E_NS1_11comp_targetILNS1_3genE2ELNS1_11target_archE906ELNS1_3gpuE6ELNS1_3repE0EEENS1_30default_config_static_selectorELNS0_4arch9wavefront6targetE0EEEvT1_: ; @_ZN7rocprim17ROCPRIM_400000_NS6detail17trampoline_kernelINS0_14default_configENS1_25partition_config_selectorILNS1_17partition_subalgoE6EyNS0_10empty_typeEbEEZZNS1_14partition_implILS5_6ELb0ES3_mN6thrust23THRUST_200600_302600_NS6detail15normal_iteratorINSA_10device_ptrIyEEEEPS6_SG_NS0_5tupleIJSF_S6_EEENSH_IJSG_SG_EEES6_PlJ5mod_3IyEEEE10hipError_tPvRmT3_T4_T5_T6_T7_T9_mT8_P12ihipStream_tbDpT10_ENKUlT_T0_E_clISt17integral_constantIbLb0EES16_EEDaS11_S12_EUlS11_E_NS1_11comp_targetILNS1_3genE2ELNS1_11target_archE906ELNS1_3gpuE6ELNS1_3repE0EEENS1_30default_config_static_selectorELNS0_4arch9wavefront6targetE0EEEvT1_
; %bb.0:
	.section	.rodata,"a",@progbits
	.p2align	6, 0x0
	.amdhsa_kernel _ZN7rocprim17ROCPRIM_400000_NS6detail17trampoline_kernelINS0_14default_configENS1_25partition_config_selectorILNS1_17partition_subalgoE6EyNS0_10empty_typeEbEEZZNS1_14partition_implILS5_6ELb0ES3_mN6thrust23THRUST_200600_302600_NS6detail15normal_iteratorINSA_10device_ptrIyEEEEPS6_SG_NS0_5tupleIJSF_S6_EEENSH_IJSG_SG_EEES6_PlJ5mod_3IyEEEE10hipError_tPvRmT3_T4_T5_T6_T7_T9_mT8_P12ihipStream_tbDpT10_ENKUlT_T0_E_clISt17integral_constantIbLb0EES16_EEDaS11_S12_EUlS11_E_NS1_11comp_targetILNS1_3genE2ELNS1_11target_archE906ELNS1_3gpuE6ELNS1_3repE0EEENS1_30default_config_static_selectorELNS0_4arch9wavefront6targetE0EEEvT1_
		.amdhsa_group_segment_fixed_size 0
		.amdhsa_private_segment_fixed_size 0
		.amdhsa_kernarg_size 112
		.amdhsa_user_sgpr_count 15
		.amdhsa_user_sgpr_dispatch_ptr 0
		.amdhsa_user_sgpr_queue_ptr 0
		.amdhsa_user_sgpr_kernarg_segment_ptr 1
		.amdhsa_user_sgpr_dispatch_id 0
		.amdhsa_user_sgpr_private_segment_size 0
		.amdhsa_wavefront_size32 1
		.amdhsa_uses_dynamic_stack 0
		.amdhsa_enable_private_segment 0
		.amdhsa_system_sgpr_workgroup_id_x 1
		.amdhsa_system_sgpr_workgroup_id_y 0
		.amdhsa_system_sgpr_workgroup_id_z 0
		.amdhsa_system_sgpr_workgroup_info 0
		.amdhsa_system_vgpr_workitem_id 0
		.amdhsa_next_free_vgpr 1
		.amdhsa_next_free_sgpr 1
		.amdhsa_reserve_vcc 0
		.amdhsa_float_round_mode_32 0
		.amdhsa_float_round_mode_16_64 0
		.amdhsa_float_denorm_mode_32 3
		.amdhsa_float_denorm_mode_16_64 3
		.amdhsa_dx10_clamp 1
		.amdhsa_ieee_mode 1
		.amdhsa_fp16_overflow 0
		.amdhsa_workgroup_processor_mode 1
		.amdhsa_memory_ordered 1
		.amdhsa_forward_progress 0
		.amdhsa_shared_vgpr_count 0
		.amdhsa_exception_fp_ieee_invalid_op 0
		.amdhsa_exception_fp_denorm_src 0
		.amdhsa_exception_fp_ieee_div_zero 0
		.amdhsa_exception_fp_ieee_overflow 0
		.amdhsa_exception_fp_ieee_underflow 0
		.amdhsa_exception_fp_ieee_inexact 0
		.amdhsa_exception_int_div_zero 0
	.end_amdhsa_kernel
	.section	.text._ZN7rocprim17ROCPRIM_400000_NS6detail17trampoline_kernelINS0_14default_configENS1_25partition_config_selectorILNS1_17partition_subalgoE6EyNS0_10empty_typeEbEEZZNS1_14partition_implILS5_6ELb0ES3_mN6thrust23THRUST_200600_302600_NS6detail15normal_iteratorINSA_10device_ptrIyEEEEPS6_SG_NS0_5tupleIJSF_S6_EEENSH_IJSG_SG_EEES6_PlJ5mod_3IyEEEE10hipError_tPvRmT3_T4_T5_T6_T7_T9_mT8_P12ihipStream_tbDpT10_ENKUlT_T0_E_clISt17integral_constantIbLb0EES16_EEDaS11_S12_EUlS11_E_NS1_11comp_targetILNS1_3genE2ELNS1_11target_archE906ELNS1_3gpuE6ELNS1_3repE0EEENS1_30default_config_static_selectorELNS0_4arch9wavefront6targetE0EEEvT1_,"axG",@progbits,_ZN7rocprim17ROCPRIM_400000_NS6detail17trampoline_kernelINS0_14default_configENS1_25partition_config_selectorILNS1_17partition_subalgoE6EyNS0_10empty_typeEbEEZZNS1_14partition_implILS5_6ELb0ES3_mN6thrust23THRUST_200600_302600_NS6detail15normal_iteratorINSA_10device_ptrIyEEEEPS6_SG_NS0_5tupleIJSF_S6_EEENSH_IJSG_SG_EEES6_PlJ5mod_3IyEEEE10hipError_tPvRmT3_T4_T5_T6_T7_T9_mT8_P12ihipStream_tbDpT10_ENKUlT_T0_E_clISt17integral_constantIbLb0EES16_EEDaS11_S12_EUlS11_E_NS1_11comp_targetILNS1_3genE2ELNS1_11target_archE906ELNS1_3gpuE6ELNS1_3repE0EEENS1_30default_config_static_selectorELNS0_4arch9wavefront6targetE0EEEvT1_,comdat
.Lfunc_end460:
	.size	_ZN7rocprim17ROCPRIM_400000_NS6detail17trampoline_kernelINS0_14default_configENS1_25partition_config_selectorILNS1_17partition_subalgoE6EyNS0_10empty_typeEbEEZZNS1_14partition_implILS5_6ELb0ES3_mN6thrust23THRUST_200600_302600_NS6detail15normal_iteratorINSA_10device_ptrIyEEEEPS6_SG_NS0_5tupleIJSF_S6_EEENSH_IJSG_SG_EEES6_PlJ5mod_3IyEEEE10hipError_tPvRmT3_T4_T5_T6_T7_T9_mT8_P12ihipStream_tbDpT10_ENKUlT_T0_E_clISt17integral_constantIbLb0EES16_EEDaS11_S12_EUlS11_E_NS1_11comp_targetILNS1_3genE2ELNS1_11target_archE906ELNS1_3gpuE6ELNS1_3repE0EEENS1_30default_config_static_selectorELNS0_4arch9wavefront6targetE0EEEvT1_, .Lfunc_end460-_ZN7rocprim17ROCPRIM_400000_NS6detail17trampoline_kernelINS0_14default_configENS1_25partition_config_selectorILNS1_17partition_subalgoE6EyNS0_10empty_typeEbEEZZNS1_14partition_implILS5_6ELb0ES3_mN6thrust23THRUST_200600_302600_NS6detail15normal_iteratorINSA_10device_ptrIyEEEEPS6_SG_NS0_5tupleIJSF_S6_EEENSH_IJSG_SG_EEES6_PlJ5mod_3IyEEEE10hipError_tPvRmT3_T4_T5_T6_T7_T9_mT8_P12ihipStream_tbDpT10_ENKUlT_T0_E_clISt17integral_constantIbLb0EES16_EEDaS11_S12_EUlS11_E_NS1_11comp_targetILNS1_3genE2ELNS1_11target_archE906ELNS1_3gpuE6ELNS1_3repE0EEENS1_30default_config_static_selectorELNS0_4arch9wavefront6targetE0EEEvT1_
                                        ; -- End function
	.section	.AMDGPU.csdata,"",@progbits
; Kernel info:
; codeLenInByte = 0
; NumSgprs: 0
; NumVgprs: 0
; ScratchSize: 0
; MemoryBound: 0
; FloatMode: 240
; IeeeMode: 1
; LDSByteSize: 0 bytes/workgroup (compile time only)
; SGPRBlocks: 0
; VGPRBlocks: 0
; NumSGPRsForWavesPerEU: 1
; NumVGPRsForWavesPerEU: 1
; Occupancy: 16
; WaveLimiterHint : 0
; COMPUTE_PGM_RSRC2:SCRATCH_EN: 0
; COMPUTE_PGM_RSRC2:USER_SGPR: 15
; COMPUTE_PGM_RSRC2:TRAP_HANDLER: 0
; COMPUTE_PGM_RSRC2:TGID_X_EN: 1
; COMPUTE_PGM_RSRC2:TGID_Y_EN: 0
; COMPUTE_PGM_RSRC2:TGID_Z_EN: 0
; COMPUTE_PGM_RSRC2:TIDIG_COMP_CNT: 0
	.section	.text._ZN7rocprim17ROCPRIM_400000_NS6detail17trampoline_kernelINS0_14default_configENS1_25partition_config_selectorILNS1_17partition_subalgoE6EyNS0_10empty_typeEbEEZZNS1_14partition_implILS5_6ELb0ES3_mN6thrust23THRUST_200600_302600_NS6detail15normal_iteratorINSA_10device_ptrIyEEEEPS6_SG_NS0_5tupleIJSF_S6_EEENSH_IJSG_SG_EEES6_PlJ5mod_3IyEEEE10hipError_tPvRmT3_T4_T5_T6_T7_T9_mT8_P12ihipStream_tbDpT10_ENKUlT_T0_E_clISt17integral_constantIbLb0EES16_EEDaS11_S12_EUlS11_E_NS1_11comp_targetILNS1_3genE10ELNS1_11target_archE1200ELNS1_3gpuE4ELNS1_3repE0EEENS1_30default_config_static_selectorELNS0_4arch9wavefront6targetE0EEEvT1_,"axG",@progbits,_ZN7rocprim17ROCPRIM_400000_NS6detail17trampoline_kernelINS0_14default_configENS1_25partition_config_selectorILNS1_17partition_subalgoE6EyNS0_10empty_typeEbEEZZNS1_14partition_implILS5_6ELb0ES3_mN6thrust23THRUST_200600_302600_NS6detail15normal_iteratorINSA_10device_ptrIyEEEEPS6_SG_NS0_5tupleIJSF_S6_EEENSH_IJSG_SG_EEES6_PlJ5mod_3IyEEEE10hipError_tPvRmT3_T4_T5_T6_T7_T9_mT8_P12ihipStream_tbDpT10_ENKUlT_T0_E_clISt17integral_constantIbLb0EES16_EEDaS11_S12_EUlS11_E_NS1_11comp_targetILNS1_3genE10ELNS1_11target_archE1200ELNS1_3gpuE4ELNS1_3repE0EEENS1_30default_config_static_selectorELNS0_4arch9wavefront6targetE0EEEvT1_,comdat
	.protected	_ZN7rocprim17ROCPRIM_400000_NS6detail17trampoline_kernelINS0_14default_configENS1_25partition_config_selectorILNS1_17partition_subalgoE6EyNS0_10empty_typeEbEEZZNS1_14partition_implILS5_6ELb0ES3_mN6thrust23THRUST_200600_302600_NS6detail15normal_iteratorINSA_10device_ptrIyEEEEPS6_SG_NS0_5tupleIJSF_S6_EEENSH_IJSG_SG_EEES6_PlJ5mod_3IyEEEE10hipError_tPvRmT3_T4_T5_T6_T7_T9_mT8_P12ihipStream_tbDpT10_ENKUlT_T0_E_clISt17integral_constantIbLb0EES16_EEDaS11_S12_EUlS11_E_NS1_11comp_targetILNS1_3genE10ELNS1_11target_archE1200ELNS1_3gpuE4ELNS1_3repE0EEENS1_30default_config_static_selectorELNS0_4arch9wavefront6targetE0EEEvT1_ ; -- Begin function _ZN7rocprim17ROCPRIM_400000_NS6detail17trampoline_kernelINS0_14default_configENS1_25partition_config_selectorILNS1_17partition_subalgoE6EyNS0_10empty_typeEbEEZZNS1_14partition_implILS5_6ELb0ES3_mN6thrust23THRUST_200600_302600_NS6detail15normal_iteratorINSA_10device_ptrIyEEEEPS6_SG_NS0_5tupleIJSF_S6_EEENSH_IJSG_SG_EEES6_PlJ5mod_3IyEEEE10hipError_tPvRmT3_T4_T5_T6_T7_T9_mT8_P12ihipStream_tbDpT10_ENKUlT_T0_E_clISt17integral_constantIbLb0EES16_EEDaS11_S12_EUlS11_E_NS1_11comp_targetILNS1_3genE10ELNS1_11target_archE1200ELNS1_3gpuE4ELNS1_3repE0EEENS1_30default_config_static_selectorELNS0_4arch9wavefront6targetE0EEEvT1_
	.globl	_ZN7rocprim17ROCPRIM_400000_NS6detail17trampoline_kernelINS0_14default_configENS1_25partition_config_selectorILNS1_17partition_subalgoE6EyNS0_10empty_typeEbEEZZNS1_14partition_implILS5_6ELb0ES3_mN6thrust23THRUST_200600_302600_NS6detail15normal_iteratorINSA_10device_ptrIyEEEEPS6_SG_NS0_5tupleIJSF_S6_EEENSH_IJSG_SG_EEES6_PlJ5mod_3IyEEEE10hipError_tPvRmT3_T4_T5_T6_T7_T9_mT8_P12ihipStream_tbDpT10_ENKUlT_T0_E_clISt17integral_constantIbLb0EES16_EEDaS11_S12_EUlS11_E_NS1_11comp_targetILNS1_3genE10ELNS1_11target_archE1200ELNS1_3gpuE4ELNS1_3repE0EEENS1_30default_config_static_selectorELNS0_4arch9wavefront6targetE0EEEvT1_
	.p2align	8
	.type	_ZN7rocprim17ROCPRIM_400000_NS6detail17trampoline_kernelINS0_14default_configENS1_25partition_config_selectorILNS1_17partition_subalgoE6EyNS0_10empty_typeEbEEZZNS1_14partition_implILS5_6ELb0ES3_mN6thrust23THRUST_200600_302600_NS6detail15normal_iteratorINSA_10device_ptrIyEEEEPS6_SG_NS0_5tupleIJSF_S6_EEENSH_IJSG_SG_EEES6_PlJ5mod_3IyEEEE10hipError_tPvRmT3_T4_T5_T6_T7_T9_mT8_P12ihipStream_tbDpT10_ENKUlT_T0_E_clISt17integral_constantIbLb0EES16_EEDaS11_S12_EUlS11_E_NS1_11comp_targetILNS1_3genE10ELNS1_11target_archE1200ELNS1_3gpuE4ELNS1_3repE0EEENS1_30default_config_static_selectorELNS0_4arch9wavefront6targetE0EEEvT1_,@function
_ZN7rocprim17ROCPRIM_400000_NS6detail17trampoline_kernelINS0_14default_configENS1_25partition_config_selectorILNS1_17partition_subalgoE6EyNS0_10empty_typeEbEEZZNS1_14partition_implILS5_6ELb0ES3_mN6thrust23THRUST_200600_302600_NS6detail15normal_iteratorINSA_10device_ptrIyEEEEPS6_SG_NS0_5tupleIJSF_S6_EEENSH_IJSG_SG_EEES6_PlJ5mod_3IyEEEE10hipError_tPvRmT3_T4_T5_T6_T7_T9_mT8_P12ihipStream_tbDpT10_ENKUlT_T0_E_clISt17integral_constantIbLb0EES16_EEDaS11_S12_EUlS11_E_NS1_11comp_targetILNS1_3genE10ELNS1_11target_archE1200ELNS1_3gpuE4ELNS1_3repE0EEENS1_30default_config_static_selectorELNS0_4arch9wavefront6targetE0EEEvT1_: ; @_ZN7rocprim17ROCPRIM_400000_NS6detail17trampoline_kernelINS0_14default_configENS1_25partition_config_selectorILNS1_17partition_subalgoE6EyNS0_10empty_typeEbEEZZNS1_14partition_implILS5_6ELb0ES3_mN6thrust23THRUST_200600_302600_NS6detail15normal_iteratorINSA_10device_ptrIyEEEEPS6_SG_NS0_5tupleIJSF_S6_EEENSH_IJSG_SG_EEES6_PlJ5mod_3IyEEEE10hipError_tPvRmT3_T4_T5_T6_T7_T9_mT8_P12ihipStream_tbDpT10_ENKUlT_T0_E_clISt17integral_constantIbLb0EES16_EEDaS11_S12_EUlS11_E_NS1_11comp_targetILNS1_3genE10ELNS1_11target_archE1200ELNS1_3gpuE4ELNS1_3repE0EEENS1_30default_config_static_selectorELNS0_4arch9wavefront6targetE0EEEvT1_
; %bb.0:
	.section	.rodata,"a",@progbits
	.p2align	6, 0x0
	.amdhsa_kernel _ZN7rocprim17ROCPRIM_400000_NS6detail17trampoline_kernelINS0_14default_configENS1_25partition_config_selectorILNS1_17partition_subalgoE6EyNS0_10empty_typeEbEEZZNS1_14partition_implILS5_6ELb0ES3_mN6thrust23THRUST_200600_302600_NS6detail15normal_iteratorINSA_10device_ptrIyEEEEPS6_SG_NS0_5tupleIJSF_S6_EEENSH_IJSG_SG_EEES6_PlJ5mod_3IyEEEE10hipError_tPvRmT3_T4_T5_T6_T7_T9_mT8_P12ihipStream_tbDpT10_ENKUlT_T0_E_clISt17integral_constantIbLb0EES16_EEDaS11_S12_EUlS11_E_NS1_11comp_targetILNS1_3genE10ELNS1_11target_archE1200ELNS1_3gpuE4ELNS1_3repE0EEENS1_30default_config_static_selectorELNS0_4arch9wavefront6targetE0EEEvT1_
		.amdhsa_group_segment_fixed_size 0
		.amdhsa_private_segment_fixed_size 0
		.amdhsa_kernarg_size 112
		.amdhsa_user_sgpr_count 15
		.amdhsa_user_sgpr_dispatch_ptr 0
		.amdhsa_user_sgpr_queue_ptr 0
		.amdhsa_user_sgpr_kernarg_segment_ptr 1
		.amdhsa_user_sgpr_dispatch_id 0
		.amdhsa_user_sgpr_private_segment_size 0
		.amdhsa_wavefront_size32 1
		.amdhsa_uses_dynamic_stack 0
		.amdhsa_enable_private_segment 0
		.amdhsa_system_sgpr_workgroup_id_x 1
		.amdhsa_system_sgpr_workgroup_id_y 0
		.amdhsa_system_sgpr_workgroup_id_z 0
		.amdhsa_system_sgpr_workgroup_info 0
		.amdhsa_system_vgpr_workitem_id 0
		.amdhsa_next_free_vgpr 1
		.amdhsa_next_free_sgpr 1
		.amdhsa_reserve_vcc 0
		.amdhsa_float_round_mode_32 0
		.amdhsa_float_round_mode_16_64 0
		.amdhsa_float_denorm_mode_32 3
		.amdhsa_float_denorm_mode_16_64 3
		.amdhsa_dx10_clamp 1
		.amdhsa_ieee_mode 1
		.amdhsa_fp16_overflow 0
		.amdhsa_workgroup_processor_mode 1
		.amdhsa_memory_ordered 1
		.amdhsa_forward_progress 0
		.amdhsa_shared_vgpr_count 0
		.amdhsa_exception_fp_ieee_invalid_op 0
		.amdhsa_exception_fp_denorm_src 0
		.amdhsa_exception_fp_ieee_div_zero 0
		.amdhsa_exception_fp_ieee_overflow 0
		.amdhsa_exception_fp_ieee_underflow 0
		.amdhsa_exception_fp_ieee_inexact 0
		.amdhsa_exception_int_div_zero 0
	.end_amdhsa_kernel
	.section	.text._ZN7rocprim17ROCPRIM_400000_NS6detail17trampoline_kernelINS0_14default_configENS1_25partition_config_selectorILNS1_17partition_subalgoE6EyNS0_10empty_typeEbEEZZNS1_14partition_implILS5_6ELb0ES3_mN6thrust23THRUST_200600_302600_NS6detail15normal_iteratorINSA_10device_ptrIyEEEEPS6_SG_NS0_5tupleIJSF_S6_EEENSH_IJSG_SG_EEES6_PlJ5mod_3IyEEEE10hipError_tPvRmT3_T4_T5_T6_T7_T9_mT8_P12ihipStream_tbDpT10_ENKUlT_T0_E_clISt17integral_constantIbLb0EES16_EEDaS11_S12_EUlS11_E_NS1_11comp_targetILNS1_3genE10ELNS1_11target_archE1200ELNS1_3gpuE4ELNS1_3repE0EEENS1_30default_config_static_selectorELNS0_4arch9wavefront6targetE0EEEvT1_,"axG",@progbits,_ZN7rocprim17ROCPRIM_400000_NS6detail17trampoline_kernelINS0_14default_configENS1_25partition_config_selectorILNS1_17partition_subalgoE6EyNS0_10empty_typeEbEEZZNS1_14partition_implILS5_6ELb0ES3_mN6thrust23THRUST_200600_302600_NS6detail15normal_iteratorINSA_10device_ptrIyEEEEPS6_SG_NS0_5tupleIJSF_S6_EEENSH_IJSG_SG_EEES6_PlJ5mod_3IyEEEE10hipError_tPvRmT3_T4_T5_T6_T7_T9_mT8_P12ihipStream_tbDpT10_ENKUlT_T0_E_clISt17integral_constantIbLb0EES16_EEDaS11_S12_EUlS11_E_NS1_11comp_targetILNS1_3genE10ELNS1_11target_archE1200ELNS1_3gpuE4ELNS1_3repE0EEENS1_30default_config_static_selectorELNS0_4arch9wavefront6targetE0EEEvT1_,comdat
.Lfunc_end461:
	.size	_ZN7rocprim17ROCPRIM_400000_NS6detail17trampoline_kernelINS0_14default_configENS1_25partition_config_selectorILNS1_17partition_subalgoE6EyNS0_10empty_typeEbEEZZNS1_14partition_implILS5_6ELb0ES3_mN6thrust23THRUST_200600_302600_NS6detail15normal_iteratorINSA_10device_ptrIyEEEEPS6_SG_NS0_5tupleIJSF_S6_EEENSH_IJSG_SG_EEES6_PlJ5mod_3IyEEEE10hipError_tPvRmT3_T4_T5_T6_T7_T9_mT8_P12ihipStream_tbDpT10_ENKUlT_T0_E_clISt17integral_constantIbLb0EES16_EEDaS11_S12_EUlS11_E_NS1_11comp_targetILNS1_3genE10ELNS1_11target_archE1200ELNS1_3gpuE4ELNS1_3repE0EEENS1_30default_config_static_selectorELNS0_4arch9wavefront6targetE0EEEvT1_, .Lfunc_end461-_ZN7rocprim17ROCPRIM_400000_NS6detail17trampoline_kernelINS0_14default_configENS1_25partition_config_selectorILNS1_17partition_subalgoE6EyNS0_10empty_typeEbEEZZNS1_14partition_implILS5_6ELb0ES3_mN6thrust23THRUST_200600_302600_NS6detail15normal_iteratorINSA_10device_ptrIyEEEEPS6_SG_NS0_5tupleIJSF_S6_EEENSH_IJSG_SG_EEES6_PlJ5mod_3IyEEEE10hipError_tPvRmT3_T4_T5_T6_T7_T9_mT8_P12ihipStream_tbDpT10_ENKUlT_T0_E_clISt17integral_constantIbLb0EES16_EEDaS11_S12_EUlS11_E_NS1_11comp_targetILNS1_3genE10ELNS1_11target_archE1200ELNS1_3gpuE4ELNS1_3repE0EEENS1_30default_config_static_selectorELNS0_4arch9wavefront6targetE0EEEvT1_
                                        ; -- End function
	.section	.AMDGPU.csdata,"",@progbits
; Kernel info:
; codeLenInByte = 0
; NumSgprs: 0
; NumVgprs: 0
; ScratchSize: 0
; MemoryBound: 0
; FloatMode: 240
; IeeeMode: 1
; LDSByteSize: 0 bytes/workgroup (compile time only)
; SGPRBlocks: 0
; VGPRBlocks: 0
; NumSGPRsForWavesPerEU: 1
; NumVGPRsForWavesPerEU: 1
; Occupancy: 16
; WaveLimiterHint : 0
; COMPUTE_PGM_RSRC2:SCRATCH_EN: 0
; COMPUTE_PGM_RSRC2:USER_SGPR: 15
; COMPUTE_PGM_RSRC2:TRAP_HANDLER: 0
; COMPUTE_PGM_RSRC2:TGID_X_EN: 1
; COMPUTE_PGM_RSRC2:TGID_Y_EN: 0
; COMPUTE_PGM_RSRC2:TGID_Z_EN: 0
; COMPUTE_PGM_RSRC2:TIDIG_COMP_CNT: 0
	.section	.text._ZN7rocprim17ROCPRIM_400000_NS6detail17trampoline_kernelINS0_14default_configENS1_25partition_config_selectorILNS1_17partition_subalgoE6EyNS0_10empty_typeEbEEZZNS1_14partition_implILS5_6ELb0ES3_mN6thrust23THRUST_200600_302600_NS6detail15normal_iteratorINSA_10device_ptrIyEEEEPS6_SG_NS0_5tupleIJSF_S6_EEENSH_IJSG_SG_EEES6_PlJ5mod_3IyEEEE10hipError_tPvRmT3_T4_T5_T6_T7_T9_mT8_P12ihipStream_tbDpT10_ENKUlT_T0_E_clISt17integral_constantIbLb0EES16_EEDaS11_S12_EUlS11_E_NS1_11comp_targetILNS1_3genE9ELNS1_11target_archE1100ELNS1_3gpuE3ELNS1_3repE0EEENS1_30default_config_static_selectorELNS0_4arch9wavefront6targetE0EEEvT1_,"axG",@progbits,_ZN7rocprim17ROCPRIM_400000_NS6detail17trampoline_kernelINS0_14default_configENS1_25partition_config_selectorILNS1_17partition_subalgoE6EyNS0_10empty_typeEbEEZZNS1_14partition_implILS5_6ELb0ES3_mN6thrust23THRUST_200600_302600_NS6detail15normal_iteratorINSA_10device_ptrIyEEEEPS6_SG_NS0_5tupleIJSF_S6_EEENSH_IJSG_SG_EEES6_PlJ5mod_3IyEEEE10hipError_tPvRmT3_T4_T5_T6_T7_T9_mT8_P12ihipStream_tbDpT10_ENKUlT_T0_E_clISt17integral_constantIbLb0EES16_EEDaS11_S12_EUlS11_E_NS1_11comp_targetILNS1_3genE9ELNS1_11target_archE1100ELNS1_3gpuE3ELNS1_3repE0EEENS1_30default_config_static_selectorELNS0_4arch9wavefront6targetE0EEEvT1_,comdat
	.protected	_ZN7rocprim17ROCPRIM_400000_NS6detail17trampoline_kernelINS0_14default_configENS1_25partition_config_selectorILNS1_17partition_subalgoE6EyNS0_10empty_typeEbEEZZNS1_14partition_implILS5_6ELb0ES3_mN6thrust23THRUST_200600_302600_NS6detail15normal_iteratorINSA_10device_ptrIyEEEEPS6_SG_NS0_5tupleIJSF_S6_EEENSH_IJSG_SG_EEES6_PlJ5mod_3IyEEEE10hipError_tPvRmT3_T4_T5_T6_T7_T9_mT8_P12ihipStream_tbDpT10_ENKUlT_T0_E_clISt17integral_constantIbLb0EES16_EEDaS11_S12_EUlS11_E_NS1_11comp_targetILNS1_3genE9ELNS1_11target_archE1100ELNS1_3gpuE3ELNS1_3repE0EEENS1_30default_config_static_selectorELNS0_4arch9wavefront6targetE0EEEvT1_ ; -- Begin function _ZN7rocprim17ROCPRIM_400000_NS6detail17trampoline_kernelINS0_14default_configENS1_25partition_config_selectorILNS1_17partition_subalgoE6EyNS0_10empty_typeEbEEZZNS1_14partition_implILS5_6ELb0ES3_mN6thrust23THRUST_200600_302600_NS6detail15normal_iteratorINSA_10device_ptrIyEEEEPS6_SG_NS0_5tupleIJSF_S6_EEENSH_IJSG_SG_EEES6_PlJ5mod_3IyEEEE10hipError_tPvRmT3_T4_T5_T6_T7_T9_mT8_P12ihipStream_tbDpT10_ENKUlT_T0_E_clISt17integral_constantIbLb0EES16_EEDaS11_S12_EUlS11_E_NS1_11comp_targetILNS1_3genE9ELNS1_11target_archE1100ELNS1_3gpuE3ELNS1_3repE0EEENS1_30default_config_static_selectorELNS0_4arch9wavefront6targetE0EEEvT1_
	.globl	_ZN7rocprim17ROCPRIM_400000_NS6detail17trampoline_kernelINS0_14default_configENS1_25partition_config_selectorILNS1_17partition_subalgoE6EyNS0_10empty_typeEbEEZZNS1_14partition_implILS5_6ELb0ES3_mN6thrust23THRUST_200600_302600_NS6detail15normal_iteratorINSA_10device_ptrIyEEEEPS6_SG_NS0_5tupleIJSF_S6_EEENSH_IJSG_SG_EEES6_PlJ5mod_3IyEEEE10hipError_tPvRmT3_T4_T5_T6_T7_T9_mT8_P12ihipStream_tbDpT10_ENKUlT_T0_E_clISt17integral_constantIbLb0EES16_EEDaS11_S12_EUlS11_E_NS1_11comp_targetILNS1_3genE9ELNS1_11target_archE1100ELNS1_3gpuE3ELNS1_3repE0EEENS1_30default_config_static_selectorELNS0_4arch9wavefront6targetE0EEEvT1_
	.p2align	8
	.type	_ZN7rocprim17ROCPRIM_400000_NS6detail17trampoline_kernelINS0_14default_configENS1_25partition_config_selectorILNS1_17partition_subalgoE6EyNS0_10empty_typeEbEEZZNS1_14partition_implILS5_6ELb0ES3_mN6thrust23THRUST_200600_302600_NS6detail15normal_iteratorINSA_10device_ptrIyEEEEPS6_SG_NS0_5tupleIJSF_S6_EEENSH_IJSG_SG_EEES6_PlJ5mod_3IyEEEE10hipError_tPvRmT3_T4_T5_T6_T7_T9_mT8_P12ihipStream_tbDpT10_ENKUlT_T0_E_clISt17integral_constantIbLb0EES16_EEDaS11_S12_EUlS11_E_NS1_11comp_targetILNS1_3genE9ELNS1_11target_archE1100ELNS1_3gpuE3ELNS1_3repE0EEENS1_30default_config_static_selectorELNS0_4arch9wavefront6targetE0EEEvT1_,@function
_ZN7rocprim17ROCPRIM_400000_NS6detail17trampoline_kernelINS0_14default_configENS1_25partition_config_selectorILNS1_17partition_subalgoE6EyNS0_10empty_typeEbEEZZNS1_14partition_implILS5_6ELb0ES3_mN6thrust23THRUST_200600_302600_NS6detail15normal_iteratorINSA_10device_ptrIyEEEEPS6_SG_NS0_5tupleIJSF_S6_EEENSH_IJSG_SG_EEES6_PlJ5mod_3IyEEEE10hipError_tPvRmT3_T4_T5_T6_T7_T9_mT8_P12ihipStream_tbDpT10_ENKUlT_T0_E_clISt17integral_constantIbLb0EES16_EEDaS11_S12_EUlS11_E_NS1_11comp_targetILNS1_3genE9ELNS1_11target_archE1100ELNS1_3gpuE3ELNS1_3repE0EEENS1_30default_config_static_selectorELNS0_4arch9wavefront6targetE0EEEvT1_: ; @_ZN7rocprim17ROCPRIM_400000_NS6detail17trampoline_kernelINS0_14default_configENS1_25partition_config_selectorILNS1_17partition_subalgoE6EyNS0_10empty_typeEbEEZZNS1_14partition_implILS5_6ELb0ES3_mN6thrust23THRUST_200600_302600_NS6detail15normal_iteratorINSA_10device_ptrIyEEEEPS6_SG_NS0_5tupleIJSF_S6_EEENSH_IJSG_SG_EEES6_PlJ5mod_3IyEEEE10hipError_tPvRmT3_T4_T5_T6_T7_T9_mT8_P12ihipStream_tbDpT10_ENKUlT_T0_E_clISt17integral_constantIbLb0EES16_EEDaS11_S12_EUlS11_E_NS1_11comp_targetILNS1_3genE9ELNS1_11target_archE1100ELNS1_3gpuE3ELNS1_3repE0EEENS1_30default_config_static_selectorELNS0_4arch9wavefront6targetE0EEEvT1_
; %bb.0:
	s_clause 0x3
	s_load_b128 s[8:11], s[0:1], 0x8
	s_load_b128 s[4:7], s[0:1], 0x40
	s_load_b32 s14, s[0:1], 0x68
	s_load_b64 s[12:13], s[0:1], 0x50
	s_waitcnt lgkmcnt(0)
	s_lshl_b64 s[2:3], s[10:11], 3
	s_load_b64 s[6:7], s[6:7], 0x0
	s_mul_i32 s16, s14, 0x900
	s_add_u32 s17, s8, s2
	s_addc_u32 s18, s9, s3
	s_add_i32 s2, s16, s10
	s_add_i32 s14, s14, -1
	s_sub_i32 s2, s12, s2
	s_add_u32 s8, s10, s16
	s_addc_u32 s9, s11, 0
	s_cmp_eq_u32 s15, s14
	v_cmp_ge_u64_e64 s3, s[8:9], s[12:13]
	s_cselect_b32 s12, -1, 0
	s_mov_b32 s9, 0
	s_mul_i32 s8, s15, 0x900
	s_delay_alu instid0(SALU_CYCLE_1) | instskip(NEXT) | instid1(VALU_DEP_1)
	s_lshl_b64 s[8:9], s[8:9], 3
	s_and_b32 s3, s12, s3
	s_delay_alu instid0(SALU_CYCLE_1)
	s_xor_b32 s13, s3, -1
	s_add_u32 s3, s17, s8
	s_addc_u32 s8, s18, s9
	s_and_b32 vcc_lo, exec_lo, s13
	s_mov_b32 s9, -1
	s_cbranch_vccz .LBB462_2
; %bb.1:
	v_lshlrev_b32_e32 v13, 3, v0
	s_delay_alu instid0(VALU_DEP_1) | instskip(NEXT) | instid1(VALU_DEP_1)
	v_add_co_u32 v1, s9, s3, v13
	v_add_co_ci_u32_e64 v2, null, s8, 0, s9
	s_mov_b32 s9, 0
	s_delay_alu instid0(VALU_DEP_2) | instskip(NEXT) | instid1(VALU_DEP_2)
	v_add_co_u32 v3, vcc_lo, 0x1000, v1
	v_add_co_ci_u32_e32 v4, vcc_lo, 0, v2, vcc_lo
	v_add_co_u32 v5, vcc_lo, 0x2000, v1
	v_add_co_ci_u32_e32 v6, vcc_lo, 0, v2, vcc_lo
	;; [unrolled: 2-line block ×3, first 2 shown]
	s_clause 0x5
	flat_load_b64 v[9:10], v[1:2]
	flat_load_b64 v[1:2], v[1:2] offset:3072
	flat_load_b64 v[3:4], v[3:4] offset:2048
	flat_load_b64 v[5:6], v[5:6] offset:1024
	flat_load_b64 v[11:12], v[7:8]
	flat_load_b64 v[7:8], v[7:8] offset:3072
	s_waitcnt vmcnt(4) lgkmcnt(0)
	ds_store_2addr_stride64_b64 v13, v[9:10], v[1:2] offset1:6
	s_waitcnt vmcnt(2)
	ds_store_2addr_stride64_b64 v13, v[3:4], v[5:6] offset0:12 offset1:18
	s_waitcnt vmcnt(0)
	ds_store_2addr_stride64_b64 v13, v[11:12], v[7:8] offset0:24 offset1:30
	s_waitcnt lgkmcnt(0)
	s_barrier
.LBB462_2:
	s_and_not1_b32 vcc_lo, exec_lo, s9
	s_addk_i32 s2, 0x900
	s_cbranch_vccnz .LBB462_16
; %bb.3:
	s_mov_b32 s9, exec_lo
                                        ; implicit-def: $vgpr1_vgpr2_vgpr3_vgpr4_vgpr5_vgpr6_vgpr7_vgpr8_vgpr9_vgpr10_vgpr11_vgpr12_vgpr13_vgpr14_vgpr15_vgpr16
	v_cmpx_gt_u32_e64 s2, v0
	s_cbranch_execz .LBB462_5
; %bb.4:
	v_lshlrev_b32_e32 v1, 3, v0
	s_delay_alu instid0(VALU_DEP_1) | instskip(NEXT) | instid1(VALU_DEP_1)
	v_add_co_u32 v1, s10, s3, v1
	v_add_co_ci_u32_e64 v2, null, s8, 0, s10
	flat_load_b64 v[1:2], v[1:2]
.LBB462_5:
	s_or_b32 exec_lo, exec_lo, s9
	v_add_nc_u32_e32 v13, 0x180, v0
	s_mov_b32 s9, exec_lo
	s_delay_alu instid0(VALU_DEP_1)
	v_cmpx_gt_u32_e64 s2, v13
	s_cbranch_execz .LBB462_7
; %bb.6:
	v_lshlrev_b32_e32 v3, 3, v0
	s_delay_alu instid0(VALU_DEP_1) | instskip(NEXT) | instid1(VALU_DEP_1)
	v_add_co_u32 v3, s10, s3, v3
	v_add_co_ci_u32_e64 v4, null, s8, 0, s10
	flat_load_b64 v[3:4], v[3:4] offset:3072
.LBB462_7:
	s_or_b32 exec_lo, exec_lo, s9
	v_add_nc_u32_e32 v13, 0x300, v0
	s_mov_b32 s9, exec_lo
	s_delay_alu instid0(VALU_DEP_1)
	v_cmpx_gt_u32_e64 s2, v13
	s_cbranch_execz .LBB462_9
; %bb.8:
	v_lshlrev_b32_e32 v5, 3, v13
	s_delay_alu instid0(VALU_DEP_1) | instskip(NEXT) | instid1(VALU_DEP_1)
	v_add_co_u32 v5, s10, s3, v5
	v_add_co_ci_u32_e64 v6, null, s8, 0, s10
	flat_load_b64 v[5:6], v[5:6]
.LBB462_9:
	s_or_b32 exec_lo, exec_lo, s9
	v_add_nc_u32_e32 v13, 0x480, v0
	s_mov_b32 s9, exec_lo
	s_delay_alu instid0(VALU_DEP_1)
	v_cmpx_gt_u32_e64 s2, v13
	s_cbranch_execz .LBB462_11
; %bb.10:
	v_lshlrev_b32_e32 v7, 3, v13
	s_delay_alu instid0(VALU_DEP_1) | instskip(NEXT) | instid1(VALU_DEP_1)
	v_add_co_u32 v7, s10, s3, v7
	v_add_co_ci_u32_e64 v8, null, s8, 0, s10
	flat_load_b64 v[7:8], v[7:8]
.LBB462_11:
	s_or_b32 exec_lo, exec_lo, s9
	v_or_b32_e32 v13, 0x600, v0
	s_mov_b32 s9, exec_lo
	s_delay_alu instid0(VALU_DEP_1)
	v_cmpx_gt_u32_e64 s2, v13
	s_cbranch_execz .LBB462_13
; %bb.12:
	v_lshlrev_b32_e32 v9, 3, v13
	s_delay_alu instid0(VALU_DEP_1) | instskip(NEXT) | instid1(VALU_DEP_1)
	v_add_co_u32 v9, s10, s3, v9
	v_add_co_ci_u32_e64 v10, null, s8, 0, s10
	flat_load_b64 v[9:10], v[9:10]
.LBB462_13:
	s_or_b32 exec_lo, exec_lo, s9
	v_add_nc_u32_e32 v13, 0x780, v0
	s_mov_b32 s9, exec_lo
	s_delay_alu instid0(VALU_DEP_1)
	v_cmpx_gt_u32_e64 s2, v13
	s_cbranch_execz .LBB462_15
; %bb.14:
	v_lshlrev_b32_e32 v11, 3, v13
	s_delay_alu instid0(VALU_DEP_1) | instskip(NEXT) | instid1(VALU_DEP_1)
	v_add_co_u32 v11, s3, s3, v11
	v_add_co_ci_u32_e64 v12, null, s8, 0, s3
	flat_load_b64 v[11:12], v[11:12]
.LBB462_15:
	s_or_b32 exec_lo, exec_lo, s9
	v_lshlrev_b32_e32 v13, 3, v0
	s_waitcnt vmcnt(0) lgkmcnt(0)
	ds_store_2addr_stride64_b64 v13, v[1:2], v[3:4] offset1:6
	ds_store_2addr_stride64_b64 v13, v[5:6], v[7:8] offset0:12 offset1:18
	ds_store_2addr_stride64_b64 v13, v[9:10], v[11:12] offset0:24 offset1:30
	s_waitcnt lgkmcnt(0)
	s_barrier
.LBB462_16:
	v_mul_u32_u24_e32 v13, 6, v0
	s_waitcnt lgkmcnt(0)
	buffer_gl0_inv
	s_and_not1_b32 vcc_lo, exec_lo, s13
	v_lshlrev_b32_e32 v35, 3, v13
	ds_load_b128 v[9:12], v35
	ds_load_b128 v[5:8], v35 offset:16
	ds_load_b128 v[1:4], v35 offset:32
	s_waitcnt lgkmcnt(0)
	s_barrier
	buffer_gl0_inv
	s_cbranch_vccnz .LBB462_18
; %bb.17:
	v_mul_lo_u32 v14, 0xaaaaaaab, v11
	v_mul_lo_u32 v15, 0xaaaaaaab, v7
	;; [unrolled: 1-line block ×5, first 2 shown]
	v_cmp_lt_u32_e32 vcc_lo, 0x55555555, v14
	v_cndmask_b32_e64 v14, 0, 1, vcc_lo
	v_cmp_lt_u32_e32 vcc_lo, 0x55555555, v15
	s_delay_alu instid0(VALU_DEP_2) | instskip(SKIP_2) | instid1(VALU_DEP_2)
	v_lshlrev_b16 v14, 8, v14
	v_cndmask_b32_e64 v15, 0, 1, vcc_lo
	v_cmp_lt_u32_e32 vcc_lo, 0x55555555, v16
	v_lshlrev_b16 v15, 8, v15
	v_cndmask_b32_e64 v16, 0, 1, vcc_lo
	v_cmp_lt_u32_e32 vcc_lo, 0x55555555, v17
	s_delay_alu instid0(VALU_DEP_2) | instskip(SKIP_3) | instid1(VALU_DEP_4)
	v_or_b32_e32 v14, v16, v14
	v_cndmask_b32_e64 v17, 0, 1, vcc_lo
	v_mul_lo_u32 v16, 0xaaaaaaab, v3
	v_cmp_lt_u32_e32 vcc_lo, 0x55555555, v18
	v_and_b32_e32 v14, 0xffff, v14
	s_delay_alu instid0(VALU_DEP_4) | instskip(SKIP_2) | instid1(VALU_DEP_3)
	v_or_b32_e32 v15, v17, v15
	v_cndmask_b32_e64 v32, 0, 1, vcc_lo
	v_cmp_lt_u32_e32 vcc_lo, 0x55555555, v16
	v_lshlrev_b32_e32 v15, 16, v15
	v_cndmask_b32_e64 v31, 0, 1, vcc_lo
	s_delay_alu instid0(VALU_DEP_2)
	v_or_b32_e32 v33, v14, v15
	s_clause 0x1
	s_load_b64 s[8:9], s[0:1], 0x28
	s_load_b64 s[10:11], s[0:1], 0x60
	s_cbranch_execz .LBB462_19
	s_branch .LBB462_32
.LBB462_18:
                                        ; implicit-def: $vgpr31
                                        ; implicit-def: $vgpr32
                                        ; implicit-def: $vgpr33
	s_clause 0x1
	s_load_b64 s[8:9], s[0:1], 0x28
	s_load_b64 s[10:11], s[0:1], 0x60
.LBB462_19:
	v_dual_mov_b32 v15, 0 :: v_dual_mov_b32 v14, 0
	s_mov_b32 s0, exec_lo
	v_cmpx_gt_u32_e64 s2, v13
; %bb.20:
	v_mul_lo_u32 v14, 0xaaaaaaab, v9
	s_delay_alu instid0(VALU_DEP_1)
	v_cmp_lt_u32_e32 vcc_lo, 0x55555555, v14
	v_cndmask_b32_e64 v14, 0, 1, vcc_lo
; %bb.21:
	s_or_b32 exec_lo, exec_lo, s0
	v_or_b32_e32 v16, 1, v13
	s_mov_b32 s0, exec_lo
	s_delay_alu instid0(VALU_DEP_1)
	v_cmpx_gt_u32_e64 s2, v16
; %bb.22:
	v_mul_lo_u32 v15, 0xaaaaaaab, v11
	s_delay_alu instid0(VALU_DEP_1)
	v_cmp_lt_u32_e32 vcc_lo, 0x55555555, v15
	v_cndmask_b32_e64 v15, 0, 1, vcc_lo
; %bb.23:
	s_or_b32 exec_lo, exec_lo, s0
	v_dual_mov_b32 v17, 0 :: v_dual_add_nc_u32 v16, 2, v13
	s_delay_alu instid0(VALU_DEP_1)
	v_cmp_gt_u32_e32 vcc_lo, s2, v16
	v_mov_b32_e32 v16, 0
	s_and_saveexec_b32 s0, vcc_lo
; %bb.24:
	v_mul_lo_u32 v16, 0xaaaaaaab, v5
	s_delay_alu instid0(VALU_DEP_1)
	v_cmp_lt_u32_e32 vcc_lo, 0x55555555, v16
	v_cndmask_b32_e64 v16, 0, 1, vcc_lo
; %bb.25:
	s_or_b32 exec_lo, exec_lo, s0
	v_add_nc_u32_e32 v18, 3, v13
	s_mov_b32 s0, exec_lo
	s_delay_alu instid0(VALU_DEP_1)
	v_cmpx_gt_u32_e64 s2, v18
; %bb.26:
	v_mul_lo_u32 v17, 0xaaaaaaab, v7
	s_delay_alu instid0(VALU_DEP_1)
	v_cmp_lt_u32_e32 vcc_lo, 0x55555555, v17
	v_cndmask_b32_e64 v17, 0, 1, vcc_lo
; %bb.27:
	s_or_b32 exec_lo, exec_lo, s0
	v_dual_mov_b32 v31, 0 :: v_dual_add_nc_u32 v18, 4, v13
	v_mov_b32_e32 v32, 0
	s_mov_b32 s0, exec_lo
	s_delay_alu instid0(VALU_DEP_2)
	v_cmpx_gt_u32_e64 s2, v18
; %bb.28:
	v_mul_lo_u32 v18, 0xaaaaaaab, v1
	s_delay_alu instid0(VALU_DEP_1)
	v_cmp_lt_u32_e32 vcc_lo, 0x55555555, v18
	v_cndmask_b32_e64 v32, 0, 1, vcc_lo
; %bb.29:
	s_or_b32 exec_lo, exec_lo, s0
	v_add_nc_u32_e32 v13, 5, v13
	s_mov_b32 s0, exec_lo
	s_delay_alu instid0(VALU_DEP_1)
	v_cmpx_gt_u32_e64 s2, v13
; %bb.30:
	v_mul_lo_u32 v13, 0xaaaaaaab, v3
	s_delay_alu instid0(VALU_DEP_1)
	v_cmp_lt_u32_e32 vcc_lo, 0x55555555, v13
	v_cndmask_b32_e64 v31, 0, 1, vcc_lo
; %bb.31:
	s_or_b32 exec_lo, exec_lo, s0
	v_lshlrev_b16 v13, 8, v15
	v_lshlrev_b16 v15, 8, v17
	s_delay_alu instid0(VALU_DEP_2) | instskip(NEXT) | instid1(VALU_DEP_2)
	v_or_b32_e32 v13, v14, v13
	v_or_b32_e32 v14, v16, v15
	s_delay_alu instid0(VALU_DEP_2) | instskip(NEXT) | instid1(VALU_DEP_2)
	v_and_b32_e32 v13, 0xffff, v13
	v_lshlrev_b32_e32 v14, 16, v14
	s_delay_alu instid0(VALU_DEP_1)
	v_or_b32_e32 v33, v13, v14
.LBB462_32:
	s_delay_alu instid0(VALU_DEP_1)
	v_dual_mov_b32 v14, 0 :: v_dual_and_b32 v39, 0xff, v33
	v_bfe_u32 v38, v33, 8, 8
	v_bfe_u32 v37, v33, 16, 8
	v_lshrrev_b32_e32 v34, 24, v33
	v_and_b32_e32 v36, 0xff, v32
	v_mbcnt_lo_u32_b32 v40, -1, 0
	v_add_co_u32 v13, s0, v38, v39
	s_delay_alu instid0(VALU_DEP_1) | instskip(SKIP_1) | instid1(VALU_DEP_3)
	v_add_co_ci_u32_e64 v15, null, 0, 0, s0
	v_and_b32_e32 v16, 0xff, v31
	v_add_co_u32 v13, vcc_lo, v13, v37
	s_delay_alu instid0(VALU_DEP_3) | instskip(SKIP_1) | instid1(VALU_DEP_3)
	v_add_co_ci_u32_e32 v15, vcc_lo, 0, v15, vcc_lo
	v_and_b32_e32 v41, 15, v40
	v_add_co_u32 v13, vcc_lo, v13, v34
	s_delay_alu instid0(VALU_DEP_3) | instskip(NEXT) | instid1(VALU_DEP_3)
	v_add_co_ci_u32_e32 v15, vcc_lo, 0, v15, vcc_lo
	v_cmp_ne_u32_e64 s0, 0, v41
	s_delay_alu instid0(VALU_DEP_3) | instskip(NEXT) | instid1(VALU_DEP_3)
	v_add_co_u32 v13, vcc_lo, v13, v36
	v_add_co_ci_u32_e32 v15, vcc_lo, 0, v15, vcc_lo
	s_cmp_lg_u32 s15, 0
	s_delay_alu instid0(VALU_DEP_2) | instskip(NEXT) | instid1(VALU_DEP_2)
	v_add_co_u32 v21, vcc_lo, v13, v16
	v_add_co_ci_u32_e32 v22, vcc_lo, 0, v15, vcc_lo
	s_mov_b32 s1, -1
	s_cbranch_scc0 .LBB462_96
; %bb.33:
	s_delay_alu instid0(VALU_DEP_2)
	v_mov_b32_e32 v15, v21
	v_mov_b32_dpp v13, v21 row_shr:1 row_mask:0xf bank_mask:0xf
	v_mov_b32_dpp v18, v14 row_shr:1 row_mask:0xf bank_mask:0xf
	v_dual_mov_b32 v17, v21 :: v_dual_mov_b32 v16, v22
	s_and_saveexec_b32 s1, s0
; %bb.34:
	s_delay_alu instid0(VALU_DEP_3) | instskip(SKIP_1) | instid1(VALU_DEP_2)
	v_add_co_u32 v17, vcc_lo, v21, v13
	v_add_co_ci_u32_e32 v14, vcc_lo, 0, v22, vcc_lo
	v_add_co_u32 v13, vcc_lo, 0, v17
	s_delay_alu instid0(VALU_DEP_2) | instskip(NEXT) | instid1(VALU_DEP_1)
	v_add_co_ci_u32_e32 v14, vcc_lo, v18, v14, vcc_lo
	v_dual_mov_b32 v16, v14 :: v_dual_mov_b32 v15, v13
; %bb.35:
	s_or_b32 exec_lo, exec_lo, s1
	v_mov_b32_dpp v13, v17 row_shr:2 row_mask:0xf bank_mask:0xf
	v_mov_b32_dpp v18, v14 row_shr:2 row_mask:0xf bank_mask:0xf
	v_cmp_lt_u32_e32 vcc_lo, 1, v41
	s_and_saveexec_b32 s2, vcc_lo
; %bb.36:
	s_delay_alu instid0(VALU_DEP_3) | instskip(NEXT) | instid1(VALU_DEP_1)
	v_add_co_u32 v17, s1, v15, v13
	v_add_co_ci_u32_e64 v14, s1, 0, v16, s1
	s_delay_alu instid0(VALU_DEP_2) | instskip(NEXT) | instid1(VALU_DEP_1)
	v_add_co_u32 v13, s1, 0, v17
	v_add_co_ci_u32_e64 v14, s1, v18, v14, s1
	s_delay_alu instid0(VALU_DEP_1)
	v_dual_mov_b32 v16, v14 :: v_dual_mov_b32 v15, v13
; %bb.37:
	s_or_b32 exec_lo, exec_lo, s2
	v_mov_b32_dpp v13, v17 row_shr:4 row_mask:0xf bank_mask:0xf
	v_mov_b32_dpp v18, v14 row_shr:4 row_mask:0xf bank_mask:0xf
	v_cmp_lt_u32_e64 s1, 3, v41
	s_delay_alu instid0(VALU_DEP_1)
	s_and_saveexec_b32 s3, s1
; %bb.38:
	s_delay_alu instid0(VALU_DEP_3) | instskip(NEXT) | instid1(VALU_DEP_1)
	v_add_co_u32 v17, s2, v15, v13
	v_add_co_ci_u32_e64 v14, s2, 0, v16, s2
	s_delay_alu instid0(VALU_DEP_2) | instskip(NEXT) | instid1(VALU_DEP_1)
	v_add_co_u32 v13, s2, 0, v17
	v_add_co_ci_u32_e64 v14, s2, v18, v14, s2
	s_delay_alu instid0(VALU_DEP_1)
	v_dual_mov_b32 v16, v14 :: v_dual_mov_b32 v15, v13
; %bb.39:
	s_or_b32 exec_lo, exec_lo, s3
	v_mov_b32_dpp v18, v17 row_shr:8 row_mask:0xf bank_mask:0xf
	v_mov_b32_dpp v13, v14 row_shr:8 row_mask:0xf bank_mask:0xf
	v_cmp_lt_u32_e64 s2, 7, v41
	s_delay_alu instid0(VALU_DEP_1)
	s_and_saveexec_b32 s14, s2
; %bb.40:
	s_delay_alu instid0(VALU_DEP_3) | instskip(NEXT) | instid1(VALU_DEP_1)
	v_add_co_u32 v17, s3, v15, v18
	v_add_co_ci_u32_e64 v14, s3, 0, v16, s3
	s_delay_alu instid0(VALU_DEP_2) | instskip(NEXT) | instid1(VALU_DEP_1)
	v_add_co_u32 v15, s3, 0, v17
	v_add_co_ci_u32_e64 v16, s3, v13, v14, s3
	s_delay_alu instid0(VALU_DEP_1)
	v_mov_b32_e32 v14, v16
; %bb.41:
	s_or_b32 exec_lo, exec_lo, s14
	ds_swizzle_b32 v13, v17 offset:swizzle(BROADCAST,32,15)
	ds_swizzle_b32 v18, v14 offset:swizzle(BROADCAST,32,15)
	v_and_b32_e32 v19, 16, v40
	s_mov_b32 s14, exec_lo
	s_delay_alu instid0(VALU_DEP_1)
	v_cmpx_ne_u32_e32 0, v19
	s_cbranch_execz .LBB462_43
; %bb.42:
	s_waitcnt lgkmcnt(0)
	v_add_co_u32 v17, s3, v15, v13
	s_delay_alu instid0(VALU_DEP_1) | instskip(NEXT) | instid1(VALU_DEP_2)
	v_add_co_ci_u32_e64 v14, s3, 0, v16, s3
	v_add_co_u32 v13, s3, 0, v17
	s_delay_alu instid0(VALU_DEP_1) | instskip(NEXT) | instid1(VALU_DEP_1)
	v_add_co_ci_u32_e64 v14, s3, v18, v14, s3
	v_dual_mov_b32 v16, v14 :: v_dual_mov_b32 v15, v13
.LBB462_43:
	s_or_b32 exec_lo, exec_lo, s14
	s_waitcnt lgkmcnt(0)
	v_and_b32_e32 v13, 0x1e0, v0
	s_mov_b32 s14, exec_lo
	s_delay_alu instid0(VALU_DEP_1) | instskip(NEXT) | instid1(VALU_DEP_1)
	v_min_u32_e32 v13, 0x160, v13
	v_or_b32_e32 v18, 31, v13
	v_lshrrev_b32_e32 v13, 5, v0
	s_delay_alu instid0(VALU_DEP_2)
	v_cmpx_eq_u32_e64 v18, v0
	s_cbranch_execz .LBB462_45
; %bb.44:
	s_delay_alu instid0(VALU_DEP_2)
	v_lshlrev_b32_e32 v18, 3, v13
	ds_store_b64 v18, v[15:16]
.LBB462_45:
	s_or_b32 exec_lo, exec_lo, s14
	s_delay_alu instid0(SALU_CYCLE_1)
	s_mov_b32 s14, exec_lo
	s_waitcnt lgkmcnt(0)
	s_barrier
	buffer_gl0_inv
	v_cmpx_gt_u32_e32 12, v0
	s_cbranch_execz .LBB462_55
; %bb.46:
	v_lshlrev_b32_e32 v18, 3, v0
	ds_load_b64 v[15:16], v18
	s_waitcnt lgkmcnt(0)
	v_mov_b32_e32 v19, v15
	v_mov_b32_dpp v23, v15 row_shr:1 row_mask:0xf bank_mask:0xf
	v_mov_b32_dpp v20, v16 row_shr:1 row_mask:0xf bank_mask:0xf
	s_and_saveexec_b32 s16, s0
; %bb.47:
	s_delay_alu instid0(VALU_DEP_2) | instskip(NEXT) | instid1(VALU_DEP_1)
	v_add_co_u32 v19, s3, v15, v23
	v_add_co_ci_u32_e64 v16, s3, 0, v16, s3
	s_delay_alu instid0(VALU_DEP_2) | instskip(NEXT) | instid1(VALU_DEP_1)
	v_add_co_u32 v15, s3, 0, v19
	v_add_co_ci_u32_e64 v16, s3, v20, v16, s3
; %bb.48:
	s_or_b32 exec_lo, exec_lo, s16
	v_mov_b32_dpp v23, v19 row_shr:2 row_mask:0xf bank_mask:0xf
	s_delay_alu instid0(VALU_DEP_2)
	v_mov_b32_dpp v20, v16 row_shr:2 row_mask:0xf bank_mask:0xf
	s_and_saveexec_b32 s3, vcc_lo
; %bb.49:
	s_delay_alu instid0(VALU_DEP_2) | instskip(SKIP_1) | instid1(VALU_DEP_2)
	v_add_co_u32 v19, vcc_lo, v15, v23
	v_add_co_ci_u32_e32 v16, vcc_lo, 0, v16, vcc_lo
	v_add_co_u32 v15, vcc_lo, 0, v19
	s_delay_alu instid0(VALU_DEP_2)
	v_add_co_ci_u32_e32 v16, vcc_lo, v20, v16, vcc_lo
; %bb.50:
	s_or_b32 exec_lo, exec_lo, s3
	v_mov_b32_dpp v23, v19 row_shr:4 row_mask:0xf bank_mask:0xf
	s_delay_alu instid0(VALU_DEP_2)
	v_mov_b32_dpp v20, v16 row_shr:4 row_mask:0xf bank_mask:0xf
	s_and_saveexec_b32 s3, s1
; %bb.51:
	s_delay_alu instid0(VALU_DEP_2) | instskip(SKIP_1) | instid1(VALU_DEP_2)
	v_add_co_u32 v19, vcc_lo, v15, v23
	v_add_co_ci_u32_e32 v16, vcc_lo, 0, v16, vcc_lo
	v_add_co_u32 v15, vcc_lo, 0, v19
	s_delay_alu instid0(VALU_DEP_2)
	v_add_co_ci_u32_e32 v16, vcc_lo, v20, v16, vcc_lo
; %bb.52:
	s_or_b32 exec_lo, exec_lo, s3
	v_mov_b32_dpp v20, v19 row_shr:8 row_mask:0xf bank_mask:0xf
	s_delay_alu instid0(VALU_DEP_2)
	v_mov_b32_dpp v19, v16 row_shr:8 row_mask:0xf bank_mask:0xf
	s_and_saveexec_b32 s1, s2
; %bb.53:
	s_delay_alu instid0(VALU_DEP_2) | instskip(SKIP_1) | instid1(VALU_DEP_2)
	v_add_co_u32 v15, vcc_lo, v15, v20
	v_add_co_ci_u32_e32 v16, vcc_lo, 0, v16, vcc_lo
	v_add_co_u32 v15, vcc_lo, v15, 0
	s_delay_alu instid0(VALU_DEP_2)
	v_add_co_ci_u32_e32 v16, vcc_lo, v16, v19, vcc_lo
; %bb.54:
	s_or_b32 exec_lo, exec_lo, s1
	ds_store_b64 v18, v[15:16]
.LBB462_55:
	s_or_b32 exec_lo, exec_lo, s14
	v_cmp_gt_u32_e32 vcc_lo, 32, v0
	s_mov_b32 s2, exec_lo
	s_waitcnt lgkmcnt(0)
	s_barrier
	buffer_gl0_inv
                                        ; implicit-def: $vgpr23_vgpr24
	v_cmpx_lt_u32_e32 31, v0
	s_cbranch_execz .LBB462_57
; %bb.56:
	v_lshl_add_u32 v13, v13, 3, -8
	ds_load_b64 v[23:24], v13
	s_waitcnt lgkmcnt(0)
	v_add_co_u32 v17, s1, v17, v23
	s_delay_alu instid0(VALU_DEP_1)
	v_add_co_ci_u32_e64 v14, s1, v14, v24, s1
.LBB462_57:
	s_or_b32 exec_lo, exec_lo, s2
	v_add_nc_u32_e32 v13, -1, v40
	s_delay_alu instid0(VALU_DEP_1) | instskip(NEXT) | instid1(VALU_DEP_1)
	v_cmp_gt_i32_e64 s1, 0, v13
	v_cndmask_b32_e64 v13, v13, v40, s1
	v_cmp_eq_u32_e64 s1, 0, v40
	s_delay_alu instid0(VALU_DEP_2)
	v_lshlrev_b32_e32 v13, 2, v13
	ds_bpermute_b32 v29, v13, v17
	ds_bpermute_b32 v30, v13, v14
	s_and_saveexec_b32 s2, vcc_lo
	s_cbranch_execz .LBB462_95
; %bb.58:
	v_mov_b32_e32 v16, 0
	ds_load_b64 v[13:14], v16 offset:88
	s_and_saveexec_b32 s3, s1
	s_cbranch_execz .LBB462_60
; %bb.59:
	s_add_i32 s16, s15, 32
	s_mov_b32 s17, 0
	s_delay_alu instid0(SALU_CYCLE_1) | instskip(NEXT) | instid1(SALU_CYCLE_1)
	s_lshl_b64 s[16:17], s[16:17], 4
	s_add_u32 s16, s10, s16
	s_addc_u32 s17, s11, s17
	s_delay_alu instid0(SALU_CYCLE_1)
	v_dual_mov_b32 v15, 1 :: v_dual_mov_b32 v18, s17
	v_mov_b32_e32 v17, s16
	s_waitcnt lgkmcnt(0)
	;;#ASMSTART
	global_store_dwordx4 v[17:18], v[13:16] off	
s_waitcnt vmcnt(0)
	;;#ASMEND
.LBB462_60:
	s_or_b32 exec_lo, exec_lo, s3
	v_xad_u32 v25, v40, -1, s15
	s_mov_b32 s14, 0
	s_mov_b32 s3, exec_lo
	s_delay_alu instid0(VALU_DEP_1) | instskip(NEXT) | instid1(VALU_DEP_1)
	v_add_nc_u32_e32 v15, 32, v25
	v_lshlrev_b64 v[15:16], 4, v[15:16]
	s_delay_alu instid0(VALU_DEP_1) | instskip(NEXT) | instid1(VALU_DEP_2)
	v_add_co_u32 v15, vcc_lo, s10, v15
	v_add_co_ci_u32_e32 v16, vcc_lo, s11, v16, vcc_lo
	;;#ASMSTART
	global_load_dwordx4 v[17:20], v[15:16] off glc	
s_waitcnt vmcnt(0)
	;;#ASMEND
	v_and_b32_e32 v20, 0xff, v18
	v_and_b32_e32 v26, 0xff00, v18
	v_or3_b32 v17, v17, 0, 0
	v_and_b32_e32 v27, 0xff000000, v18
	v_and_b32_e32 v18, 0xff0000, v18
	s_delay_alu instid0(VALU_DEP_4) | instskip(SKIP_2) | instid1(VALU_DEP_3)
	v_or3_b32 v20, 0, v20, v26
	v_and_b32_e32 v26, 0xff, v19
	v_or3_b32 v17, v17, 0, 0
	v_or3_b32 v18, v20, v18, v27
	s_delay_alu instid0(VALU_DEP_3)
	v_cmpx_eq_u16_e32 0, v26
	s_cbranch_execz .LBB462_63
.LBB462_61:                             ; =>This Inner Loop Header: Depth=1
	;;#ASMSTART
	global_load_dwordx4 v[17:20], v[15:16] off glc	
s_waitcnt vmcnt(0)
	;;#ASMEND
	v_and_b32_e32 v20, 0xff, v19
	s_delay_alu instid0(VALU_DEP_1) | instskip(SKIP_1) | instid1(SALU_CYCLE_1)
	v_cmp_ne_u16_e32 vcc_lo, 0, v20
	s_or_b32 s14, vcc_lo, s14
	s_and_not1_b32 exec_lo, exec_lo, s14
	s_cbranch_execnz .LBB462_61
; %bb.62:
	s_or_b32 exec_lo, exec_lo, s14
.LBB462_63:
	s_delay_alu instid0(SALU_CYCLE_1)
	s_or_b32 exec_lo, exec_lo, s3
	v_cmp_ne_u32_e32 vcc_lo, 31, v40
	v_and_b32_e32 v16, 0xff, v19
	v_lshlrev_b32_e64 v43, v40, -1
	s_mov_b32 s3, exec_lo
	v_add_co_ci_u32_e32 v15, vcc_lo, 0, v40, vcc_lo
	s_delay_alu instid0(VALU_DEP_3) | instskip(SKIP_1) | instid1(VALU_DEP_3)
	v_cmp_eq_u16_e32 vcc_lo, 2, v16
	v_mov_b32_e32 v16, v17
	v_lshlrev_b32_e32 v42, 2, v15
	v_and_or_b32 v15, vcc_lo, v43, 0x80000000
	ds_bpermute_b32 v26, v42, v17
	ds_bpermute_b32 v20, v42, v18
	v_ctz_i32_b32_e32 v15, v15
	s_delay_alu instid0(VALU_DEP_1)
	v_cmpx_lt_u32_e64 v40, v15
	s_cbranch_execz .LBB462_65
; %bb.64:
	s_waitcnt lgkmcnt(1)
	v_add_co_u32 v16, vcc_lo, v17, v26
	v_add_co_ci_u32_e32 v18, vcc_lo, 0, v18, vcc_lo
	s_delay_alu instid0(VALU_DEP_2) | instskip(SKIP_1) | instid1(VALU_DEP_2)
	v_add_co_u32 v17, vcc_lo, 0, v16
	s_waitcnt lgkmcnt(0)
	v_add_co_ci_u32_e32 v18, vcc_lo, v20, v18, vcc_lo
.LBB462_65:
	s_or_b32 exec_lo, exec_lo, s3
	v_cmp_gt_u32_e32 vcc_lo, 30, v40
	v_add_nc_u32_e32 v45, 2, v40
	s_mov_b32 s3, exec_lo
	s_waitcnt lgkmcnt(0)
	v_cndmask_b32_e64 v20, 0, 1, vcc_lo
	s_delay_alu instid0(VALU_DEP_1) | instskip(NEXT) | instid1(VALU_DEP_1)
	v_lshlrev_b32_e32 v20, 1, v20
	v_add_lshl_u32 v44, v20, v40, 2
	ds_bpermute_b32 v26, v44, v16
	ds_bpermute_b32 v20, v44, v18
	v_cmpx_le_u32_e64 v45, v15
	s_cbranch_execz .LBB462_67
; %bb.66:
	s_waitcnt lgkmcnt(1)
	v_add_co_u32 v16, vcc_lo, v17, v26
	v_add_co_ci_u32_e32 v18, vcc_lo, 0, v18, vcc_lo
	s_delay_alu instid0(VALU_DEP_2) | instskip(SKIP_1) | instid1(VALU_DEP_2)
	v_add_co_u32 v17, vcc_lo, 0, v16
	s_waitcnt lgkmcnt(0)
	v_add_co_ci_u32_e32 v18, vcc_lo, v20, v18, vcc_lo
.LBB462_67:
	s_or_b32 exec_lo, exec_lo, s3
	v_cmp_gt_u32_e32 vcc_lo, 28, v40
	v_add_nc_u32_e32 v47, 4, v40
	s_mov_b32 s3, exec_lo
	s_waitcnt lgkmcnt(0)
	v_cndmask_b32_e64 v20, 0, 1, vcc_lo
	s_delay_alu instid0(VALU_DEP_1) | instskip(NEXT) | instid1(VALU_DEP_1)
	v_lshlrev_b32_e32 v20, 2, v20
	v_add_lshl_u32 v46, v20, v40, 2
	ds_bpermute_b32 v26, v46, v16
	ds_bpermute_b32 v20, v46, v18
	v_cmpx_le_u32_e64 v47, v15
	s_cbranch_execz .LBB462_69
; %bb.68:
	s_waitcnt lgkmcnt(1)
	v_add_co_u32 v16, vcc_lo, v17, v26
	v_add_co_ci_u32_e32 v18, vcc_lo, 0, v18, vcc_lo
	s_delay_alu instid0(VALU_DEP_2) | instskip(SKIP_1) | instid1(VALU_DEP_2)
	v_add_co_u32 v17, vcc_lo, 0, v16
	s_waitcnt lgkmcnt(0)
	v_add_co_ci_u32_e32 v18, vcc_lo, v20, v18, vcc_lo
.LBB462_69:
	s_or_b32 exec_lo, exec_lo, s3
	v_cmp_gt_u32_e32 vcc_lo, 24, v40
	v_add_nc_u32_e32 v49, 8, v40
	s_mov_b32 s3, exec_lo
	s_waitcnt lgkmcnt(0)
	v_cndmask_b32_e64 v20, 0, 1, vcc_lo
	s_delay_alu instid0(VALU_DEP_1) | instskip(NEXT) | instid1(VALU_DEP_1)
	v_lshlrev_b32_e32 v20, 3, v20
	v_add_lshl_u32 v48, v20, v40, 2
	ds_bpermute_b32 v26, v48, v16
	ds_bpermute_b32 v20, v48, v18
	v_cmpx_le_u32_e64 v49, v15
	s_cbranch_execz .LBB462_71
; %bb.70:
	s_waitcnt lgkmcnt(1)
	v_add_co_u32 v16, vcc_lo, v17, v26
	v_add_co_ci_u32_e32 v18, vcc_lo, 0, v18, vcc_lo
	s_delay_alu instid0(VALU_DEP_2) | instskip(SKIP_1) | instid1(VALU_DEP_2)
	v_add_co_u32 v17, vcc_lo, 0, v16
	s_waitcnt lgkmcnt(0)
	v_add_co_ci_u32_e32 v18, vcc_lo, v20, v18, vcc_lo
.LBB462_71:
	s_or_b32 exec_lo, exec_lo, s3
	v_cmp_gt_u32_e32 vcc_lo, 16, v40
	v_add_nc_u32_e32 v51, 16, v40
	s_mov_b32 s3, exec_lo
	s_waitcnt lgkmcnt(0)
	v_cndmask_b32_e64 v20, 0, 1, vcc_lo
	s_delay_alu instid0(VALU_DEP_1) | instskip(NEXT) | instid1(VALU_DEP_1)
	v_lshlrev_b32_e32 v20, 4, v20
	v_add_lshl_u32 v50, v20, v40, 2
	ds_bpermute_b32 v20, v50, v16
	ds_bpermute_b32 v16, v50, v18
	v_cmpx_le_u32_e64 v51, v15
	s_cbranch_execz .LBB462_73
; %bb.72:
	s_waitcnt lgkmcnt(1)
	v_add_co_u32 v15, vcc_lo, v17, v20
	v_add_co_ci_u32_e32 v18, vcc_lo, 0, v18, vcc_lo
	s_delay_alu instid0(VALU_DEP_2) | instskip(SKIP_1) | instid1(VALU_DEP_2)
	v_add_co_u32 v17, vcc_lo, v15, 0
	s_waitcnt lgkmcnt(0)
	v_add_co_ci_u32_e32 v18, vcc_lo, v18, v16, vcc_lo
.LBB462_73:
	s_or_b32 exec_lo, exec_lo, s3
	v_mov_b32_e32 v26, 0
	s_branch .LBB462_75
.LBB462_74:                             ;   in Loop: Header=BB462_75 Depth=1
	s_or_b32 exec_lo, exec_lo, s3
	v_add_co_u32 v17, vcc_lo, v17, v15
	v_subrev_nc_u32_e32 v25, 32, v25
	v_add_co_ci_u32_e32 v18, vcc_lo, v18, v16, vcc_lo
.LBB462_75:                             ; =>This Loop Header: Depth=1
                                        ;     Child Loop BB462_78 Depth 2
	v_and_b32_e32 v15, 0xff, v19
	s_delay_alu instid0(VALU_DEP_1) | instskip(SKIP_2) | instid1(VALU_DEP_1)
	v_cmp_ne_u16_e32 vcc_lo, 2, v15
	v_cndmask_b32_e64 v15, 0, 1, vcc_lo
	;;#ASMSTART
	;;#ASMEND
	v_cmp_ne_u32_e32 vcc_lo, 0, v15
	s_waitcnt lgkmcnt(0)
	v_dual_mov_b32 v15, v17 :: v_dual_mov_b32 v16, v18
	s_cmp_lg_u32 vcc_lo, exec_lo
	s_cbranch_scc1 .LBB462_90
; %bb.76:                               ;   in Loop: Header=BB462_75 Depth=1
	v_lshlrev_b64 v[17:18], 4, v[25:26]
	s_mov_b32 s3, exec_lo
	s_delay_alu instid0(VALU_DEP_1) | instskip(NEXT) | instid1(VALU_DEP_2)
	v_add_co_u32 v27, vcc_lo, s10, v17
	v_add_co_ci_u32_e32 v28, vcc_lo, s11, v18, vcc_lo
	;;#ASMSTART
	global_load_dwordx4 v[17:20], v[27:28] off glc	
s_waitcnt vmcnt(0)
	;;#ASMEND
	v_and_b32_e32 v20, 0xff, v18
	v_and_b32_e32 v52, 0xff00, v18
	v_or3_b32 v17, v17, 0, 0
	v_and_b32_e32 v53, 0xff000000, v18
	v_and_b32_e32 v18, 0xff0000, v18
	s_delay_alu instid0(VALU_DEP_4) | instskip(SKIP_2) | instid1(VALU_DEP_3)
	v_or3_b32 v20, 0, v20, v52
	v_and_b32_e32 v52, 0xff, v19
	v_or3_b32 v17, v17, 0, 0
	v_or3_b32 v18, v20, v18, v53
	s_delay_alu instid0(VALU_DEP_3)
	v_cmpx_eq_u16_e32 0, v52
	s_cbranch_execz .LBB462_80
; %bb.77:                               ;   in Loop: Header=BB462_75 Depth=1
	s_mov_b32 s14, 0
.LBB462_78:                             ;   Parent Loop BB462_75 Depth=1
                                        ; =>  This Inner Loop Header: Depth=2
	;;#ASMSTART
	global_load_dwordx4 v[17:20], v[27:28] off glc	
s_waitcnt vmcnt(0)
	;;#ASMEND
	v_and_b32_e32 v20, 0xff, v19
	s_delay_alu instid0(VALU_DEP_1) | instskip(SKIP_1) | instid1(SALU_CYCLE_1)
	v_cmp_ne_u16_e32 vcc_lo, 0, v20
	s_or_b32 s14, vcc_lo, s14
	s_and_not1_b32 exec_lo, exec_lo, s14
	s_cbranch_execnz .LBB462_78
; %bb.79:                               ;   in Loop: Header=BB462_75 Depth=1
	s_or_b32 exec_lo, exec_lo, s14
.LBB462_80:                             ;   in Loop: Header=BB462_75 Depth=1
	s_delay_alu instid0(SALU_CYCLE_1)
	s_or_b32 exec_lo, exec_lo, s3
	v_dual_mov_b32 v27, v17 :: v_dual_and_b32 v20, 0xff, v19
	ds_bpermute_b32 v52, v42, v17
	ds_bpermute_b32 v28, v42, v18
	s_mov_b32 s3, exec_lo
	v_cmp_eq_u16_e32 vcc_lo, 2, v20
	v_and_or_b32 v20, vcc_lo, v43, 0x80000000
	s_delay_alu instid0(VALU_DEP_1) | instskip(NEXT) | instid1(VALU_DEP_1)
	v_ctz_i32_b32_e32 v20, v20
	v_cmpx_lt_u32_e64 v40, v20
	s_cbranch_execz .LBB462_82
; %bb.81:                               ;   in Loop: Header=BB462_75 Depth=1
	s_waitcnt lgkmcnt(1)
	v_add_co_u32 v27, vcc_lo, v17, v52
	v_add_co_ci_u32_e32 v18, vcc_lo, 0, v18, vcc_lo
	s_delay_alu instid0(VALU_DEP_2) | instskip(SKIP_1) | instid1(VALU_DEP_2)
	v_add_co_u32 v17, vcc_lo, 0, v27
	s_waitcnt lgkmcnt(0)
	v_add_co_ci_u32_e32 v18, vcc_lo, v28, v18, vcc_lo
.LBB462_82:                             ;   in Loop: Header=BB462_75 Depth=1
	s_or_b32 exec_lo, exec_lo, s3
	s_waitcnt lgkmcnt(1)
	ds_bpermute_b32 v52, v44, v27
	s_waitcnt lgkmcnt(1)
	ds_bpermute_b32 v28, v44, v18
	s_mov_b32 s3, exec_lo
	v_cmpx_le_u32_e64 v45, v20
	s_cbranch_execz .LBB462_84
; %bb.83:                               ;   in Loop: Header=BB462_75 Depth=1
	s_waitcnt lgkmcnt(1)
	v_add_co_u32 v27, vcc_lo, v17, v52
	v_add_co_ci_u32_e32 v18, vcc_lo, 0, v18, vcc_lo
	s_delay_alu instid0(VALU_DEP_2) | instskip(SKIP_1) | instid1(VALU_DEP_2)
	v_add_co_u32 v17, vcc_lo, 0, v27
	s_waitcnt lgkmcnt(0)
	v_add_co_ci_u32_e32 v18, vcc_lo, v28, v18, vcc_lo
.LBB462_84:                             ;   in Loop: Header=BB462_75 Depth=1
	s_or_b32 exec_lo, exec_lo, s3
	s_waitcnt lgkmcnt(1)
	ds_bpermute_b32 v52, v46, v27
	s_waitcnt lgkmcnt(1)
	ds_bpermute_b32 v28, v46, v18
	s_mov_b32 s3, exec_lo
	v_cmpx_le_u32_e64 v47, v20
	;; [unrolled: 17-line block ×3, first 2 shown]
	s_cbranch_execz .LBB462_88
; %bb.87:                               ;   in Loop: Header=BB462_75 Depth=1
	s_waitcnt lgkmcnt(1)
	v_add_co_u32 v27, vcc_lo, v17, v52
	v_add_co_ci_u32_e32 v18, vcc_lo, 0, v18, vcc_lo
	s_delay_alu instid0(VALU_DEP_2) | instskip(SKIP_1) | instid1(VALU_DEP_2)
	v_add_co_u32 v17, vcc_lo, 0, v27
	s_waitcnt lgkmcnt(0)
	v_add_co_ci_u32_e32 v18, vcc_lo, v28, v18, vcc_lo
.LBB462_88:                             ;   in Loop: Header=BB462_75 Depth=1
	s_or_b32 exec_lo, exec_lo, s3
	s_waitcnt lgkmcnt(0)
	ds_bpermute_b32 v28, v50, v27
	ds_bpermute_b32 v27, v50, v18
	s_mov_b32 s3, exec_lo
	v_cmpx_le_u32_e64 v51, v20
	s_cbranch_execz .LBB462_74
; %bb.89:                               ;   in Loop: Header=BB462_75 Depth=1
	s_waitcnt lgkmcnt(1)
	v_add_co_u32 v17, vcc_lo, v17, v28
	v_add_co_ci_u32_e32 v18, vcc_lo, 0, v18, vcc_lo
	s_delay_alu instid0(VALU_DEP_2) | instskip(SKIP_1) | instid1(VALU_DEP_2)
	v_add_co_u32 v17, vcc_lo, v17, 0
	s_waitcnt lgkmcnt(0)
	v_add_co_ci_u32_e32 v18, vcc_lo, v18, v27, vcc_lo
	s_branch .LBB462_74
.LBB462_90:                             ;   in Loop: Header=BB462_75 Depth=1
                                        ; implicit-def: $vgpr17_vgpr18
	s_cbranch_execz .LBB462_75
; %bb.91:
	s_and_saveexec_b32 s3, s1
	s_cbranch_execz .LBB462_93
; %bb.92:
	s_add_i32 s14, s15, 32
	s_mov_b32 s15, 0
	v_add_co_u32 v17, vcc_lo, v15, v13
	s_lshl_b64 s[14:15], s[14:15], 4
	v_dual_mov_b32 v19, 2 :: v_dual_mov_b32 v20, 0
	s_add_u32 s14, s10, s14
	s_addc_u32 s15, s11, s15
	v_add_co_ci_u32_e32 v18, vcc_lo, v16, v14, vcc_lo
	v_dual_mov_b32 v26, s15 :: v_dual_mov_b32 v25, s14
	;;#ASMSTART
	global_store_dwordx4 v[25:26], v[17:20] off	
s_waitcnt vmcnt(0)
	;;#ASMEND
	ds_store_b128 v20, v[13:16] offset:18432
.LBB462_93:
	s_or_b32 exec_lo, exec_lo, s3
	v_cmp_eq_u32_e32 vcc_lo, 0, v0
	s_and_b32 exec_lo, exec_lo, vcc_lo
	s_cbranch_execz .LBB462_95
; %bb.94:
	v_mov_b32_e32 v13, 0
	ds_store_b64 v13, v[15:16] offset:88
.LBB462_95:
	s_or_b32 exec_lo, exec_lo, s2
	s_waitcnt lgkmcnt(1)
	v_cndmask_b32_e64 v16, v29, v23, s1
	v_cmp_ne_u32_e32 vcc_lo, 0, v0
	v_mov_b32_e32 v15, 0
	s_waitcnt lgkmcnt(0)
	s_barrier
	buffer_gl0_inv
	v_cndmask_b32_e32 v16, 0, v16, vcc_lo
	ds_load_b64 v[13:14], v15 offset:88
	v_cndmask_b32_e64 v17, v30, v24, s1
	s_waitcnt lgkmcnt(0)
	s_barrier
	buffer_gl0_inv
	v_cndmask_b32_e32 v17, 0, v17, vcc_lo
	v_add_co_u32 v29, vcc_lo, v13, v16
	s_delay_alu instid0(VALU_DEP_2) | instskip(SKIP_3) | instid1(VALU_DEP_2)
	v_add_co_ci_u32_e32 v30, vcc_lo, v14, v17, vcc_lo
	ds_load_b128 v[13:16], v15 offset:18432
	v_add_co_u32 v27, vcc_lo, v29, v39
	v_add_co_ci_u32_e32 v28, vcc_lo, 0, v30, vcc_lo
	v_add_co_u32 v25, vcc_lo, v27, v38
	s_delay_alu instid0(VALU_DEP_2) | instskip(NEXT) | instid1(VALU_DEP_2)
	v_add_co_ci_u32_e32 v26, vcc_lo, 0, v28, vcc_lo
	v_add_co_u32 v23, vcc_lo, v25, v37
	s_delay_alu instid0(VALU_DEP_2) | instskip(NEXT) | instid1(VALU_DEP_2)
	;; [unrolled: 3-line block ×3, first 2 shown]
	v_add_co_ci_u32_e32 v20, vcc_lo, 0, v24, vcc_lo
	v_add_co_u32 v17, vcc_lo, v19, v36
	s_delay_alu instid0(VALU_DEP_2)
	v_add_co_ci_u32_e32 v18, vcc_lo, 0, v20, vcc_lo
	s_branch .LBB462_124
.LBB462_96:
                                        ; implicit-def: $vgpr17_vgpr18
                                        ; implicit-def: $vgpr19_vgpr20
                                        ; implicit-def: $vgpr23_vgpr24
                                        ; implicit-def: $vgpr25_vgpr26
                                        ; implicit-def: $vgpr27_vgpr28
                                        ; implicit-def: $vgpr29_vgpr30
                                        ; implicit-def: $vgpr15_vgpr16
	s_and_b32 vcc_lo, exec_lo, s1
	s_cbranch_vccz .LBB462_124
; %bb.97:
	s_waitcnt lgkmcnt(0)
	v_dual_mov_b32 v14, 0 :: v_dual_mov_b32 v15, v21
	v_mov_b32_dpp v16, v21 row_shr:1 row_mask:0xf bank_mask:0xf
	s_delay_alu instid0(VALU_DEP_2)
	v_mov_b32_dpp v13, v14 row_shr:1 row_mask:0xf bank_mask:0xf
	s_and_saveexec_b32 s1, s0
; %bb.98:
	s_delay_alu instid0(VALU_DEP_2) | instskip(SKIP_1) | instid1(VALU_DEP_2)
	v_add_co_u32 v15, vcc_lo, v21, v16
	v_add_co_ci_u32_e32 v14, vcc_lo, 0, v22, vcc_lo
	v_add_co_u32 v21, vcc_lo, 0, v15
	s_delay_alu instid0(VALU_DEP_2) | instskip(NEXT) | instid1(VALU_DEP_1)
	v_add_co_ci_u32_e32 v22, vcc_lo, v13, v14, vcc_lo
	v_mov_b32_e32 v14, v22
; %bb.99:
	s_or_b32 exec_lo, exec_lo, s1
	v_mov_b32_dpp v13, v15 row_shr:2 row_mask:0xf bank_mask:0xf
	s_delay_alu instid0(VALU_DEP_2)
	v_mov_b32_dpp v16, v14 row_shr:2 row_mask:0xf bank_mask:0xf
	v_cmp_lt_u32_e32 vcc_lo, 1, v41
	s_and_saveexec_b32 s2, vcc_lo
; %bb.100:
	s_delay_alu instid0(VALU_DEP_3) | instskip(NEXT) | instid1(VALU_DEP_1)
	v_add_co_u32 v15, s1, v21, v13
	v_add_co_ci_u32_e64 v14, s1, 0, v22, s1
	s_delay_alu instid0(VALU_DEP_2) | instskip(NEXT) | instid1(VALU_DEP_1)
	v_add_co_u32 v13, s1, 0, v15
	v_add_co_ci_u32_e64 v14, s1, v16, v14, s1
	s_delay_alu instid0(VALU_DEP_1)
	v_dual_mov_b32 v22, v14 :: v_dual_mov_b32 v21, v13
; %bb.101:
	s_or_b32 exec_lo, exec_lo, s2
	v_mov_b32_dpp v13, v15 row_shr:4 row_mask:0xf bank_mask:0xf
	v_mov_b32_dpp v16, v14 row_shr:4 row_mask:0xf bank_mask:0xf
	v_cmp_lt_u32_e64 s1, 3, v41
	s_delay_alu instid0(VALU_DEP_1)
	s_and_saveexec_b32 s3, s1
; %bb.102:
	s_delay_alu instid0(VALU_DEP_3) | instskip(NEXT) | instid1(VALU_DEP_1)
	v_add_co_u32 v15, s2, v21, v13
	v_add_co_ci_u32_e64 v14, s2, 0, v22, s2
	s_delay_alu instid0(VALU_DEP_2) | instskip(NEXT) | instid1(VALU_DEP_1)
	v_add_co_u32 v13, s2, 0, v15
	v_add_co_ci_u32_e64 v14, s2, v16, v14, s2
	s_delay_alu instid0(VALU_DEP_1)
	v_dual_mov_b32 v22, v14 :: v_dual_mov_b32 v21, v13
; %bb.103:
	s_or_b32 exec_lo, exec_lo, s3
	v_mov_b32_dpp v16, v15 row_shr:8 row_mask:0xf bank_mask:0xf
	v_mov_b32_dpp v13, v14 row_shr:8 row_mask:0xf bank_mask:0xf
	v_cmp_lt_u32_e64 s2, 7, v41
	s_delay_alu instid0(VALU_DEP_1)
	s_and_saveexec_b32 s14, s2
; %bb.104:
	s_delay_alu instid0(VALU_DEP_3) | instskip(NEXT) | instid1(VALU_DEP_1)
	v_add_co_u32 v15, s3, v21, v16
	v_add_co_ci_u32_e64 v14, s3, 0, v22, s3
	s_delay_alu instid0(VALU_DEP_2) | instskip(NEXT) | instid1(VALU_DEP_1)
	v_add_co_u32 v21, s3, 0, v15
	v_add_co_ci_u32_e64 v22, s3, v13, v14, s3
	s_delay_alu instid0(VALU_DEP_1)
	v_mov_b32_e32 v14, v22
; %bb.105:
	s_or_b32 exec_lo, exec_lo, s14
	ds_swizzle_b32 v15, v15 offset:swizzle(BROADCAST,32,15)
	ds_swizzle_b32 v13, v14 offset:swizzle(BROADCAST,32,15)
	v_and_b32_e32 v14, 16, v40
	s_mov_b32 s14, exec_lo
	s_delay_alu instid0(VALU_DEP_1)
	v_cmpx_ne_u32_e32 0, v14
	s_cbranch_execz .LBB462_107
; %bb.106:
	s_waitcnt lgkmcnt(1)
	v_add_co_u32 v14, s3, v21, v15
	s_delay_alu instid0(VALU_DEP_1) | instskip(NEXT) | instid1(VALU_DEP_2)
	v_add_co_ci_u32_e64 v15, s3, 0, v22, s3
	v_add_co_u32 v21, s3, v14, 0
	s_waitcnt lgkmcnt(0)
	s_delay_alu instid0(VALU_DEP_2)
	v_add_co_ci_u32_e64 v22, s3, v15, v13, s3
.LBB462_107:
	s_or_b32 exec_lo, exec_lo, s14
	s_waitcnt lgkmcnt(0)
	v_and_b32_e32 v13, 0x1e0, v0
	v_lshrrev_b32_e32 v15, 5, v0
	s_mov_b32 s14, exec_lo
	s_delay_alu instid0(VALU_DEP_2) | instskip(NEXT) | instid1(VALU_DEP_1)
	v_min_u32_e32 v13, 0x160, v13
	v_or_b32_e32 v13, 31, v13
	s_delay_alu instid0(VALU_DEP_1)
	v_cmpx_eq_u32_e64 v13, v0
	s_cbranch_execz .LBB462_109
; %bb.108:
	v_lshlrev_b32_e32 v13, 3, v15
	ds_store_b64 v13, v[21:22]
.LBB462_109:
	s_or_b32 exec_lo, exec_lo, s14
	s_delay_alu instid0(SALU_CYCLE_1)
	s_mov_b32 s14, exec_lo
	s_waitcnt lgkmcnt(0)
	s_barrier
	buffer_gl0_inv
	v_cmpx_gt_u32_e32 12, v0
	s_cbranch_execz .LBB462_119
; %bb.110:
	v_mad_i32_i24 v13, 0xffffffd8, v0, v35
	ds_load_b64 v[13:14], v13
	s_waitcnt lgkmcnt(0)
	v_mov_b32_dpp v18, v13 row_shr:1 row_mask:0xf bank_mask:0xf
	v_mov_b32_dpp v17, v14 row_shr:1 row_mask:0xf bank_mask:0xf
	v_mov_b32_e32 v16, v13
	s_and_saveexec_b32 s3, s0
; %bb.111:
	s_delay_alu instid0(VALU_DEP_3) | instskip(NEXT) | instid1(VALU_DEP_1)
	v_add_co_u32 v16, s0, v13, v18
	v_add_co_ci_u32_e64 v14, s0, 0, v14, s0
	s_delay_alu instid0(VALU_DEP_2) | instskip(NEXT) | instid1(VALU_DEP_1)
	v_add_co_u32 v13, s0, 0, v16
	v_add_co_ci_u32_e64 v14, s0, v17, v14, s0
; %bb.112:
	s_or_b32 exec_lo, exec_lo, s3
	v_mov_b32_dpp v18, v16 row_shr:2 row_mask:0xf bank_mask:0xf
	s_delay_alu instid0(VALU_DEP_2)
	v_mov_b32_dpp v17, v14 row_shr:2 row_mask:0xf bank_mask:0xf
	s_and_saveexec_b32 s0, vcc_lo
; %bb.113:
	s_delay_alu instid0(VALU_DEP_2) | instskip(SKIP_1) | instid1(VALU_DEP_2)
	v_add_co_u32 v16, vcc_lo, v13, v18
	v_add_co_ci_u32_e32 v14, vcc_lo, 0, v14, vcc_lo
	v_add_co_u32 v13, vcc_lo, 0, v16
	s_delay_alu instid0(VALU_DEP_2)
	v_add_co_ci_u32_e32 v14, vcc_lo, v17, v14, vcc_lo
; %bb.114:
	s_or_b32 exec_lo, exec_lo, s0
	v_mov_b32_dpp v18, v16 row_shr:4 row_mask:0xf bank_mask:0xf
	s_delay_alu instid0(VALU_DEP_2)
	v_mov_b32_dpp v17, v14 row_shr:4 row_mask:0xf bank_mask:0xf
	s_and_saveexec_b32 s0, s1
; %bb.115:
	s_delay_alu instid0(VALU_DEP_2) | instskip(SKIP_1) | instid1(VALU_DEP_2)
	v_add_co_u32 v16, vcc_lo, v13, v18
	v_add_co_ci_u32_e32 v14, vcc_lo, 0, v14, vcc_lo
	v_add_co_u32 v13, vcc_lo, 0, v16
	s_delay_alu instid0(VALU_DEP_2)
	v_add_co_ci_u32_e32 v14, vcc_lo, v17, v14, vcc_lo
; %bb.116:
	s_or_b32 exec_lo, exec_lo, s0
	v_mul_i32_i24_e32 v17, 0xffffffd8, v0
	v_mov_b32_dpp v18, v16 row_shr:8 row_mask:0xf bank_mask:0xf
	s_delay_alu instid0(VALU_DEP_3)
	v_mov_b32_dpp v16, v14 row_shr:8 row_mask:0xf bank_mask:0xf
	s_and_saveexec_b32 s0, s2
; %bb.117:
	s_delay_alu instid0(VALU_DEP_2) | instskip(SKIP_1) | instid1(VALU_DEP_2)
	v_add_co_u32 v13, vcc_lo, v13, v18
	v_add_co_ci_u32_e32 v14, vcc_lo, 0, v14, vcc_lo
	v_add_co_u32 v13, vcc_lo, v13, 0
	s_delay_alu instid0(VALU_DEP_2)
	v_add_co_ci_u32_e32 v14, vcc_lo, v14, v16, vcc_lo
; %bb.118:
	s_or_b32 exec_lo, exec_lo, s0
	v_add_nc_u32_e32 v16, v35, v17
	ds_store_b64 v16, v[13:14]
.LBB462_119:
	s_or_b32 exec_lo, exec_lo, s14
	v_mov_b32_e32 v17, 0
	v_mov_b32_e32 v18, 0
	s_mov_b32 s0, exec_lo
	s_waitcnt lgkmcnt(0)
	s_barrier
	buffer_gl0_inv
	v_cmpx_lt_u32_e32 31, v0
	s_cbranch_execz .LBB462_121
; %bb.120:
	v_lshl_add_u32 v13, v15, 3, -8
	ds_load_b64 v[17:18], v13
.LBB462_121:
	s_or_b32 exec_lo, exec_lo, s0
	v_dual_mov_b32 v16, 0 :: v_dual_add_nc_u32 v13, -1, v40
	s_delay_alu instid0(VALU_DEP_1) | instskip(SKIP_4) | instid1(VALU_DEP_3)
	v_cmp_gt_i32_e32 vcc_lo, 0, v13
	v_cndmask_b32_e32 v13, v13, v40, vcc_lo
	s_waitcnt lgkmcnt(0)
	v_add_co_u32 v14, vcc_lo, v17, v21
	v_add_co_ci_u32_e32 v15, vcc_lo, v18, v22, vcc_lo
	v_lshlrev_b32_e32 v13, 2, v13
	v_cmp_eq_u32_e32 vcc_lo, 0, v0
	ds_bpermute_b32 v19, v13, v14
	ds_bpermute_b32 v20, v13, v15
	ds_load_b64 v[13:14], v16 offset:88
	s_and_saveexec_b32 s0, vcc_lo
	s_cbranch_execz .LBB462_123
; %bb.122:
	s_add_u32 s2, s10, 0x200
	s_addc_u32 s3, s11, 0
	s_delay_alu instid0(SALU_CYCLE_1)
	v_dual_mov_b32 v15, 2 :: v_dual_mov_b32 v22, s3
	v_mov_b32_e32 v21, s2
	s_waitcnt lgkmcnt(0)
	;;#ASMSTART
	global_store_dwordx4 v[21:22], v[13:16] off	
s_waitcnt vmcnt(0)
	;;#ASMEND
.LBB462_123:
	s_or_b32 exec_lo, exec_lo, s0
	v_cmp_eq_u32_e64 s0, 0, v40
	s_waitcnt lgkmcnt(0)
	s_barrier
	buffer_gl0_inv
	v_cndmask_b32_e64 v15, v19, v17, s0
	v_cndmask_b32_e64 v16, v20, v18, s0
	s_delay_alu instid0(VALU_DEP_2) | instskip(NEXT) | instid1(VALU_DEP_2)
	v_cndmask_b32_e64 v29, v15, 0, vcc_lo
	v_cndmask_b32_e64 v30, v16, 0, vcc_lo
	v_mov_b32_e32 v15, 0
	v_mov_b32_e32 v16, 0
	s_delay_alu instid0(VALU_DEP_4) | instskip(NEXT) | instid1(VALU_DEP_4)
	v_add_co_u32 v27, vcc_lo, v29, v39
	v_add_co_ci_u32_e32 v28, vcc_lo, 0, v30, vcc_lo
	s_delay_alu instid0(VALU_DEP_2) | instskip(NEXT) | instid1(VALU_DEP_2)
	v_add_co_u32 v25, vcc_lo, v27, v38
	v_add_co_ci_u32_e32 v26, vcc_lo, 0, v28, vcc_lo
	s_delay_alu instid0(VALU_DEP_2) | instskip(NEXT) | instid1(VALU_DEP_2)
	;; [unrolled: 3-line block ×4, first 2 shown]
	v_add_co_u32 v17, vcc_lo, v19, v36
	v_add_co_ci_u32_e32 v18, vcc_lo, 0, v20, vcc_lo
.LBB462_124:
	s_waitcnt lgkmcnt(0)
	v_cmp_gt_u64_e32 vcc_lo, 0x181, v[13:14]
	v_lshrrev_b32_e32 v36, 8, v33
	v_lshrrev_b32_e32 v35, 16, v33
	s_mov_b32 s0, -1
	s_cbranch_vccnz .LBB462_128
; %bb.125:
	s_and_b32 vcc_lo, exec_lo, s0
	s_cbranch_vccnz .LBB462_147
.LBB462_126:
	v_cmp_eq_u32_e32 vcc_lo, 0, v0
	s_and_b32 s0, vcc_lo, s12
	s_delay_alu instid0(SALU_CYCLE_1)
	s_and_saveexec_b32 s1, s0
	s_cbranch_execnz .LBB462_163
.LBB462_127:
	s_nop 0
	s_sendmsg sendmsg(MSG_DEALLOC_VGPRS)
	s_endpgm
.LBB462_128:
	v_add_co_u32 v21, vcc_lo, v15, v13
	v_add_co_ci_u32_e32 v22, vcc_lo, v16, v14, vcc_lo
	s_lshl_b64 s[0:1], s[6:7], 3
	s_delay_alu instid0(SALU_CYCLE_1) | instskip(NEXT) | instid1(VALU_DEP_1)
	s_add_u32 s0, s8, s0
	v_cmp_lt_u64_e32 vcc_lo, v[29:30], v[21:22]
	s_addc_u32 s1, s9, s1
	s_or_b32 s3, s13, vcc_lo
	s_delay_alu instid0(SALU_CYCLE_1)
	s_and_saveexec_b32 s2, s3
	s_cbranch_execz .LBB462_131
; %bb.129:
	v_and_b32_e32 v37, 1, v33
	s_delay_alu instid0(VALU_DEP_1)
	v_cmp_eq_u32_e32 vcc_lo, 1, v37
	s_and_b32 exec_lo, exec_lo, vcc_lo
	s_cbranch_execz .LBB462_131
; %bb.130:
	v_lshlrev_b64 v[37:38], 3, v[29:30]
	s_delay_alu instid0(VALU_DEP_1) | instskip(NEXT) | instid1(VALU_DEP_2)
	v_add_co_u32 v37, vcc_lo, s0, v37
	v_add_co_ci_u32_e32 v38, vcc_lo, s1, v38, vcc_lo
	global_store_b64 v[37:38], v[9:10], off
.LBB462_131:
	s_or_b32 exec_lo, exec_lo, s2
	v_cmp_lt_u64_e32 vcc_lo, v[27:28], v[21:22]
	s_or_b32 s3, s13, vcc_lo
	s_delay_alu instid0(SALU_CYCLE_1)
	s_and_saveexec_b32 s2, s3
	s_cbranch_execz .LBB462_134
; %bb.132:
	v_and_b32_e32 v30, 1, v36
	s_delay_alu instid0(VALU_DEP_1)
	v_cmp_eq_u32_e32 vcc_lo, 1, v30
	s_and_b32 exec_lo, exec_lo, vcc_lo
	s_cbranch_execz .LBB462_134
; %bb.133:
	v_lshlrev_b64 v[37:38], 3, v[27:28]
	s_delay_alu instid0(VALU_DEP_1) | instskip(NEXT) | instid1(VALU_DEP_2)
	v_add_co_u32 v37, vcc_lo, s0, v37
	v_add_co_ci_u32_e32 v38, vcc_lo, s1, v38, vcc_lo
	global_store_b64 v[37:38], v[11:12], off
.LBB462_134:
	s_or_b32 exec_lo, exec_lo, s2
	v_cmp_lt_u64_e32 vcc_lo, v[25:26], v[21:22]
	;; [unrolled: 19-line block ×5, first 2 shown]
	s_or_b32 s3, s13, vcc_lo
	s_delay_alu instid0(SALU_CYCLE_1)
	s_and_saveexec_b32 s2, s3
	s_cbranch_execz .LBB462_146
; %bb.144:
	v_and_b32_e32 v20, 1, v31
	s_delay_alu instid0(VALU_DEP_1)
	v_cmp_eq_u32_e32 vcc_lo, 1, v20
	s_and_b32 exec_lo, exec_lo, vcc_lo
	s_cbranch_execz .LBB462_146
; %bb.145:
	v_lshlrev_b64 v[20:21], 3, v[17:18]
	s_delay_alu instid0(VALU_DEP_1) | instskip(NEXT) | instid1(VALU_DEP_2)
	v_add_co_u32 v20, vcc_lo, s0, v20
	v_add_co_ci_u32_e32 v21, vcc_lo, s1, v21, vcc_lo
	global_store_b64 v[20:21], v[3:4], off
.LBB462_146:
	s_or_b32 exec_lo, exec_lo, s2
	s_branch .LBB462_126
.LBB462_147:
	v_and_b32_e32 v18, 1, v33
	s_mov_b32 s0, exec_lo
	s_delay_alu instid0(VALU_DEP_1)
	v_cmpx_eq_u32_e32 1, v18
	s_cbranch_execz .LBB462_149
; %bb.148:
	v_sub_nc_u32_e32 v18, v29, v15
	s_delay_alu instid0(VALU_DEP_1)
	v_lshlrev_b32_e32 v18, 3, v18
	ds_store_b64 v18, v[9:10]
.LBB462_149:
	s_or_b32 exec_lo, exec_lo, s0
	v_and_b32_e32 v9, 1, v36
	s_mov_b32 s0, exec_lo
	s_delay_alu instid0(VALU_DEP_1)
	v_cmpx_eq_u32_e32 1, v9
	s_cbranch_execz .LBB462_151
; %bb.150:
	v_sub_nc_u32_e32 v9, v27, v15
	s_delay_alu instid0(VALU_DEP_1)
	v_lshlrev_b32_e32 v9, 3, v9
	ds_store_b64 v9, v[11:12]
.LBB462_151:
	s_or_b32 exec_lo, exec_lo, s0
	;; [unrolled: 12-line block ×6, first 2 shown]
	v_mov_b32_e32 v3, 0
	s_mov_b32 s1, exec_lo
	s_waitcnt lgkmcnt(0)
	s_waitcnt_vscnt null, 0x0
	s_barrier
	buffer_gl0_inv
	v_mov_b32_e32 v1, v3
	s_delay_alu instid0(VALU_DEP_1)
	v_cmpx_gt_u64_e64 v[13:14], v[0:1]
	s_cbranch_execz .LBB462_162
; %bb.160:
	v_lshlrev_b64 v[4:5], 3, v[15:16]
	s_lshl_b64 s[2:3], s[6:7], 3
	v_add_nc_u32_e32 v2, 0x180, v0
	s_delay_alu instid0(VALU_DEP_2) | instskip(NEXT) | instid1(VALU_DEP_3)
	v_add_co_u32 v4, vcc_lo, s8, v4
	v_add_co_ci_u32_e32 v5, vcc_lo, s9, v5, vcc_lo
	s_delay_alu instid0(VALU_DEP_2) | instskip(NEXT) | instid1(VALU_DEP_2)
	v_add_co_u32 v6, vcc_lo, v4, s2
	v_add_co_ci_u32_e32 v7, vcc_lo, s3, v5, vcc_lo
	v_dual_mov_b32 v5, v1 :: v_dual_mov_b32 v4, v0
	s_mov_b32 s2, 0
	.p2align	6
.LBB462_161:                            ; =>This Inner Loop Header: Depth=1
	s_delay_alu instid0(VALU_DEP_1) | instskip(NEXT) | instid1(VALU_DEP_2)
	v_lshlrev_b32_e32 v1, 3, v4
	v_lshlrev_b64 v[10:11], 3, v[4:5]
	v_dual_mov_b32 v5, v3 :: v_dual_mov_b32 v4, v2
	v_cmp_le_u64_e32 vcc_lo, v[13:14], v[2:3]
	v_add_nc_u32_e32 v2, 0x180, v2
	ds_load_b64 v[8:9], v1
	v_add_co_u32 v10, s0, v6, v10
	s_delay_alu instid0(VALU_DEP_1)
	v_add_co_ci_u32_e64 v11, s0, v7, v11, s0
	s_or_b32 s2, vcc_lo, s2
	s_waitcnt lgkmcnt(0)
	global_store_b64 v[10:11], v[8:9], off
	s_and_not1_b32 exec_lo, exec_lo, s2
	s_cbranch_execnz .LBB462_161
.LBB462_162:
	s_or_b32 exec_lo, exec_lo, s1
	v_cmp_eq_u32_e32 vcc_lo, 0, v0
	s_and_b32 s0, vcc_lo, s12
	s_delay_alu instid0(SALU_CYCLE_1)
	s_and_saveexec_b32 s1, s0
	s_cbranch_execz .LBB462_127
.LBB462_163:
	v_add_co_u32 v0, vcc_lo, v15, v13
	v_add_co_ci_u32_e32 v1, vcc_lo, v16, v14, vcc_lo
	v_mov_b32_e32 v2, 0
	s_delay_alu instid0(VALU_DEP_3) | instskip(NEXT) | instid1(VALU_DEP_3)
	v_add_co_u32 v0, vcc_lo, v0, s6
	v_add_co_ci_u32_e32 v1, vcc_lo, s7, v1, vcc_lo
	global_store_b64 v2, v[0:1], s[4:5]
	s_nop 0
	s_sendmsg sendmsg(MSG_DEALLOC_VGPRS)
	s_endpgm
	.section	.rodata,"a",@progbits
	.p2align	6, 0x0
	.amdhsa_kernel _ZN7rocprim17ROCPRIM_400000_NS6detail17trampoline_kernelINS0_14default_configENS1_25partition_config_selectorILNS1_17partition_subalgoE6EyNS0_10empty_typeEbEEZZNS1_14partition_implILS5_6ELb0ES3_mN6thrust23THRUST_200600_302600_NS6detail15normal_iteratorINSA_10device_ptrIyEEEEPS6_SG_NS0_5tupleIJSF_S6_EEENSH_IJSG_SG_EEES6_PlJ5mod_3IyEEEE10hipError_tPvRmT3_T4_T5_T6_T7_T9_mT8_P12ihipStream_tbDpT10_ENKUlT_T0_E_clISt17integral_constantIbLb0EES16_EEDaS11_S12_EUlS11_E_NS1_11comp_targetILNS1_3genE9ELNS1_11target_archE1100ELNS1_3gpuE3ELNS1_3repE0EEENS1_30default_config_static_selectorELNS0_4arch9wavefront6targetE0EEEvT1_
		.amdhsa_group_segment_fixed_size 18448
		.amdhsa_private_segment_fixed_size 0
		.amdhsa_kernarg_size 112
		.amdhsa_user_sgpr_count 15
		.amdhsa_user_sgpr_dispatch_ptr 0
		.amdhsa_user_sgpr_queue_ptr 0
		.amdhsa_user_sgpr_kernarg_segment_ptr 1
		.amdhsa_user_sgpr_dispatch_id 0
		.amdhsa_user_sgpr_private_segment_size 0
		.amdhsa_wavefront_size32 1
		.amdhsa_uses_dynamic_stack 0
		.amdhsa_enable_private_segment 0
		.amdhsa_system_sgpr_workgroup_id_x 1
		.amdhsa_system_sgpr_workgroup_id_y 0
		.amdhsa_system_sgpr_workgroup_id_z 0
		.amdhsa_system_sgpr_workgroup_info 0
		.amdhsa_system_vgpr_workitem_id 0
		.amdhsa_next_free_vgpr 54
		.amdhsa_next_free_sgpr 19
		.amdhsa_reserve_vcc 1
		.amdhsa_float_round_mode_32 0
		.amdhsa_float_round_mode_16_64 0
		.amdhsa_float_denorm_mode_32 3
		.amdhsa_float_denorm_mode_16_64 3
		.amdhsa_dx10_clamp 1
		.amdhsa_ieee_mode 1
		.amdhsa_fp16_overflow 0
		.amdhsa_workgroup_processor_mode 1
		.amdhsa_memory_ordered 1
		.amdhsa_forward_progress 0
		.amdhsa_shared_vgpr_count 0
		.amdhsa_exception_fp_ieee_invalid_op 0
		.amdhsa_exception_fp_denorm_src 0
		.amdhsa_exception_fp_ieee_div_zero 0
		.amdhsa_exception_fp_ieee_overflow 0
		.amdhsa_exception_fp_ieee_underflow 0
		.amdhsa_exception_fp_ieee_inexact 0
		.amdhsa_exception_int_div_zero 0
	.end_amdhsa_kernel
	.section	.text._ZN7rocprim17ROCPRIM_400000_NS6detail17trampoline_kernelINS0_14default_configENS1_25partition_config_selectorILNS1_17partition_subalgoE6EyNS0_10empty_typeEbEEZZNS1_14partition_implILS5_6ELb0ES3_mN6thrust23THRUST_200600_302600_NS6detail15normal_iteratorINSA_10device_ptrIyEEEEPS6_SG_NS0_5tupleIJSF_S6_EEENSH_IJSG_SG_EEES6_PlJ5mod_3IyEEEE10hipError_tPvRmT3_T4_T5_T6_T7_T9_mT8_P12ihipStream_tbDpT10_ENKUlT_T0_E_clISt17integral_constantIbLb0EES16_EEDaS11_S12_EUlS11_E_NS1_11comp_targetILNS1_3genE9ELNS1_11target_archE1100ELNS1_3gpuE3ELNS1_3repE0EEENS1_30default_config_static_selectorELNS0_4arch9wavefront6targetE0EEEvT1_,"axG",@progbits,_ZN7rocprim17ROCPRIM_400000_NS6detail17trampoline_kernelINS0_14default_configENS1_25partition_config_selectorILNS1_17partition_subalgoE6EyNS0_10empty_typeEbEEZZNS1_14partition_implILS5_6ELb0ES3_mN6thrust23THRUST_200600_302600_NS6detail15normal_iteratorINSA_10device_ptrIyEEEEPS6_SG_NS0_5tupleIJSF_S6_EEENSH_IJSG_SG_EEES6_PlJ5mod_3IyEEEE10hipError_tPvRmT3_T4_T5_T6_T7_T9_mT8_P12ihipStream_tbDpT10_ENKUlT_T0_E_clISt17integral_constantIbLb0EES16_EEDaS11_S12_EUlS11_E_NS1_11comp_targetILNS1_3genE9ELNS1_11target_archE1100ELNS1_3gpuE3ELNS1_3repE0EEENS1_30default_config_static_selectorELNS0_4arch9wavefront6targetE0EEEvT1_,comdat
.Lfunc_end462:
	.size	_ZN7rocprim17ROCPRIM_400000_NS6detail17trampoline_kernelINS0_14default_configENS1_25partition_config_selectorILNS1_17partition_subalgoE6EyNS0_10empty_typeEbEEZZNS1_14partition_implILS5_6ELb0ES3_mN6thrust23THRUST_200600_302600_NS6detail15normal_iteratorINSA_10device_ptrIyEEEEPS6_SG_NS0_5tupleIJSF_S6_EEENSH_IJSG_SG_EEES6_PlJ5mod_3IyEEEE10hipError_tPvRmT3_T4_T5_T6_T7_T9_mT8_P12ihipStream_tbDpT10_ENKUlT_T0_E_clISt17integral_constantIbLb0EES16_EEDaS11_S12_EUlS11_E_NS1_11comp_targetILNS1_3genE9ELNS1_11target_archE1100ELNS1_3gpuE3ELNS1_3repE0EEENS1_30default_config_static_selectorELNS0_4arch9wavefront6targetE0EEEvT1_, .Lfunc_end462-_ZN7rocprim17ROCPRIM_400000_NS6detail17trampoline_kernelINS0_14default_configENS1_25partition_config_selectorILNS1_17partition_subalgoE6EyNS0_10empty_typeEbEEZZNS1_14partition_implILS5_6ELb0ES3_mN6thrust23THRUST_200600_302600_NS6detail15normal_iteratorINSA_10device_ptrIyEEEEPS6_SG_NS0_5tupleIJSF_S6_EEENSH_IJSG_SG_EEES6_PlJ5mod_3IyEEEE10hipError_tPvRmT3_T4_T5_T6_T7_T9_mT8_P12ihipStream_tbDpT10_ENKUlT_T0_E_clISt17integral_constantIbLb0EES16_EEDaS11_S12_EUlS11_E_NS1_11comp_targetILNS1_3genE9ELNS1_11target_archE1100ELNS1_3gpuE3ELNS1_3repE0EEENS1_30default_config_static_selectorELNS0_4arch9wavefront6targetE0EEEvT1_
                                        ; -- End function
	.section	.AMDGPU.csdata,"",@progbits
; Kernel info:
; codeLenInByte = 6872
; NumSgprs: 21
; NumVgprs: 54
; ScratchSize: 0
; MemoryBound: 0
; FloatMode: 240
; IeeeMode: 1
; LDSByteSize: 18448 bytes/workgroup (compile time only)
; SGPRBlocks: 2
; VGPRBlocks: 6
; NumSGPRsForWavesPerEU: 21
; NumVGPRsForWavesPerEU: 54
; Occupancy: 15
; WaveLimiterHint : 1
; COMPUTE_PGM_RSRC2:SCRATCH_EN: 0
; COMPUTE_PGM_RSRC2:USER_SGPR: 15
; COMPUTE_PGM_RSRC2:TRAP_HANDLER: 0
; COMPUTE_PGM_RSRC2:TGID_X_EN: 1
; COMPUTE_PGM_RSRC2:TGID_Y_EN: 0
; COMPUTE_PGM_RSRC2:TGID_Z_EN: 0
; COMPUTE_PGM_RSRC2:TIDIG_COMP_CNT: 0
	.section	.text._ZN7rocprim17ROCPRIM_400000_NS6detail17trampoline_kernelINS0_14default_configENS1_25partition_config_selectorILNS1_17partition_subalgoE6EyNS0_10empty_typeEbEEZZNS1_14partition_implILS5_6ELb0ES3_mN6thrust23THRUST_200600_302600_NS6detail15normal_iteratorINSA_10device_ptrIyEEEEPS6_SG_NS0_5tupleIJSF_S6_EEENSH_IJSG_SG_EEES6_PlJ5mod_3IyEEEE10hipError_tPvRmT3_T4_T5_T6_T7_T9_mT8_P12ihipStream_tbDpT10_ENKUlT_T0_E_clISt17integral_constantIbLb0EES16_EEDaS11_S12_EUlS11_E_NS1_11comp_targetILNS1_3genE8ELNS1_11target_archE1030ELNS1_3gpuE2ELNS1_3repE0EEENS1_30default_config_static_selectorELNS0_4arch9wavefront6targetE0EEEvT1_,"axG",@progbits,_ZN7rocprim17ROCPRIM_400000_NS6detail17trampoline_kernelINS0_14default_configENS1_25partition_config_selectorILNS1_17partition_subalgoE6EyNS0_10empty_typeEbEEZZNS1_14partition_implILS5_6ELb0ES3_mN6thrust23THRUST_200600_302600_NS6detail15normal_iteratorINSA_10device_ptrIyEEEEPS6_SG_NS0_5tupleIJSF_S6_EEENSH_IJSG_SG_EEES6_PlJ5mod_3IyEEEE10hipError_tPvRmT3_T4_T5_T6_T7_T9_mT8_P12ihipStream_tbDpT10_ENKUlT_T0_E_clISt17integral_constantIbLb0EES16_EEDaS11_S12_EUlS11_E_NS1_11comp_targetILNS1_3genE8ELNS1_11target_archE1030ELNS1_3gpuE2ELNS1_3repE0EEENS1_30default_config_static_selectorELNS0_4arch9wavefront6targetE0EEEvT1_,comdat
	.protected	_ZN7rocprim17ROCPRIM_400000_NS6detail17trampoline_kernelINS0_14default_configENS1_25partition_config_selectorILNS1_17partition_subalgoE6EyNS0_10empty_typeEbEEZZNS1_14partition_implILS5_6ELb0ES3_mN6thrust23THRUST_200600_302600_NS6detail15normal_iteratorINSA_10device_ptrIyEEEEPS6_SG_NS0_5tupleIJSF_S6_EEENSH_IJSG_SG_EEES6_PlJ5mod_3IyEEEE10hipError_tPvRmT3_T4_T5_T6_T7_T9_mT8_P12ihipStream_tbDpT10_ENKUlT_T0_E_clISt17integral_constantIbLb0EES16_EEDaS11_S12_EUlS11_E_NS1_11comp_targetILNS1_3genE8ELNS1_11target_archE1030ELNS1_3gpuE2ELNS1_3repE0EEENS1_30default_config_static_selectorELNS0_4arch9wavefront6targetE0EEEvT1_ ; -- Begin function _ZN7rocprim17ROCPRIM_400000_NS6detail17trampoline_kernelINS0_14default_configENS1_25partition_config_selectorILNS1_17partition_subalgoE6EyNS0_10empty_typeEbEEZZNS1_14partition_implILS5_6ELb0ES3_mN6thrust23THRUST_200600_302600_NS6detail15normal_iteratorINSA_10device_ptrIyEEEEPS6_SG_NS0_5tupleIJSF_S6_EEENSH_IJSG_SG_EEES6_PlJ5mod_3IyEEEE10hipError_tPvRmT3_T4_T5_T6_T7_T9_mT8_P12ihipStream_tbDpT10_ENKUlT_T0_E_clISt17integral_constantIbLb0EES16_EEDaS11_S12_EUlS11_E_NS1_11comp_targetILNS1_3genE8ELNS1_11target_archE1030ELNS1_3gpuE2ELNS1_3repE0EEENS1_30default_config_static_selectorELNS0_4arch9wavefront6targetE0EEEvT1_
	.globl	_ZN7rocprim17ROCPRIM_400000_NS6detail17trampoline_kernelINS0_14default_configENS1_25partition_config_selectorILNS1_17partition_subalgoE6EyNS0_10empty_typeEbEEZZNS1_14partition_implILS5_6ELb0ES3_mN6thrust23THRUST_200600_302600_NS6detail15normal_iteratorINSA_10device_ptrIyEEEEPS6_SG_NS0_5tupleIJSF_S6_EEENSH_IJSG_SG_EEES6_PlJ5mod_3IyEEEE10hipError_tPvRmT3_T4_T5_T6_T7_T9_mT8_P12ihipStream_tbDpT10_ENKUlT_T0_E_clISt17integral_constantIbLb0EES16_EEDaS11_S12_EUlS11_E_NS1_11comp_targetILNS1_3genE8ELNS1_11target_archE1030ELNS1_3gpuE2ELNS1_3repE0EEENS1_30default_config_static_selectorELNS0_4arch9wavefront6targetE0EEEvT1_
	.p2align	8
	.type	_ZN7rocprim17ROCPRIM_400000_NS6detail17trampoline_kernelINS0_14default_configENS1_25partition_config_selectorILNS1_17partition_subalgoE6EyNS0_10empty_typeEbEEZZNS1_14partition_implILS5_6ELb0ES3_mN6thrust23THRUST_200600_302600_NS6detail15normal_iteratorINSA_10device_ptrIyEEEEPS6_SG_NS0_5tupleIJSF_S6_EEENSH_IJSG_SG_EEES6_PlJ5mod_3IyEEEE10hipError_tPvRmT3_T4_T5_T6_T7_T9_mT8_P12ihipStream_tbDpT10_ENKUlT_T0_E_clISt17integral_constantIbLb0EES16_EEDaS11_S12_EUlS11_E_NS1_11comp_targetILNS1_3genE8ELNS1_11target_archE1030ELNS1_3gpuE2ELNS1_3repE0EEENS1_30default_config_static_selectorELNS0_4arch9wavefront6targetE0EEEvT1_,@function
_ZN7rocprim17ROCPRIM_400000_NS6detail17trampoline_kernelINS0_14default_configENS1_25partition_config_selectorILNS1_17partition_subalgoE6EyNS0_10empty_typeEbEEZZNS1_14partition_implILS5_6ELb0ES3_mN6thrust23THRUST_200600_302600_NS6detail15normal_iteratorINSA_10device_ptrIyEEEEPS6_SG_NS0_5tupleIJSF_S6_EEENSH_IJSG_SG_EEES6_PlJ5mod_3IyEEEE10hipError_tPvRmT3_T4_T5_T6_T7_T9_mT8_P12ihipStream_tbDpT10_ENKUlT_T0_E_clISt17integral_constantIbLb0EES16_EEDaS11_S12_EUlS11_E_NS1_11comp_targetILNS1_3genE8ELNS1_11target_archE1030ELNS1_3gpuE2ELNS1_3repE0EEENS1_30default_config_static_selectorELNS0_4arch9wavefront6targetE0EEEvT1_: ; @_ZN7rocprim17ROCPRIM_400000_NS6detail17trampoline_kernelINS0_14default_configENS1_25partition_config_selectorILNS1_17partition_subalgoE6EyNS0_10empty_typeEbEEZZNS1_14partition_implILS5_6ELb0ES3_mN6thrust23THRUST_200600_302600_NS6detail15normal_iteratorINSA_10device_ptrIyEEEEPS6_SG_NS0_5tupleIJSF_S6_EEENSH_IJSG_SG_EEES6_PlJ5mod_3IyEEEE10hipError_tPvRmT3_T4_T5_T6_T7_T9_mT8_P12ihipStream_tbDpT10_ENKUlT_T0_E_clISt17integral_constantIbLb0EES16_EEDaS11_S12_EUlS11_E_NS1_11comp_targetILNS1_3genE8ELNS1_11target_archE1030ELNS1_3gpuE2ELNS1_3repE0EEENS1_30default_config_static_selectorELNS0_4arch9wavefront6targetE0EEEvT1_
; %bb.0:
	.section	.rodata,"a",@progbits
	.p2align	6, 0x0
	.amdhsa_kernel _ZN7rocprim17ROCPRIM_400000_NS6detail17trampoline_kernelINS0_14default_configENS1_25partition_config_selectorILNS1_17partition_subalgoE6EyNS0_10empty_typeEbEEZZNS1_14partition_implILS5_6ELb0ES3_mN6thrust23THRUST_200600_302600_NS6detail15normal_iteratorINSA_10device_ptrIyEEEEPS6_SG_NS0_5tupleIJSF_S6_EEENSH_IJSG_SG_EEES6_PlJ5mod_3IyEEEE10hipError_tPvRmT3_T4_T5_T6_T7_T9_mT8_P12ihipStream_tbDpT10_ENKUlT_T0_E_clISt17integral_constantIbLb0EES16_EEDaS11_S12_EUlS11_E_NS1_11comp_targetILNS1_3genE8ELNS1_11target_archE1030ELNS1_3gpuE2ELNS1_3repE0EEENS1_30default_config_static_selectorELNS0_4arch9wavefront6targetE0EEEvT1_
		.amdhsa_group_segment_fixed_size 0
		.amdhsa_private_segment_fixed_size 0
		.amdhsa_kernarg_size 112
		.amdhsa_user_sgpr_count 15
		.amdhsa_user_sgpr_dispatch_ptr 0
		.amdhsa_user_sgpr_queue_ptr 0
		.amdhsa_user_sgpr_kernarg_segment_ptr 1
		.amdhsa_user_sgpr_dispatch_id 0
		.amdhsa_user_sgpr_private_segment_size 0
		.amdhsa_wavefront_size32 1
		.amdhsa_uses_dynamic_stack 0
		.amdhsa_enable_private_segment 0
		.amdhsa_system_sgpr_workgroup_id_x 1
		.amdhsa_system_sgpr_workgroup_id_y 0
		.amdhsa_system_sgpr_workgroup_id_z 0
		.amdhsa_system_sgpr_workgroup_info 0
		.amdhsa_system_vgpr_workitem_id 0
		.amdhsa_next_free_vgpr 1
		.amdhsa_next_free_sgpr 1
		.amdhsa_reserve_vcc 0
		.amdhsa_float_round_mode_32 0
		.amdhsa_float_round_mode_16_64 0
		.amdhsa_float_denorm_mode_32 3
		.amdhsa_float_denorm_mode_16_64 3
		.amdhsa_dx10_clamp 1
		.amdhsa_ieee_mode 1
		.amdhsa_fp16_overflow 0
		.amdhsa_workgroup_processor_mode 1
		.amdhsa_memory_ordered 1
		.amdhsa_forward_progress 0
		.amdhsa_shared_vgpr_count 0
		.amdhsa_exception_fp_ieee_invalid_op 0
		.amdhsa_exception_fp_denorm_src 0
		.amdhsa_exception_fp_ieee_div_zero 0
		.amdhsa_exception_fp_ieee_overflow 0
		.amdhsa_exception_fp_ieee_underflow 0
		.amdhsa_exception_fp_ieee_inexact 0
		.amdhsa_exception_int_div_zero 0
	.end_amdhsa_kernel
	.section	.text._ZN7rocprim17ROCPRIM_400000_NS6detail17trampoline_kernelINS0_14default_configENS1_25partition_config_selectorILNS1_17partition_subalgoE6EyNS0_10empty_typeEbEEZZNS1_14partition_implILS5_6ELb0ES3_mN6thrust23THRUST_200600_302600_NS6detail15normal_iteratorINSA_10device_ptrIyEEEEPS6_SG_NS0_5tupleIJSF_S6_EEENSH_IJSG_SG_EEES6_PlJ5mod_3IyEEEE10hipError_tPvRmT3_T4_T5_T6_T7_T9_mT8_P12ihipStream_tbDpT10_ENKUlT_T0_E_clISt17integral_constantIbLb0EES16_EEDaS11_S12_EUlS11_E_NS1_11comp_targetILNS1_3genE8ELNS1_11target_archE1030ELNS1_3gpuE2ELNS1_3repE0EEENS1_30default_config_static_selectorELNS0_4arch9wavefront6targetE0EEEvT1_,"axG",@progbits,_ZN7rocprim17ROCPRIM_400000_NS6detail17trampoline_kernelINS0_14default_configENS1_25partition_config_selectorILNS1_17partition_subalgoE6EyNS0_10empty_typeEbEEZZNS1_14partition_implILS5_6ELb0ES3_mN6thrust23THRUST_200600_302600_NS6detail15normal_iteratorINSA_10device_ptrIyEEEEPS6_SG_NS0_5tupleIJSF_S6_EEENSH_IJSG_SG_EEES6_PlJ5mod_3IyEEEE10hipError_tPvRmT3_T4_T5_T6_T7_T9_mT8_P12ihipStream_tbDpT10_ENKUlT_T0_E_clISt17integral_constantIbLb0EES16_EEDaS11_S12_EUlS11_E_NS1_11comp_targetILNS1_3genE8ELNS1_11target_archE1030ELNS1_3gpuE2ELNS1_3repE0EEENS1_30default_config_static_selectorELNS0_4arch9wavefront6targetE0EEEvT1_,comdat
.Lfunc_end463:
	.size	_ZN7rocprim17ROCPRIM_400000_NS6detail17trampoline_kernelINS0_14default_configENS1_25partition_config_selectorILNS1_17partition_subalgoE6EyNS0_10empty_typeEbEEZZNS1_14partition_implILS5_6ELb0ES3_mN6thrust23THRUST_200600_302600_NS6detail15normal_iteratorINSA_10device_ptrIyEEEEPS6_SG_NS0_5tupleIJSF_S6_EEENSH_IJSG_SG_EEES6_PlJ5mod_3IyEEEE10hipError_tPvRmT3_T4_T5_T6_T7_T9_mT8_P12ihipStream_tbDpT10_ENKUlT_T0_E_clISt17integral_constantIbLb0EES16_EEDaS11_S12_EUlS11_E_NS1_11comp_targetILNS1_3genE8ELNS1_11target_archE1030ELNS1_3gpuE2ELNS1_3repE0EEENS1_30default_config_static_selectorELNS0_4arch9wavefront6targetE0EEEvT1_, .Lfunc_end463-_ZN7rocprim17ROCPRIM_400000_NS6detail17trampoline_kernelINS0_14default_configENS1_25partition_config_selectorILNS1_17partition_subalgoE6EyNS0_10empty_typeEbEEZZNS1_14partition_implILS5_6ELb0ES3_mN6thrust23THRUST_200600_302600_NS6detail15normal_iteratorINSA_10device_ptrIyEEEEPS6_SG_NS0_5tupleIJSF_S6_EEENSH_IJSG_SG_EEES6_PlJ5mod_3IyEEEE10hipError_tPvRmT3_T4_T5_T6_T7_T9_mT8_P12ihipStream_tbDpT10_ENKUlT_T0_E_clISt17integral_constantIbLb0EES16_EEDaS11_S12_EUlS11_E_NS1_11comp_targetILNS1_3genE8ELNS1_11target_archE1030ELNS1_3gpuE2ELNS1_3repE0EEENS1_30default_config_static_selectorELNS0_4arch9wavefront6targetE0EEEvT1_
                                        ; -- End function
	.section	.AMDGPU.csdata,"",@progbits
; Kernel info:
; codeLenInByte = 0
; NumSgprs: 0
; NumVgprs: 0
; ScratchSize: 0
; MemoryBound: 0
; FloatMode: 240
; IeeeMode: 1
; LDSByteSize: 0 bytes/workgroup (compile time only)
; SGPRBlocks: 0
; VGPRBlocks: 0
; NumSGPRsForWavesPerEU: 1
; NumVGPRsForWavesPerEU: 1
; Occupancy: 16
; WaveLimiterHint : 0
; COMPUTE_PGM_RSRC2:SCRATCH_EN: 0
; COMPUTE_PGM_RSRC2:USER_SGPR: 15
; COMPUTE_PGM_RSRC2:TRAP_HANDLER: 0
; COMPUTE_PGM_RSRC2:TGID_X_EN: 1
; COMPUTE_PGM_RSRC2:TGID_Y_EN: 0
; COMPUTE_PGM_RSRC2:TGID_Z_EN: 0
; COMPUTE_PGM_RSRC2:TIDIG_COMP_CNT: 0
	.section	.text._ZN7rocprim17ROCPRIM_400000_NS6detail17trampoline_kernelINS0_14default_configENS1_25partition_config_selectorILNS1_17partition_subalgoE6EyNS0_10empty_typeEbEEZZNS1_14partition_implILS5_6ELb0ES3_mN6thrust23THRUST_200600_302600_NS6detail15normal_iteratorINSA_10device_ptrIyEEEEPS6_SG_NS0_5tupleIJSF_S6_EEENSH_IJSG_SG_EEES6_PlJ5mod_3IyEEEE10hipError_tPvRmT3_T4_T5_T6_T7_T9_mT8_P12ihipStream_tbDpT10_ENKUlT_T0_E_clISt17integral_constantIbLb1EES16_EEDaS11_S12_EUlS11_E_NS1_11comp_targetILNS1_3genE0ELNS1_11target_archE4294967295ELNS1_3gpuE0ELNS1_3repE0EEENS1_30default_config_static_selectorELNS0_4arch9wavefront6targetE0EEEvT1_,"axG",@progbits,_ZN7rocprim17ROCPRIM_400000_NS6detail17trampoline_kernelINS0_14default_configENS1_25partition_config_selectorILNS1_17partition_subalgoE6EyNS0_10empty_typeEbEEZZNS1_14partition_implILS5_6ELb0ES3_mN6thrust23THRUST_200600_302600_NS6detail15normal_iteratorINSA_10device_ptrIyEEEEPS6_SG_NS0_5tupleIJSF_S6_EEENSH_IJSG_SG_EEES6_PlJ5mod_3IyEEEE10hipError_tPvRmT3_T4_T5_T6_T7_T9_mT8_P12ihipStream_tbDpT10_ENKUlT_T0_E_clISt17integral_constantIbLb1EES16_EEDaS11_S12_EUlS11_E_NS1_11comp_targetILNS1_3genE0ELNS1_11target_archE4294967295ELNS1_3gpuE0ELNS1_3repE0EEENS1_30default_config_static_selectorELNS0_4arch9wavefront6targetE0EEEvT1_,comdat
	.protected	_ZN7rocprim17ROCPRIM_400000_NS6detail17trampoline_kernelINS0_14default_configENS1_25partition_config_selectorILNS1_17partition_subalgoE6EyNS0_10empty_typeEbEEZZNS1_14partition_implILS5_6ELb0ES3_mN6thrust23THRUST_200600_302600_NS6detail15normal_iteratorINSA_10device_ptrIyEEEEPS6_SG_NS0_5tupleIJSF_S6_EEENSH_IJSG_SG_EEES6_PlJ5mod_3IyEEEE10hipError_tPvRmT3_T4_T5_T6_T7_T9_mT8_P12ihipStream_tbDpT10_ENKUlT_T0_E_clISt17integral_constantIbLb1EES16_EEDaS11_S12_EUlS11_E_NS1_11comp_targetILNS1_3genE0ELNS1_11target_archE4294967295ELNS1_3gpuE0ELNS1_3repE0EEENS1_30default_config_static_selectorELNS0_4arch9wavefront6targetE0EEEvT1_ ; -- Begin function _ZN7rocprim17ROCPRIM_400000_NS6detail17trampoline_kernelINS0_14default_configENS1_25partition_config_selectorILNS1_17partition_subalgoE6EyNS0_10empty_typeEbEEZZNS1_14partition_implILS5_6ELb0ES3_mN6thrust23THRUST_200600_302600_NS6detail15normal_iteratorINSA_10device_ptrIyEEEEPS6_SG_NS0_5tupleIJSF_S6_EEENSH_IJSG_SG_EEES6_PlJ5mod_3IyEEEE10hipError_tPvRmT3_T4_T5_T6_T7_T9_mT8_P12ihipStream_tbDpT10_ENKUlT_T0_E_clISt17integral_constantIbLb1EES16_EEDaS11_S12_EUlS11_E_NS1_11comp_targetILNS1_3genE0ELNS1_11target_archE4294967295ELNS1_3gpuE0ELNS1_3repE0EEENS1_30default_config_static_selectorELNS0_4arch9wavefront6targetE0EEEvT1_
	.globl	_ZN7rocprim17ROCPRIM_400000_NS6detail17trampoline_kernelINS0_14default_configENS1_25partition_config_selectorILNS1_17partition_subalgoE6EyNS0_10empty_typeEbEEZZNS1_14partition_implILS5_6ELb0ES3_mN6thrust23THRUST_200600_302600_NS6detail15normal_iteratorINSA_10device_ptrIyEEEEPS6_SG_NS0_5tupleIJSF_S6_EEENSH_IJSG_SG_EEES6_PlJ5mod_3IyEEEE10hipError_tPvRmT3_T4_T5_T6_T7_T9_mT8_P12ihipStream_tbDpT10_ENKUlT_T0_E_clISt17integral_constantIbLb1EES16_EEDaS11_S12_EUlS11_E_NS1_11comp_targetILNS1_3genE0ELNS1_11target_archE4294967295ELNS1_3gpuE0ELNS1_3repE0EEENS1_30default_config_static_selectorELNS0_4arch9wavefront6targetE0EEEvT1_
	.p2align	8
	.type	_ZN7rocprim17ROCPRIM_400000_NS6detail17trampoline_kernelINS0_14default_configENS1_25partition_config_selectorILNS1_17partition_subalgoE6EyNS0_10empty_typeEbEEZZNS1_14partition_implILS5_6ELb0ES3_mN6thrust23THRUST_200600_302600_NS6detail15normal_iteratorINSA_10device_ptrIyEEEEPS6_SG_NS0_5tupleIJSF_S6_EEENSH_IJSG_SG_EEES6_PlJ5mod_3IyEEEE10hipError_tPvRmT3_T4_T5_T6_T7_T9_mT8_P12ihipStream_tbDpT10_ENKUlT_T0_E_clISt17integral_constantIbLb1EES16_EEDaS11_S12_EUlS11_E_NS1_11comp_targetILNS1_3genE0ELNS1_11target_archE4294967295ELNS1_3gpuE0ELNS1_3repE0EEENS1_30default_config_static_selectorELNS0_4arch9wavefront6targetE0EEEvT1_,@function
_ZN7rocprim17ROCPRIM_400000_NS6detail17trampoline_kernelINS0_14default_configENS1_25partition_config_selectorILNS1_17partition_subalgoE6EyNS0_10empty_typeEbEEZZNS1_14partition_implILS5_6ELb0ES3_mN6thrust23THRUST_200600_302600_NS6detail15normal_iteratorINSA_10device_ptrIyEEEEPS6_SG_NS0_5tupleIJSF_S6_EEENSH_IJSG_SG_EEES6_PlJ5mod_3IyEEEE10hipError_tPvRmT3_T4_T5_T6_T7_T9_mT8_P12ihipStream_tbDpT10_ENKUlT_T0_E_clISt17integral_constantIbLb1EES16_EEDaS11_S12_EUlS11_E_NS1_11comp_targetILNS1_3genE0ELNS1_11target_archE4294967295ELNS1_3gpuE0ELNS1_3repE0EEENS1_30default_config_static_selectorELNS0_4arch9wavefront6targetE0EEEvT1_: ; @_ZN7rocprim17ROCPRIM_400000_NS6detail17trampoline_kernelINS0_14default_configENS1_25partition_config_selectorILNS1_17partition_subalgoE6EyNS0_10empty_typeEbEEZZNS1_14partition_implILS5_6ELb0ES3_mN6thrust23THRUST_200600_302600_NS6detail15normal_iteratorINSA_10device_ptrIyEEEEPS6_SG_NS0_5tupleIJSF_S6_EEENSH_IJSG_SG_EEES6_PlJ5mod_3IyEEEE10hipError_tPvRmT3_T4_T5_T6_T7_T9_mT8_P12ihipStream_tbDpT10_ENKUlT_T0_E_clISt17integral_constantIbLb1EES16_EEDaS11_S12_EUlS11_E_NS1_11comp_targetILNS1_3genE0ELNS1_11target_archE4294967295ELNS1_3gpuE0ELNS1_3repE0EEENS1_30default_config_static_selectorELNS0_4arch9wavefront6targetE0EEEvT1_
; %bb.0:
	.section	.rodata,"a",@progbits
	.p2align	6, 0x0
	.amdhsa_kernel _ZN7rocprim17ROCPRIM_400000_NS6detail17trampoline_kernelINS0_14default_configENS1_25partition_config_selectorILNS1_17partition_subalgoE6EyNS0_10empty_typeEbEEZZNS1_14partition_implILS5_6ELb0ES3_mN6thrust23THRUST_200600_302600_NS6detail15normal_iteratorINSA_10device_ptrIyEEEEPS6_SG_NS0_5tupleIJSF_S6_EEENSH_IJSG_SG_EEES6_PlJ5mod_3IyEEEE10hipError_tPvRmT3_T4_T5_T6_T7_T9_mT8_P12ihipStream_tbDpT10_ENKUlT_T0_E_clISt17integral_constantIbLb1EES16_EEDaS11_S12_EUlS11_E_NS1_11comp_targetILNS1_3genE0ELNS1_11target_archE4294967295ELNS1_3gpuE0ELNS1_3repE0EEENS1_30default_config_static_selectorELNS0_4arch9wavefront6targetE0EEEvT1_
		.amdhsa_group_segment_fixed_size 0
		.amdhsa_private_segment_fixed_size 0
		.amdhsa_kernarg_size 128
		.amdhsa_user_sgpr_count 15
		.amdhsa_user_sgpr_dispatch_ptr 0
		.amdhsa_user_sgpr_queue_ptr 0
		.amdhsa_user_sgpr_kernarg_segment_ptr 1
		.amdhsa_user_sgpr_dispatch_id 0
		.amdhsa_user_sgpr_private_segment_size 0
		.amdhsa_wavefront_size32 1
		.amdhsa_uses_dynamic_stack 0
		.amdhsa_enable_private_segment 0
		.amdhsa_system_sgpr_workgroup_id_x 1
		.amdhsa_system_sgpr_workgroup_id_y 0
		.amdhsa_system_sgpr_workgroup_id_z 0
		.amdhsa_system_sgpr_workgroup_info 0
		.amdhsa_system_vgpr_workitem_id 0
		.amdhsa_next_free_vgpr 1
		.amdhsa_next_free_sgpr 1
		.amdhsa_reserve_vcc 0
		.amdhsa_float_round_mode_32 0
		.amdhsa_float_round_mode_16_64 0
		.amdhsa_float_denorm_mode_32 3
		.amdhsa_float_denorm_mode_16_64 3
		.amdhsa_dx10_clamp 1
		.amdhsa_ieee_mode 1
		.amdhsa_fp16_overflow 0
		.amdhsa_workgroup_processor_mode 1
		.amdhsa_memory_ordered 1
		.amdhsa_forward_progress 0
		.amdhsa_shared_vgpr_count 0
		.amdhsa_exception_fp_ieee_invalid_op 0
		.amdhsa_exception_fp_denorm_src 0
		.amdhsa_exception_fp_ieee_div_zero 0
		.amdhsa_exception_fp_ieee_overflow 0
		.amdhsa_exception_fp_ieee_underflow 0
		.amdhsa_exception_fp_ieee_inexact 0
		.amdhsa_exception_int_div_zero 0
	.end_amdhsa_kernel
	.section	.text._ZN7rocprim17ROCPRIM_400000_NS6detail17trampoline_kernelINS0_14default_configENS1_25partition_config_selectorILNS1_17partition_subalgoE6EyNS0_10empty_typeEbEEZZNS1_14partition_implILS5_6ELb0ES3_mN6thrust23THRUST_200600_302600_NS6detail15normal_iteratorINSA_10device_ptrIyEEEEPS6_SG_NS0_5tupleIJSF_S6_EEENSH_IJSG_SG_EEES6_PlJ5mod_3IyEEEE10hipError_tPvRmT3_T4_T5_T6_T7_T9_mT8_P12ihipStream_tbDpT10_ENKUlT_T0_E_clISt17integral_constantIbLb1EES16_EEDaS11_S12_EUlS11_E_NS1_11comp_targetILNS1_3genE0ELNS1_11target_archE4294967295ELNS1_3gpuE0ELNS1_3repE0EEENS1_30default_config_static_selectorELNS0_4arch9wavefront6targetE0EEEvT1_,"axG",@progbits,_ZN7rocprim17ROCPRIM_400000_NS6detail17trampoline_kernelINS0_14default_configENS1_25partition_config_selectorILNS1_17partition_subalgoE6EyNS0_10empty_typeEbEEZZNS1_14partition_implILS5_6ELb0ES3_mN6thrust23THRUST_200600_302600_NS6detail15normal_iteratorINSA_10device_ptrIyEEEEPS6_SG_NS0_5tupleIJSF_S6_EEENSH_IJSG_SG_EEES6_PlJ5mod_3IyEEEE10hipError_tPvRmT3_T4_T5_T6_T7_T9_mT8_P12ihipStream_tbDpT10_ENKUlT_T0_E_clISt17integral_constantIbLb1EES16_EEDaS11_S12_EUlS11_E_NS1_11comp_targetILNS1_3genE0ELNS1_11target_archE4294967295ELNS1_3gpuE0ELNS1_3repE0EEENS1_30default_config_static_selectorELNS0_4arch9wavefront6targetE0EEEvT1_,comdat
.Lfunc_end464:
	.size	_ZN7rocprim17ROCPRIM_400000_NS6detail17trampoline_kernelINS0_14default_configENS1_25partition_config_selectorILNS1_17partition_subalgoE6EyNS0_10empty_typeEbEEZZNS1_14partition_implILS5_6ELb0ES3_mN6thrust23THRUST_200600_302600_NS6detail15normal_iteratorINSA_10device_ptrIyEEEEPS6_SG_NS0_5tupleIJSF_S6_EEENSH_IJSG_SG_EEES6_PlJ5mod_3IyEEEE10hipError_tPvRmT3_T4_T5_T6_T7_T9_mT8_P12ihipStream_tbDpT10_ENKUlT_T0_E_clISt17integral_constantIbLb1EES16_EEDaS11_S12_EUlS11_E_NS1_11comp_targetILNS1_3genE0ELNS1_11target_archE4294967295ELNS1_3gpuE0ELNS1_3repE0EEENS1_30default_config_static_selectorELNS0_4arch9wavefront6targetE0EEEvT1_, .Lfunc_end464-_ZN7rocprim17ROCPRIM_400000_NS6detail17trampoline_kernelINS0_14default_configENS1_25partition_config_selectorILNS1_17partition_subalgoE6EyNS0_10empty_typeEbEEZZNS1_14partition_implILS5_6ELb0ES3_mN6thrust23THRUST_200600_302600_NS6detail15normal_iteratorINSA_10device_ptrIyEEEEPS6_SG_NS0_5tupleIJSF_S6_EEENSH_IJSG_SG_EEES6_PlJ5mod_3IyEEEE10hipError_tPvRmT3_T4_T5_T6_T7_T9_mT8_P12ihipStream_tbDpT10_ENKUlT_T0_E_clISt17integral_constantIbLb1EES16_EEDaS11_S12_EUlS11_E_NS1_11comp_targetILNS1_3genE0ELNS1_11target_archE4294967295ELNS1_3gpuE0ELNS1_3repE0EEENS1_30default_config_static_selectorELNS0_4arch9wavefront6targetE0EEEvT1_
                                        ; -- End function
	.section	.AMDGPU.csdata,"",@progbits
; Kernel info:
; codeLenInByte = 0
; NumSgprs: 0
; NumVgprs: 0
; ScratchSize: 0
; MemoryBound: 0
; FloatMode: 240
; IeeeMode: 1
; LDSByteSize: 0 bytes/workgroup (compile time only)
; SGPRBlocks: 0
; VGPRBlocks: 0
; NumSGPRsForWavesPerEU: 1
; NumVGPRsForWavesPerEU: 1
; Occupancy: 16
; WaveLimiterHint : 0
; COMPUTE_PGM_RSRC2:SCRATCH_EN: 0
; COMPUTE_PGM_RSRC2:USER_SGPR: 15
; COMPUTE_PGM_RSRC2:TRAP_HANDLER: 0
; COMPUTE_PGM_RSRC2:TGID_X_EN: 1
; COMPUTE_PGM_RSRC2:TGID_Y_EN: 0
; COMPUTE_PGM_RSRC2:TGID_Z_EN: 0
; COMPUTE_PGM_RSRC2:TIDIG_COMP_CNT: 0
	.section	.text._ZN7rocprim17ROCPRIM_400000_NS6detail17trampoline_kernelINS0_14default_configENS1_25partition_config_selectorILNS1_17partition_subalgoE6EyNS0_10empty_typeEbEEZZNS1_14partition_implILS5_6ELb0ES3_mN6thrust23THRUST_200600_302600_NS6detail15normal_iteratorINSA_10device_ptrIyEEEEPS6_SG_NS0_5tupleIJSF_S6_EEENSH_IJSG_SG_EEES6_PlJ5mod_3IyEEEE10hipError_tPvRmT3_T4_T5_T6_T7_T9_mT8_P12ihipStream_tbDpT10_ENKUlT_T0_E_clISt17integral_constantIbLb1EES16_EEDaS11_S12_EUlS11_E_NS1_11comp_targetILNS1_3genE5ELNS1_11target_archE942ELNS1_3gpuE9ELNS1_3repE0EEENS1_30default_config_static_selectorELNS0_4arch9wavefront6targetE0EEEvT1_,"axG",@progbits,_ZN7rocprim17ROCPRIM_400000_NS6detail17trampoline_kernelINS0_14default_configENS1_25partition_config_selectorILNS1_17partition_subalgoE6EyNS0_10empty_typeEbEEZZNS1_14partition_implILS5_6ELb0ES3_mN6thrust23THRUST_200600_302600_NS6detail15normal_iteratorINSA_10device_ptrIyEEEEPS6_SG_NS0_5tupleIJSF_S6_EEENSH_IJSG_SG_EEES6_PlJ5mod_3IyEEEE10hipError_tPvRmT3_T4_T5_T6_T7_T9_mT8_P12ihipStream_tbDpT10_ENKUlT_T0_E_clISt17integral_constantIbLb1EES16_EEDaS11_S12_EUlS11_E_NS1_11comp_targetILNS1_3genE5ELNS1_11target_archE942ELNS1_3gpuE9ELNS1_3repE0EEENS1_30default_config_static_selectorELNS0_4arch9wavefront6targetE0EEEvT1_,comdat
	.protected	_ZN7rocprim17ROCPRIM_400000_NS6detail17trampoline_kernelINS0_14default_configENS1_25partition_config_selectorILNS1_17partition_subalgoE6EyNS0_10empty_typeEbEEZZNS1_14partition_implILS5_6ELb0ES3_mN6thrust23THRUST_200600_302600_NS6detail15normal_iteratorINSA_10device_ptrIyEEEEPS6_SG_NS0_5tupleIJSF_S6_EEENSH_IJSG_SG_EEES6_PlJ5mod_3IyEEEE10hipError_tPvRmT3_T4_T5_T6_T7_T9_mT8_P12ihipStream_tbDpT10_ENKUlT_T0_E_clISt17integral_constantIbLb1EES16_EEDaS11_S12_EUlS11_E_NS1_11comp_targetILNS1_3genE5ELNS1_11target_archE942ELNS1_3gpuE9ELNS1_3repE0EEENS1_30default_config_static_selectorELNS0_4arch9wavefront6targetE0EEEvT1_ ; -- Begin function _ZN7rocprim17ROCPRIM_400000_NS6detail17trampoline_kernelINS0_14default_configENS1_25partition_config_selectorILNS1_17partition_subalgoE6EyNS0_10empty_typeEbEEZZNS1_14partition_implILS5_6ELb0ES3_mN6thrust23THRUST_200600_302600_NS6detail15normal_iteratorINSA_10device_ptrIyEEEEPS6_SG_NS0_5tupleIJSF_S6_EEENSH_IJSG_SG_EEES6_PlJ5mod_3IyEEEE10hipError_tPvRmT3_T4_T5_T6_T7_T9_mT8_P12ihipStream_tbDpT10_ENKUlT_T0_E_clISt17integral_constantIbLb1EES16_EEDaS11_S12_EUlS11_E_NS1_11comp_targetILNS1_3genE5ELNS1_11target_archE942ELNS1_3gpuE9ELNS1_3repE0EEENS1_30default_config_static_selectorELNS0_4arch9wavefront6targetE0EEEvT1_
	.globl	_ZN7rocprim17ROCPRIM_400000_NS6detail17trampoline_kernelINS0_14default_configENS1_25partition_config_selectorILNS1_17partition_subalgoE6EyNS0_10empty_typeEbEEZZNS1_14partition_implILS5_6ELb0ES3_mN6thrust23THRUST_200600_302600_NS6detail15normal_iteratorINSA_10device_ptrIyEEEEPS6_SG_NS0_5tupleIJSF_S6_EEENSH_IJSG_SG_EEES6_PlJ5mod_3IyEEEE10hipError_tPvRmT3_T4_T5_T6_T7_T9_mT8_P12ihipStream_tbDpT10_ENKUlT_T0_E_clISt17integral_constantIbLb1EES16_EEDaS11_S12_EUlS11_E_NS1_11comp_targetILNS1_3genE5ELNS1_11target_archE942ELNS1_3gpuE9ELNS1_3repE0EEENS1_30default_config_static_selectorELNS0_4arch9wavefront6targetE0EEEvT1_
	.p2align	8
	.type	_ZN7rocprim17ROCPRIM_400000_NS6detail17trampoline_kernelINS0_14default_configENS1_25partition_config_selectorILNS1_17partition_subalgoE6EyNS0_10empty_typeEbEEZZNS1_14partition_implILS5_6ELb0ES3_mN6thrust23THRUST_200600_302600_NS6detail15normal_iteratorINSA_10device_ptrIyEEEEPS6_SG_NS0_5tupleIJSF_S6_EEENSH_IJSG_SG_EEES6_PlJ5mod_3IyEEEE10hipError_tPvRmT3_T4_T5_T6_T7_T9_mT8_P12ihipStream_tbDpT10_ENKUlT_T0_E_clISt17integral_constantIbLb1EES16_EEDaS11_S12_EUlS11_E_NS1_11comp_targetILNS1_3genE5ELNS1_11target_archE942ELNS1_3gpuE9ELNS1_3repE0EEENS1_30default_config_static_selectorELNS0_4arch9wavefront6targetE0EEEvT1_,@function
_ZN7rocprim17ROCPRIM_400000_NS6detail17trampoline_kernelINS0_14default_configENS1_25partition_config_selectorILNS1_17partition_subalgoE6EyNS0_10empty_typeEbEEZZNS1_14partition_implILS5_6ELb0ES3_mN6thrust23THRUST_200600_302600_NS6detail15normal_iteratorINSA_10device_ptrIyEEEEPS6_SG_NS0_5tupleIJSF_S6_EEENSH_IJSG_SG_EEES6_PlJ5mod_3IyEEEE10hipError_tPvRmT3_T4_T5_T6_T7_T9_mT8_P12ihipStream_tbDpT10_ENKUlT_T0_E_clISt17integral_constantIbLb1EES16_EEDaS11_S12_EUlS11_E_NS1_11comp_targetILNS1_3genE5ELNS1_11target_archE942ELNS1_3gpuE9ELNS1_3repE0EEENS1_30default_config_static_selectorELNS0_4arch9wavefront6targetE0EEEvT1_: ; @_ZN7rocprim17ROCPRIM_400000_NS6detail17trampoline_kernelINS0_14default_configENS1_25partition_config_selectorILNS1_17partition_subalgoE6EyNS0_10empty_typeEbEEZZNS1_14partition_implILS5_6ELb0ES3_mN6thrust23THRUST_200600_302600_NS6detail15normal_iteratorINSA_10device_ptrIyEEEEPS6_SG_NS0_5tupleIJSF_S6_EEENSH_IJSG_SG_EEES6_PlJ5mod_3IyEEEE10hipError_tPvRmT3_T4_T5_T6_T7_T9_mT8_P12ihipStream_tbDpT10_ENKUlT_T0_E_clISt17integral_constantIbLb1EES16_EEDaS11_S12_EUlS11_E_NS1_11comp_targetILNS1_3genE5ELNS1_11target_archE942ELNS1_3gpuE9ELNS1_3repE0EEENS1_30default_config_static_selectorELNS0_4arch9wavefront6targetE0EEEvT1_
; %bb.0:
	.section	.rodata,"a",@progbits
	.p2align	6, 0x0
	.amdhsa_kernel _ZN7rocprim17ROCPRIM_400000_NS6detail17trampoline_kernelINS0_14default_configENS1_25partition_config_selectorILNS1_17partition_subalgoE6EyNS0_10empty_typeEbEEZZNS1_14partition_implILS5_6ELb0ES3_mN6thrust23THRUST_200600_302600_NS6detail15normal_iteratorINSA_10device_ptrIyEEEEPS6_SG_NS0_5tupleIJSF_S6_EEENSH_IJSG_SG_EEES6_PlJ5mod_3IyEEEE10hipError_tPvRmT3_T4_T5_T6_T7_T9_mT8_P12ihipStream_tbDpT10_ENKUlT_T0_E_clISt17integral_constantIbLb1EES16_EEDaS11_S12_EUlS11_E_NS1_11comp_targetILNS1_3genE5ELNS1_11target_archE942ELNS1_3gpuE9ELNS1_3repE0EEENS1_30default_config_static_selectorELNS0_4arch9wavefront6targetE0EEEvT1_
		.amdhsa_group_segment_fixed_size 0
		.amdhsa_private_segment_fixed_size 0
		.amdhsa_kernarg_size 128
		.amdhsa_user_sgpr_count 15
		.amdhsa_user_sgpr_dispatch_ptr 0
		.amdhsa_user_sgpr_queue_ptr 0
		.amdhsa_user_sgpr_kernarg_segment_ptr 1
		.amdhsa_user_sgpr_dispatch_id 0
		.amdhsa_user_sgpr_private_segment_size 0
		.amdhsa_wavefront_size32 1
		.amdhsa_uses_dynamic_stack 0
		.amdhsa_enable_private_segment 0
		.amdhsa_system_sgpr_workgroup_id_x 1
		.amdhsa_system_sgpr_workgroup_id_y 0
		.amdhsa_system_sgpr_workgroup_id_z 0
		.amdhsa_system_sgpr_workgroup_info 0
		.amdhsa_system_vgpr_workitem_id 0
		.amdhsa_next_free_vgpr 1
		.amdhsa_next_free_sgpr 1
		.amdhsa_reserve_vcc 0
		.amdhsa_float_round_mode_32 0
		.amdhsa_float_round_mode_16_64 0
		.amdhsa_float_denorm_mode_32 3
		.amdhsa_float_denorm_mode_16_64 3
		.amdhsa_dx10_clamp 1
		.amdhsa_ieee_mode 1
		.amdhsa_fp16_overflow 0
		.amdhsa_workgroup_processor_mode 1
		.amdhsa_memory_ordered 1
		.amdhsa_forward_progress 0
		.amdhsa_shared_vgpr_count 0
		.amdhsa_exception_fp_ieee_invalid_op 0
		.amdhsa_exception_fp_denorm_src 0
		.amdhsa_exception_fp_ieee_div_zero 0
		.amdhsa_exception_fp_ieee_overflow 0
		.amdhsa_exception_fp_ieee_underflow 0
		.amdhsa_exception_fp_ieee_inexact 0
		.amdhsa_exception_int_div_zero 0
	.end_amdhsa_kernel
	.section	.text._ZN7rocprim17ROCPRIM_400000_NS6detail17trampoline_kernelINS0_14default_configENS1_25partition_config_selectorILNS1_17partition_subalgoE6EyNS0_10empty_typeEbEEZZNS1_14partition_implILS5_6ELb0ES3_mN6thrust23THRUST_200600_302600_NS6detail15normal_iteratorINSA_10device_ptrIyEEEEPS6_SG_NS0_5tupleIJSF_S6_EEENSH_IJSG_SG_EEES6_PlJ5mod_3IyEEEE10hipError_tPvRmT3_T4_T5_T6_T7_T9_mT8_P12ihipStream_tbDpT10_ENKUlT_T0_E_clISt17integral_constantIbLb1EES16_EEDaS11_S12_EUlS11_E_NS1_11comp_targetILNS1_3genE5ELNS1_11target_archE942ELNS1_3gpuE9ELNS1_3repE0EEENS1_30default_config_static_selectorELNS0_4arch9wavefront6targetE0EEEvT1_,"axG",@progbits,_ZN7rocprim17ROCPRIM_400000_NS6detail17trampoline_kernelINS0_14default_configENS1_25partition_config_selectorILNS1_17partition_subalgoE6EyNS0_10empty_typeEbEEZZNS1_14partition_implILS5_6ELb0ES3_mN6thrust23THRUST_200600_302600_NS6detail15normal_iteratorINSA_10device_ptrIyEEEEPS6_SG_NS0_5tupleIJSF_S6_EEENSH_IJSG_SG_EEES6_PlJ5mod_3IyEEEE10hipError_tPvRmT3_T4_T5_T6_T7_T9_mT8_P12ihipStream_tbDpT10_ENKUlT_T0_E_clISt17integral_constantIbLb1EES16_EEDaS11_S12_EUlS11_E_NS1_11comp_targetILNS1_3genE5ELNS1_11target_archE942ELNS1_3gpuE9ELNS1_3repE0EEENS1_30default_config_static_selectorELNS0_4arch9wavefront6targetE0EEEvT1_,comdat
.Lfunc_end465:
	.size	_ZN7rocprim17ROCPRIM_400000_NS6detail17trampoline_kernelINS0_14default_configENS1_25partition_config_selectorILNS1_17partition_subalgoE6EyNS0_10empty_typeEbEEZZNS1_14partition_implILS5_6ELb0ES3_mN6thrust23THRUST_200600_302600_NS6detail15normal_iteratorINSA_10device_ptrIyEEEEPS6_SG_NS0_5tupleIJSF_S6_EEENSH_IJSG_SG_EEES6_PlJ5mod_3IyEEEE10hipError_tPvRmT3_T4_T5_T6_T7_T9_mT8_P12ihipStream_tbDpT10_ENKUlT_T0_E_clISt17integral_constantIbLb1EES16_EEDaS11_S12_EUlS11_E_NS1_11comp_targetILNS1_3genE5ELNS1_11target_archE942ELNS1_3gpuE9ELNS1_3repE0EEENS1_30default_config_static_selectorELNS0_4arch9wavefront6targetE0EEEvT1_, .Lfunc_end465-_ZN7rocprim17ROCPRIM_400000_NS6detail17trampoline_kernelINS0_14default_configENS1_25partition_config_selectorILNS1_17partition_subalgoE6EyNS0_10empty_typeEbEEZZNS1_14partition_implILS5_6ELb0ES3_mN6thrust23THRUST_200600_302600_NS6detail15normal_iteratorINSA_10device_ptrIyEEEEPS6_SG_NS0_5tupleIJSF_S6_EEENSH_IJSG_SG_EEES6_PlJ5mod_3IyEEEE10hipError_tPvRmT3_T4_T5_T6_T7_T9_mT8_P12ihipStream_tbDpT10_ENKUlT_T0_E_clISt17integral_constantIbLb1EES16_EEDaS11_S12_EUlS11_E_NS1_11comp_targetILNS1_3genE5ELNS1_11target_archE942ELNS1_3gpuE9ELNS1_3repE0EEENS1_30default_config_static_selectorELNS0_4arch9wavefront6targetE0EEEvT1_
                                        ; -- End function
	.section	.AMDGPU.csdata,"",@progbits
; Kernel info:
; codeLenInByte = 0
; NumSgprs: 0
; NumVgprs: 0
; ScratchSize: 0
; MemoryBound: 0
; FloatMode: 240
; IeeeMode: 1
; LDSByteSize: 0 bytes/workgroup (compile time only)
; SGPRBlocks: 0
; VGPRBlocks: 0
; NumSGPRsForWavesPerEU: 1
; NumVGPRsForWavesPerEU: 1
; Occupancy: 16
; WaveLimiterHint : 0
; COMPUTE_PGM_RSRC2:SCRATCH_EN: 0
; COMPUTE_PGM_RSRC2:USER_SGPR: 15
; COMPUTE_PGM_RSRC2:TRAP_HANDLER: 0
; COMPUTE_PGM_RSRC2:TGID_X_EN: 1
; COMPUTE_PGM_RSRC2:TGID_Y_EN: 0
; COMPUTE_PGM_RSRC2:TGID_Z_EN: 0
; COMPUTE_PGM_RSRC2:TIDIG_COMP_CNT: 0
	.section	.text._ZN7rocprim17ROCPRIM_400000_NS6detail17trampoline_kernelINS0_14default_configENS1_25partition_config_selectorILNS1_17partition_subalgoE6EyNS0_10empty_typeEbEEZZNS1_14partition_implILS5_6ELb0ES3_mN6thrust23THRUST_200600_302600_NS6detail15normal_iteratorINSA_10device_ptrIyEEEEPS6_SG_NS0_5tupleIJSF_S6_EEENSH_IJSG_SG_EEES6_PlJ5mod_3IyEEEE10hipError_tPvRmT3_T4_T5_T6_T7_T9_mT8_P12ihipStream_tbDpT10_ENKUlT_T0_E_clISt17integral_constantIbLb1EES16_EEDaS11_S12_EUlS11_E_NS1_11comp_targetILNS1_3genE4ELNS1_11target_archE910ELNS1_3gpuE8ELNS1_3repE0EEENS1_30default_config_static_selectorELNS0_4arch9wavefront6targetE0EEEvT1_,"axG",@progbits,_ZN7rocprim17ROCPRIM_400000_NS6detail17trampoline_kernelINS0_14default_configENS1_25partition_config_selectorILNS1_17partition_subalgoE6EyNS0_10empty_typeEbEEZZNS1_14partition_implILS5_6ELb0ES3_mN6thrust23THRUST_200600_302600_NS6detail15normal_iteratorINSA_10device_ptrIyEEEEPS6_SG_NS0_5tupleIJSF_S6_EEENSH_IJSG_SG_EEES6_PlJ5mod_3IyEEEE10hipError_tPvRmT3_T4_T5_T6_T7_T9_mT8_P12ihipStream_tbDpT10_ENKUlT_T0_E_clISt17integral_constantIbLb1EES16_EEDaS11_S12_EUlS11_E_NS1_11comp_targetILNS1_3genE4ELNS1_11target_archE910ELNS1_3gpuE8ELNS1_3repE0EEENS1_30default_config_static_selectorELNS0_4arch9wavefront6targetE0EEEvT1_,comdat
	.protected	_ZN7rocprim17ROCPRIM_400000_NS6detail17trampoline_kernelINS0_14default_configENS1_25partition_config_selectorILNS1_17partition_subalgoE6EyNS0_10empty_typeEbEEZZNS1_14partition_implILS5_6ELb0ES3_mN6thrust23THRUST_200600_302600_NS6detail15normal_iteratorINSA_10device_ptrIyEEEEPS6_SG_NS0_5tupleIJSF_S6_EEENSH_IJSG_SG_EEES6_PlJ5mod_3IyEEEE10hipError_tPvRmT3_T4_T5_T6_T7_T9_mT8_P12ihipStream_tbDpT10_ENKUlT_T0_E_clISt17integral_constantIbLb1EES16_EEDaS11_S12_EUlS11_E_NS1_11comp_targetILNS1_3genE4ELNS1_11target_archE910ELNS1_3gpuE8ELNS1_3repE0EEENS1_30default_config_static_selectorELNS0_4arch9wavefront6targetE0EEEvT1_ ; -- Begin function _ZN7rocprim17ROCPRIM_400000_NS6detail17trampoline_kernelINS0_14default_configENS1_25partition_config_selectorILNS1_17partition_subalgoE6EyNS0_10empty_typeEbEEZZNS1_14partition_implILS5_6ELb0ES3_mN6thrust23THRUST_200600_302600_NS6detail15normal_iteratorINSA_10device_ptrIyEEEEPS6_SG_NS0_5tupleIJSF_S6_EEENSH_IJSG_SG_EEES6_PlJ5mod_3IyEEEE10hipError_tPvRmT3_T4_T5_T6_T7_T9_mT8_P12ihipStream_tbDpT10_ENKUlT_T0_E_clISt17integral_constantIbLb1EES16_EEDaS11_S12_EUlS11_E_NS1_11comp_targetILNS1_3genE4ELNS1_11target_archE910ELNS1_3gpuE8ELNS1_3repE0EEENS1_30default_config_static_selectorELNS0_4arch9wavefront6targetE0EEEvT1_
	.globl	_ZN7rocprim17ROCPRIM_400000_NS6detail17trampoline_kernelINS0_14default_configENS1_25partition_config_selectorILNS1_17partition_subalgoE6EyNS0_10empty_typeEbEEZZNS1_14partition_implILS5_6ELb0ES3_mN6thrust23THRUST_200600_302600_NS6detail15normal_iteratorINSA_10device_ptrIyEEEEPS6_SG_NS0_5tupleIJSF_S6_EEENSH_IJSG_SG_EEES6_PlJ5mod_3IyEEEE10hipError_tPvRmT3_T4_T5_T6_T7_T9_mT8_P12ihipStream_tbDpT10_ENKUlT_T0_E_clISt17integral_constantIbLb1EES16_EEDaS11_S12_EUlS11_E_NS1_11comp_targetILNS1_3genE4ELNS1_11target_archE910ELNS1_3gpuE8ELNS1_3repE0EEENS1_30default_config_static_selectorELNS0_4arch9wavefront6targetE0EEEvT1_
	.p2align	8
	.type	_ZN7rocprim17ROCPRIM_400000_NS6detail17trampoline_kernelINS0_14default_configENS1_25partition_config_selectorILNS1_17partition_subalgoE6EyNS0_10empty_typeEbEEZZNS1_14partition_implILS5_6ELb0ES3_mN6thrust23THRUST_200600_302600_NS6detail15normal_iteratorINSA_10device_ptrIyEEEEPS6_SG_NS0_5tupleIJSF_S6_EEENSH_IJSG_SG_EEES6_PlJ5mod_3IyEEEE10hipError_tPvRmT3_T4_T5_T6_T7_T9_mT8_P12ihipStream_tbDpT10_ENKUlT_T0_E_clISt17integral_constantIbLb1EES16_EEDaS11_S12_EUlS11_E_NS1_11comp_targetILNS1_3genE4ELNS1_11target_archE910ELNS1_3gpuE8ELNS1_3repE0EEENS1_30default_config_static_selectorELNS0_4arch9wavefront6targetE0EEEvT1_,@function
_ZN7rocprim17ROCPRIM_400000_NS6detail17trampoline_kernelINS0_14default_configENS1_25partition_config_selectorILNS1_17partition_subalgoE6EyNS0_10empty_typeEbEEZZNS1_14partition_implILS5_6ELb0ES3_mN6thrust23THRUST_200600_302600_NS6detail15normal_iteratorINSA_10device_ptrIyEEEEPS6_SG_NS0_5tupleIJSF_S6_EEENSH_IJSG_SG_EEES6_PlJ5mod_3IyEEEE10hipError_tPvRmT3_T4_T5_T6_T7_T9_mT8_P12ihipStream_tbDpT10_ENKUlT_T0_E_clISt17integral_constantIbLb1EES16_EEDaS11_S12_EUlS11_E_NS1_11comp_targetILNS1_3genE4ELNS1_11target_archE910ELNS1_3gpuE8ELNS1_3repE0EEENS1_30default_config_static_selectorELNS0_4arch9wavefront6targetE0EEEvT1_: ; @_ZN7rocprim17ROCPRIM_400000_NS6detail17trampoline_kernelINS0_14default_configENS1_25partition_config_selectorILNS1_17partition_subalgoE6EyNS0_10empty_typeEbEEZZNS1_14partition_implILS5_6ELb0ES3_mN6thrust23THRUST_200600_302600_NS6detail15normal_iteratorINSA_10device_ptrIyEEEEPS6_SG_NS0_5tupleIJSF_S6_EEENSH_IJSG_SG_EEES6_PlJ5mod_3IyEEEE10hipError_tPvRmT3_T4_T5_T6_T7_T9_mT8_P12ihipStream_tbDpT10_ENKUlT_T0_E_clISt17integral_constantIbLb1EES16_EEDaS11_S12_EUlS11_E_NS1_11comp_targetILNS1_3genE4ELNS1_11target_archE910ELNS1_3gpuE8ELNS1_3repE0EEENS1_30default_config_static_selectorELNS0_4arch9wavefront6targetE0EEEvT1_
; %bb.0:
	.section	.rodata,"a",@progbits
	.p2align	6, 0x0
	.amdhsa_kernel _ZN7rocprim17ROCPRIM_400000_NS6detail17trampoline_kernelINS0_14default_configENS1_25partition_config_selectorILNS1_17partition_subalgoE6EyNS0_10empty_typeEbEEZZNS1_14partition_implILS5_6ELb0ES3_mN6thrust23THRUST_200600_302600_NS6detail15normal_iteratorINSA_10device_ptrIyEEEEPS6_SG_NS0_5tupleIJSF_S6_EEENSH_IJSG_SG_EEES6_PlJ5mod_3IyEEEE10hipError_tPvRmT3_T4_T5_T6_T7_T9_mT8_P12ihipStream_tbDpT10_ENKUlT_T0_E_clISt17integral_constantIbLb1EES16_EEDaS11_S12_EUlS11_E_NS1_11comp_targetILNS1_3genE4ELNS1_11target_archE910ELNS1_3gpuE8ELNS1_3repE0EEENS1_30default_config_static_selectorELNS0_4arch9wavefront6targetE0EEEvT1_
		.amdhsa_group_segment_fixed_size 0
		.amdhsa_private_segment_fixed_size 0
		.amdhsa_kernarg_size 128
		.amdhsa_user_sgpr_count 15
		.amdhsa_user_sgpr_dispatch_ptr 0
		.amdhsa_user_sgpr_queue_ptr 0
		.amdhsa_user_sgpr_kernarg_segment_ptr 1
		.amdhsa_user_sgpr_dispatch_id 0
		.amdhsa_user_sgpr_private_segment_size 0
		.amdhsa_wavefront_size32 1
		.amdhsa_uses_dynamic_stack 0
		.amdhsa_enable_private_segment 0
		.amdhsa_system_sgpr_workgroup_id_x 1
		.amdhsa_system_sgpr_workgroup_id_y 0
		.amdhsa_system_sgpr_workgroup_id_z 0
		.amdhsa_system_sgpr_workgroup_info 0
		.amdhsa_system_vgpr_workitem_id 0
		.amdhsa_next_free_vgpr 1
		.amdhsa_next_free_sgpr 1
		.amdhsa_reserve_vcc 0
		.amdhsa_float_round_mode_32 0
		.amdhsa_float_round_mode_16_64 0
		.amdhsa_float_denorm_mode_32 3
		.amdhsa_float_denorm_mode_16_64 3
		.amdhsa_dx10_clamp 1
		.amdhsa_ieee_mode 1
		.amdhsa_fp16_overflow 0
		.amdhsa_workgroup_processor_mode 1
		.amdhsa_memory_ordered 1
		.amdhsa_forward_progress 0
		.amdhsa_shared_vgpr_count 0
		.amdhsa_exception_fp_ieee_invalid_op 0
		.amdhsa_exception_fp_denorm_src 0
		.amdhsa_exception_fp_ieee_div_zero 0
		.amdhsa_exception_fp_ieee_overflow 0
		.amdhsa_exception_fp_ieee_underflow 0
		.amdhsa_exception_fp_ieee_inexact 0
		.amdhsa_exception_int_div_zero 0
	.end_amdhsa_kernel
	.section	.text._ZN7rocprim17ROCPRIM_400000_NS6detail17trampoline_kernelINS0_14default_configENS1_25partition_config_selectorILNS1_17partition_subalgoE6EyNS0_10empty_typeEbEEZZNS1_14partition_implILS5_6ELb0ES3_mN6thrust23THRUST_200600_302600_NS6detail15normal_iteratorINSA_10device_ptrIyEEEEPS6_SG_NS0_5tupleIJSF_S6_EEENSH_IJSG_SG_EEES6_PlJ5mod_3IyEEEE10hipError_tPvRmT3_T4_T5_T6_T7_T9_mT8_P12ihipStream_tbDpT10_ENKUlT_T0_E_clISt17integral_constantIbLb1EES16_EEDaS11_S12_EUlS11_E_NS1_11comp_targetILNS1_3genE4ELNS1_11target_archE910ELNS1_3gpuE8ELNS1_3repE0EEENS1_30default_config_static_selectorELNS0_4arch9wavefront6targetE0EEEvT1_,"axG",@progbits,_ZN7rocprim17ROCPRIM_400000_NS6detail17trampoline_kernelINS0_14default_configENS1_25partition_config_selectorILNS1_17partition_subalgoE6EyNS0_10empty_typeEbEEZZNS1_14partition_implILS5_6ELb0ES3_mN6thrust23THRUST_200600_302600_NS6detail15normal_iteratorINSA_10device_ptrIyEEEEPS6_SG_NS0_5tupleIJSF_S6_EEENSH_IJSG_SG_EEES6_PlJ5mod_3IyEEEE10hipError_tPvRmT3_T4_T5_T6_T7_T9_mT8_P12ihipStream_tbDpT10_ENKUlT_T0_E_clISt17integral_constantIbLb1EES16_EEDaS11_S12_EUlS11_E_NS1_11comp_targetILNS1_3genE4ELNS1_11target_archE910ELNS1_3gpuE8ELNS1_3repE0EEENS1_30default_config_static_selectorELNS0_4arch9wavefront6targetE0EEEvT1_,comdat
.Lfunc_end466:
	.size	_ZN7rocprim17ROCPRIM_400000_NS6detail17trampoline_kernelINS0_14default_configENS1_25partition_config_selectorILNS1_17partition_subalgoE6EyNS0_10empty_typeEbEEZZNS1_14partition_implILS5_6ELb0ES3_mN6thrust23THRUST_200600_302600_NS6detail15normal_iteratorINSA_10device_ptrIyEEEEPS6_SG_NS0_5tupleIJSF_S6_EEENSH_IJSG_SG_EEES6_PlJ5mod_3IyEEEE10hipError_tPvRmT3_T4_T5_T6_T7_T9_mT8_P12ihipStream_tbDpT10_ENKUlT_T0_E_clISt17integral_constantIbLb1EES16_EEDaS11_S12_EUlS11_E_NS1_11comp_targetILNS1_3genE4ELNS1_11target_archE910ELNS1_3gpuE8ELNS1_3repE0EEENS1_30default_config_static_selectorELNS0_4arch9wavefront6targetE0EEEvT1_, .Lfunc_end466-_ZN7rocprim17ROCPRIM_400000_NS6detail17trampoline_kernelINS0_14default_configENS1_25partition_config_selectorILNS1_17partition_subalgoE6EyNS0_10empty_typeEbEEZZNS1_14partition_implILS5_6ELb0ES3_mN6thrust23THRUST_200600_302600_NS6detail15normal_iteratorINSA_10device_ptrIyEEEEPS6_SG_NS0_5tupleIJSF_S6_EEENSH_IJSG_SG_EEES6_PlJ5mod_3IyEEEE10hipError_tPvRmT3_T4_T5_T6_T7_T9_mT8_P12ihipStream_tbDpT10_ENKUlT_T0_E_clISt17integral_constantIbLb1EES16_EEDaS11_S12_EUlS11_E_NS1_11comp_targetILNS1_3genE4ELNS1_11target_archE910ELNS1_3gpuE8ELNS1_3repE0EEENS1_30default_config_static_selectorELNS0_4arch9wavefront6targetE0EEEvT1_
                                        ; -- End function
	.section	.AMDGPU.csdata,"",@progbits
; Kernel info:
; codeLenInByte = 0
; NumSgprs: 0
; NumVgprs: 0
; ScratchSize: 0
; MemoryBound: 0
; FloatMode: 240
; IeeeMode: 1
; LDSByteSize: 0 bytes/workgroup (compile time only)
; SGPRBlocks: 0
; VGPRBlocks: 0
; NumSGPRsForWavesPerEU: 1
; NumVGPRsForWavesPerEU: 1
; Occupancy: 16
; WaveLimiterHint : 0
; COMPUTE_PGM_RSRC2:SCRATCH_EN: 0
; COMPUTE_PGM_RSRC2:USER_SGPR: 15
; COMPUTE_PGM_RSRC2:TRAP_HANDLER: 0
; COMPUTE_PGM_RSRC2:TGID_X_EN: 1
; COMPUTE_PGM_RSRC2:TGID_Y_EN: 0
; COMPUTE_PGM_RSRC2:TGID_Z_EN: 0
; COMPUTE_PGM_RSRC2:TIDIG_COMP_CNT: 0
	.section	.text._ZN7rocprim17ROCPRIM_400000_NS6detail17trampoline_kernelINS0_14default_configENS1_25partition_config_selectorILNS1_17partition_subalgoE6EyNS0_10empty_typeEbEEZZNS1_14partition_implILS5_6ELb0ES3_mN6thrust23THRUST_200600_302600_NS6detail15normal_iteratorINSA_10device_ptrIyEEEEPS6_SG_NS0_5tupleIJSF_S6_EEENSH_IJSG_SG_EEES6_PlJ5mod_3IyEEEE10hipError_tPvRmT3_T4_T5_T6_T7_T9_mT8_P12ihipStream_tbDpT10_ENKUlT_T0_E_clISt17integral_constantIbLb1EES16_EEDaS11_S12_EUlS11_E_NS1_11comp_targetILNS1_3genE3ELNS1_11target_archE908ELNS1_3gpuE7ELNS1_3repE0EEENS1_30default_config_static_selectorELNS0_4arch9wavefront6targetE0EEEvT1_,"axG",@progbits,_ZN7rocprim17ROCPRIM_400000_NS6detail17trampoline_kernelINS0_14default_configENS1_25partition_config_selectorILNS1_17partition_subalgoE6EyNS0_10empty_typeEbEEZZNS1_14partition_implILS5_6ELb0ES3_mN6thrust23THRUST_200600_302600_NS6detail15normal_iteratorINSA_10device_ptrIyEEEEPS6_SG_NS0_5tupleIJSF_S6_EEENSH_IJSG_SG_EEES6_PlJ5mod_3IyEEEE10hipError_tPvRmT3_T4_T5_T6_T7_T9_mT8_P12ihipStream_tbDpT10_ENKUlT_T0_E_clISt17integral_constantIbLb1EES16_EEDaS11_S12_EUlS11_E_NS1_11comp_targetILNS1_3genE3ELNS1_11target_archE908ELNS1_3gpuE7ELNS1_3repE0EEENS1_30default_config_static_selectorELNS0_4arch9wavefront6targetE0EEEvT1_,comdat
	.protected	_ZN7rocprim17ROCPRIM_400000_NS6detail17trampoline_kernelINS0_14default_configENS1_25partition_config_selectorILNS1_17partition_subalgoE6EyNS0_10empty_typeEbEEZZNS1_14partition_implILS5_6ELb0ES3_mN6thrust23THRUST_200600_302600_NS6detail15normal_iteratorINSA_10device_ptrIyEEEEPS6_SG_NS0_5tupleIJSF_S6_EEENSH_IJSG_SG_EEES6_PlJ5mod_3IyEEEE10hipError_tPvRmT3_T4_T5_T6_T7_T9_mT8_P12ihipStream_tbDpT10_ENKUlT_T0_E_clISt17integral_constantIbLb1EES16_EEDaS11_S12_EUlS11_E_NS1_11comp_targetILNS1_3genE3ELNS1_11target_archE908ELNS1_3gpuE7ELNS1_3repE0EEENS1_30default_config_static_selectorELNS0_4arch9wavefront6targetE0EEEvT1_ ; -- Begin function _ZN7rocprim17ROCPRIM_400000_NS6detail17trampoline_kernelINS0_14default_configENS1_25partition_config_selectorILNS1_17partition_subalgoE6EyNS0_10empty_typeEbEEZZNS1_14partition_implILS5_6ELb0ES3_mN6thrust23THRUST_200600_302600_NS6detail15normal_iteratorINSA_10device_ptrIyEEEEPS6_SG_NS0_5tupleIJSF_S6_EEENSH_IJSG_SG_EEES6_PlJ5mod_3IyEEEE10hipError_tPvRmT3_T4_T5_T6_T7_T9_mT8_P12ihipStream_tbDpT10_ENKUlT_T0_E_clISt17integral_constantIbLb1EES16_EEDaS11_S12_EUlS11_E_NS1_11comp_targetILNS1_3genE3ELNS1_11target_archE908ELNS1_3gpuE7ELNS1_3repE0EEENS1_30default_config_static_selectorELNS0_4arch9wavefront6targetE0EEEvT1_
	.globl	_ZN7rocprim17ROCPRIM_400000_NS6detail17trampoline_kernelINS0_14default_configENS1_25partition_config_selectorILNS1_17partition_subalgoE6EyNS0_10empty_typeEbEEZZNS1_14partition_implILS5_6ELb0ES3_mN6thrust23THRUST_200600_302600_NS6detail15normal_iteratorINSA_10device_ptrIyEEEEPS6_SG_NS0_5tupleIJSF_S6_EEENSH_IJSG_SG_EEES6_PlJ5mod_3IyEEEE10hipError_tPvRmT3_T4_T5_T6_T7_T9_mT8_P12ihipStream_tbDpT10_ENKUlT_T0_E_clISt17integral_constantIbLb1EES16_EEDaS11_S12_EUlS11_E_NS1_11comp_targetILNS1_3genE3ELNS1_11target_archE908ELNS1_3gpuE7ELNS1_3repE0EEENS1_30default_config_static_selectorELNS0_4arch9wavefront6targetE0EEEvT1_
	.p2align	8
	.type	_ZN7rocprim17ROCPRIM_400000_NS6detail17trampoline_kernelINS0_14default_configENS1_25partition_config_selectorILNS1_17partition_subalgoE6EyNS0_10empty_typeEbEEZZNS1_14partition_implILS5_6ELb0ES3_mN6thrust23THRUST_200600_302600_NS6detail15normal_iteratorINSA_10device_ptrIyEEEEPS6_SG_NS0_5tupleIJSF_S6_EEENSH_IJSG_SG_EEES6_PlJ5mod_3IyEEEE10hipError_tPvRmT3_T4_T5_T6_T7_T9_mT8_P12ihipStream_tbDpT10_ENKUlT_T0_E_clISt17integral_constantIbLb1EES16_EEDaS11_S12_EUlS11_E_NS1_11comp_targetILNS1_3genE3ELNS1_11target_archE908ELNS1_3gpuE7ELNS1_3repE0EEENS1_30default_config_static_selectorELNS0_4arch9wavefront6targetE0EEEvT1_,@function
_ZN7rocprim17ROCPRIM_400000_NS6detail17trampoline_kernelINS0_14default_configENS1_25partition_config_selectorILNS1_17partition_subalgoE6EyNS0_10empty_typeEbEEZZNS1_14partition_implILS5_6ELb0ES3_mN6thrust23THRUST_200600_302600_NS6detail15normal_iteratorINSA_10device_ptrIyEEEEPS6_SG_NS0_5tupleIJSF_S6_EEENSH_IJSG_SG_EEES6_PlJ5mod_3IyEEEE10hipError_tPvRmT3_T4_T5_T6_T7_T9_mT8_P12ihipStream_tbDpT10_ENKUlT_T0_E_clISt17integral_constantIbLb1EES16_EEDaS11_S12_EUlS11_E_NS1_11comp_targetILNS1_3genE3ELNS1_11target_archE908ELNS1_3gpuE7ELNS1_3repE0EEENS1_30default_config_static_selectorELNS0_4arch9wavefront6targetE0EEEvT1_: ; @_ZN7rocprim17ROCPRIM_400000_NS6detail17trampoline_kernelINS0_14default_configENS1_25partition_config_selectorILNS1_17partition_subalgoE6EyNS0_10empty_typeEbEEZZNS1_14partition_implILS5_6ELb0ES3_mN6thrust23THRUST_200600_302600_NS6detail15normal_iteratorINSA_10device_ptrIyEEEEPS6_SG_NS0_5tupleIJSF_S6_EEENSH_IJSG_SG_EEES6_PlJ5mod_3IyEEEE10hipError_tPvRmT3_T4_T5_T6_T7_T9_mT8_P12ihipStream_tbDpT10_ENKUlT_T0_E_clISt17integral_constantIbLb1EES16_EEDaS11_S12_EUlS11_E_NS1_11comp_targetILNS1_3genE3ELNS1_11target_archE908ELNS1_3gpuE7ELNS1_3repE0EEENS1_30default_config_static_selectorELNS0_4arch9wavefront6targetE0EEEvT1_
; %bb.0:
	.section	.rodata,"a",@progbits
	.p2align	6, 0x0
	.amdhsa_kernel _ZN7rocprim17ROCPRIM_400000_NS6detail17trampoline_kernelINS0_14default_configENS1_25partition_config_selectorILNS1_17partition_subalgoE6EyNS0_10empty_typeEbEEZZNS1_14partition_implILS5_6ELb0ES3_mN6thrust23THRUST_200600_302600_NS6detail15normal_iteratorINSA_10device_ptrIyEEEEPS6_SG_NS0_5tupleIJSF_S6_EEENSH_IJSG_SG_EEES6_PlJ5mod_3IyEEEE10hipError_tPvRmT3_T4_T5_T6_T7_T9_mT8_P12ihipStream_tbDpT10_ENKUlT_T0_E_clISt17integral_constantIbLb1EES16_EEDaS11_S12_EUlS11_E_NS1_11comp_targetILNS1_3genE3ELNS1_11target_archE908ELNS1_3gpuE7ELNS1_3repE0EEENS1_30default_config_static_selectorELNS0_4arch9wavefront6targetE0EEEvT1_
		.amdhsa_group_segment_fixed_size 0
		.amdhsa_private_segment_fixed_size 0
		.amdhsa_kernarg_size 128
		.amdhsa_user_sgpr_count 15
		.amdhsa_user_sgpr_dispatch_ptr 0
		.amdhsa_user_sgpr_queue_ptr 0
		.amdhsa_user_sgpr_kernarg_segment_ptr 1
		.amdhsa_user_sgpr_dispatch_id 0
		.amdhsa_user_sgpr_private_segment_size 0
		.amdhsa_wavefront_size32 1
		.amdhsa_uses_dynamic_stack 0
		.amdhsa_enable_private_segment 0
		.amdhsa_system_sgpr_workgroup_id_x 1
		.amdhsa_system_sgpr_workgroup_id_y 0
		.amdhsa_system_sgpr_workgroup_id_z 0
		.amdhsa_system_sgpr_workgroup_info 0
		.amdhsa_system_vgpr_workitem_id 0
		.amdhsa_next_free_vgpr 1
		.amdhsa_next_free_sgpr 1
		.amdhsa_reserve_vcc 0
		.amdhsa_float_round_mode_32 0
		.amdhsa_float_round_mode_16_64 0
		.amdhsa_float_denorm_mode_32 3
		.amdhsa_float_denorm_mode_16_64 3
		.amdhsa_dx10_clamp 1
		.amdhsa_ieee_mode 1
		.amdhsa_fp16_overflow 0
		.amdhsa_workgroup_processor_mode 1
		.amdhsa_memory_ordered 1
		.amdhsa_forward_progress 0
		.amdhsa_shared_vgpr_count 0
		.amdhsa_exception_fp_ieee_invalid_op 0
		.amdhsa_exception_fp_denorm_src 0
		.amdhsa_exception_fp_ieee_div_zero 0
		.amdhsa_exception_fp_ieee_overflow 0
		.amdhsa_exception_fp_ieee_underflow 0
		.amdhsa_exception_fp_ieee_inexact 0
		.amdhsa_exception_int_div_zero 0
	.end_amdhsa_kernel
	.section	.text._ZN7rocprim17ROCPRIM_400000_NS6detail17trampoline_kernelINS0_14default_configENS1_25partition_config_selectorILNS1_17partition_subalgoE6EyNS0_10empty_typeEbEEZZNS1_14partition_implILS5_6ELb0ES3_mN6thrust23THRUST_200600_302600_NS6detail15normal_iteratorINSA_10device_ptrIyEEEEPS6_SG_NS0_5tupleIJSF_S6_EEENSH_IJSG_SG_EEES6_PlJ5mod_3IyEEEE10hipError_tPvRmT3_T4_T5_T6_T7_T9_mT8_P12ihipStream_tbDpT10_ENKUlT_T0_E_clISt17integral_constantIbLb1EES16_EEDaS11_S12_EUlS11_E_NS1_11comp_targetILNS1_3genE3ELNS1_11target_archE908ELNS1_3gpuE7ELNS1_3repE0EEENS1_30default_config_static_selectorELNS0_4arch9wavefront6targetE0EEEvT1_,"axG",@progbits,_ZN7rocprim17ROCPRIM_400000_NS6detail17trampoline_kernelINS0_14default_configENS1_25partition_config_selectorILNS1_17partition_subalgoE6EyNS0_10empty_typeEbEEZZNS1_14partition_implILS5_6ELb0ES3_mN6thrust23THRUST_200600_302600_NS6detail15normal_iteratorINSA_10device_ptrIyEEEEPS6_SG_NS0_5tupleIJSF_S6_EEENSH_IJSG_SG_EEES6_PlJ5mod_3IyEEEE10hipError_tPvRmT3_T4_T5_T6_T7_T9_mT8_P12ihipStream_tbDpT10_ENKUlT_T0_E_clISt17integral_constantIbLb1EES16_EEDaS11_S12_EUlS11_E_NS1_11comp_targetILNS1_3genE3ELNS1_11target_archE908ELNS1_3gpuE7ELNS1_3repE0EEENS1_30default_config_static_selectorELNS0_4arch9wavefront6targetE0EEEvT1_,comdat
.Lfunc_end467:
	.size	_ZN7rocprim17ROCPRIM_400000_NS6detail17trampoline_kernelINS0_14default_configENS1_25partition_config_selectorILNS1_17partition_subalgoE6EyNS0_10empty_typeEbEEZZNS1_14partition_implILS5_6ELb0ES3_mN6thrust23THRUST_200600_302600_NS6detail15normal_iteratorINSA_10device_ptrIyEEEEPS6_SG_NS0_5tupleIJSF_S6_EEENSH_IJSG_SG_EEES6_PlJ5mod_3IyEEEE10hipError_tPvRmT3_T4_T5_T6_T7_T9_mT8_P12ihipStream_tbDpT10_ENKUlT_T0_E_clISt17integral_constantIbLb1EES16_EEDaS11_S12_EUlS11_E_NS1_11comp_targetILNS1_3genE3ELNS1_11target_archE908ELNS1_3gpuE7ELNS1_3repE0EEENS1_30default_config_static_selectorELNS0_4arch9wavefront6targetE0EEEvT1_, .Lfunc_end467-_ZN7rocprim17ROCPRIM_400000_NS6detail17trampoline_kernelINS0_14default_configENS1_25partition_config_selectorILNS1_17partition_subalgoE6EyNS0_10empty_typeEbEEZZNS1_14partition_implILS5_6ELb0ES3_mN6thrust23THRUST_200600_302600_NS6detail15normal_iteratorINSA_10device_ptrIyEEEEPS6_SG_NS0_5tupleIJSF_S6_EEENSH_IJSG_SG_EEES6_PlJ5mod_3IyEEEE10hipError_tPvRmT3_T4_T5_T6_T7_T9_mT8_P12ihipStream_tbDpT10_ENKUlT_T0_E_clISt17integral_constantIbLb1EES16_EEDaS11_S12_EUlS11_E_NS1_11comp_targetILNS1_3genE3ELNS1_11target_archE908ELNS1_3gpuE7ELNS1_3repE0EEENS1_30default_config_static_selectorELNS0_4arch9wavefront6targetE0EEEvT1_
                                        ; -- End function
	.section	.AMDGPU.csdata,"",@progbits
; Kernel info:
; codeLenInByte = 0
; NumSgprs: 0
; NumVgprs: 0
; ScratchSize: 0
; MemoryBound: 0
; FloatMode: 240
; IeeeMode: 1
; LDSByteSize: 0 bytes/workgroup (compile time only)
; SGPRBlocks: 0
; VGPRBlocks: 0
; NumSGPRsForWavesPerEU: 1
; NumVGPRsForWavesPerEU: 1
; Occupancy: 16
; WaveLimiterHint : 0
; COMPUTE_PGM_RSRC2:SCRATCH_EN: 0
; COMPUTE_PGM_RSRC2:USER_SGPR: 15
; COMPUTE_PGM_RSRC2:TRAP_HANDLER: 0
; COMPUTE_PGM_RSRC2:TGID_X_EN: 1
; COMPUTE_PGM_RSRC2:TGID_Y_EN: 0
; COMPUTE_PGM_RSRC2:TGID_Z_EN: 0
; COMPUTE_PGM_RSRC2:TIDIG_COMP_CNT: 0
	.section	.text._ZN7rocprim17ROCPRIM_400000_NS6detail17trampoline_kernelINS0_14default_configENS1_25partition_config_selectorILNS1_17partition_subalgoE6EyNS0_10empty_typeEbEEZZNS1_14partition_implILS5_6ELb0ES3_mN6thrust23THRUST_200600_302600_NS6detail15normal_iteratorINSA_10device_ptrIyEEEEPS6_SG_NS0_5tupleIJSF_S6_EEENSH_IJSG_SG_EEES6_PlJ5mod_3IyEEEE10hipError_tPvRmT3_T4_T5_T6_T7_T9_mT8_P12ihipStream_tbDpT10_ENKUlT_T0_E_clISt17integral_constantIbLb1EES16_EEDaS11_S12_EUlS11_E_NS1_11comp_targetILNS1_3genE2ELNS1_11target_archE906ELNS1_3gpuE6ELNS1_3repE0EEENS1_30default_config_static_selectorELNS0_4arch9wavefront6targetE0EEEvT1_,"axG",@progbits,_ZN7rocprim17ROCPRIM_400000_NS6detail17trampoline_kernelINS0_14default_configENS1_25partition_config_selectorILNS1_17partition_subalgoE6EyNS0_10empty_typeEbEEZZNS1_14partition_implILS5_6ELb0ES3_mN6thrust23THRUST_200600_302600_NS6detail15normal_iteratorINSA_10device_ptrIyEEEEPS6_SG_NS0_5tupleIJSF_S6_EEENSH_IJSG_SG_EEES6_PlJ5mod_3IyEEEE10hipError_tPvRmT3_T4_T5_T6_T7_T9_mT8_P12ihipStream_tbDpT10_ENKUlT_T0_E_clISt17integral_constantIbLb1EES16_EEDaS11_S12_EUlS11_E_NS1_11comp_targetILNS1_3genE2ELNS1_11target_archE906ELNS1_3gpuE6ELNS1_3repE0EEENS1_30default_config_static_selectorELNS0_4arch9wavefront6targetE0EEEvT1_,comdat
	.protected	_ZN7rocprim17ROCPRIM_400000_NS6detail17trampoline_kernelINS0_14default_configENS1_25partition_config_selectorILNS1_17partition_subalgoE6EyNS0_10empty_typeEbEEZZNS1_14partition_implILS5_6ELb0ES3_mN6thrust23THRUST_200600_302600_NS6detail15normal_iteratorINSA_10device_ptrIyEEEEPS6_SG_NS0_5tupleIJSF_S6_EEENSH_IJSG_SG_EEES6_PlJ5mod_3IyEEEE10hipError_tPvRmT3_T4_T5_T6_T7_T9_mT8_P12ihipStream_tbDpT10_ENKUlT_T0_E_clISt17integral_constantIbLb1EES16_EEDaS11_S12_EUlS11_E_NS1_11comp_targetILNS1_3genE2ELNS1_11target_archE906ELNS1_3gpuE6ELNS1_3repE0EEENS1_30default_config_static_selectorELNS0_4arch9wavefront6targetE0EEEvT1_ ; -- Begin function _ZN7rocprim17ROCPRIM_400000_NS6detail17trampoline_kernelINS0_14default_configENS1_25partition_config_selectorILNS1_17partition_subalgoE6EyNS0_10empty_typeEbEEZZNS1_14partition_implILS5_6ELb0ES3_mN6thrust23THRUST_200600_302600_NS6detail15normal_iteratorINSA_10device_ptrIyEEEEPS6_SG_NS0_5tupleIJSF_S6_EEENSH_IJSG_SG_EEES6_PlJ5mod_3IyEEEE10hipError_tPvRmT3_T4_T5_T6_T7_T9_mT8_P12ihipStream_tbDpT10_ENKUlT_T0_E_clISt17integral_constantIbLb1EES16_EEDaS11_S12_EUlS11_E_NS1_11comp_targetILNS1_3genE2ELNS1_11target_archE906ELNS1_3gpuE6ELNS1_3repE0EEENS1_30default_config_static_selectorELNS0_4arch9wavefront6targetE0EEEvT1_
	.globl	_ZN7rocprim17ROCPRIM_400000_NS6detail17trampoline_kernelINS0_14default_configENS1_25partition_config_selectorILNS1_17partition_subalgoE6EyNS0_10empty_typeEbEEZZNS1_14partition_implILS5_6ELb0ES3_mN6thrust23THRUST_200600_302600_NS6detail15normal_iteratorINSA_10device_ptrIyEEEEPS6_SG_NS0_5tupleIJSF_S6_EEENSH_IJSG_SG_EEES6_PlJ5mod_3IyEEEE10hipError_tPvRmT3_T4_T5_T6_T7_T9_mT8_P12ihipStream_tbDpT10_ENKUlT_T0_E_clISt17integral_constantIbLb1EES16_EEDaS11_S12_EUlS11_E_NS1_11comp_targetILNS1_3genE2ELNS1_11target_archE906ELNS1_3gpuE6ELNS1_3repE0EEENS1_30default_config_static_selectorELNS0_4arch9wavefront6targetE0EEEvT1_
	.p2align	8
	.type	_ZN7rocprim17ROCPRIM_400000_NS6detail17trampoline_kernelINS0_14default_configENS1_25partition_config_selectorILNS1_17partition_subalgoE6EyNS0_10empty_typeEbEEZZNS1_14partition_implILS5_6ELb0ES3_mN6thrust23THRUST_200600_302600_NS6detail15normal_iteratorINSA_10device_ptrIyEEEEPS6_SG_NS0_5tupleIJSF_S6_EEENSH_IJSG_SG_EEES6_PlJ5mod_3IyEEEE10hipError_tPvRmT3_T4_T5_T6_T7_T9_mT8_P12ihipStream_tbDpT10_ENKUlT_T0_E_clISt17integral_constantIbLb1EES16_EEDaS11_S12_EUlS11_E_NS1_11comp_targetILNS1_3genE2ELNS1_11target_archE906ELNS1_3gpuE6ELNS1_3repE0EEENS1_30default_config_static_selectorELNS0_4arch9wavefront6targetE0EEEvT1_,@function
_ZN7rocprim17ROCPRIM_400000_NS6detail17trampoline_kernelINS0_14default_configENS1_25partition_config_selectorILNS1_17partition_subalgoE6EyNS0_10empty_typeEbEEZZNS1_14partition_implILS5_6ELb0ES3_mN6thrust23THRUST_200600_302600_NS6detail15normal_iteratorINSA_10device_ptrIyEEEEPS6_SG_NS0_5tupleIJSF_S6_EEENSH_IJSG_SG_EEES6_PlJ5mod_3IyEEEE10hipError_tPvRmT3_T4_T5_T6_T7_T9_mT8_P12ihipStream_tbDpT10_ENKUlT_T0_E_clISt17integral_constantIbLb1EES16_EEDaS11_S12_EUlS11_E_NS1_11comp_targetILNS1_3genE2ELNS1_11target_archE906ELNS1_3gpuE6ELNS1_3repE0EEENS1_30default_config_static_selectorELNS0_4arch9wavefront6targetE0EEEvT1_: ; @_ZN7rocprim17ROCPRIM_400000_NS6detail17trampoline_kernelINS0_14default_configENS1_25partition_config_selectorILNS1_17partition_subalgoE6EyNS0_10empty_typeEbEEZZNS1_14partition_implILS5_6ELb0ES3_mN6thrust23THRUST_200600_302600_NS6detail15normal_iteratorINSA_10device_ptrIyEEEEPS6_SG_NS0_5tupleIJSF_S6_EEENSH_IJSG_SG_EEES6_PlJ5mod_3IyEEEE10hipError_tPvRmT3_T4_T5_T6_T7_T9_mT8_P12ihipStream_tbDpT10_ENKUlT_T0_E_clISt17integral_constantIbLb1EES16_EEDaS11_S12_EUlS11_E_NS1_11comp_targetILNS1_3genE2ELNS1_11target_archE906ELNS1_3gpuE6ELNS1_3repE0EEENS1_30default_config_static_selectorELNS0_4arch9wavefront6targetE0EEEvT1_
; %bb.0:
	.section	.rodata,"a",@progbits
	.p2align	6, 0x0
	.amdhsa_kernel _ZN7rocprim17ROCPRIM_400000_NS6detail17trampoline_kernelINS0_14default_configENS1_25partition_config_selectorILNS1_17partition_subalgoE6EyNS0_10empty_typeEbEEZZNS1_14partition_implILS5_6ELb0ES3_mN6thrust23THRUST_200600_302600_NS6detail15normal_iteratorINSA_10device_ptrIyEEEEPS6_SG_NS0_5tupleIJSF_S6_EEENSH_IJSG_SG_EEES6_PlJ5mod_3IyEEEE10hipError_tPvRmT3_T4_T5_T6_T7_T9_mT8_P12ihipStream_tbDpT10_ENKUlT_T0_E_clISt17integral_constantIbLb1EES16_EEDaS11_S12_EUlS11_E_NS1_11comp_targetILNS1_3genE2ELNS1_11target_archE906ELNS1_3gpuE6ELNS1_3repE0EEENS1_30default_config_static_selectorELNS0_4arch9wavefront6targetE0EEEvT1_
		.amdhsa_group_segment_fixed_size 0
		.amdhsa_private_segment_fixed_size 0
		.amdhsa_kernarg_size 128
		.amdhsa_user_sgpr_count 15
		.amdhsa_user_sgpr_dispatch_ptr 0
		.amdhsa_user_sgpr_queue_ptr 0
		.amdhsa_user_sgpr_kernarg_segment_ptr 1
		.amdhsa_user_sgpr_dispatch_id 0
		.amdhsa_user_sgpr_private_segment_size 0
		.amdhsa_wavefront_size32 1
		.amdhsa_uses_dynamic_stack 0
		.amdhsa_enable_private_segment 0
		.amdhsa_system_sgpr_workgroup_id_x 1
		.amdhsa_system_sgpr_workgroup_id_y 0
		.amdhsa_system_sgpr_workgroup_id_z 0
		.amdhsa_system_sgpr_workgroup_info 0
		.amdhsa_system_vgpr_workitem_id 0
		.amdhsa_next_free_vgpr 1
		.amdhsa_next_free_sgpr 1
		.amdhsa_reserve_vcc 0
		.amdhsa_float_round_mode_32 0
		.amdhsa_float_round_mode_16_64 0
		.amdhsa_float_denorm_mode_32 3
		.amdhsa_float_denorm_mode_16_64 3
		.amdhsa_dx10_clamp 1
		.amdhsa_ieee_mode 1
		.amdhsa_fp16_overflow 0
		.amdhsa_workgroup_processor_mode 1
		.amdhsa_memory_ordered 1
		.amdhsa_forward_progress 0
		.amdhsa_shared_vgpr_count 0
		.amdhsa_exception_fp_ieee_invalid_op 0
		.amdhsa_exception_fp_denorm_src 0
		.amdhsa_exception_fp_ieee_div_zero 0
		.amdhsa_exception_fp_ieee_overflow 0
		.amdhsa_exception_fp_ieee_underflow 0
		.amdhsa_exception_fp_ieee_inexact 0
		.amdhsa_exception_int_div_zero 0
	.end_amdhsa_kernel
	.section	.text._ZN7rocprim17ROCPRIM_400000_NS6detail17trampoline_kernelINS0_14default_configENS1_25partition_config_selectorILNS1_17partition_subalgoE6EyNS0_10empty_typeEbEEZZNS1_14partition_implILS5_6ELb0ES3_mN6thrust23THRUST_200600_302600_NS6detail15normal_iteratorINSA_10device_ptrIyEEEEPS6_SG_NS0_5tupleIJSF_S6_EEENSH_IJSG_SG_EEES6_PlJ5mod_3IyEEEE10hipError_tPvRmT3_T4_T5_T6_T7_T9_mT8_P12ihipStream_tbDpT10_ENKUlT_T0_E_clISt17integral_constantIbLb1EES16_EEDaS11_S12_EUlS11_E_NS1_11comp_targetILNS1_3genE2ELNS1_11target_archE906ELNS1_3gpuE6ELNS1_3repE0EEENS1_30default_config_static_selectorELNS0_4arch9wavefront6targetE0EEEvT1_,"axG",@progbits,_ZN7rocprim17ROCPRIM_400000_NS6detail17trampoline_kernelINS0_14default_configENS1_25partition_config_selectorILNS1_17partition_subalgoE6EyNS0_10empty_typeEbEEZZNS1_14partition_implILS5_6ELb0ES3_mN6thrust23THRUST_200600_302600_NS6detail15normal_iteratorINSA_10device_ptrIyEEEEPS6_SG_NS0_5tupleIJSF_S6_EEENSH_IJSG_SG_EEES6_PlJ5mod_3IyEEEE10hipError_tPvRmT3_T4_T5_T6_T7_T9_mT8_P12ihipStream_tbDpT10_ENKUlT_T0_E_clISt17integral_constantIbLb1EES16_EEDaS11_S12_EUlS11_E_NS1_11comp_targetILNS1_3genE2ELNS1_11target_archE906ELNS1_3gpuE6ELNS1_3repE0EEENS1_30default_config_static_selectorELNS0_4arch9wavefront6targetE0EEEvT1_,comdat
.Lfunc_end468:
	.size	_ZN7rocprim17ROCPRIM_400000_NS6detail17trampoline_kernelINS0_14default_configENS1_25partition_config_selectorILNS1_17partition_subalgoE6EyNS0_10empty_typeEbEEZZNS1_14partition_implILS5_6ELb0ES3_mN6thrust23THRUST_200600_302600_NS6detail15normal_iteratorINSA_10device_ptrIyEEEEPS6_SG_NS0_5tupleIJSF_S6_EEENSH_IJSG_SG_EEES6_PlJ5mod_3IyEEEE10hipError_tPvRmT3_T4_T5_T6_T7_T9_mT8_P12ihipStream_tbDpT10_ENKUlT_T0_E_clISt17integral_constantIbLb1EES16_EEDaS11_S12_EUlS11_E_NS1_11comp_targetILNS1_3genE2ELNS1_11target_archE906ELNS1_3gpuE6ELNS1_3repE0EEENS1_30default_config_static_selectorELNS0_4arch9wavefront6targetE0EEEvT1_, .Lfunc_end468-_ZN7rocprim17ROCPRIM_400000_NS6detail17trampoline_kernelINS0_14default_configENS1_25partition_config_selectorILNS1_17partition_subalgoE6EyNS0_10empty_typeEbEEZZNS1_14partition_implILS5_6ELb0ES3_mN6thrust23THRUST_200600_302600_NS6detail15normal_iteratorINSA_10device_ptrIyEEEEPS6_SG_NS0_5tupleIJSF_S6_EEENSH_IJSG_SG_EEES6_PlJ5mod_3IyEEEE10hipError_tPvRmT3_T4_T5_T6_T7_T9_mT8_P12ihipStream_tbDpT10_ENKUlT_T0_E_clISt17integral_constantIbLb1EES16_EEDaS11_S12_EUlS11_E_NS1_11comp_targetILNS1_3genE2ELNS1_11target_archE906ELNS1_3gpuE6ELNS1_3repE0EEENS1_30default_config_static_selectorELNS0_4arch9wavefront6targetE0EEEvT1_
                                        ; -- End function
	.section	.AMDGPU.csdata,"",@progbits
; Kernel info:
; codeLenInByte = 0
; NumSgprs: 0
; NumVgprs: 0
; ScratchSize: 0
; MemoryBound: 0
; FloatMode: 240
; IeeeMode: 1
; LDSByteSize: 0 bytes/workgroup (compile time only)
; SGPRBlocks: 0
; VGPRBlocks: 0
; NumSGPRsForWavesPerEU: 1
; NumVGPRsForWavesPerEU: 1
; Occupancy: 16
; WaveLimiterHint : 0
; COMPUTE_PGM_RSRC2:SCRATCH_EN: 0
; COMPUTE_PGM_RSRC2:USER_SGPR: 15
; COMPUTE_PGM_RSRC2:TRAP_HANDLER: 0
; COMPUTE_PGM_RSRC2:TGID_X_EN: 1
; COMPUTE_PGM_RSRC2:TGID_Y_EN: 0
; COMPUTE_PGM_RSRC2:TGID_Z_EN: 0
; COMPUTE_PGM_RSRC2:TIDIG_COMP_CNT: 0
	.section	.text._ZN7rocprim17ROCPRIM_400000_NS6detail17trampoline_kernelINS0_14default_configENS1_25partition_config_selectorILNS1_17partition_subalgoE6EyNS0_10empty_typeEbEEZZNS1_14partition_implILS5_6ELb0ES3_mN6thrust23THRUST_200600_302600_NS6detail15normal_iteratorINSA_10device_ptrIyEEEEPS6_SG_NS0_5tupleIJSF_S6_EEENSH_IJSG_SG_EEES6_PlJ5mod_3IyEEEE10hipError_tPvRmT3_T4_T5_T6_T7_T9_mT8_P12ihipStream_tbDpT10_ENKUlT_T0_E_clISt17integral_constantIbLb1EES16_EEDaS11_S12_EUlS11_E_NS1_11comp_targetILNS1_3genE10ELNS1_11target_archE1200ELNS1_3gpuE4ELNS1_3repE0EEENS1_30default_config_static_selectorELNS0_4arch9wavefront6targetE0EEEvT1_,"axG",@progbits,_ZN7rocprim17ROCPRIM_400000_NS6detail17trampoline_kernelINS0_14default_configENS1_25partition_config_selectorILNS1_17partition_subalgoE6EyNS0_10empty_typeEbEEZZNS1_14partition_implILS5_6ELb0ES3_mN6thrust23THRUST_200600_302600_NS6detail15normal_iteratorINSA_10device_ptrIyEEEEPS6_SG_NS0_5tupleIJSF_S6_EEENSH_IJSG_SG_EEES6_PlJ5mod_3IyEEEE10hipError_tPvRmT3_T4_T5_T6_T7_T9_mT8_P12ihipStream_tbDpT10_ENKUlT_T0_E_clISt17integral_constantIbLb1EES16_EEDaS11_S12_EUlS11_E_NS1_11comp_targetILNS1_3genE10ELNS1_11target_archE1200ELNS1_3gpuE4ELNS1_3repE0EEENS1_30default_config_static_selectorELNS0_4arch9wavefront6targetE0EEEvT1_,comdat
	.protected	_ZN7rocprim17ROCPRIM_400000_NS6detail17trampoline_kernelINS0_14default_configENS1_25partition_config_selectorILNS1_17partition_subalgoE6EyNS0_10empty_typeEbEEZZNS1_14partition_implILS5_6ELb0ES3_mN6thrust23THRUST_200600_302600_NS6detail15normal_iteratorINSA_10device_ptrIyEEEEPS6_SG_NS0_5tupleIJSF_S6_EEENSH_IJSG_SG_EEES6_PlJ5mod_3IyEEEE10hipError_tPvRmT3_T4_T5_T6_T7_T9_mT8_P12ihipStream_tbDpT10_ENKUlT_T0_E_clISt17integral_constantIbLb1EES16_EEDaS11_S12_EUlS11_E_NS1_11comp_targetILNS1_3genE10ELNS1_11target_archE1200ELNS1_3gpuE4ELNS1_3repE0EEENS1_30default_config_static_selectorELNS0_4arch9wavefront6targetE0EEEvT1_ ; -- Begin function _ZN7rocprim17ROCPRIM_400000_NS6detail17trampoline_kernelINS0_14default_configENS1_25partition_config_selectorILNS1_17partition_subalgoE6EyNS0_10empty_typeEbEEZZNS1_14partition_implILS5_6ELb0ES3_mN6thrust23THRUST_200600_302600_NS6detail15normal_iteratorINSA_10device_ptrIyEEEEPS6_SG_NS0_5tupleIJSF_S6_EEENSH_IJSG_SG_EEES6_PlJ5mod_3IyEEEE10hipError_tPvRmT3_T4_T5_T6_T7_T9_mT8_P12ihipStream_tbDpT10_ENKUlT_T0_E_clISt17integral_constantIbLb1EES16_EEDaS11_S12_EUlS11_E_NS1_11comp_targetILNS1_3genE10ELNS1_11target_archE1200ELNS1_3gpuE4ELNS1_3repE0EEENS1_30default_config_static_selectorELNS0_4arch9wavefront6targetE0EEEvT1_
	.globl	_ZN7rocprim17ROCPRIM_400000_NS6detail17trampoline_kernelINS0_14default_configENS1_25partition_config_selectorILNS1_17partition_subalgoE6EyNS0_10empty_typeEbEEZZNS1_14partition_implILS5_6ELb0ES3_mN6thrust23THRUST_200600_302600_NS6detail15normal_iteratorINSA_10device_ptrIyEEEEPS6_SG_NS0_5tupleIJSF_S6_EEENSH_IJSG_SG_EEES6_PlJ5mod_3IyEEEE10hipError_tPvRmT3_T4_T5_T6_T7_T9_mT8_P12ihipStream_tbDpT10_ENKUlT_T0_E_clISt17integral_constantIbLb1EES16_EEDaS11_S12_EUlS11_E_NS1_11comp_targetILNS1_3genE10ELNS1_11target_archE1200ELNS1_3gpuE4ELNS1_3repE0EEENS1_30default_config_static_selectorELNS0_4arch9wavefront6targetE0EEEvT1_
	.p2align	8
	.type	_ZN7rocprim17ROCPRIM_400000_NS6detail17trampoline_kernelINS0_14default_configENS1_25partition_config_selectorILNS1_17partition_subalgoE6EyNS0_10empty_typeEbEEZZNS1_14partition_implILS5_6ELb0ES3_mN6thrust23THRUST_200600_302600_NS6detail15normal_iteratorINSA_10device_ptrIyEEEEPS6_SG_NS0_5tupleIJSF_S6_EEENSH_IJSG_SG_EEES6_PlJ5mod_3IyEEEE10hipError_tPvRmT3_T4_T5_T6_T7_T9_mT8_P12ihipStream_tbDpT10_ENKUlT_T0_E_clISt17integral_constantIbLb1EES16_EEDaS11_S12_EUlS11_E_NS1_11comp_targetILNS1_3genE10ELNS1_11target_archE1200ELNS1_3gpuE4ELNS1_3repE0EEENS1_30default_config_static_selectorELNS0_4arch9wavefront6targetE0EEEvT1_,@function
_ZN7rocprim17ROCPRIM_400000_NS6detail17trampoline_kernelINS0_14default_configENS1_25partition_config_selectorILNS1_17partition_subalgoE6EyNS0_10empty_typeEbEEZZNS1_14partition_implILS5_6ELb0ES3_mN6thrust23THRUST_200600_302600_NS6detail15normal_iteratorINSA_10device_ptrIyEEEEPS6_SG_NS0_5tupleIJSF_S6_EEENSH_IJSG_SG_EEES6_PlJ5mod_3IyEEEE10hipError_tPvRmT3_T4_T5_T6_T7_T9_mT8_P12ihipStream_tbDpT10_ENKUlT_T0_E_clISt17integral_constantIbLb1EES16_EEDaS11_S12_EUlS11_E_NS1_11comp_targetILNS1_3genE10ELNS1_11target_archE1200ELNS1_3gpuE4ELNS1_3repE0EEENS1_30default_config_static_selectorELNS0_4arch9wavefront6targetE0EEEvT1_: ; @_ZN7rocprim17ROCPRIM_400000_NS6detail17trampoline_kernelINS0_14default_configENS1_25partition_config_selectorILNS1_17partition_subalgoE6EyNS0_10empty_typeEbEEZZNS1_14partition_implILS5_6ELb0ES3_mN6thrust23THRUST_200600_302600_NS6detail15normal_iteratorINSA_10device_ptrIyEEEEPS6_SG_NS0_5tupleIJSF_S6_EEENSH_IJSG_SG_EEES6_PlJ5mod_3IyEEEE10hipError_tPvRmT3_T4_T5_T6_T7_T9_mT8_P12ihipStream_tbDpT10_ENKUlT_T0_E_clISt17integral_constantIbLb1EES16_EEDaS11_S12_EUlS11_E_NS1_11comp_targetILNS1_3genE10ELNS1_11target_archE1200ELNS1_3gpuE4ELNS1_3repE0EEENS1_30default_config_static_selectorELNS0_4arch9wavefront6targetE0EEEvT1_
; %bb.0:
	.section	.rodata,"a",@progbits
	.p2align	6, 0x0
	.amdhsa_kernel _ZN7rocprim17ROCPRIM_400000_NS6detail17trampoline_kernelINS0_14default_configENS1_25partition_config_selectorILNS1_17partition_subalgoE6EyNS0_10empty_typeEbEEZZNS1_14partition_implILS5_6ELb0ES3_mN6thrust23THRUST_200600_302600_NS6detail15normal_iteratorINSA_10device_ptrIyEEEEPS6_SG_NS0_5tupleIJSF_S6_EEENSH_IJSG_SG_EEES6_PlJ5mod_3IyEEEE10hipError_tPvRmT3_T4_T5_T6_T7_T9_mT8_P12ihipStream_tbDpT10_ENKUlT_T0_E_clISt17integral_constantIbLb1EES16_EEDaS11_S12_EUlS11_E_NS1_11comp_targetILNS1_3genE10ELNS1_11target_archE1200ELNS1_3gpuE4ELNS1_3repE0EEENS1_30default_config_static_selectorELNS0_4arch9wavefront6targetE0EEEvT1_
		.amdhsa_group_segment_fixed_size 0
		.amdhsa_private_segment_fixed_size 0
		.amdhsa_kernarg_size 128
		.amdhsa_user_sgpr_count 15
		.amdhsa_user_sgpr_dispatch_ptr 0
		.amdhsa_user_sgpr_queue_ptr 0
		.amdhsa_user_sgpr_kernarg_segment_ptr 1
		.amdhsa_user_sgpr_dispatch_id 0
		.amdhsa_user_sgpr_private_segment_size 0
		.amdhsa_wavefront_size32 1
		.amdhsa_uses_dynamic_stack 0
		.amdhsa_enable_private_segment 0
		.amdhsa_system_sgpr_workgroup_id_x 1
		.amdhsa_system_sgpr_workgroup_id_y 0
		.amdhsa_system_sgpr_workgroup_id_z 0
		.amdhsa_system_sgpr_workgroup_info 0
		.amdhsa_system_vgpr_workitem_id 0
		.amdhsa_next_free_vgpr 1
		.amdhsa_next_free_sgpr 1
		.amdhsa_reserve_vcc 0
		.amdhsa_float_round_mode_32 0
		.amdhsa_float_round_mode_16_64 0
		.amdhsa_float_denorm_mode_32 3
		.amdhsa_float_denorm_mode_16_64 3
		.amdhsa_dx10_clamp 1
		.amdhsa_ieee_mode 1
		.amdhsa_fp16_overflow 0
		.amdhsa_workgroup_processor_mode 1
		.amdhsa_memory_ordered 1
		.amdhsa_forward_progress 0
		.amdhsa_shared_vgpr_count 0
		.amdhsa_exception_fp_ieee_invalid_op 0
		.amdhsa_exception_fp_denorm_src 0
		.amdhsa_exception_fp_ieee_div_zero 0
		.amdhsa_exception_fp_ieee_overflow 0
		.amdhsa_exception_fp_ieee_underflow 0
		.amdhsa_exception_fp_ieee_inexact 0
		.amdhsa_exception_int_div_zero 0
	.end_amdhsa_kernel
	.section	.text._ZN7rocprim17ROCPRIM_400000_NS6detail17trampoline_kernelINS0_14default_configENS1_25partition_config_selectorILNS1_17partition_subalgoE6EyNS0_10empty_typeEbEEZZNS1_14partition_implILS5_6ELb0ES3_mN6thrust23THRUST_200600_302600_NS6detail15normal_iteratorINSA_10device_ptrIyEEEEPS6_SG_NS0_5tupleIJSF_S6_EEENSH_IJSG_SG_EEES6_PlJ5mod_3IyEEEE10hipError_tPvRmT3_T4_T5_T6_T7_T9_mT8_P12ihipStream_tbDpT10_ENKUlT_T0_E_clISt17integral_constantIbLb1EES16_EEDaS11_S12_EUlS11_E_NS1_11comp_targetILNS1_3genE10ELNS1_11target_archE1200ELNS1_3gpuE4ELNS1_3repE0EEENS1_30default_config_static_selectorELNS0_4arch9wavefront6targetE0EEEvT1_,"axG",@progbits,_ZN7rocprim17ROCPRIM_400000_NS6detail17trampoline_kernelINS0_14default_configENS1_25partition_config_selectorILNS1_17partition_subalgoE6EyNS0_10empty_typeEbEEZZNS1_14partition_implILS5_6ELb0ES3_mN6thrust23THRUST_200600_302600_NS6detail15normal_iteratorINSA_10device_ptrIyEEEEPS6_SG_NS0_5tupleIJSF_S6_EEENSH_IJSG_SG_EEES6_PlJ5mod_3IyEEEE10hipError_tPvRmT3_T4_T5_T6_T7_T9_mT8_P12ihipStream_tbDpT10_ENKUlT_T0_E_clISt17integral_constantIbLb1EES16_EEDaS11_S12_EUlS11_E_NS1_11comp_targetILNS1_3genE10ELNS1_11target_archE1200ELNS1_3gpuE4ELNS1_3repE0EEENS1_30default_config_static_selectorELNS0_4arch9wavefront6targetE0EEEvT1_,comdat
.Lfunc_end469:
	.size	_ZN7rocprim17ROCPRIM_400000_NS6detail17trampoline_kernelINS0_14default_configENS1_25partition_config_selectorILNS1_17partition_subalgoE6EyNS0_10empty_typeEbEEZZNS1_14partition_implILS5_6ELb0ES3_mN6thrust23THRUST_200600_302600_NS6detail15normal_iteratorINSA_10device_ptrIyEEEEPS6_SG_NS0_5tupleIJSF_S6_EEENSH_IJSG_SG_EEES6_PlJ5mod_3IyEEEE10hipError_tPvRmT3_T4_T5_T6_T7_T9_mT8_P12ihipStream_tbDpT10_ENKUlT_T0_E_clISt17integral_constantIbLb1EES16_EEDaS11_S12_EUlS11_E_NS1_11comp_targetILNS1_3genE10ELNS1_11target_archE1200ELNS1_3gpuE4ELNS1_3repE0EEENS1_30default_config_static_selectorELNS0_4arch9wavefront6targetE0EEEvT1_, .Lfunc_end469-_ZN7rocprim17ROCPRIM_400000_NS6detail17trampoline_kernelINS0_14default_configENS1_25partition_config_selectorILNS1_17partition_subalgoE6EyNS0_10empty_typeEbEEZZNS1_14partition_implILS5_6ELb0ES3_mN6thrust23THRUST_200600_302600_NS6detail15normal_iteratorINSA_10device_ptrIyEEEEPS6_SG_NS0_5tupleIJSF_S6_EEENSH_IJSG_SG_EEES6_PlJ5mod_3IyEEEE10hipError_tPvRmT3_T4_T5_T6_T7_T9_mT8_P12ihipStream_tbDpT10_ENKUlT_T0_E_clISt17integral_constantIbLb1EES16_EEDaS11_S12_EUlS11_E_NS1_11comp_targetILNS1_3genE10ELNS1_11target_archE1200ELNS1_3gpuE4ELNS1_3repE0EEENS1_30default_config_static_selectorELNS0_4arch9wavefront6targetE0EEEvT1_
                                        ; -- End function
	.section	.AMDGPU.csdata,"",@progbits
; Kernel info:
; codeLenInByte = 0
; NumSgprs: 0
; NumVgprs: 0
; ScratchSize: 0
; MemoryBound: 0
; FloatMode: 240
; IeeeMode: 1
; LDSByteSize: 0 bytes/workgroup (compile time only)
; SGPRBlocks: 0
; VGPRBlocks: 0
; NumSGPRsForWavesPerEU: 1
; NumVGPRsForWavesPerEU: 1
; Occupancy: 16
; WaveLimiterHint : 0
; COMPUTE_PGM_RSRC2:SCRATCH_EN: 0
; COMPUTE_PGM_RSRC2:USER_SGPR: 15
; COMPUTE_PGM_RSRC2:TRAP_HANDLER: 0
; COMPUTE_PGM_RSRC2:TGID_X_EN: 1
; COMPUTE_PGM_RSRC2:TGID_Y_EN: 0
; COMPUTE_PGM_RSRC2:TGID_Z_EN: 0
; COMPUTE_PGM_RSRC2:TIDIG_COMP_CNT: 0
	.section	.text._ZN7rocprim17ROCPRIM_400000_NS6detail17trampoline_kernelINS0_14default_configENS1_25partition_config_selectorILNS1_17partition_subalgoE6EyNS0_10empty_typeEbEEZZNS1_14partition_implILS5_6ELb0ES3_mN6thrust23THRUST_200600_302600_NS6detail15normal_iteratorINSA_10device_ptrIyEEEEPS6_SG_NS0_5tupleIJSF_S6_EEENSH_IJSG_SG_EEES6_PlJ5mod_3IyEEEE10hipError_tPvRmT3_T4_T5_T6_T7_T9_mT8_P12ihipStream_tbDpT10_ENKUlT_T0_E_clISt17integral_constantIbLb1EES16_EEDaS11_S12_EUlS11_E_NS1_11comp_targetILNS1_3genE9ELNS1_11target_archE1100ELNS1_3gpuE3ELNS1_3repE0EEENS1_30default_config_static_selectorELNS0_4arch9wavefront6targetE0EEEvT1_,"axG",@progbits,_ZN7rocprim17ROCPRIM_400000_NS6detail17trampoline_kernelINS0_14default_configENS1_25partition_config_selectorILNS1_17partition_subalgoE6EyNS0_10empty_typeEbEEZZNS1_14partition_implILS5_6ELb0ES3_mN6thrust23THRUST_200600_302600_NS6detail15normal_iteratorINSA_10device_ptrIyEEEEPS6_SG_NS0_5tupleIJSF_S6_EEENSH_IJSG_SG_EEES6_PlJ5mod_3IyEEEE10hipError_tPvRmT3_T4_T5_T6_T7_T9_mT8_P12ihipStream_tbDpT10_ENKUlT_T0_E_clISt17integral_constantIbLb1EES16_EEDaS11_S12_EUlS11_E_NS1_11comp_targetILNS1_3genE9ELNS1_11target_archE1100ELNS1_3gpuE3ELNS1_3repE0EEENS1_30default_config_static_selectorELNS0_4arch9wavefront6targetE0EEEvT1_,comdat
	.protected	_ZN7rocprim17ROCPRIM_400000_NS6detail17trampoline_kernelINS0_14default_configENS1_25partition_config_selectorILNS1_17partition_subalgoE6EyNS0_10empty_typeEbEEZZNS1_14partition_implILS5_6ELb0ES3_mN6thrust23THRUST_200600_302600_NS6detail15normal_iteratorINSA_10device_ptrIyEEEEPS6_SG_NS0_5tupleIJSF_S6_EEENSH_IJSG_SG_EEES6_PlJ5mod_3IyEEEE10hipError_tPvRmT3_T4_T5_T6_T7_T9_mT8_P12ihipStream_tbDpT10_ENKUlT_T0_E_clISt17integral_constantIbLb1EES16_EEDaS11_S12_EUlS11_E_NS1_11comp_targetILNS1_3genE9ELNS1_11target_archE1100ELNS1_3gpuE3ELNS1_3repE0EEENS1_30default_config_static_selectorELNS0_4arch9wavefront6targetE0EEEvT1_ ; -- Begin function _ZN7rocprim17ROCPRIM_400000_NS6detail17trampoline_kernelINS0_14default_configENS1_25partition_config_selectorILNS1_17partition_subalgoE6EyNS0_10empty_typeEbEEZZNS1_14partition_implILS5_6ELb0ES3_mN6thrust23THRUST_200600_302600_NS6detail15normal_iteratorINSA_10device_ptrIyEEEEPS6_SG_NS0_5tupleIJSF_S6_EEENSH_IJSG_SG_EEES6_PlJ5mod_3IyEEEE10hipError_tPvRmT3_T4_T5_T6_T7_T9_mT8_P12ihipStream_tbDpT10_ENKUlT_T0_E_clISt17integral_constantIbLb1EES16_EEDaS11_S12_EUlS11_E_NS1_11comp_targetILNS1_3genE9ELNS1_11target_archE1100ELNS1_3gpuE3ELNS1_3repE0EEENS1_30default_config_static_selectorELNS0_4arch9wavefront6targetE0EEEvT1_
	.globl	_ZN7rocprim17ROCPRIM_400000_NS6detail17trampoline_kernelINS0_14default_configENS1_25partition_config_selectorILNS1_17partition_subalgoE6EyNS0_10empty_typeEbEEZZNS1_14partition_implILS5_6ELb0ES3_mN6thrust23THRUST_200600_302600_NS6detail15normal_iteratorINSA_10device_ptrIyEEEEPS6_SG_NS0_5tupleIJSF_S6_EEENSH_IJSG_SG_EEES6_PlJ5mod_3IyEEEE10hipError_tPvRmT3_T4_T5_T6_T7_T9_mT8_P12ihipStream_tbDpT10_ENKUlT_T0_E_clISt17integral_constantIbLb1EES16_EEDaS11_S12_EUlS11_E_NS1_11comp_targetILNS1_3genE9ELNS1_11target_archE1100ELNS1_3gpuE3ELNS1_3repE0EEENS1_30default_config_static_selectorELNS0_4arch9wavefront6targetE0EEEvT1_
	.p2align	8
	.type	_ZN7rocprim17ROCPRIM_400000_NS6detail17trampoline_kernelINS0_14default_configENS1_25partition_config_selectorILNS1_17partition_subalgoE6EyNS0_10empty_typeEbEEZZNS1_14partition_implILS5_6ELb0ES3_mN6thrust23THRUST_200600_302600_NS6detail15normal_iteratorINSA_10device_ptrIyEEEEPS6_SG_NS0_5tupleIJSF_S6_EEENSH_IJSG_SG_EEES6_PlJ5mod_3IyEEEE10hipError_tPvRmT3_T4_T5_T6_T7_T9_mT8_P12ihipStream_tbDpT10_ENKUlT_T0_E_clISt17integral_constantIbLb1EES16_EEDaS11_S12_EUlS11_E_NS1_11comp_targetILNS1_3genE9ELNS1_11target_archE1100ELNS1_3gpuE3ELNS1_3repE0EEENS1_30default_config_static_selectorELNS0_4arch9wavefront6targetE0EEEvT1_,@function
_ZN7rocprim17ROCPRIM_400000_NS6detail17trampoline_kernelINS0_14default_configENS1_25partition_config_selectorILNS1_17partition_subalgoE6EyNS0_10empty_typeEbEEZZNS1_14partition_implILS5_6ELb0ES3_mN6thrust23THRUST_200600_302600_NS6detail15normal_iteratorINSA_10device_ptrIyEEEEPS6_SG_NS0_5tupleIJSF_S6_EEENSH_IJSG_SG_EEES6_PlJ5mod_3IyEEEE10hipError_tPvRmT3_T4_T5_T6_T7_T9_mT8_P12ihipStream_tbDpT10_ENKUlT_T0_E_clISt17integral_constantIbLb1EES16_EEDaS11_S12_EUlS11_E_NS1_11comp_targetILNS1_3genE9ELNS1_11target_archE1100ELNS1_3gpuE3ELNS1_3repE0EEENS1_30default_config_static_selectorELNS0_4arch9wavefront6targetE0EEEvT1_: ; @_ZN7rocprim17ROCPRIM_400000_NS6detail17trampoline_kernelINS0_14default_configENS1_25partition_config_selectorILNS1_17partition_subalgoE6EyNS0_10empty_typeEbEEZZNS1_14partition_implILS5_6ELb0ES3_mN6thrust23THRUST_200600_302600_NS6detail15normal_iteratorINSA_10device_ptrIyEEEEPS6_SG_NS0_5tupleIJSF_S6_EEENSH_IJSG_SG_EEES6_PlJ5mod_3IyEEEE10hipError_tPvRmT3_T4_T5_T6_T7_T9_mT8_P12ihipStream_tbDpT10_ENKUlT_T0_E_clISt17integral_constantIbLb1EES16_EEDaS11_S12_EUlS11_E_NS1_11comp_targetILNS1_3genE9ELNS1_11target_archE1100ELNS1_3gpuE3ELNS1_3repE0EEENS1_30default_config_static_selectorELNS0_4arch9wavefront6targetE0EEEvT1_
; %bb.0:
	s_clause 0x3
	s_load_b64 s[12:13], s[0:1], 0x28
	s_load_b128 s[8:11], s[0:1], 0x40
	s_load_b64 s[16:17], s[0:1], 0x50
	s_load_b64 s[14:15], s[0:1], 0x60
	v_cmp_eq_u32_e64 s2, 0, v0
	s_delay_alu instid0(VALU_DEP_1)
	s_and_saveexec_b32 s3, s2
	s_cbranch_execz .LBB470_4
; %bb.1:
	s_mov_b32 s5, exec_lo
	s_mov_b32 s4, exec_lo
	v_mbcnt_lo_u32_b32 v1, s5, 0
                                        ; implicit-def: $vgpr2
	s_delay_alu instid0(VALU_DEP_1)
	v_cmpx_eq_u32_e32 0, v1
	s_cbranch_execz .LBB470_3
; %bb.2:
	s_load_b64 s[6:7], s[0:1], 0x70
	s_bcnt1_i32_b32 s5, s5
	s_delay_alu instid0(SALU_CYCLE_1)
	v_dual_mov_b32 v2, 0 :: v_dual_mov_b32 v3, s5
	s_waitcnt lgkmcnt(0)
	global_atomic_add_u32 v2, v2, v3, s[6:7] glc
.LBB470_3:
	s_or_b32 exec_lo, exec_lo, s4
	s_waitcnt vmcnt(0)
	v_readfirstlane_b32 s4, v2
	s_delay_alu instid0(VALU_DEP_1)
	v_dual_mov_b32 v2, 0 :: v_dual_add_nc_u32 v1, s4, v1
	ds_store_b32 v2, v1
.LBB470_4:
	s_or_b32 exec_lo, exec_lo, s3
	v_mov_b32_e32 v2, 0
	s_clause 0x1
	s_load_b128 s[4:7], s[0:1], 0x8
	s_load_b32 s0, s[0:1], 0x68
	s_waitcnt lgkmcnt(0)
	s_barrier
	buffer_gl0_inv
	ds_load_b32 v1, v2
	s_waitcnt lgkmcnt(0)
	s_barrier
	buffer_gl0_inv
	global_load_b64 v[21:22], v2, s[10:11]
	s_lshl_b64 s[10:11], s[6:7], 3
	s_delay_alu instid0(SALU_CYCLE_1)
	s_add_u32 s1, s4, s10
	s_mul_i32 s4, s0, 0x900
	s_addc_u32 s3, s5, s11
	v_readfirstlane_b32 s10, v1
	v_mul_lo_u32 v1, 0x900, v1
	s_add_i32 s5, s4, s6
	s_add_i32 s11, s0, -1
	s_sub_i32 s0, s16, s5
	s_add_u32 s4, s6, s4
	s_addc_u32 s5, s7, 0
	s_cmp_eq_u32 s10, s11
	v_cmp_ge_u64_e64 s4, s[4:5], s[16:17]
	v_lshlrev_b64 v[1:2], 3, v[1:2]
	s_cselect_b32 s5, -1, 0
	s_delay_alu instid0(VALU_DEP_2) | instid1(SALU_CYCLE_1)
	s_and_b32 s4, s4, s5
	s_delay_alu instid0(VALU_DEP_1) | instskip(NEXT) | instid1(VALU_DEP_2)
	v_add_co_u32 v17, vcc_lo, s1, v1
	v_add_co_ci_u32_e32 v18, vcc_lo, s3, v2, vcc_lo
	s_xor_b32 s6, s4, -1
	s_mov_b32 s1, -1
	s_and_b32 vcc_lo, exec_lo, s6
	s_cbranch_vccz .LBB470_6
; %bb.5:
	v_lshlrev_b32_e32 v13, 3, v0
	s_mov_b32 s1, 0
	s_delay_alu instid0(VALU_DEP_1) | instskip(SKIP_1) | instid1(VALU_DEP_2)
	v_add_co_u32 v1, vcc_lo, v17, v13
	v_add_co_ci_u32_e32 v2, vcc_lo, 0, v18, vcc_lo
	v_add_co_u32 v3, vcc_lo, 0x1000, v1
	s_delay_alu instid0(VALU_DEP_2)
	v_add_co_ci_u32_e32 v4, vcc_lo, 0, v2, vcc_lo
	v_add_co_u32 v5, vcc_lo, 0x2000, v1
	v_add_co_ci_u32_e32 v6, vcc_lo, 0, v2, vcc_lo
	v_add_co_u32 v7, vcc_lo, 0x3000, v1
	v_add_co_ci_u32_e32 v8, vcc_lo, 0, v2, vcc_lo
	s_clause 0x5
	flat_load_b64 v[9:10], v[1:2]
	flat_load_b64 v[1:2], v[1:2] offset:3072
	flat_load_b64 v[3:4], v[3:4] offset:2048
	;; [unrolled: 1-line block ×3, first 2 shown]
	flat_load_b64 v[11:12], v[7:8]
	flat_load_b64 v[7:8], v[7:8] offset:3072
	s_waitcnt vmcnt(4) lgkmcnt(4)
	ds_store_2addr_stride64_b64 v13, v[9:10], v[1:2] offset1:6
	s_waitcnt vmcnt(2) lgkmcnt(3)
	ds_store_2addr_stride64_b64 v13, v[3:4], v[5:6] offset0:12 offset1:18
	s_waitcnt vmcnt(0) lgkmcnt(2)
	ds_store_2addr_stride64_b64 v13, v[11:12], v[7:8] offset0:24 offset1:30
	s_waitcnt lgkmcnt(0)
	s_barrier
.LBB470_6:
	s_and_not1_b32 vcc_lo, exec_lo, s1
	s_addk_i32 s0, 0x900
	s_cbranch_vccnz .LBB470_20
; %bb.7:
	s_mov_b32 s1, exec_lo
                                        ; implicit-def: $vgpr1_vgpr2_vgpr3_vgpr4_vgpr5_vgpr6_vgpr7_vgpr8_vgpr9_vgpr10_vgpr11_vgpr12_vgpr13_vgpr14_vgpr15_vgpr16
	v_cmpx_gt_u32_e64 s0, v0
	s_cbranch_execz .LBB470_9
; %bb.8:
	v_lshlrev_b32_e32 v1, 3, v0
	s_delay_alu instid0(VALU_DEP_1)
	v_add_co_u32 v1, vcc_lo, v17, v1
	v_add_co_ci_u32_e32 v2, vcc_lo, 0, v18, vcc_lo
	flat_load_b64 v[1:2], v[1:2]
.LBB470_9:
	s_or_b32 exec_lo, exec_lo, s1
	v_add_nc_u32_e32 v13, 0x180, v0
	s_mov_b32 s1, exec_lo
	s_delay_alu instid0(VALU_DEP_1)
	v_cmpx_gt_u32_e64 s0, v13
	s_cbranch_execz .LBB470_11
; %bb.10:
	v_lshlrev_b32_e32 v3, 3, v0
	s_delay_alu instid0(VALU_DEP_1)
	v_add_co_u32 v3, vcc_lo, v17, v3
	v_add_co_ci_u32_e32 v4, vcc_lo, 0, v18, vcc_lo
	flat_load_b64 v[3:4], v[3:4] offset:3072
.LBB470_11:
	s_or_b32 exec_lo, exec_lo, s1
	v_add_nc_u32_e32 v13, 0x300, v0
	s_mov_b32 s1, exec_lo
	s_delay_alu instid0(VALU_DEP_1)
	v_cmpx_gt_u32_e64 s0, v13
	s_cbranch_execz .LBB470_13
; %bb.12:
	v_lshlrev_b32_e32 v5, 3, v13
	s_delay_alu instid0(VALU_DEP_1)
	v_add_co_u32 v5, vcc_lo, v17, v5
	v_add_co_ci_u32_e32 v6, vcc_lo, 0, v18, vcc_lo
	flat_load_b64 v[5:6], v[5:6]
.LBB470_13:
	s_or_b32 exec_lo, exec_lo, s1
	v_add_nc_u32_e32 v13, 0x480, v0
	s_mov_b32 s1, exec_lo
	s_delay_alu instid0(VALU_DEP_1)
	v_cmpx_gt_u32_e64 s0, v13
	s_cbranch_execz .LBB470_15
; %bb.14:
	v_lshlrev_b32_e32 v7, 3, v13
	s_delay_alu instid0(VALU_DEP_1)
	v_add_co_u32 v7, vcc_lo, v17, v7
	v_add_co_ci_u32_e32 v8, vcc_lo, 0, v18, vcc_lo
	flat_load_b64 v[7:8], v[7:8]
.LBB470_15:
	s_or_b32 exec_lo, exec_lo, s1
	v_or_b32_e32 v13, 0x600, v0
	s_mov_b32 s1, exec_lo
	s_delay_alu instid0(VALU_DEP_1)
	v_cmpx_gt_u32_e64 s0, v13
	s_cbranch_execz .LBB470_17
; %bb.16:
	v_lshlrev_b32_e32 v9, 3, v13
	s_delay_alu instid0(VALU_DEP_1)
	v_add_co_u32 v9, vcc_lo, v17, v9
	v_add_co_ci_u32_e32 v10, vcc_lo, 0, v18, vcc_lo
	flat_load_b64 v[9:10], v[9:10]
.LBB470_17:
	s_or_b32 exec_lo, exec_lo, s1
	v_add_nc_u32_e32 v13, 0x780, v0
	s_mov_b32 s1, exec_lo
	s_delay_alu instid0(VALU_DEP_1)
	v_cmpx_gt_u32_e64 s0, v13
	s_cbranch_execz .LBB470_19
; %bb.18:
	v_lshlrev_b32_e32 v11, 3, v13
	s_delay_alu instid0(VALU_DEP_1)
	v_add_co_u32 v11, vcc_lo, v17, v11
	v_add_co_ci_u32_e32 v12, vcc_lo, 0, v18, vcc_lo
	flat_load_b64 v[11:12], v[11:12]
.LBB470_19:
	s_or_b32 exec_lo, exec_lo, s1
	v_lshlrev_b32_e32 v13, 3, v0
	s_waitcnt vmcnt(0) lgkmcnt(0)
	ds_store_2addr_stride64_b64 v13, v[1:2], v[3:4] offset1:6
	ds_store_2addr_stride64_b64 v13, v[5:6], v[7:8] offset0:12 offset1:18
	ds_store_2addr_stride64_b64 v13, v[9:10], v[11:12] offset0:24 offset1:30
	s_waitcnt lgkmcnt(0)
	s_barrier
.LBB470_20:
	v_mul_u32_u24_e32 v13, 6, v0
	s_waitcnt vmcnt(0)
	buffer_gl0_inv
	s_and_not1_b32 vcc_lo, exec_lo, s6
	v_lshlrev_b32_e32 v37, 3, v13
	ds_load_b128 v[9:12], v37
	ds_load_b128 v[5:8], v37 offset:16
	ds_load_b128 v[1:4], v37 offset:32
	s_waitcnt lgkmcnt(0)
	s_barrier
	buffer_gl0_inv
	s_cbranch_vccnz .LBB470_22
; %bb.21:
	v_mul_lo_u32 v14, 0xaaaaaaab, v11
	v_mul_lo_u32 v15, 0xaaaaaaab, v7
	;; [unrolled: 1-line block ×5, first 2 shown]
	v_cmp_lt_u32_e32 vcc_lo, 0x55555555, v14
	v_cndmask_b32_e64 v14, 0, 1, vcc_lo
	v_cmp_lt_u32_e32 vcc_lo, 0x55555555, v15
	s_delay_alu instid0(VALU_DEP_2) | instskip(SKIP_2) | instid1(VALU_DEP_2)
	v_lshlrev_b16 v14, 8, v14
	v_cndmask_b32_e64 v15, 0, 1, vcc_lo
	v_cmp_lt_u32_e32 vcc_lo, 0x55555555, v16
	v_lshlrev_b16 v15, 8, v15
	v_cndmask_b32_e64 v16, 0, 1, vcc_lo
	v_cmp_lt_u32_e32 vcc_lo, 0x55555555, v17
	s_delay_alu instid0(VALU_DEP_2) | instskip(SKIP_3) | instid1(VALU_DEP_4)
	v_or_b32_e32 v14, v16, v14
	v_cndmask_b32_e64 v17, 0, 1, vcc_lo
	v_mul_lo_u32 v16, 0xaaaaaaab, v3
	v_cmp_lt_u32_e32 vcc_lo, 0x55555555, v18
	v_and_b32_e32 v14, 0xffff, v14
	s_delay_alu instid0(VALU_DEP_4) | instskip(SKIP_2) | instid1(VALU_DEP_3)
	v_or_b32_e32 v15, v17, v15
	v_cndmask_b32_e64 v34, 0, 1, vcc_lo
	v_cmp_lt_u32_e32 vcc_lo, 0x55555555, v16
	v_lshlrev_b32_e32 v15, 16, v15
	v_cndmask_b32_e64 v33, 0, 1, vcc_lo
	s_delay_alu instid0(VALU_DEP_2)
	v_or_b32_e32 v35, v14, v15
	s_cbranch_execz .LBB470_23
	s_branch .LBB470_36
.LBB470_22:
                                        ; implicit-def: $vgpr33
                                        ; implicit-def: $vgpr34
                                        ; implicit-def: $vgpr35
.LBB470_23:
	v_dual_mov_b32 v15, 0 :: v_dual_mov_b32 v14, 0
	s_mov_b32 s1, exec_lo
	v_cmpx_gt_u32_e64 s0, v13
; %bb.24:
	v_mul_lo_u32 v14, 0xaaaaaaab, v9
	s_delay_alu instid0(VALU_DEP_1)
	v_cmp_lt_u32_e32 vcc_lo, 0x55555555, v14
	v_cndmask_b32_e64 v14, 0, 1, vcc_lo
; %bb.25:
	s_or_b32 exec_lo, exec_lo, s1
	v_or_b32_e32 v16, 1, v13
	s_mov_b32 s1, exec_lo
	s_delay_alu instid0(VALU_DEP_1)
	v_cmpx_gt_u32_e64 s0, v16
; %bb.26:
	v_mul_lo_u32 v15, 0xaaaaaaab, v11
	s_delay_alu instid0(VALU_DEP_1)
	v_cmp_lt_u32_e32 vcc_lo, 0x55555555, v15
	v_cndmask_b32_e64 v15, 0, 1, vcc_lo
; %bb.27:
	s_or_b32 exec_lo, exec_lo, s1
	v_dual_mov_b32 v17, 0 :: v_dual_add_nc_u32 v16, 2, v13
	s_delay_alu instid0(VALU_DEP_1)
	v_cmp_gt_u32_e32 vcc_lo, s0, v16
	v_mov_b32_e32 v16, 0
	s_and_saveexec_b32 s1, vcc_lo
; %bb.28:
	v_mul_lo_u32 v16, 0xaaaaaaab, v5
	s_delay_alu instid0(VALU_DEP_1)
	v_cmp_lt_u32_e32 vcc_lo, 0x55555555, v16
	v_cndmask_b32_e64 v16, 0, 1, vcc_lo
; %bb.29:
	s_or_b32 exec_lo, exec_lo, s1
	v_add_nc_u32_e32 v18, 3, v13
	s_mov_b32 s1, exec_lo
	s_delay_alu instid0(VALU_DEP_1)
	v_cmpx_gt_u32_e64 s0, v18
; %bb.30:
	v_mul_lo_u32 v17, 0xaaaaaaab, v7
	s_delay_alu instid0(VALU_DEP_1)
	v_cmp_lt_u32_e32 vcc_lo, 0x55555555, v17
	v_cndmask_b32_e64 v17, 0, 1, vcc_lo
; %bb.31:
	s_or_b32 exec_lo, exec_lo, s1
	v_dual_mov_b32 v33, 0 :: v_dual_add_nc_u32 v18, 4, v13
	v_mov_b32_e32 v34, 0
	s_mov_b32 s1, exec_lo
	s_delay_alu instid0(VALU_DEP_2)
	v_cmpx_gt_u32_e64 s0, v18
; %bb.32:
	v_mul_lo_u32 v18, 0xaaaaaaab, v1
	s_delay_alu instid0(VALU_DEP_1)
	v_cmp_lt_u32_e32 vcc_lo, 0x55555555, v18
	v_cndmask_b32_e64 v34, 0, 1, vcc_lo
; %bb.33:
	s_or_b32 exec_lo, exec_lo, s1
	v_add_nc_u32_e32 v13, 5, v13
	s_delay_alu instid0(VALU_DEP_1)
	v_cmp_gt_u32_e32 vcc_lo, s0, v13
	s_and_saveexec_b32 s0, vcc_lo
; %bb.34:
	v_mul_lo_u32 v13, 0xaaaaaaab, v3
	s_delay_alu instid0(VALU_DEP_1)
	v_cmp_lt_u32_e32 vcc_lo, 0x55555555, v13
	v_cndmask_b32_e64 v33, 0, 1, vcc_lo
; %bb.35:
	s_or_b32 exec_lo, exec_lo, s0
	v_lshlrev_b16 v13, 8, v15
	v_lshlrev_b16 v15, 8, v17
	s_delay_alu instid0(VALU_DEP_2) | instskip(NEXT) | instid1(VALU_DEP_2)
	v_or_b32_e32 v13, v14, v13
	v_or_b32_e32 v14, v16, v15
	s_delay_alu instid0(VALU_DEP_2) | instskip(NEXT) | instid1(VALU_DEP_2)
	v_and_b32_e32 v13, 0xffff, v13
	v_lshlrev_b32_e32 v14, 16, v14
	s_delay_alu instid0(VALU_DEP_1)
	v_or_b32_e32 v35, v13, v14
.LBB470_36:
	s_delay_alu instid0(VALU_DEP_1)
	v_dual_mov_b32 v14, 0 :: v_dual_and_b32 v41, 0xff, v35
	v_bfe_u32 v40, v35, 8, 8
	v_bfe_u32 v39, v35, 16, 8
	v_lshrrev_b32_e32 v36, 24, v35
	v_and_b32_e32 v38, 0xff, v34
	v_mbcnt_lo_u32_b32 v42, -1, 0
	v_add_co_u32 v13, s0, v40, v41
	s_delay_alu instid0(VALU_DEP_1) | instskip(SKIP_1) | instid1(VALU_DEP_3)
	v_add_co_ci_u32_e64 v15, null, 0, 0, s0
	v_and_b32_e32 v16, 0xff, v33
	v_add_co_u32 v13, vcc_lo, v13, v39
	s_delay_alu instid0(VALU_DEP_3) | instskip(SKIP_1) | instid1(VALU_DEP_3)
	v_add_co_ci_u32_e32 v15, vcc_lo, 0, v15, vcc_lo
	v_and_b32_e32 v43, 15, v42
	v_add_co_u32 v13, vcc_lo, v13, v36
	s_delay_alu instid0(VALU_DEP_3) | instskip(NEXT) | instid1(VALU_DEP_3)
	v_add_co_ci_u32_e32 v15, vcc_lo, 0, v15, vcc_lo
	v_cmp_ne_u32_e64 s0, 0, v43
	s_delay_alu instid0(VALU_DEP_3) | instskip(NEXT) | instid1(VALU_DEP_3)
	v_add_co_u32 v13, vcc_lo, v13, v38
	v_add_co_ci_u32_e32 v15, vcc_lo, 0, v15, vcc_lo
	s_cmp_lg_u32 s10, 0
	s_delay_alu instid0(VALU_DEP_2) | instskip(NEXT) | instid1(VALU_DEP_2)
	v_add_co_u32 v23, vcc_lo, v13, v16
	v_add_co_ci_u32_e32 v24, vcc_lo, 0, v15, vcc_lo
	s_mov_b32 s1, -1
	s_cbranch_scc0 .LBB470_105
; %bb.37:
	s_delay_alu instid0(VALU_DEP_2)
	v_mov_b32_e32 v15, v23
	v_mov_b32_dpp v13, v23 row_shr:1 row_mask:0xf bank_mask:0xf
	v_mov_b32_dpp v18, v14 row_shr:1 row_mask:0xf bank_mask:0xf
	v_dual_mov_b32 v17, v23 :: v_dual_mov_b32 v16, v24
	s_and_saveexec_b32 s1, s0
; %bb.38:
	s_delay_alu instid0(VALU_DEP_3) | instskip(SKIP_1) | instid1(VALU_DEP_2)
	v_add_co_u32 v17, vcc_lo, v23, v13
	v_add_co_ci_u32_e32 v14, vcc_lo, 0, v24, vcc_lo
	v_add_co_u32 v13, vcc_lo, 0, v17
	s_delay_alu instid0(VALU_DEP_2) | instskip(NEXT) | instid1(VALU_DEP_1)
	v_add_co_ci_u32_e32 v14, vcc_lo, v18, v14, vcc_lo
	v_dual_mov_b32 v16, v14 :: v_dual_mov_b32 v15, v13
; %bb.39:
	s_or_b32 exec_lo, exec_lo, s1
	v_mov_b32_dpp v13, v17 row_shr:2 row_mask:0xf bank_mask:0xf
	v_mov_b32_dpp v18, v14 row_shr:2 row_mask:0xf bank_mask:0xf
	v_cmp_lt_u32_e32 vcc_lo, 1, v43
	s_and_saveexec_b32 s3, vcc_lo
; %bb.40:
	s_delay_alu instid0(VALU_DEP_3) | instskip(NEXT) | instid1(VALU_DEP_1)
	v_add_co_u32 v17, s1, v15, v13
	v_add_co_ci_u32_e64 v14, s1, 0, v16, s1
	s_delay_alu instid0(VALU_DEP_2) | instskip(NEXT) | instid1(VALU_DEP_1)
	v_add_co_u32 v13, s1, 0, v17
	v_add_co_ci_u32_e64 v14, s1, v18, v14, s1
	s_delay_alu instid0(VALU_DEP_1)
	v_dual_mov_b32 v16, v14 :: v_dual_mov_b32 v15, v13
; %bb.41:
	s_or_b32 exec_lo, exec_lo, s3
	v_mov_b32_dpp v13, v17 row_shr:4 row_mask:0xf bank_mask:0xf
	v_mov_b32_dpp v18, v14 row_shr:4 row_mask:0xf bank_mask:0xf
	v_cmp_lt_u32_e64 s1, 3, v43
	s_delay_alu instid0(VALU_DEP_1)
	s_and_saveexec_b32 s4, s1
; %bb.42:
	s_delay_alu instid0(VALU_DEP_3) | instskip(NEXT) | instid1(VALU_DEP_1)
	v_add_co_u32 v17, s3, v15, v13
	v_add_co_ci_u32_e64 v14, s3, 0, v16, s3
	s_delay_alu instid0(VALU_DEP_2) | instskip(NEXT) | instid1(VALU_DEP_1)
	v_add_co_u32 v13, s3, 0, v17
	v_add_co_ci_u32_e64 v14, s3, v18, v14, s3
	s_delay_alu instid0(VALU_DEP_1)
	v_dual_mov_b32 v16, v14 :: v_dual_mov_b32 v15, v13
; %bb.43:
	s_or_b32 exec_lo, exec_lo, s4
	v_mov_b32_dpp v18, v17 row_shr:8 row_mask:0xf bank_mask:0xf
	v_mov_b32_dpp v13, v14 row_shr:8 row_mask:0xf bank_mask:0xf
	v_cmp_lt_u32_e64 s3, 7, v43
	s_delay_alu instid0(VALU_DEP_1)
	s_and_saveexec_b32 s7, s3
; %bb.44:
	s_delay_alu instid0(VALU_DEP_3) | instskip(NEXT) | instid1(VALU_DEP_1)
	v_add_co_u32 v17, s4, v15, v18
	v_add_co_ci_u32_e64 v14, s4, 0, v16, s4
	s_delay_alu instid0(VALU_DEP_2) | instskip(NEXT) | instid1(VALU_DEP_1)
	v_add_co_u32 v15, s4, 0, v17
	v_add_co_ci_u32_e64 v16, s4, v13, v14, s4
	s_delay_alu instid0(VALU_DEP_1)
	v_mov_b32_e32 v14, v16
; %bb.45:
	s_or_b32 exec_lo, exec_lo, s7
	ds_swizzle_b32 v13, v17 offset:swizzle(BROADCAST,32,15)
	ds_swizzle_b32 v18, v14 offset:swizzle(BROADCAST,32,15)
	v_and_b32_e32 v19, 16, v42
	s_mov_b32 s7, exec_lo
	s_delay_alu instid0(VALU_DEP_1)
	v_cmpx_ne_u32_e32 0, v19
	s_cbranch_execz .LBB470_47
; %bb.46:
	s_waitcnt lgkmcnt(1)
	v_add_co_u32 v17, s4, v15, v13
	s_delay_alu instid0(VALU_DEP_1) | instskip(NEXT) | instid1(VALU_DEP_2)
	v_add_co_ci_u32_e64 v14, s4, 0, v16, s4
	v_add_co_u32 v13, s4, 0, v17
	s_waitcnt lgkmcnt(0)
	s_delay_alu instid0(VALU_DEP_2) | instskip(NEXT) | instid1(VALU_DEP_1)
	v_add_co_ci_u32_e64 v14, s4, v18, v14, s4
	v_dual_mov_b32 v16, v14 :: v_dual_mov_b32 v15, v13
.LBB470_47:
	s_or_b32 exec_lo, exec_lo, s7
	s_waitcnt lgkmcnt(1)
	v_and_b32_e32 v13, 0x1e0, v0
	s_mov_b32 s7, exec_lo
	s_delay_alu instid0(VALU_DEP_1) | instskip(SKIP_1) | instid1(VALU_DEP_1)
	v_min_u32_e32 v13, 0x160, v13
	s_waitcnt lgkmcnt(0)
	v_or_b32_e32 v18, 31, v13
	v_lshrrev_b32_e32 v13, 5, v0
	s_delay_alu instid0(VALU_DEP_2)
	v_cmpx_eq_u32_e64 v18, v0
	s_cbranch_execz .LBB470_49
; %bb.48:
	s_delay_alu instid0(VALU_DEP_2)
	v_lshlrev_b32_e32 v18, 3, v13
	ds_store_b64 v18, v[15:16]
.LBB470_49:
	s_or_b32 exec_lo, exec_lo, s7
	s_delay_alu instid0(SALU_CYCLE_1)
	s_mov_b32 s7, exec_lo
	s_waitcnt lgkmcnt(0)
	s_barrier
	buffer_gl0_inv
	v_cmpx_gt_u32_e32 12, v0
	s_cbranch_execz .LBB470_59
; %bb.50:
	v_lshlrev_b32_e32 v18, 3, v0
	ds_load_b64 v[15:16], v18
	s_waitcnt lgkmcnt(0)
	v_mov_b32_e32 v19, v15
	v_mov_b32_dpp v25, v15 row_shr:1 row_mask:0xf bank_mask:0xf
	v_mov_b32_dpp v20, v16 row_shr:1 row_mask:0xf bank_mask:0xf
	s_and_saveexec_b32 s11, s0
; %bb.51:
	s_delay_alu instid0(VALU_DEP_2) | instskip(NEXT) | instid1(VALU_DEP_1)
	v_add_co_u32 v19, s4, v15, v25
	v_add_co_ci_u32_e64 v16, s4, 0, v16, s4
	s_delay_alu instid0(VALU_DEP_2) | instskip(NEXT) | instid1(VALU_DEP_1)
	v_add_co_u32 v15, s4, 0, v19
	v_add_co_ci_u32_e64 v16, s4, v20, v16, s4
; %bb.52:
	s_or_b32 exec_lo, exec_lo, s11
	v_mov_b32_dpp v25, v19 row_shr:2 row_mask:0xf bank_mask:0xf
	s_delay_alu instid0(VALU_DEP_2)
	v_mov_b32_dpp v20, v16 row_shr:2 row_mask:0xf bank_mask:0xf
	s_and_saveexec_b32 s4, vcc_lo
; %bb.53:
	s_delay_alu instid0(VALU_DEP_2) | instskip(SKIP_1) | instid1(VALU_DEP_2)
	v_add_co_u32 v19, vcc_lo, v15, v25
	v_add_co_ci_u32_e32 v16, vcc_lo, 0, v16, vcc_lo
	v_add_co_u32 v15, vcc_lo, 0, v19
	s_delay_alu instid0(VALU_DEP_2)
	v_add_co_ci_u32_e32 v16, vcc_lo, v20, v16, vcc_lo
; %bb.54:
	s_or_b32 exec_lo, exec_lo, s4
	v_mov_b32_dpp v25, v19 row_shr:4 row_mask:0xf bank_mask:0xf
	s_delay_alu instid0(VALU_DEP_2)
	v_mov_b32_dpp v20, v16 row_shr:4 row_mask:0xf bank_mask:0xf
	s_and_saveexec_b32 s4, s1
; %bb.55:
	s_delay_alu instid0(VALU_DEP_2) | instskip(SKIP_1) | instid1(VALU_DEP_2)
	v_add_co_u32 v19, vcc_lo, v15, v25
	v_add_co_ci_u32_e32 v16, vcc_lo, 0, v16, vcc_lo
	v_add_co_u32 v15, vcc_lo, 0, v19
	s_delay_alu instid0(VALU_DEP_2)
	v_add_co_ci_u32_e32 v16, vcc_lo, v20, v16, vcc_lo
; %bb.56:
	s_or_b32 exec_lo, exec_lo, s4
	v_mov_b32_dpp v20, v19 row_shr:8 row_mask:0xf bank_mask:0xf
	s_delay_alu instid0(VALU_DEP_2)
	v_mov_b32_dpp v19, v16 row_shr:8 row_mask:0xf bank_mask:0xf
	s_and_saveexec_b32 s1, s3
; %bb.57:
	s_delay_alu instid0(VALU_DEP_2) | instskip(SKIP_1) | instid1(VALU_DEP_2)
	v_add_co_u32 v15, vcc_lo, v15, v20
	v_add_co_ci_u32_e32 v16, vcc_lo, 0, v16, vcc_lo
	v_add_co_u32 v15, vcc_lo, v15, 0
	s_delay_alu instid0(VALU_DEP_2)
	v_add_co_ci_u32_e32 v16, vcc_lo, v16, v19, vcc_lo
; %bb.58:
	s_or_b32 exec_lo, exec_lo, s1
	ds_store_b64 v18, v[15:16]
.LBB470_59:
	s_or_b32 exec_lo, exec_lo, s7
	v_cmp_gt_u32_e32 vcc_lo, 32, v0
	s_mov_b32 s3, exec_lo
	s_waitcnt lgkmcnt(0)
	s_barrier
	buffer_gl0_inv
                                        ; implicit-def: $vgpr25_vgpr26
	v_cmpx_lt_u32_e32 31, v0
	s_cbranch_execz .LBB470_61
; %bb.60:
	v_lshl_add_u32 v13, v13, 3, -8
	ds_load_b64 v[25:26], v13
	s_waitcnt lgkmcnt(0)
	v_add_co_u32 v17, s1, v17, v25
	s_delay_alu instid0(VALU_DEP_1)
	v_add_co_ci_u32_e64 v14, s1, v14, v26, s1
.LBB470_61:
	s_or_b32 exec_lo, exec_lo, s3
	v_add_nc_u32_e32 v13, -1, v42
	s_delay_alu instid0(VALU_DEP_1) | instskip(NEXT) | instid1(VALU_DEP_1)
	v_cmp_gt_i32_e64 s1, 0, v13
	v_cndmask_b32_e64 v13, v13, v42, s1
	v_cmp_eq_u32_e64 s1, 0, v42
	s_delay_alu instid0(VALU_DEP_2)
	v_lshlrev_b32_e32 v13, 2, v13
	ds_bpermute_b32 v31, v13, v17
	ds_bpermute_b32 v32, v13, v14
	s_and_saveexec_b32 s3, vcc_lo
	s_cbranch_execz .LBB470_104
; %bb.62:
	v_mov_b32_e32 v16, 0
	ds_load_b64 v[13:14], v16 offset:88
	s_and_saveexec_b32 s4, s1
	s_cbranch_execz .LBB470_64
; %bb.63:
	s_add_i32 s16, s10, 32
	s_mov_b32 s17, 0
	s_delay_alu instid0(SALU_CYCLE_1) | instskip(NEXT) | instid1(SALU_CYCLE_1)
	s_lshl_b64 s[16:17], s[16:17], 4
	s_add_u32 s16, s14, s16
	s_addc_u32 s17, s15, s17
	s_delay_alu instid0(SALU_CYCLE_1)
	v_dual_mov_b32 v15, 1 :: v_dual_mov_b32 v18, s17
	v_mov_b32_e32 v17, s16
	s_waitcnt lgkmcnt(0)
	;;#ASMSTART
	global_store_dwordx4 v[17:18], v[13:16] off	
s_waitcnt vmcnt(0)
	;;#ASMEND
.LBB470_64:
	s_or_b32 exec_lo, exec_lo, s4
	v_xad_u32 v27, v42, -1, s10
	s_mov_b32 s7, 0
	s_mov_b32 s4, exec_lo
	s_delay_alu instid0(VALU_DEP_1) | instskip(NEXT) | instid1(VALU_DEP_1)
	v_add_nc_u32_e32 v15, 32, v27
	v_lshlrev_b64 v[15:16], 4, v[15:16]
	s_delay_alu instid0(VALU_DEP_1) | instskip(NEXT) | instid1(VALU_DEP_2)
	v_add_co_u32 v15, vcc_lo, s14, v15
	v_add_co_ci_u32_e32 v16, vcc_lo, s15, v16, vcc_lo
	;;#ASMSTART
	global_load_dwordx4 v[17:20], v[15:16] off glc	
s_waitcnt vmcnt(0)
	;;#ASMEND
	v_and_b32_e32 v20, 0xff, v18
	v_and_b32_e32 v28, 0xff00, v18
	v_or3_b32 v17, v17, 0, 0
	v_and_b32_e32 v29, 0xff000000, v18
	v_and_b32_e32 v18, 0xff0000, v18
	s_delay_alu instid0(VALU_DEP_4) | instskip(SKIP_2) | instid1(VALU_DEP_3)
	v_or3_b32 v20, 0, v20, v28
	v_and_b32_e32 v28, 0xff, v19
	v_or3_b32 v17, v17, 0, 0
	v_or3_b32 v18, v20, v18, v29
	s_delay_alu instid0(VALU_DEP_3)
	v_cmpx_eq_u16_e32 0, v28
	s_cbranch_execz .LBB470_70
; %bb.65:
	s_mov_b32 s11, 1
	.p2align	6
.LBB470_66:                             ; =>This Loop Header: Depth=1
                                        ;     Child Loop BB470_67 Depth 2
	s_delay_alu instid0(SALU_CYCLE_1)
	s_max_u32 s16, s11, 1
.LBB470_67:                             ;   Parent Loop BB470_66 Depth=1
                                        ; =>  This Inner Loop Header: Depth=2
	s_delay_alu instid0(SALU_CYCLE_1)
	s_add_i32 s16, s16, -1
	s_sleep 1
	s_cmp_eq_u32 s16, 0
	s_cbranch_scc0 .LBB470_67
; %bb.68:                               ;   in Loop: Header=BB470_66 Depth=1
	;;#ASMSTART
	global_load_dwordx4 v[17:20], v[15:16] off glc	
s_waitcnt vmcnt(0)
	;;#ASMEND
	v_and_b32_e32 v20, 0xff, v19
	s_cmp_lt_u32 s11, 32
	s_cselect_b32 s16, -1, 0
	s_delay_alu instid0(SALU_CYCLE_1) | instskip(NEXT) | instid1(VALU_DEP_1)
	s_cmp_lg_u32 s16, 0
	v_cmp_ne_u16_e32 vcc_lo, 0, v20
	s_addc_u32 s11, s11, 0
	s_or_b32 s7, vcc_lo, s7
	s_delay_alu instid0(SALU_CYCLE_1)
	s_and_not1_b32 exec_lo, exec_lo, s7
	s_cbranch_execnz .LBB470_66
; %bb.69:
	s_or_b32 exec_lo, exec_lo, s7
.LBB470_70:
	s_delay_alu instid0(SALU_CYCLE_1)
	s_or_b32 exec_lo, exec_lo, s4
	v_cmp_ne_u32_e32 vcc_lo, 31, v42
	v_and_b32_e32 v16, 0xff, v19
	v_lshlrev_b32_e64 v45, v42, -1
	s_mov_b32 s4, exec_lo
	v_add_co_ci_u32_e32 v15, vcc_lo, 0, v42, vcc_lo
	s_delay_alu instid0(VALU_DEP_3) | instskip(SKIP_1) | instid1(VALU_DEP_3)
	v_cmp_eq_u16_e32 vcc_lo, 2, v16
	v_mov_b32_e32 v16, v17
	v_lshlrev_b32_e32 v44, 2, v15
	v_and_or_b32 v15, vcc_lo, v45, 0x80000000
	ds_bpermute_b32 v28, v44, v17
	ds_bpermute_b32 v20, v44, v18
	v_ctz_i32_b32_e32 v15, v15
	s_delay_alu instid0(VALU_DEP_1)
	v_cmpx_lt_u32_e64 v42, v15
	s_cbranch_execz .LBB470_72
; %bb.71:
	s_waitcnt lgkmcnt(1)
	v_add_co_u32 v16, vcc_lo, v17, v28
	v_add_co_ci_u32_e32 v18, vcc_lo, 0, v18, vcc_lo
	s_delay_alu instid0(VALU_DEP_2) | instskip(SKIP_1) | instid1(VALU_DEP_2)
	v_add_co_u32 v17, vcc_lo, 0, v16
	s_waitcnt lgkmcnt(0)
	v_add_co_ci_u32_e32 v18, vcc_lo, v20, v18, vcc_lo
.LBB470_72:
	s_or_b32 exec_lo, exec_lo, s4
	v_cmp_gt_u32_e32 vcc_lo, 30, v42
	v_add_nc_u32_e32 v47, 2, v42
	s_mov_b32 s4, exec_lo
	s_waitcnt lgkmcnt(0)
	v_cndmask_b32_e64 v20, 0, 1, vcc_lo
	s_delay_alu instid0(VALU_DEP_1) | instskip(NEXT) | instid1(VALU_DEP_1)
	v_lshlrev_b32_e32 v20, 1, v20
	v_add_lshl_u32 v46, v20, v42, 2
	ds_bpermute_b32 v28, v46, v16
	ds_bpermute_b32 v20, v46, v18
	v_cmpx_le_u32_e64 v47, v15
	s_cbranch_execz .LBB470_74
; %bb.73:
	s_waitcnt lgkmcnt(1)
	v_add_co_u32 v16, vcc_lo, v17, v28
	v_add_co_ci_u32_e32 v18, vcc_lo, 0, v18, vcc_lo
	s_delay_alu instid0(VALU_DEP_2) | instskip(SKIP_1) | instid1(VALU_DEP_2)
	v_add_co_u32 v17, vcc_lo, 0, v16
	s_waitcnt lgkmcnt(0)
	v_add_co_ci_u32_e32 v18, vcc_lo, v20, v18, vcc_lo
.LBB470_74:
	s_or_b32 exec_lo, exec_lo, s4
	v_cmp_gt_u32_e32 vcc_lo, 28, v42
	v_add_nc_u32_e32 v49, 4, v42
	s_mov_b32 s4, exec_lo
	s_waitcnt lgkmcnt(0)
	v_cndmask_b32_e64 v20, 0, 1, vcc_lo
	s_delay_alu instid0(VALU_DEP_1) | instskip(NEXT) | instid1(VALU_DEP_1)
	v_lshlrev_b32_e32 v20, 2, v20
	v_add_lshl_u32 v48, v20, v42, 2
	ds_bpermute_b32 v28, v48, v16
	ds_bpermute_b32 v20, v48, v18
	v_cmpx_le_u32_e64 v49, v15
	;; [unrolled: 22-line block ×4, first 2 shown]
	s_cbranch_execz .LBB470_80
; %bb.79:
	s_waitcnt lgkmcnt(1)
	v_add_co_u32 v15, vcc_lo, v17, v20
	v_add_co_ci_u32_e32 v18, vcc_lo, 0, v18, vcc_lo
	s_delay_alu instid0(VALU_DEP_2) | instskip(SKIP_1) | instid1(VALU_DEP_2)
	v_add_co_u32 v17, vcc_lo, v15, 0
	s_waitcnt lgkmcnt(0)
	v_add_co_ci_u32_e32 v18, vcc_lo, v18, v16, vcc_lo
.LBB470_80:
	s_or_b32 exec_lo, exec_lo, s4
	v_mov_b32_e32 v28, 0
	s_branch .LBB470_82
.LBB470_81:                             ;   in Loop: Header=BB470_82 Depth=1
	s_or_b32 exec_lo, exec_lo, s4
	v_add_co_u32 v17, vcc_lo, v17, v15
	v_subrev_nc_u32_e32 v27, 32, v27
	v_add_co_ci_u32_e32 v18, vcc_lo, v18, v16, vcc_lo
.LBB470_82:                             ; =>This Loop Header: Depth=1
                                        ;     Child Loop BB470_85 Depth 2
                                        ;       Child Loop BB470_86 Depth 3
	v_and_b32_e32 v15, 0xff, v19
	s_delay_alu instid0(VALU_DEP_1) | instskip(SKIP_2) | instid1(VALU_DEP_1)
	v_cmp_ne_u16_e32 vcc_lo, 2, v15
	v_cndmask_b32_e64 v15, 0, 1, vcc_lo
	;;#ASMSTART
	;;#ASMEND
	v_cmp_ne_u32_e32 vcc_lo, 0, v15
	s_waitcnt lgkmcnt(0)
	v_dual_mov_b32 v15, v17 :: v_dual_mov_b32 v16, v18
	s_cmp_lg_u32 vcc_lo, exec_lo
	s_cbranch_scc1 .LBB470_99
; %bb.83:                               ;   in Loop: Header=BB470_82 Depth=1
	v_lshlrev_b64 v[17:18], 4, v[27:28]
	s_mov_b32 s4, exec_lo
	s_delay_alu instid0(VALU_DEP_1) | instskip(NEXT) | instid1(VALU_DEP_2)
	v_add_co_u32 v29, vcc_lo, s14, v17
	v_add_co_ci_u32_e32 v30, vcc_lo, s15, v18, vcc_lo
	;;#ASMSTART
	global_load_dwordx4 v[17:20], v[29:30] off glc	
s_waitcnt vmcnt(0)
	;;#ASMEND
	v_and_b32_e32 v20, 0xff, v18
	v_and_b32_e32 v54, 0xff00, v18
	v_or3_b32 v17, v17, 0, 0
	v_and_b32_e32 v55, 0xff000000, v18
	v_and_b32_e32 v18, 0xff0000, v18
	s_delay_alu instid0(VALU_DEP_4) | instskip(SKIP_2) | instid1(VALU_DEP_3)
	v_or3_b32 v20, 0, v20, v54
	v_and_b32_e32 v54, 0xff, v19
	v_or3_b32 v17, v17, 0, 0
	v_or3_b32 v18, v20, v18, v55
	s_delay_alu instid0(VALU_DEP_3)
	v_cmpx_eq_u16_e32 0, v54
	s_cbranch_execz .LBB470_89
; %bb.84:                               ;   in Loop: Header=BB470_82 Depth=1
	s_mov_b32 s11, 1
	s_mov_b32 s7, 0
	.p2align	6
.LBB470_85:                             ;   Parent Loop BB470_82 Depth=1
                                        ; =>  This Loop Header: Depth=2
                                        ;       Child Loop BB470_86 Depth 3
	s_max_u32 s16, s11, 1
.LBB470_86:                             ;   Parent Loop BB470_82 Depth=1
                                        ;     Parent Loop BB470_85 Depth=2
                                        ; =>    This Inner Loop Header: Depth=3
	s_delay_alu instid0(SALU_CYCLE_1)
	s_add_i32 s16, s16, -1
	s_sleep 1
	s_cmp_eq_u32 s16, 0
	s_cbranch_scc0 .LBB470_86
; %bb.87:                               ;   in Loop: Header=BB470_85 Depth=2
	;;#ASMSTART
	global_load_dwordx4 v[17:20], v[29:30] off glc	
s_waitcnt vmcnt(0)
	;;#ASMEND
	v_and_b32_e32 v20, 0xff, v19
	s_cmp_lt_u32 s11, 32
	s_cselect_b32 s16, -1, 0
	s_delay_alu instid0(SALU_CYCLE_1) | instskip(NEXT) | instid1(VALU_DEP_1)
	s_cmp_lg_u32 s16, 0
	v_cmp_ne_u16_e32 vcc_lo, 0, v20
	s_addc_u32 s11, s11, 0
	s_or_b32 s7, vcc_lo, s7
	s_delay_alu instid0(SALU_CYCLE_1)
	s_and_not1_b32 exec_lo, exec_lo, s7
	s_cbranch_execnz .LBB470_85
; %bb.88:                               ;   in Loop: Header=BB470_82 Depth=1
	s_or_b32 exec_lo, exec_lo, s7
.LBB470_89:                             ;   in Loop: Header=BB470_82 Depth=1
	s_delay_alu instid0(SALU_CYCLE_1)
	s_or_b32 exec_lo, exec_lo, s4
	v_dual_mov_b32 v29, v17 :: v_dual_and_b32 v20, 0xff, v19
	ds_bpermute_b32 v54, v44, v17
	ds_bpermute_b32 v30, v44, v18
	s_mov_b32 s4, exec_lo
	v_cmp_eq_u16_e32 vcc_lo, 2, v20
	v_and_or_b32 v20, vcc_lo, v45, 0x80000000
	s_delay_alu instid0(VALU_DEP_1) | instskip(NEXT) | instid1(VALU_DEP_1)
	v_ctz_i32_b32_e32 v20, v20
	v_cmpx_lt_u32_e64 v42, v20
	s_cbranch_execz .LBB470_91
; %bb.90:                               ;   in Loop: Header=BB470_82 Depth=1
	s_waitcnt lgkmcnt(1)
	v_add_co_u32 v29, vcc_lo, v17, v54
	v_add_co_ci_u32_e32 v18, vcc_lo, 0, v18, vcc_lo
	s_delay_alu instid0(VALU_DEP_2) | instskip(SKIP_1) | instid1(VALU_DEP_2)
	v_add_co_u32 v17, vcc_lo, 0, v29
	s_waitcnt lgkmcnt(0)
	v_add_co_ci_u32_e32 v18, vcc_lo, v30, v18, vcc_lo
.LBB470_91:                             ;   in Loop: Header=BB470_82 Depth=1
	s_or_b32 exec_lo, exec_lo, s4
	s_waitcnt lgkmcnt(1)
	ds_bpermute_b32 v54, v46, v29
	s_waitcnt lgkmcnt(1)
	ds_bpermute_b32 v30, v46, v18
	s_mov_b32 s4, exec_lo
	v_cmpx_le_u32_e64 v47, v20
	s_cbranch_execz .LBB470_93
; %bb.92:                               ;   in Loop: Header=BB470_82 Depth=1
	s_waitcnt lgkmcnt(1)
	v_add_co_u32 v29, vcc_lo, v17, v54
	v_add_co_ci_u32_e32 v18, vcc_lo, 0, v18, vcc_lo
	s_delay_alu instid0(VALU_DEP_2) | instskip(SKIP_1) | instid1(VALU_DEP_2)
	v_add_co_u32 v17, vcc_lo, 0, v29
	s_waitcnt lgkmcnt(0)
	v_add_co_ci_u32_e32 v18, vcc_lo, v30, v18, vcc_lo
.LBB470_93:                             ;   in Loop: Header=BB470_82 Depth=1
	s_or_b32 exec_lo, exec_lo, s4
	s_waitcnt lgkmcnt(1)
	ds_bpermute_b32 v54, v48, v29
	s_waitcnt lgkmcnt(1)
	ds_bpermute_b32 v30, v48, v18
	s_mov_b32 s4, exec_lo
	v_cmpx_le_u32_e64 v49, v20
	;; [unrolled: 17-line block ×3, first 2 shown]
	s_cbranch_execz .LBB470_97
; %bb.96:                               ;   in Loop: Header=BB470_82 Depth=1
	s_waitcnt lgkmcnt(1)
	v_add_co_u32 v29, vcc_lo, v17, v54
	v_add_co_ci_u32_e32 v18, vcc_lo, 0, v18, vcc_lo
	s_delay_alu instid0(VALU_DEP_2) | instskip(SKIP_1) | instid1(VALU_DEP_2)
	v_add_co_u32 v17, vcc_lo, 0, v29
	s_waitcnt lgkmcnt(0)
	v_add_co_ci_u32_e32 v18, vcc_lo, v30, v18, vcc_lo
.LBB470_97:                             ;   in Loop: Header=BB470_82 Depth=1
	s_or_b32 exec_lo, exec_lo, s4
	s_waitcnt lgkmcnt(0)
	ds_bpermute_b32 v30, v52, v29
	ds_bpermute_b32 v29, v52, v18
	s_mov_b32 s4, exec_lo
	v_cmpx_le_u32_e64 v53, v20
	s_cbranch_execz .LBB470_81
; %bb.98:                               ;   in Loop: Header=BB470_82 Depth=1
	s_waitcnt lgkmcnt(1)
	v_add_co_u32 v17, vcc_lo, v17, v30
	v_add_co_ci_u32_e32 v18, vcc_lo, 0, v18, vcc_lo
	s_delay_alu instid0(VALU_DEP_2) | instskip(SKIP_1) | instid1(VALU_DEP_2)
	v_add_co_u32 v17, vcc_lo, v17, 0
	s_waitcnt lgkmcnt(0)
	v_add_co_ci_u32_e32 v18, vcc_lo, v18, v29, vcc_lo
	s_branch .LBB470_81
.LBB470_99:                             ;   in Loop: Header=BB470_82 Depth=1
                                        ; implicit-def: $vgpr17_vgpr18
	s_cbranch_execz .LBB470_82
; %bb.100:
	s_and_saveexec_b32 s4, s1
	s_cbranch_execz .LBB470_102
; %bb.101:
	s_add_i32 s10, s10, 32
	s_mov_b32 s11, 0
	v_add_co_u32 v17, vcc_lo, v15, v13
	s_lshl_b64 s[10:11], s[10:11], 4
	v_dual_mov_b32 v19, 2 :: v_dual_mov_b32 v20, 0
	s_add_u32 s10, s14, s10
	s_addc_u32 s11, s15, s11
	v_add_co_ci_u32_e32 v18, vcc_lo, v16, v14, vcc_lo
	v_dual_mov_b32 v28, s11 :: v_dual_mov_b32 v27, s10
	;;#ASMSTART
	global_store_dwordx4 v[27:28], v[17:20] off	
s_waitcnt vmcnt(0)
	;;#ASMEND
	ds_store_b128 v20, v[13:16] offset:18432
.LBB470_102:
	s_or_b32 exec_lo, exec_lo, s4
	s_delay_alu instid0(SALU_CYCLE_1)
	s_and_b32 exec_lo, exec_lo, s2
	s_cbranch_execz .LBB470_104
; %bb.103:
	v_mov_b32_e32 v13, 0
	ds_store_b64 v13, v[15:16] offset:88
.LBB470_104:
	s_or_b32 exec_lo, exec_lo, s3
	v_mov_b32_e32 v15, 0
	s_waitcnt lgkmcnt(0)
	s_barrier
	buffer_gl0_inv
	v_cndmask_b32_e64 v16, v31, v25, s1
	ds_load_b64 v[13:14], v15 offset:88
	v_cndmask_b32_e64 v17, v32, v26, s1
	s_waitcnt lgkmcnt(0)
	s_barrier
	v_cndmask_b32_e64 v16, v16, 0, s2
	buffer_gl0_inv
	v_cndmask_b32_e64 v17, v17, 0, s2
	v_add_co_u32 v31, vcc_lo, v13, v16
	s_delay_alu instid0(VALU_DEP_2) | instskip(SKIP_3) | instid1(VALU_DEP_2)
	v_add_co_ci_u32_e32 v32, vcc_lo, v14, v17, vcc_lo
	ds_load_b128 v[13:16], v15 offset:18432
	v_add_co_u32 v29, vcc_lo, v31, v41
	v_add_co_ci_u32_e32 v30, vcc_lo, 0, v32, vcc_lo
	v_add_co_u32 v27, vcc_lo, v29, v40
	s_delay_alu instid0(VALU_DEP_2) | instskip(NEXT) | instid1(VALU_DEP_2)
	v_add_co_ci_u32_e32 v28, vcc_lo, 0, v30, vcc_lo
	v_add_co_u32 v25, vcc_lo, v27, v39
	s_delay_alu instid0(VALU_DEP_2) | instskip(NEXT) | instid1(VALU_DEP_2)
	;; [unrolled: 3-line block ×3, first 2 shown]
	v_add_co_ci_u32_e32 v20, vcc_lo, 0, v26, vcc_lo
	v_add_co_u32 v17, vcc_lo, v19, v38
	s_delay_alu instid0(VALU_DEP_2)
	v_add_co_ci_u32_e32 v18, vcc_lo, 0, v20, vcc_lo
	s_branch .LBB470_133
.LBB470_105:
                                        ; implicit-def: $vgpr17_vgpr18
                                        ; implicit-def: $vgpr19_vgpr20
                                        ; implicit-def: $vgpr25_vgpr26
                                        ; implicit-def: $vgpr27_vgpr28
                                        ; implicit-def: $vgpr29_vgpr30
                                        ; implicit-def: $vgpr31_vgpr32
                                        ; implicit-def: $vgpr15_vgpr16
	s_and_b32 vcc_lo, exec_lo, s1
	s_cbranch_vccz .LBB470_133
; %bb.106:
	s_waitcnt lgkmcnt(0)
	v_dual_mov_b32 v14, 0 :: v_dual_mov_b32 v15, v23
	v_mov_b32_dpp v16, v23 row_shr:1 row_mask:0xf bank_mask:0xf
	s_delay_alu instid0(VALU_DEP_2)
	v_mov_b32_dpp v13, v14 row_shr:1 row_mask:0xf bank_mask:0xf
	s_and_saveexec_b32 s1, s0
; %bb.107:
	s_delay_alu instid0(VALU_DEP_2) | instskip(SKIP_1) | instid1(VALU_DEP_2)
	v_add_co_u32 v15, vcc_lo, v23, v16
	v_add_co_ci_u32_e32 v14, vcc_lo, 0, v24, vcc_lo
	v_add_co_u32 v23, vcc_lo, 0, v15
	s_delay_alu instid0(VALU_DEP_2) | instskip(NEXT) | instid1(VALU_DEP_1)
	v_add_co_ci_u32_e32 v24, vcc_lo, v13, v14, vcc_lo
	v_mov_b32_e32 v14, v24
; %bb.108:
	s_or_b32 exec_lo, exec_lo, s1
	v_mov_b32_dpp v13, v15 row_shr:2 row_mask:0xf bank_mask:0xf
	s_delay_alu instid0(VALU_DEP_2)
	v_mov_b32_dpp v16, v14 row_shr:2 row_mask:0xf bank_mask:0xf
	v_cmp_lt_u32_e32 vcc_lo, 1, v43
	s_and_saveexec_b32 s3, vcc_lo
; %bb.109:
	s_delay_alu instid0(VALU_DEP_3) | instskip(NEXT) | instid1(VALU_DEP_1)
	v_add_co_u32 v15, s1, v23, v13
	v_add_co_ci_u32_e64 v14, s1, 0, v24, s1
	s_delay_alu instid0(VALU_DEP_2) | instskip(NEXT) | instid1(VALU_DEP_1)
	v_add_co_u32 v13, s1, 0, v15
	v_add_co_ci_u32_e64 v14, s1, v16, v14, s1
	s_delay_alu instid0(VALU_DEP_1)
	v_dual_mov_b32 v24, v14 :: v_dual_mov_b32 v23, v13
; %bb.110:
	s_or_b32 exec_lo, exec_lo, s3
	v_mov_b32_dpp v13, v15 row_shr:4 row_mask:0xf bank_mask:0xf
	v_mov_b32_dpp v16, v14 row_shr:4 row_mask:0xf bank_mask:0xf
	v_cmp_lt_u32_e64 s1, 3, v43
	s_delay_alu instid0(VALU_DEP_1)
	s_and_saveexec_b32 s4, s1
; %bb.111:
	s_delay_alu instid0(VALU_DEP_3) | instskip(NEXT) | instid1(VALU_DEP_1)
	v_add_co_u32 v15, s3, v23, v13
	v_add_co_ci_u32_e64 v14, s3, 0, v24, s3
	s_delay_alu instid0(VALU_DEP_2) | instskip(NEXT) | instid1(VALU_DEP_1)
	v_add_co_u32 v13, s3, 0, v15
	v_add_co_ci_u32_e64 v14, s3, v16, v14, s3
	s_delay_alu instid0(VALU_DEP_1)
	v_dual_mov_b32 v24, v14 :: v_dual_mov_b32 v23, v13
; %bb.112:
	s_or_b32 exec_lo, exec_lo, s4
	v_mov_b32_dpp v16, v15 row_shr:8 row_mask:0xf bank_mask:0xf
	v_mov_b32_dpp v13, v14 row_shr:8 row_mask:0xf bank_mask:0xf
	v_cmp_lt_u32_e64 s3, 7, v43
	s_delay_alu instid0(VALU_DEP_1)
	s_and_saveexec_b32 s7, s3
; %bb.113:
	s_delay_alu instid0(VALU_DEP_3) | instskip(NEXT) | instid1(VALU_DEP_1)
	v_add_co_u32 v15, s4, v23, v16
	v_add_co_ci_u32_e64 v14, s4, 0, v24, s4
	s_delay_alu instid0(VALU_DEP_2) | instskip(NEXT) | instid1(VALU_DEP_1)
	v_add_co_u32 v23, s4, 0, v15
	v_add_co_ci_u32_e64 v24, s4, v13, v14, s4
	s_delay_alu instid0(VALU_DEP_1)
	v_mov_b32_e32 v14, v24
; %bb.114:
	s_or_b32 exec_lo, exec_lo, s7
	ds_swizzle_b32 v15, v15 offset:swizzle(BROADCAST,32,15)
	ds_swizzle_b32 v13, v14 offset:swizzle(BROADCAST,32,15)
	v_and_b32_e32 v14, 16, v42
	s_mov_b32 s7, exec_lo
	s_delay_alu instid0(VALU_DEP_1)
	v_cmpx_ne_u32_e32 0, v14
	s_cbranch_execz .LBB470_116
; %bb.115:
	s_waitcnt lgkmcnt(1)
	v_add_co_u32 v14, s4, v23, v15
	s_delay_alu instid0(VALU_DEP_1) | instskip(NEXT) | instid1(VALU_DEP_2)
	v_add_co_ci_u32_e64 v15, s4, 0, v24, s4
	v_add_co_u32 v23, s4, v14, 0
	s_waitcnt lgkmcnt(0)
	s_delay_alu instid0(VALU_DEP_2)
	v_add_co_ci_u32_e64 v24, s4, v15, v13, s4
.LBB470_116:
	s_or_b32 exec_lo, exec_lo, s7
	s_waitcnt lgkmcnt(0)
	v_and_b32_e32 v13, 0x1e0, v0
	v_lshrrev_b32_e32 v15, 5, v0
	s_mov_b32 s7, exec_lo
	s_delay_alu instid0(VALU_DEP_2) | instskip(NEXT) | instid1(VALU_DEP_1)
	v_min_u32_e32 v13, 0x160, v13
	v_or_b32_e32 v13, 31, v13
	s_delay_alu instid0(VALU_DEP_1)
	v_cmpx_eq_u32_e64 v13, v0
	s_cbranch_execz .LBB470_118
; %bb.117:
	v_lshlrev_b32_e32 v13, 3, v15
	ds_store_b64 v13, v[23:24]
.LBB470_118:
	s_or_b32 exec_lo, exec_lo, s7
	s_delay_alu instid0(SALU_CYCLE_1)
	s_mov_b32 s7, exec_lo
	s_waitcnt lgkmcnt(0)
	s_barrier
	buffer_gl0_inv
	v_cmpx_gt_u32_e32 12, v0
	s_cbranch_execz .LBB470_128
; %bb.119:
	v_mad_i32_i24 v13, 0xffffffd8, v0, v37
	ds_load_b64 v[13:14], v13
	s_waitcnt lgkmcnt(0)
	v_mov_b32_dpp v18, v13 row_shr:1 row_mask:0xf bank_mask:0xf
	v_mov_b32_dpp v17, v14 row_shr:1 row_mask:0xf bank_mask:0xf
	v_mov_b32_e32 v16, v13
	s_and_saveexec_b32 s4, s0
; %bb.120:
	s_delay_alu instid0(VALU_DEP_3) | instskip(NEXT) | instid1(VALU_DEP_1)
	v_add_co_u32 v16, s0, v13, v18
	v_add_co_ci_u32_e64 v14, s0, 0, v14, s0
	s_delay_alu instid0(VALU_DEP_2) | instskip(NEXT) | instid1(VALU_DEP_1)
	v_add_co_u32 v13, s0, 0, v16
	v_add_co_ci_u32_e64 v14, s0, v17, v14, s0
; %bb.121:
	s_or_b32 exec_lo, exec_lo, s4
	v_mov_b32_dpp v18, v16 row_shr:2 row_mask:0xf bank_mask:0xf
	s_delay_alu instid0(VALU_DEP_2)
	v_mov_b32_dpp v17, v14 row_shr:2 row_mask:0xf bank_mask:0xf
	s_and_saveexec_b32 s0, vcc_lo
; %bb.122:
	s_delay_alu instid0(VALU_DEP_2) | instskip(SKIP_1) | instid1(VALU_DEP_2)
	v_add_co_u32 v16, vcc_lo, v13, v18
	v_add_co_ci_u32_e32 v14, vcc_lo, 0, v14, vcc_lo
	v_add_co_u32 v13, vcc_lo, 0, v16
	s_delay_alu instid0(VALU_DEP_2)
	v_add_co_ci_u32_e32 v14, vcc_lo, v17, v14, vcc_lo
; %bb.123:
	s_or_b32 exec_lo, exec_lo, s0
	v_mov_b32_dpp v18, v16 row_shr:4 row_mask:0xf bank_mask:0xf
	s_delay_alu instid0(VALU_DEP_2)
	v_mov_b32_dpp v17, v14 row_shr:4 row_mask:0xf bank_mask:0xf
	s_and_saveexec_b32 s0, s1
; %bb.124:
	s_delay_alu instid0(VALU_DEP_2) | instskip(SKIP_1) | instid1(VALU_DEP_2)
	v_add_co_u32 v16, vcc_lo, v13, v18
	v_add_co_ci_u32_e32 v14, vcc_lo, 0, v14, vcc_lo
	v_add_co_u32 v13, vcc_lo, 0, v16
	s_delay_alu instid0(VALU_DEP_2)
	v_add_co_ci_u32_e32 v14, vcc_lo, v17, v14, vcc_lo
; %bb.125:
	s_or_b32 exec_lo, exec_lo, s0
	v_mul_i32_i24_e32 v17, 0xffffffd8, v0
	v_mov_b32_dpp v18, v16 row_shr:8 row_mask:0xf bank_mask:0xf
	s_delay_alu instid0(VALU_DEP_3)
	v_mov_b32_dpp v16, v14 row_shr:8 row_mask:0xf bank_mask:0xf
	s_and_saveexec_b32 s0, s3
; %bb.126:
	s_delay_alu instid0(VALU_DEP_2) | instskip(SKIP_1) | instid1(VALU_DEP_2)
	v_add_co_u32 v13, vcc_lo, v13, v18
	v_add_co_ci_u32_e32 v14, vcc_lo, 0, v14, vcc_lo
	v_add_co_u32 v13, vcc_lo, v13, 0
	s_delay_alu instid0(VALU_DEP_2)
	v_add_co_ci_u32_e32 v14, vcc_lo, v14, v16, vcc_lo
; %bb.127:
	s_or_b32 exec_lo, exec_lo, s0
	v_add_nc_u32_e32 v16, v37, v17
	ds_store_b64 v16, v[13:14]
.LBB470_128:
	s_or_b32 exec_lo, exec_lo, s7
	v_mov_b32_e32 v17, 0
	v_mov_b32_e32 v18, 0
	s_mov_b32 s0, exec_lo
	s_waitcnt lgkmcnt(0)
	s_barrier
	buffer_gl0_inv
	v_cmpx_lt_u32_e32 31, v0
	s_cbranch_execz .LBB470_130
; %bb.129:
	v_lshl_add_u32 v13, v15, 3, -8
	ds_load_b64 v[17:18], v13
.LBB470_130:
	s_or_b32 exec_lo, exec_lo, s0
	v_dual_mov_b32 v16, 0 :: v_dual_add_nc_u32 v13, -1, v42
	s_delay_alu instid0(VALU_DEP_1) | instskip(SKIP_4) | instid1(VALU_DEP_3)
	v_cmp_gt_i32_e32 vcc_lo, 0, v13
	v_cndmask_b32_e32 v13, v13, v42, vcc_lo
	s_waitcnt lgkmcnt(0)
	v_add_co_u32 v14, vcc_lo, v17, v23
	v_add_co_ci_u32_e32 v15, vcc_lo, v18, v24, vcc_lo
	v_lshlrev_b32_e32 v13, 2, v13
	ds_bpermute_b32 v19, v13, v14
	ds_bpermute_b32 v20, v13, v15
	ds_load_b64 v[13:14], v16 offset:88
	s_and_saveexec_b32 s0, s2
	s_cbranch_execz .LBB470_132
; %bb.131:
	s_add_u32 s10, s14, 0x200
	s_addc_u32 s11, s15, 0
	s_delay_alu instid0(SALU_CYCLE_1)
	v_dual_mov_b32 v15, 2 :: v_dual_mov_b32 v24, s11
	v_mov_b32_e32 v23, s10
	s_waitcnt lgkmcnt(0)
	;;#ASMSTART
	global_store_dwordx4 v[23:24], v[13:16] off	
s_waitcnt vmcnt(0)
	;;#ASMEND
.LBB470_132:
	s_or_b32 exec_lo, exec_lo, s0
	v_cmp_eq_u32_e32 vcc_lo, 0, v42
	s_waitcnt lgkmcnt(0)
	s_barrier
	buffer_gl0_inv
	v_dual_cndmask_b32 v15, v19, v17 :: v_dual_cndmask_b32 v16, v20, v18
	s_delay_alu instid0(VALU_DEP_1) | instskip(NEXT) | instid1(VALU_DEP_2)
	v_cndmask_b32_e64 v31, v15, 0, s2
	v_cndmask_b32_e64 v32, v16, 0, s2
	v_mov_b32_e32 v15, 0
	v_mov_b32_e32 v16, 0
	s_delay_alu instid0(VALU_DEP_4) | instskip(NEXT) | instid1(VALU_DEP_4)
	v_add_co_u32 v29, vcc_lo, v31, v41
	v_add_co_ci_u32_e32 v30, vcc_lo, 0, v32, vcc_lo
	s_delay_alu instid0(VALU_DEP_2) | instskip(NEXT) | instid1(VALU_DEP_2)
	v_add_co_u32 v27, vcc_lo, v29, v40
	v_add_co_ci_u32_e32 v28, vcc_lo, 0, v30, vcc_lo
	s_delay_alu instid0(VALU_DEP_2) | instskip(NEXT) | instid1(VALU_DEP_2)
	;; [unrolled: 3-line block ×4, first 2 shown]
	v_add_co_u32 v17, vcc_lo, v19, v38
	v_add_co_ci_u32_e32 v18, vcc_lo, 0, v20, vcc_lo
.LBB470_133:
	s_waitcnt lgkmcnt(0)
	v_cmp_gt_u64_e32 vcc_lo, 0x181, v[13:14]
	v_lshrrev_b32_e32 v38, 8, v35
	v_lshrrev_b32_e32 v37, 16, v35
	s_mov_b32 s0, -1
	s_cbranch_vccnz .LBB470_137
; %bb.134:
	s_and_b32 vcc_lo, exec_lo, s0
	s_cbranch_vccnz .LBB470_156
.LBB470_135:
	s_and_b32 s0, s2, s5
	s_delay_alu instid0(SALU_CYCLE_1)
	s_and_saveexec_b32 s1, s0
	s_cbranch_execnz .LBB470_172
.LBB470_136:
	s_nop 0
	s_sendmsg sendmsg(MSG_DEALLOC_VGPRS)
	s_endpgm
.LBB470_137:
	v_add_co_u32 v23, vcc_lo, v15, v13
	v_add_co_ci_u32_e32 v24, vcc_lo, v16, v14, vcc_lo
	v_lshlrev_b64 v[39:40], 3, v[21:22]
	s_delay_alu instid0(VALU_DEP_2) | instskip(NEXT) | instid1(VALU_DEP_2)
	v_cmp_lt_u64_e32 vcc_lo, v[31:32], v[23:24]
	v_add_co_u32 v39, s0, s12, v39
	s_delay_alu instid0(VALU_DEP_1) | instskip(SKIP_1) | instid1(SALU_CYCLE_1)
	v_add_co_ci_u32_e64 v40, s0, s13, v40, s0
	s_or_b32 s1, s6, vcc_lo
	s_and_saveexec_b32 s0, s1
	s_cbranch_execz .LBB470_140
; %bb.138:
	v_and_b32_e32 v41, 1, v35
	s_delay_alu instid0(VALU_DEP_1)
	v_cmp_eq_u32_e32 vcc_lo, 1, v41
	s_and_b32 exec_lo, exec_lo, vcc_lo
	s_cbranch_execz .LBB470_140
; %bb.139:
	v_lshlrev_b64 v[41:42], 3, v[31:32]
	s_delay_alu instid0(VALU_DEP_1) | instskip(NEXT) | instid1(VALU_DEP_2)
	v_add_co_u32 v41, vcc_lo, v39, v41
	v_add_co_ci_u32_e32 v42, vcc_lo, v40, v42, vcc_lo
	global_store_b64 v[41:42], v[9:10], off
.LBB470_140:
	s_or_b32 exec_lo, exec_lo, s0
	v_cmp_lt_u64_e32 vcc_lo, v[29:30], v[23:24]
	s_or_b32 s1, s6, vcc_lo
	s_delay_alu instid0(SALU_CYCLE_1)
	s_and_saveexec_b32 s0, s1
	s_cbranch_execz .LBB470_143
; %bb.141:
	v_and_b32_e32 v32, 1, v38
	s_delay_alu instid0(VALU_DEP_1)
	v_cmp_eq_u32_e32 vcc_lo, 1, v32
	s_and_b32 exec_lo, exec_lo, vcc_lo
	s_cbranch_execz .LBB470_143
; %bb.142:
	v_lshlrev_b64 v[41:42], 3, v[29:30]
	s_delay_alu instid0(VALU_DEP_1) | instskip(NEXT) | instid1(VALU_DEP_2)
	v_add_co_u32 v41, vcc_lo, v39, v41
	v_add_co_ci_u32_e32 v42, vcc_lo, v40, v42, vcc_lo
	global_store_b64 v[41:42], v[11:12], off
.LBB470_143:
	s_or_b32 exec_lo, exec_lo, s0
	v_cmp_lt_u64_e32 vcc_lo, v[27:28], v[23:24]
	s_or_b32 s1, s6, vcc_lo
	s_delay_alu instid0(SALU_CYCLE_1)
	;; [unrolled: 19-line block ×5, first 2 shown]
	s_and_saveexec_b32 s0, s1
	s_cbranch_execz .LBB470_155
; %bb.153:
	v_and_b32_e32 v20, 1, v33
	s_delay_alu instid0(VALU_DEP_1)
	v_cmp_eq_u32_e32 vcc_lo, 1, v20
	s_and_b32 exec_lo, exec_lo, vcc_lo
	s_cbranch_execz .LBB470_155
; %bb.154:
	v_lshlrev_b64 v[23:24], 3, v[17:18]
	s_delay_alu instid0(VALU_DEP_1) | instskip(NEXT) | instid1(VALU_DEP_2)
	v_add_co_u32 v23, vcc_lo, v39, v23
	v_add_co_ci_u32_e32 v24, vcc_lo, v40, v24, vcc_lo
	global_store_b64 v[23:24], v[3:4], off
.LBB470_155:
	s_or_b32 exec_lo, exec_lo, s0
	s_branch .LBB470_135
.LBB470_156:
	v_and_b32_e32 v18, 1, v35
	s_mov_b32 s0, exec_lo
	s_delay_alu instid0(VALU_DEP_1)
	v_cmpx_eq_u32_e32 1, v18
	s_cbranch_execz .LBB470_158
; %bb.157:
	v_sub_nc_u32_e32 v18, v31, v15
	s_delay_alu instid0(VALU_DEP_1)
	v_lshlrev_b32_e32 v18, 3, v18
	ds_store_b64 v18, v[9:10]
.LBB470_158:
	s_or_b32 exec_lo, exec_lo, s0
	v_and_b32_e32 v9, 1, v38
	s_mov_b32 s0, exec_lo
	s_delay_alu instid0(VALU_DEP_1)
	v_cmpx_eq_u32_e32 1, v9
	s_cbranch_execz .LBB470_160
; %bb.159:
	v_sub_nc_u32_e32 v9, v29, v15
	s_delay_alu instid0(VALU_DEP_1)
	v_lshlrev_b32_e32 v9, 3, v9
	ds_store_b64 v9, v[11:12]
.LBB470_160:
	s_or_b32 exec_lo, exec_lo, s0
	;; [unrolled: 12-line block ×6, first 2 shown]
	v_mov_b32_e32 v1, 0
	s_mov_b32 s1, exec_lo
	s_waitcnt lgkmcnt(0)
	s_waitcnt_vscnt null, 0x0
	s_barrier
	buffer_gl0_inv
	v_cmpx_gt_u64_e64 v[13:14], v[0:1]
	s_cbranch_execz .LBB470_171
; %bb.169:
	v_lshlrev_b64 v[2:3], 3, v[15:16]
	v_lshlrev_b64 v[4:5], 3, v[21:22]
	s_mov_b32 s3, 0
	s_delay_alu instid0(VALU_DEP_2) | instskip(NEXT) | instid1(VALU_DEP_3)
	v_add_co_u32 v6, vcc_lo, s12, v2
	v_add_co_ci_u32_e32 v7, vcc_lo, s13, v3, vcc_lo
	v_dual_mov_b32 v3, v1 :: v_dual_mov_b32 v2, v0
	s_delay_alu instid0(VALU_DEP_3) | instskip(NEXT) | instid1(VALU_DEP_3)
	v_add_co_u32 v4, vcc_lo, v6, v4
	v_add_co_ci_u32_e32 v5, vcc_lo, v7, v5, vcc_lo
	v_add_nc_u32_e32 v0, 0x180, v0
	.p2align	6
.LBB470_170:                            ; =>This Inner Loop Header: Depth=1
	s_delay_alu instid0(VALU_DEP_4) | instskip(SKIP_2) | instid1(VALU_DEP_4)
	v_lshlrev_b32_e32 v6, 3, v2
	v_lshlrev_b64 v[8:9], 3, v[2:3]
	v_mov_b32_e32 v3, v1
	v_cmp_le_u64_e32 vcc_lo, v[13:14], v[0:1]
	v_mov_b32_e32 v2, v0
	ds_load_b64 v[6:7], v6
	v_add_nc_u32_e32 v0, 0x180, v0
	v_add_co_u32 v8, s0, v4, v8
	s_delay_alu instid0(VALU_DEP_1)
	v_add_co_ci_u32_e64 v9, s0, v5, v9, s0
	s_or_b32 s3, vcc_lo, s3
	s_waitcnt lgkmcnt(0)
	global_store_b64 v[8:9], v[6:7], off
	s_and_not1_b32 exec_lo, exec_lo, s3
	s_cbranch_execnz .LBB470_170
.LBB470_171:
	s_or_b32 exec_lo, exec_lo, s1
	s_and_b32 s0, s2, s5
	s_delay_alu instid0(SALU_CYCLE_1)
	s_and_saveexec_b32 s1, s0
	s_cbranch_execz .LBB470_136
.LBB470_172:
	v_add_co_u32 v0, vcc_lo, v15, v13
	v_add_co_ci_u32_e32 v1, vcc_lo, v16, v14, vcc_lo
	v_mov_b32_e32 v2, 0
	s_delay_alu instid0(VALU_DEP_3) | instskip(NEXT) | instid1(VALU_DEP_3)
	v_add_co_u32 v0, vcc_lo, v0, v21
	v_add_co_ci_u32_e32 v1, vcc_lo, v1, v22, vcc_lo
	global_store_b64 v2, v[0:1], s[8:9]
	s_nop 0
	s_sendmsg sendmsg(MSG_DEALLOC_VGPRS)
	s_endpgm
	.section	.rodata,"a",@progbits
	.p2align	6, 0x0
	.amdhsa_kernel _ZN7rocprim17ROCPRIM_400000_NS6detail17trampoline_kernelINS0_14default_configENS1_25partition_config_selectorILNS1_17partition_subalgoE6EyNS0_10empty_typeEbEEZZNS1_14partition_implILS5_6ELb0ES3_mN6thrust23THRUST_200600_302600_NS6detail15normal_iteratorINSA_10device_ptrIyEEEEPS6_SG_NS0_5tupleIJSF_S6_EEENSH_IJSG_SG_EEES6_PlJ5mod_3IyEEEE10hipError_tPvRmT3_T4_T5_T6_T7_T9_mT8_P12ihipStream_tbDpT10_ENKUlT_T0_E_clISt17integral_constantIbLb1EES16_EEDaS11_S12_EUlS11_E_NS1_11comp_targetILNS1_3genE9ELNS1_11target_archE1100ELNS1_3gpuE3ELNS1_3repE0EEENS1_30default_config_static_selectorELNS0_4arch9wavefront6targetE0EEEvT1_
		.amdhsa_group_segment_fixed_size 18448
		.amdhsa_private_segment_fixed_size 0
		.amdhsa_kernarg_size 128
		.amdhsa_user_sgpr_count 15
		.amdhsa_user_sgpr_dispatch_ptr 0
		.amdhsa_user_sgpr_queue_ptr 0
		.amdhsa_user_sgpr_kernarg_segment_ptr 1
		.amdhsa_user_sgpr_dispatch_id 0
		.amdhsa_user_sgpr_private_segment_size 0
		.amdhsa_wavefront_size32 1
		.amdhsa_uses_dynamic_stack 0
		.amdhsa_enable_private_segment 0
		.amdhsa_system_sgpr_workgroup_id_x 1
		.amdhsa_system_sgpr_workgroup_id_y 0
		.amdhsa_system_sgpr_workgroup_id_z 0
		.amdhsa_system_sgpr_workgroup_info 0
		.amdhsa_system_vgpr_workitem_id 0
		.amdhsa_next_free_vgpr 56
		.amdhsa_next_free_sgpr 18
		.amdhsa_reserve_vcc 1
		.amdhsa_float_round_mode_32 0
		.amdhsa_float_round_mode_16_64 0
		.amdhsa_float_denorm_mode_32 3
		.amdhsa_float_denorm_mode_16_64 3
		.amdhsa_dx10_clamp 1
		.amdhsa_ieee_mode 1
		.amdhsa_fp16_overflow 0
		.amdhsa_workgroup_processor_mode 1
		.amdhsa_memory_ordered 1
		.amdhsa_forward_progress 0
		.amdhsa_shared_vgpr_count 0
		.amdhsa_exception_fp_ieee_invalid_op 0
		.amdhsa_exception_fp_denorm_src 0
		.amdhsa_exception_fp_ieee_div_zero 0
		.amdhsa_exception_fp_ieee_overflow 0
		.amdhsa_exception_fp_ieee_underflow 0
		.amdhsa_exception_fp_ieee_inexact 0
		.amdhsa_exception_int_div_zero 0
	.end_amdhsa_kernel
	.section	.text._ZN7rocprim17ROCPRIM_400000_NS6detail17trampoline_kernelINS0_14default_configENS1_25partition_config_selectorILNS1_17partition_subalgoE6EyNS0_10empty_typeEbEEZZNS1_14partition_implILS5_6ELb0ES3_mN6thrust23THRUST_200600_302600_NS6detail15normal_iteratorINSA_10device_ptrIyEEEEPS6_SG_NS0_5tupleIJSF_S6_EEENSH_IJSG_SG_EEES6_PlJ5mod_3IyEEEE10hipError_tPvRmT3_T4_T5_T6_T7_T9_mT8_P12ihipStream_tbDpT10_ENKUlT_T0_E_clISt17integral_constantIbLb1EES16_EEDaS11_S12_EUlS11_E_NS1_11comp_targetILNS1_3genE9ELNS1_11target_archE1100ELNS1_3gpuE3ELNS1_3repE0EEENS1_30default_config_static_selectorELNS0_4arch9wavefront6targetE0EEEvT1_,"axG",@progbits,_ZN7rocprim17ROCPRIM_400000_NS6detail17trampoline_kernelINS0_14default_configENS1_25partition_config_selectorILNS1_17partition_subalgoE6EyNS0_10empty_typeEbEEZZNS1_14partition_implILS5_6ELb0ES3_mN6thrust23THRUST_200600_302600_NS6detail15normal_iteratorINSA_10device_ptrIyEEEEPS6_SG_NS0_5tupleIJSF_S6_EEENSH_IJSG_SG_EEES6_PlJ5mod_3IyEEEE10hipError_tPvRmT3_T4_T5_T6_T7_T9_mT8_P12ihipStream_tbDpT10_ENKUlT_T0_E_clISt17integral_constantIbLb1EES16_EEDaS11_S12_EUlS11_E_NS1_11comp_targetILNS1_3genE9ELNS1_11target_archE1100ELNS1_3gpuE3ELNS1_3repE0EEENS1_30default_config_static_selectorELNS0_4arch9wavefront6targetE0EEEvT1_,comdat
.Lfunc_end470:
	.size	_ZN7rocprim17ROCPRIM_400000_NS6detail17trampoline_kernelINS0_14default_configENS1_25partition_config_selectorILNS1_17partition_subalgoE6EyNS0_10empty_typeEbEEZZNS1_14partition_implILS5_6ELb0ES3_mN6thrust23THRUST_200600_302600_NS6detail15normal_iteratorINSA_10device_ptrIyEEEEPS6_SG_NS0_5tupleIJSF_S6_EEENSH_IJSG_SG_EEES6_PlJ5mod_3IyEEEE10hipError_tPvRmT3_T4_T5_T6_T7_T9_mT8_P12ihipStream_tbDpT10_ENKUlT_T0_E_clISt17integral_constantIbLb1EES16_EEDaS11_S12_EUlS11_E_NS1_11comp_targetILNS1_3genE9ELNS1_11target_archE1100ELNS1_3gpuE3ELNS1_3repE0EEENS1_30default_config_static_selectorELNS0_4arch9wavefront6targetE0EEEvT1_, .Lfunc_end470-_ZN7rocprim17ROCPRIM_400000_NS6detail17trampoline_kernelINS0_14default_configENS1_25partition_config_selectorILNS1_17partition_subalgoE6EyNS0_10empty_typeEbEEZZNS1_14partition_implILS5_6ELb0ES3_mN6thrust23THRUST_200600_302600_NS6detail15normal_iteratorINSA_10device_ptrIyEEEEPS6_SG_NS0_5tupleIJSF_S6_EEENSH_IJSG_SG_EEES6_PlJ5mod_3IyEEEE10hipError_tPvRmT3_T4_T5_T6_T7_T9_mT8_P12ihipStream_tbDpT10_ENKUlT_T0_E_clISt17integral_constantIbLb1EES16_EEDaS11_S12_EUlS11_E_NS1_11comp_targetILNS1_3genE9ELNS1_11target_archE1100ELNS1_3gpuE3ELNS1_3repE0EEENS1_30default_config_static_selectorELNS0_4arch9wavefront6targetE0EEEvT1_
                                        ; -- End function
	.section	.AMDGPU.csdata,"",@progbits
; Kernel info:
; codeLenInByte = 7088
; NumSgprs: 20
; NumVgprs: 56
; ScratchSize: 0
; MemoryBound: 0
; FloatMode: 240
; IeeeMode: 1
; LDSByteSize: 18448 bytes/workgroup (compile time only)
; SGPRBlocks: 2
; VGPRBlocks: 6
; NumSGPRsForWavesPerEU: 20
; NumVGPRsForWavesPerEU: 56
; Occupancy: 15
; WaveLimiterHint : 1
; COMPUTE_PGM_RSRC2:SCRATCH_EN: 0
; COMPUTE_PGM_RSRC2:USER_SGPR: 15
; COMPUTE_PGM_RSRC2:TRAP_HANDLER: 0
; COMPUTE_PGM_RSRC2:TGID_X_EN: 1
; COMPUTE_PGM_RSRC2:TGID_Y_EN: 0
; COMPUTE_PGM_RSRC2:TGID_Z_EN: 0
; COMPUTE_PGM_RSRC2:TIDIG_COMP_CNT: 0
	.section	.text._ZN7rocprim17ROCPRIM_400000_NS6detail17trampoline_kernelINS0_14default_configENS1_25partition_config_selectorILNS1_17partition_subalgoE6EyNS0_10empty_typeEbEEZZNS1_14partition_implILS5_6ELb0ES3_mN6thrust23THRUST_200600_302600_NS6detail15normal_iteratorINSA_10device_ptrIyEEEEPS6_SG_NS0_5tupleIJSF_S6_EEENSH_IJSG_SG_EEES6_PlJ5mod_3IyEEEE10hipError_tPvRmT3_T4_T5_T6_T7_T9_mT8_P12ihipStream_tbDpT10_ENKUlT_T0_E_clISt17integral_constantIbLb1EES16_EEDaS11_S12_EUlS11_E_NS1_11comp_targetILNS1_3genE8ELNS1_11target_archE1030ELNS1_3gpuE2ELNS1_3repE0EEENS1_30default_config_static_selectorELNS0_4arch9wavefront6targetE0EEEvT1_,"axG",@progbits,_ZN7rocprim17ROCPRIM_400000_NS6detail17trampoline_kernelINS0_14default_configENS1_25partition_config_selectorILNS1_17partition_subalgoE6EyNS0_10empty_typeEbEEZZNS1_14partition_implILS5_6ELb0ES3_mN6thrust23THRUST_200600_302600_NS6detail15normal_iteratorINSA_10device_ptrIyEEEEPS6_SG_NS0_5tupleIJSF_S6_EEENSH_IJSG_SG_EEES6_PlJ5mod_3IyEEEE10hipError_tPvRmT3_T4_T5_T6_T7_T9_mT8_P12ihipStream_tbDpT10_ENKUlT_T0_E_clISt17integral_constantIbLb1EES16_EEDaS11_S12_EUlS11_E_NS1_11comp_targetILNS1_3genE8ELNS1_11target_archE1030ELNS1_3gpuE2ELNS1_3repE0EEENS1_30default_config_static_selectorELNS0_4arch9wavefront6targetE0EEEvT1_,comdat
	.protected	_ZN7rocprim17ROCPRIM_400000_NS6detail17trampoline_kernelINS0_14default_configENS1_25partition_config_selectorILNS1_17partition_subalgoE6EyNS0_10empty_typeEbEEZZNS1_14partition_implILS5_6ELb0ES3_mN6thrust23THRUST_200600_302600_NS6detail15normal_iteratorINSA_10device_ptrIyEEEEPS6_SG_NS0_5tupleIJSF_S6_EEENSH_IJSG_SG_EEES6_PlJ5mod_3IyEEEE10hipError_tPvRmT3_T4_T5_T6_T7_T9_mT8_P12ihipStream_tbDpT10_ENKUlT_T0_E_clISt17integral_constantIbLb1EES16_EEDaS11_S12_EUlS11_E_NS1_11comp_targetILNS1_3genE8ELNS1_11target_archE1030ELNS1_3gpuE2ELNS1_3repE0EEENS1_30default_config_static_selectorELNS0_4arch9wavefront6targetE0EEEvT1_ ; -- Begin function _ZN7rocprim17ROCPRIM_400000_NS6detail17trampoline_kernelINS0_14default_configENS1_25partition_config_selectorILNS1_17partition_subalgoE6EyNS0_10empty_typeEbEEZZNS1_14partition_implILS5_6ELb0ES3_mN6thrust23THRUST_200600_302600_NS6detail15normal_iteratorINSA_10device_ptrIyEEEEPS6_SG_NS0_5tupleIJSF_S6_EEENSH_IJSG_SG_EEES6_PlJ5mod_3IyEEEE10hipError_tPvRmT3_T4_T5_T6_T7_T9_mT8_P12ihipStream_tbDpT10_ENKUlT_T0_E_clISt17integral_constantIbLb1EES16_EEDaS11_S12_EUlS11_E_NS1_11comp_targetILNS1_3genE8ELNS1_11target_archE1030ELNS1_3gpuE2ELNS1_3repE0EEENS1_30default_config_static_selectorELNS0_4arch9wavefront6targetE0EEEvT1_
	.globl	_ZN7rocprim17ROCPRIM_400000_NS6detail17trampoline_kernelINS0_14default_configENS1_25partition_config_selectorILNS1_17partition_subalgoE6EyNS0_10empty_typeEbEEZZNS1_14partition_implILS5_6ELb0ES3_mN6thrust23THRUST_200600_302600_NS6detail15normal_iteratorINSA_10device_ptrIyEEEEPS6_SG_NS0_5tupleIJSF_S6_EEENSH_IJSG_SG_EEES6_PlJ5mod_3IyEEEE10hipError_tPvRmT3_T4_T5_T6_T7_T9_mT8_P12ihipStream_tbDpT10_ENKUlT_T0_E_clISt17integral_constantIbLb1EES16_EEDaS11_S12_EUlS11_E_NS1_11comp_targetILNS1_3genE8ELNS1_11target_archE1030ELNS1_3gpuE2ELNS1_3repE0EEENS1_30default_config_static_selectorELNS0_4arch9wavefront6targetE0EEEvT1_
	.p2align	8
	.type	_ZN7rocprim17ROCPRIM_400000_NS6detail17trampoline_kernelINS0_14default_configENS1_25partition_config_selectorILNS1_17partition_subalgoE6EyNS0_10empty_typeEbEEZZNS1_14partition_implILS5_6ELb0ES3_mN6thrust23THRUST_200600_302600_NS6detail15normal_iteratorINSA_10device_ptrIyEEEEPS6_SG_NS0_5tupleIJSF_S6_EEENSH_IJSG_SG_EEES6_PlJ5mod_3IyEEEE10hipError_tPvRmT3_T4_T5_T6_T7_T9_mT8_P12ihipStream_tbDpT10_ENKUlT_T0_E_clISt17integral_constantIbLb1EES16_EEDaS11_S12_EUlS11_E_NS1_11comp_targetILNS1_3genE8ELNS1_11target_archE1030ELNS1_3gpuE2ELNS1_3repE0EEENS1_30default_config_static_selectorELNS0_4arch9wavefront6targetE0EEEvT1_,@function
_ZN7rocprim17ROCPRIM_400000_NS6detail17trampoline_kernelINS0_14default_configENS1_25partition_config_selectorILNS1_17partition_subalgoE6EyNS0_10empty_typeEbEEZZNS1_14partition_implILS5_6ELb0ES3_mN6thrust23THRUST_200600_302600_NS6detail15normal_iteratorINSA_10device_ptrIyEEEEPS6_SG_NS0_5tupleIJSF_S6_EEENSH_IJSG_SG_EEES6_PlJ5mod_3IyEEEE10hipError_tPvRmT3_T4_T5_T6_T7_T9_mT8_P12ihipStream_tbDpT10_ENKUlT_T0_E_clISt17integral_constantIbLb1EES16_EEDaS11_S12_EUlS11_E_NS1_11comp_targetILNS1_3genE8ELNS1_11target_archE1030ELNS1_3gpuE2ELNS1_3repE0EEENS1_30default_config_static_selectorELNS0_4arch9wavefront6targetE0EEEvT1_: ; @_ZN7rocprim17ROCPRIM_400000_NS6detail17trampoline_kernelINS0_14default_configENS1_25partition_config_selectorILNS1_17partition_subalgoE6EyNS0_10empty_typeEbEEZZNS1_14partition_implILS5_6ELb0ES3_mN6thrust23THRUST_200600_302600_NS6detail15normal_iteratorINSA_10device_ptrIyEEEEPS6_SG_NS0_5tupleIJSF_S6_EEENSH_IJSG_SG_EEES6_PlJ5mod_3IyEEEE10hipError_tPvRmT3_T4_T5_T6_T7_T9_mT8_P12ihipStream_tbDpT10_ENKUlT_T0_E_clISt17integral_constantIbLb1EES16_EEDaS11_S12_EUlS11_E_NS1_11comp_targetILNS1_3genE8ELNS1_11target_archE1030ELNS1_3gpuE2ELNS1_3repE0EEENS1_30default_config_static_selectorELNS0_4arch9wavefront6targetE0EEEvT1_
; %bb.0:
	.section	.rodata,"a",@progbits
	.p2align	6, 0x0
	.amdhsa_kernel _ZN7rocprim17ROCPRIM_400000_NS6detail17trampoline_kernelINS0_14default_configENS1_25partition_config_selectorILNS1_17partition_subalgoE6EyNS0_10empty_typeEbEEZZNS1_14partition_implILS5_6ELb0ES3_mN6thrust23THRUST_200600_302600_NS6detail15normal_iteratorINSA_10device_ptrIyEEEEPS6_SG_NS0_5tupleIJSF_S6_EEENSH_IJSG_SG_EEES6_PlJ5mod_3IyEEEE10hipError_tPvRmT3_T4_T5_T6_T7_T9_mT8_P12ihipStream_tbDpT10_ENKUlT_T0_E_clISt17integral_constantIbLb1EES16_EEDaS11_S12_EUlS11_E_NS1_11comp_targetILNS1_3genE8ELNS1_11target_archE1030ELNS1_3gpuE2ELNS1_3repE0EEENS1_30default_config_static_selectorELNS0_4arch9wavefront6targetE0EEEvT1_
		.amdhsa_group_segment_fixed_size 0
		.amdhsa_private_segment_fixed_size 0
		.amdhsa_kernarg_size 128
		.amdhsa_user_sgpr_count 15
		.amdhsa_user_sgpr_dispatch_ptr 0
		.amdhsa_user_sgpr_queue_ptr 0
		.amdhsa_user_sgpr_kernarg_segment_ptr 1
		.amdhsa_user_sgpr_dispatch_id 0
		.amdhsa_user_sgpr_private_segment_size 0
		.amdhsa_wavefront_size32 1
		.amdhsa_uses_dynamic_stack 0
		.amdhsa_enable_private_segment 0
		.amdhsa_system_sgpr_workgroup_id_x 1
		.amdhsa_system_sgpr_workgroup_id_y 0
		.amdhsa_system_sgpr_workgroup_id_z 0
		.amdhsa_system_sgpr_workgroup_info 0
		.amdhsa_system_vgpr_workitem_id 0
		.amdhsa_next_free_vgpr 1
		.amdhsa_next_free_sgpr 1
		.amdhsa_reserve_vcc 0
		.amdhsa_float_round_mode_32 0
		.amdhsa_float_round_mode_16_64 0
		.amdhsa_float_denorm_mode_32 3
		.amdhsa_float_denorm_mode_16_64 3
		.amdhsa_dx10_clamp 1
		.amdhsa_ieee_mode 1
		.amdhsa_fp16_overflow 0
		.amdhsa_workgroup_processor_mode 1
		.amdhsa_memory_ordered 1
		.amdhsa_forward_progress 0
		.amdhsa_shared_vgpr_count 0
		.amdhsa_exception_fp_ieee_invalid_op 0
		.amdhsa_exception_fp_denorm_src 0
		.amdhsa_exception_fp_ieee_div_zero 0
		.amdhsa_exception_fp_ieee_overflow 0
		.amdhsa_exception_fp_ieee_underflow 0
		.amdhsa_exception_fp_ieee_inexact 0
		.amdhsa_exception_int_div_zero 0
	.end_amdhsa_kernel
	.section	.text._ZN7rocprim17ROCPRIM_400000_NS6detail17trampoline_kernelINS0_14default_configENS1_25partition_config_selectorILNS1_17partition_subalgoE6EyNS0_10empty_typeEbEEZZNS1_14partition_implILS5_6ELb0ES3_mN6thrust23THRUST_200600_302600_NS6detail15normal_iteratorINSA_10device_ptrIyEEEEPS6_SG_NS0_5tupleIJSF_S6_EEENSH_IJSG_SG_EEES6_PlJ5mod_3IyEEEE10hipError_tPvRmT3_T4_T5_T6_T7_T9_mT8_P12ihipStream_tbDpT10_ENKUlT_T0_E_clISt17integral_constantIbLb1EES16_EEDaS11_S12_EUlS11_E_NS1_11comp_targetILNS1_3genE8ELNS1_11target_archE1030ELNS1_3gpuE2ELNS1_3repE0EEENS1_30default_config_static_selectorELNS0_4arch9wavefront6targetE0EEEvT1_,"axG",@progbits,_ZN7rocprim17ROCPRIM_400000_NS6detail17trampoline_kernelINS0_14default_configENS1_25partition_config_selectorILNS1_17partition_subalgoE6EyNS0_10empty_typeEbEEZZNS1_14partition_implILS5_6ELb0ES3_mN6thrust23THRUST_200600_302600_NS6detail15normal_iteratorINSA_10device_ptrIyEEEEPS6_SG_NS0_5tupleIJSF_S6_EEENSH_IJSG_SG_EEES6_PlJ5mod_3IyEEEE10hipError_tPvRmT3_T4_T5_T6_T7_T9_mT8_P12ihipStream_tbDpT10_ENKUlT_T0_E_clISt17integral_constantIbLb1EES16_EEDaS11_S12_EUlS11_E_NS1_11comp_targetILNS1_3genE8ELNS1_11target_archE1030ELNS1_3gpuE2ELNS1_3repE0EEENS1_30default_config_static_selectorELNS0_4arch9wavefront6targetE0EEEvT1_,comdat
.Lfunc_end471:
	.size	_ZN7rocprim17ROCPRIM_400000_NS6detail17trampoline_kernelINS0_14default_configENS1_25partition_config_selectorILNS1_17partition_subalgoE6EyNS0_10empty_typeEbEEZZNS1_14partition_implILS5_6ELb0ES3_mN6thrust23THRUST_200600_302600_NS6detail15normal_iteratorINSA_10device_ptrIyEEEEPS6_SG_NS0_5tupleIJSF_S6_EEENSH_IJSG_SG_EEES6_PlJ5mod_3IyEEEE10hipError_tPvRmT3_T4_T5_T6_T7_T9_mT8_P12ihipStream_tbDpT10_ENKUlT_T0_E_clISt17integral_constantIbLb1EES16_EEDaS11_S12_EUlS11_E_NS1_11comp_targetILNS1_3genE8ELNS1_11target_archE1030ELNS1_3gpuE2ELNS1_3repE0EEENS1_30default_config_static_selectorELNS0_4arch9wavefront6targetE0EEEvT1_, .Lfunc_end471-_ZN7rocprim17ROCPRIM_400000_NS6detail17trampoline_kernelINS0_14default_configENS1_25partition_config_selectorILNS1_17partition_subalgoE6EyNS0_10empty_typeEbEEZZNS1_14partition_implILS5_6ELb0ES3_mN6thrust23THRUST_200600_302600_NS6detail15normal_iteratorINSA_10device_ptrIyEEEEPS6_SG_NS0_5tupleIJSF_S6_EEENSH_IJSG_SG_EEES6_PlJ5mod_3IyEEEE10hipError_tPvRmT3_T4_T5_T6_T7_T9_mT8_P12ihipStream_tbDpT10_ENKUlT_T0_E_clISt17integral_constantIbLb1EES16_EEDaS11_S12_EUlS11_E_NS1_11comp_targetILNS1_3genE8ELNS1_11target_archE1030ELNS1_3gpuE2ELNS1_3repE0EEENS1_30default_config_static_selectorELNS0_4arch9wavefront6targetE0EEEvT1_
                                        ; -- End function
	.section	.AMDGPU.csdata,"",@progbits
; Kernel info:
; codeLenInByte = 0
; NumSgprs: 0
; NumVgprs: 0
; ScratchSize: 0
; MemoryBound: 0
; FloatMode: 240
; IeeeMode: 1
; LDSByteSize: 0 bytes/workgroup (compile time only)
; SGPRBlocks: 0
; VGPRBlocks: 0
; NumSGPRsForWavesPerEU: 1
; NumVGPRsForWavesPerEU: 1
; Occupancy: 16
; WaveLimiterHint : 0
; COMPUTE_PGM_RSRC2:SCRATCH_EN: 0
; COMPUTE_PGM_RSRC2:USER_SGPR: 15
; COMPUTE_PGM_RSRC2:TRAP_HANDLER: 0
; COMPUTE_PGM_RSRC2:TGID_X_EN: 1
; COMPUTE_PGM_RSRC2:TGID_Y_EN: 0
; COMPUTE_PGM_RSRC2:TGID_Z_EN: 0
; COMPUTE_PGM_RSRC2:TIDIG_COMP_CNT: 0
	.section	.text._ZN7rocprim17ROCPRIM_400000_NS6detail17trampoline_kernelINS0_14default_configENS1_25partition_config_selectorILNS1_17partition_subalgoE6EyNS0_10empty_typeEbEEZZNS1_14partition_implILS5_6ELb0ES3_mN6thrust23THRUST_200600_302600_NS6detail15normal_iteratorINSA_10device_ptrIyEEEEPS6_SG_NS0_5tupleIJSF_S6_EEENSH_IJSG_SG_EEES6_PlJ5mod_3IyEEEE10hipError_tPvRmT3_T4_T5_T6_T7_T9_mT8_P12ihipStream_tbDpT10_ENKUlT_T0_E_clISt17integral_constantIbLb1EES15_IbLb0EEEEDaS11_S12_EUlS11_E_NS1_11comp_targetILNS1_3genE0ELNS1_11target_archE4294967295ELNS1_3gpuE0ELNS1_3repE0EEENS1_30default_config_static_selectorELNS0_4arch9wavefront6targetE0EEEvT1_,"axG",@progbits,_ZN7rocprim17ROCPRIM_400000_NS6detail17trampoline_kernelINS0_14default_configENS1_25partition_config_selectorILNS1_17partition_subalgoE6EyNS0_10empty_typeEbEEZZNS1_14partition_implILS5_6ELb0ES3_mN6thrust23THRUST_200600_302600_NS6detail15normal_iteratorINSA_10device_ptrIyEEEEPS6_SG_NS0_5tupleIJSF_S6_EEENSH_IJSG_SG_EEES6_PlJ5mod_3IyEEEE10hipError_tPvRmT3_T4_T5_T6_T7_T9_mT8_P12ihipStream_tbDpT10_ENKUlT_T0_E_clISt17integral_constantIbLb1EES15_IbLb0EEEEDaS11_S12_EUlS11_E_NS1_11comp_targetILNS1_3genE0ELNS1_11target_archE4294967295ELNS1_3gpuE0ELNS1_3repE0EEENS1_30default_config_static_selectorELNS0_4arch9wavefront6targetE0EEEvT1_,comdat
	.protected	_ZN7rocprim17ROCPRIM_400000_NS6detail17trampoline_kernelINS0_14default_configENS1_25partition_config_selectorILNS1_17partition_subalgoE6EyNS0_10empty_typeEbEEZZNS1_14partition_implILS5_6ELb0ES3_mN6thrust23THRUST_200600_302600_NS6detail15normal_iteratorINSA_10device_ptrIyEEEEPS6_SG_NS0_5tupleIJSF_S6_EEENSH_IJSG_SG_EEES6_PlJ5mod_3IyEEEE10hipError_tPvRmT3_T4_T5_T6_T7_T9_mT8_P12ihipStream_tbDpT10_ENKUlT_T0_E_clISt17integral_constantIbLb1EES15_IbLb0EEEEDaS11_S12_EUlS11_E_NS1_11comp_targetILNS1_3genE0ELNS1_11target_archE4294967295ELNS1_3gpuE0ELNS1_3repE0EEENS1_30default_config_static_selectorELNS0_4arch9wavefront6targetE0EEEvT1_ ; -- Begin function _ZN7rocprim17ROCPRIM_400000_NS6detail17trampoline_kernelINS0_14default_configENS1_25partition_config_selectorILNS1_17partition_subalgoE6EyNS0_10empty_typeEbEEZZNS1_14partition_implILS5_6ELb0ES3_mN6thrust23THRUST_200600_302600_NS6detail15normal_iteratorINSA_10device_ptrIyEEEEPS6_SG_NS0_5tupleIJSF_S6_EEENSH_IJSG_SG_EEES6_PlJ5mod_3IyEEEE10hipError_tPvRmT3_T4_T5_T6_T7_T9_mT8_P12ihipStream_tbDpT10_ENKUlT_T0_E_clISt17integral_constantIbLb1EES15_IbLb0EEEEDaS11_S12_EUlS11_E_NS1_11comp_targetILNS1_3genE0ELNS1_11target_archE4294967295ELNS1_3gpuE0ELNS1_3repE0EEENS1_30default_config_static_selectorELNS0_4arch9wavefront6targetE0EEEvT1_
	.globl	_ZN7rocprim17ROCPRIM_400000_NS6detail17trampoline_kernelINS0_14default_configENS1_25partition_config_selectorILNS1_17partition_subalgoE6EyNS0_10empty_typeEbEEZZNS1_14partition_implILS5_6ELb0ES3_mN6thrust23THRUST_200600_302600_NS6detail15normal_iteratorINSA_10device_ptrIyEEEEPS6_SG_NS0_5tupleIJSF_S6_EEENSH_IJSG_SG_EEES6_PlJ5mod_3IyEEEE10hipError_tPvRmT3_T4_T5_T6_T7_T9_mT8_P12ihipStream_tbDpT10_ENKUlT_T0_E_clISt17integral_constantIbLb1EES15_IbLb0EEEEDaS11_S12_EUlS11_E_NS1_11comp_targetILNS1_3genE0ELNS1_11target_archE4294967295ELNS1_3gpuE0ELNS1_3repE0EEENS1_30default_config_static_selectorELNS0_4arch9wavefront6targetE0EEEvT1_
	.p2align	8
	.type	_ZN7rocprim17ROCPRIM_400000_NS6detail17trampoline_kernelINS0_14default_configENS1_25partition_config_selectorILNS1_17partition_subalgoE6EyNS0_10empty_typeEbEEZZNS1_14partition_implILS5_6ELb0ES3_mN6thrust23THRUST_200600_302600_NS6detail15normal_iteratorINSA_10device_ptrIyEEEEPS6_SG_NS0_5tupleIJSF_S6_EEENSH_IJSG_SG_EEES6_PlJ5mod_3IyEEEE10hipError_tPvRmT3_T4_T5_T6_T7_T9_mT8_P12ihipStream_tbDpT10_ENKUlT_T0_E_clISt17integral_constantIbLb1EES15_IbLb0EEEEDaS11_S12_EUlS11_E_NS1_11comp_targetILNS1_3genE0ELNS1_11target_archE4294967295ELNS1_3gpuE0ELNS1_3repE0EEENS1_30default_config_static_selectorELNS0_4arch9wavefront6targetE0EEEvT1_,@function
_ZN7rocprim17ROCPRIM_400000_NS6detail17trampoline_kernelINS0_14default_configENS1_25partition_config_selectorILNS1_17partition_subalgoE6EyNS0_10empty_typeEbEEZZNS1_14partition_implILS5_6ELb0ES3_mN6thrust23THRUST_200600_302600_NS6detail15normal_iteratorINSA_10device_ptrIyEEEEPS6_SG_NS0_5tupleIJSF_S6_EEENSH_IJSG_SG_EEES6_PlJ5mod_3IyEEEE10hipError_tPvRmT3_T4_T5_T6_T7_T9_mT8_P12ihipStream_tbDpT10_ENKUlT_T0_E_clISt17integral_constantIbLb1EES15_IbLb0EEEEDaS11_S12_EUlS11_E_NS1_11comp_targetILNS1_3genE0ELNS1_11target_archE4294967295ELNS1_3gpuE0ELNS1_3repE0EEENS1_30default_config_static_selectorELNS0_4arch9wavefront6targetE0EEEvT1_: ; @_ZN7rocprim17ROCPRIM_400000_NS6detail17trampoline_kernelINS0_14default_configENS1_25partition_config_selectorILNS1_17partition_subalgoE6EyNS0_10empty_typeEbEEZZNS1_14partition_implILS5_6ELb0ES3_mN6thrust23THRUST_200600_302600_NS6detail15normal_iteratorINSA_10device_ptrIyEEEEPS6_SG_NS0_5tupleIJSF_S6_EEENSH_IJSG_SG_EEES6_PlJ5mod_3IyEEEE10hipError_tPvRmT3_T4_T5_T6_T7_T9_mT8_P12ihipStream_tbDpT10_ENKUlT_T0_E_clISt17integral_constantIbLb1EES15_IbLb0EEEEDaS11_S12_EUlS11_E_NS1_11comp_targetILNS1_3genE0ELNS1_11target_archE4294967295ELNS1_3gpuE0ELNS1_3repE0EEENS1_30default_config_static_selectorELNS0_4arch9wavefront6targetE0EEEvT1_
; %bb.0:
	.section	.rodata,"a",@progbits
	.p2align	6, 0x0
	.amdhsa_kernel _ZN7rocprim17ROCPRIM_400000_NS6detail17trampoline_kernelINS0_14default_configENS1_25partition_config_selectorILNS1_17partition_subalgoE6EyNS0_10empty_typeEbEEZZNS1_14partition_implILS5_6ELb0ES3_mN6thrust23THRUST_200600_302600_NS6detail15normal_iteratorINSA_10device_ptrIyEEEEPS6_SG_NS0_5tupleIJSF_S6_EEENSH_IJSG_SG_EEES6_PlJ5mod_3IyEEEE10hipError_tPvRmT3_T4_T5_T6_T7_T9_mT8_P12ihipStream_tbDpT10_ENKUlT_T0_E_clISt17integral_constantIbLb1EES15_IbLb0EEEEDaS11_S12_EUlS11_E_NS1_11comp_targetILNS1_3genE0ELNS1_11target_archE4294967295ELNS1_3gpuE0ELNS1_3repE0EEENS1_30default_config_static_selectorELNS0_4arch9wavefront6targetE0EEEvT1_
		.amdhsa_group_segment_fixed_size 0
		.amdhsa_private_segment_fixed_size 0
		.amdhsa_kernarg_size 112
		.amdhsa_user_sgpr_count 15
		.amdhsa_user_sgpr_dispatch_ptr 0
		.amdhsa_user_sgpr_queue_ptr 0
		.amdhsa_user_sgpr_kernarg_segment_ptr 1
		.amdhsa_user_sgpr_dispatch_id 0
		.amdhsa_user_sgpr_private_segment_size 0
		.amdhsa_wavefront_size32 1
		.amdhsa_uses_dynamic_stack 0
		.amdhsa_enable_private_segment 0
		.amdhsa_system_sgpr_workgroup_id_x 1
		.amdhsa_system_sgpr_workgroup_id_y 0
		.amdhsa_system_sgpr_workgroup_id_z 0
		.amdhsa_system_sgpr_workgroup_info 0
		.amdhsa_system_vgpr_workitem_id 0
		.amdhsa_next_free_vgpr 1
		.amdhsa_next_free_sgpr 1
		.amdhsa_reserve_vcc 0
		.amdhsa_float_round_mode_32 0
		.amdhsa_float_round_mode_16_64 0
		.amdhsa_float_denorm_mode_32 3
		.amdhsa_float_denorm_mode_16_64 3
		.amdhsa_dx10_clamp 1
		.amdhsa_ieee_mode 1
		.amdhsa_fp16_overflow 0
		.amdhsa_workgroup_processor_mode 1
		.amdhsa_memory_ordered 1
		.amdhsa_forward_progress 0
		.amdhsa_shared_vgpr_count 0
		.amdhsa_exception_fp_ieee_invalid_op 0
		.amdhsa_exception_fp_denorm_src 0
		.amdhsa_exception_fp_ieee_div_zero 0
		.amdhsa_exception_fp_ieee_overflow 0
		.amdhsa_exception_fp_ieee_underflow 0
		.amdhsa_exception_fp_ieee_inexact 0
		.amdhsa_exception_int_div_zero 0
	.end_amdhsa_kernel
	.section	.text._ZN7rocprim17ROCPRIM_400000_NS6detail17trampoline_kernelINS0_14default_configENS1_25partition_config_selectorILNS1_17partition_subalgoE6EyNS0_10empty_typeEbEEZZNS1_14partition_implILS5_6ELb0ES3_mN6thrust23THRUST_200600_302600_NS6detail15normal_iteratorINSA_10device_ptrIyEEEEPS6_SG_NS0_5tupleIJSF_S6_EEENSH_IJSG_SG_EEES6_PlJ5mod_3IyEEEE10hipError_tPvRmT3_T4_T5_T6_T7_T9_mT8_P12ihipStream_tbDpT10_ENKUlT_T0_E_clISt17integral_constantIbLb1EES15_IbLb0EEEEDaS11_S12_EUlS11_E_NS1_11comp_targetILNS1_3genE0ELNS1_11target_archE4294967295ELNS1_3gpuE0ELNS1_3repE0EEENS1_30default_config_static_selectorELNS0_4arch9wavefront6targetE0EEEvT1_,"axG",@progbits,_ZN7rocprim17ROCPRIM_400000_NS6detail17trampoline_kernelINS0_14default_configENS1_25partition_config_selectorILNS1_17partition_subalgoE6EyNS0_10empty_typeEbEEZZNS1_14partition_implILS5_6ELb0ES3_mN6thrust23THRUST_200600_302600_NS6detail15normal_iteratorINSA_10device_ptrIyEEEEPS6_SG_NS0_5tupleIJSF_S6_EEENSH_IJSG_SG_EEES6_PlJ5mod_3IyEEEE10hipError_tPvRmT3_T4_T5_T6_T7_T9_mT8_P12ihipStream_tbDpT10_ENKUlT_T0_E_clISt17integral_constantIbLb1EES15_IbLb0EEEEDaS11_S12_EUlS11_E_NS1_11comp_targetILNS1_3genE0ELNS1_11target_archE4294967295ELNS1_3gpuE0ELNS1_3repE0EEENS1_30default_config_static_selectorELNS0_4arch9wavefront6targetE0EEEvT1_,comdat
.Lfunc_end472:
	.size	_ZN7rocprim17ROCPRIM_400000_NS6detail17trampoline_kernelINS0_14default_configENS1_25partition_config_selectorILNS1_17partition_subalgoE6EyNS0_10empty_typeEbEEZZNS1_14partition_implILS5_6ELb0ES3_mN6thrust23THRUST_200600_302600_NS6detail15normal_iteratorINSA_10device_ptrIyEEEEPS6_SG_NS0_5tupleIJSF_S6_EEENSH_IJSG_SG_EEES6_PlJ5mod_3IyEEEE10hipError_tPvRmT3_T4_T5_T6_T7_T9_mT8_P12ihipStream_tbDpT10_ENKUlT_T0_E_clISt17integral_constantIbLb1EES15_IbLb0EEEEDaS11_S12_EUlS11_E_NS1_11comp_targetILNS1_3genE0ELNS1_11target_archE4294967295ELNS1_3gpuE0ELNS1_3repE0EEENS1_30default_config_static_selectorELNS0_4arch9wavefront6targetE0EEEvT1_, .Lfunc_end472-_ZN7rocprim17ROCPRIM_400000_NS6detail17trampoline_kernelINS0_14default_configENS1_25partition_config_selectorILNS1_17partition_subalgoE6EyNS0_10empty_typeEbEEZZNS1_14partition_implILS5_6ELb0ES3_mN6thrust23THRUST_200600_302600_NS6detail15normal_iteratorINSA_10device_ptrIyEEEEPS6_SG_NS0_5tupleIJSF_S6_EEENSH_IJSG_SG_EEES6_PlJ5mod_3IyEEEE10hipError_tPvRmT3_T4_T5_T6_T7_T9_mT8_P12ihipStream_tbDpT10_ENKUlT_T0_E_clISt17integral_constantIbLb1EES15_IbLb0EEEEDaS11_S12_EUlS11_E_NS1_11comp_targetILNS1_3genE0ELNS1_11target_archE4294967295ELNS1_3gpuE0ELNS1_3repE0EEENS1_30default_config_static_selectorELNS0_4arch9wavefront6targetE0EEEvT1_
                                        ; -- End function
	.section	.AMDGPU.csdata,"",@progbits
; Kernel info:
; codeLenInByte = 0
; NumSgprs: 0
; NumVgprs: 0
; ScratchSize: 0
; MemoryBound: 0
; FloatMode: 240
; IeeeMode: 1
; LDSByteSize: 0 bytes/workgroup (compile time only)
; SGPRBlocks: 0
; VGPRBlocks: 0
; NumSGPRsForWavesPerEU: 1
; NumVGPRsForWavesPerEU: 1
; Occupancy: 16
; WaveLimiterHint : 0
; COMPUTE_PGM_RSRC2:SCRATCH_EN: 0
; COMPUTE_PGM_RSRC2:USER_SGPR: 15
; COMPUTE_PGM_RSRC2:TRAP_HANDLER: 0
; COMPUTE_PGM_RSRC2:TGID_X_EN: 1
; COMPUTE_PGM_RSRC2:TGID_Y_EN: 0
; COMPUTE_PGM_RSRC2:TGID_Z_EN: 0
; COMPUTE_PGM_RSRC2:TIDIG_COMP_CNT: 0
	.section	.text._ZN7rocprim17ROCPRIM_400000_NS6detail17trampoline_kernelINS0_14default_configENS1_25partition_config_selectorILNS1_17partition_subalgoE6EyNS0_10empty_typeEbEEZZNS1_14partition_implILS5_6ELb0ES3_mN6thrust23THRUST_200600_302600_NS6detail15normal_iteratorINSA_10device_ptrIyEEEEPS6_SG_NS0_5tupleIJSF_S6_EEENSH_IJSG_SG_EEES6_PlJ5mod_3IyEEEE10hipError_tPvRmT3_T4_T5_T6_T7_T9_mT8_P12ihipStream_tbDpT10_ENKUlT_T0_E_clISt17integral_constantIbLb1EES15_IbLb0EEEEDaS11_S12_EUlS11_E_NS1_11comp_targetILNS1_3genE5ELNS1_11target_archE942ELNS1_3gpuE9ELNS1_3repE0EEENS1_30default_config_static_selectorELNS0_4arch9wavefront6targetE0EEEvT1_,"axG",@progbits,_ZN7rocprim17ROCPRIM_400000_NS6detail17trampoline_kernelINS0_14default_configENS1_25partition_config_selectorILNS1_17partition_subalgoE6EyNS0_10empty_typeEbEEZZNS1_14partition_implILS5_6ELb0ES3_mN6thrust23THRUST_200600_302600_NS6detail15normal_iteratorINSA_10device_ptrIyEEEEPS6_SG_NS0_5tupleIJSF_S6_EEENSH_IJSG_SG_EEES6_PlJ5mod_3IyEEEE10hipError_tPvRmT3_T4_T5_T6_T7_T9_mT8_P12ihipStream_tbDpT10_ENKUlT_T0_E_clISt17integral_constantIbLb1EES15_IbLb0EEEEDaS11_S12_EUlS11_E_NS1_11comp_targetILNS1_3genE5ELNS1_11target_archE942ELNS1_3gpuE9ELNS1_3repE0EEENS1_30default_config_static_selectorELNS0_4arch9wavefront6targetE0EEEvT1_,comdat
	.protected	_ZN7rocprim17ROCPRIM_400000_NS6detail17trampoline_kernelINS0_14default_configENS1_25partition_config_selectorILNS1_17partition_subalgoE6EyNS0_10empty_typeEbEEZZNS1_14partition_implILS5_6ELb0ES3_mN6thrust23THRUST_200600_302600_NS6detail15normal_iteratorINSA_10device_ptrIyEEEEPS6_SG_NS0_5tupleIJSF_S6_EEENSH_IJSG_SG_EEES6_PlJ5mod_3IyEEEE10hipError_tPvRmT3_T4_T5_T6_T7_T9_mT8_P12ihipStream_tbDpT10_ENKUlT_T0_E_clISt17integral_constantIbLb1EES15_IbLb0EEEEDaS11_S12_EUlS11_E_NS1_11comp_targetILNS1_3genE5ELNS1_11target_archE942ELNS1_3gpuE9ELNS1_3repE0EEENS1_30default_config_static_selectorELNS0_4arch9wavefront6targetE0EEEvT1_ ; -- Begin function _ZN7rocprim17ROCPRIM_400000_NS6detail17trampoline_kernelINS0_14default_configENS1_25partition_config_selectorILNS1_17partition_subalgoE6EyNS0_10empty_typeEbEEZZNS1_14partition_implILS5_6ELb0ES3_mN6thrust23THRUST_200600_302600_NS6detail15normal_iteratorINSA_10device_ptrIyEEEEPS6_SG_NS0_5tupleIJSF_S6_EEENSH_IJSG_SG_EEES6_PlJ5mod_3IyEEEE10hipError_tPvRmT3_T4_T5_T6_T7_T9_mT8_P12ihipStream_tbDpT10_ENKUlT_T0_E_clISt17integral_constantIbLb1EES15_IbLb0EEEEDaS11_S12_EUlS11_E_NS1_11comp_targetILNS1_3genE5ELNS1_11target_archE942ELNS1_3gpuE9ELNS1_3repE0EEENS1_30default_config_static_selectorELNS0_4arch9wavefront6targetE0EEEvT1_
	.globl	_ZN7rocprim17ROCPRIM_400000_NS6detail17trampoline_kernelINS0_14default_configENS1_25partition_config_selectorILNS1_17partition_subalgoE6EyNS0_10empty_typeEbEEZZNS1_14partition_implILS5_6ELb0ES3_mN6thrust23THRUST_200600_302600_NS6detail15normal_iteratorINSA_10device_ptrIyEEEEPS6_SG_NS0_5tupleIJSF_S6_EEENSH_IJSG_SG_EEES6_PlJ5mod_3IyEEEE10hipError_tPvRmT3_T4_T5_T6_T7_T9_mT8_P12ihipStream_tbDpT10_ENKUlT_T0_E_clISt17integral_constantIbLb1EES15_IbLb0EEEEDaS11_S12_EUlS11_E_NS1_11comp_targetILNS1_3genE5ELNS1_11target_archE942ELNS1_3gpuE9ELNS1_3repE0EEENS1_30default_config_static_selectorELNS0_4arch9wavefront6targetE0EEEvT1_
	.p2align	8
	.type	_ZN7rocprim17ROCPRIM_400000_NS6detail17trampoline_kernelINS0_14default_configENS1_25partition_config_selectorILNS1_17partition_subalgoE6EyNS0_10empty_typeEbEEZZNS1_14partition_implILS5_6ELb0ES3_mN6thrust23THRUST_200600_302600_NS6detail15normal_iteratorINSA_10device_ptrIyEEEEPS6_SG_NS0_5tupleIJSF_S6_EEENSH_IJSG_SG_EEES6_PlJ5mod_3IyEEEE10hipError_tPvRmT3_T4_T5_T6_T7_T9_mT8_P12ihipStream_tbDpT10_ENKUlT_T0_E_clISt17integral_constantIbLb1EES15_IbLb0EEEEDaS11_S12_EUlS11_E_NS1_11comp_targetILNS1_3genE5ELNS1_11target_archE942ELNS1_3gpuE9ELNS1_3repE0EEENS1_30default_config_static_selectorELNS0_4arch9wavefront6targetE0EEEvT1_,@function
_ZN7rocprim17ROCPRIM_400000_NS6detail17trampoline_kernelINS0_14default_configENS1_25partition_config_selectorILNS1_17partition_subalgoE6EyNS0_10empty_typeEbEEZZNS1_14partition_implILS5_6ELb0ES3_mN6thrust23THRUST_200600_302600_NS6detail15normal_iteratorINSA_10device_ptrIyEEEEPS6_SG_NS0_5tupleIJSF_S6_EEENSH_IJSG_SG_EEES6_PlJ5mod_3IyEEEE10hipError_tPvRmT3_T4_T5_T6_T7_T9_mT8_P12ihipStream_tbDpT10_ENKUlT_T0_E_clISt17integral_constantIbLb1EES15_IbLb0EEEEDaS11_S12_EUlS11_E_NS1_11comp_targetILNS1_3genE5ELNS1_11target_archE942ELNS1_3gpuE9ELNS1_3repE0EEENS1_30default_config_static_selectorELNS0_4arch9wavefront6targetE0EEEvT1_: ; @_ZN7rocprim17ROCPRIM_400000_NS6detail17trampoline_kernelINS0_14default_configENS1_25partition_config_selectorILNS1_17partition_subalgoE6EyNS0_10empty_typeEbEEZZNS1_14partition_implILS5_6ELb0ES3_mN6thrust23THRUST_200600_302600_NS6detail15normal_iteratorINSA_10device_ptrIyEEEEPS6_SG_NS0_5tupleIJSF_S6_EEENSH_IJSG_SG_EEES6_PlJ5mod_3IyEEEE10hipError_tPvRmT3_T4_T5_T6_T7_T9_mT8_P12ihipStream_tbDpT10_ENKUlT_T0_E_clISt17integral_constantIbLb1EES15_IbLb0EEEEDaS11_S12_EUlS11_E_NS1_11comp_targetILNS1_3genE5ELNS1_11target_archE942ELNS1_3gpuE9ELNS1_3repE0EEENS1_30default_config_static_selectorELNS0_4arch9wavefront6targetE0EEEvT1_
; %bb.0:
	.section	.rodata,"a",@progbits
	.p2align	6, 0x0
	.amdhsa_kernel _ZN7rocprim17ROCPRIM_400000_NS6detail17trampoline_kernelINS0_14default_configENS1_25partition_config_selectorILNS1_17partition_subalgoE6EyNS0_10empty_typeEbEEZZNS1_14partition_implILS5_6ELb0ES3_mN6thrust23THRUST_200600_302600_NS6detail15normal_iteratorINSA_10device_ptrIyEEEEPS6_SG_NS0_5tupleIJSF_S6_EEENSH_IJSG_SG_EEES6_PlJ5mod_3IyEEEE10hipError_tPvRmT3_T4_T5_T6_T7_T9_mT8_P12ihipStream_tbDpT10_ENKUlT_T0_E_clISt17integral_constantIbLb1EES15_IbLb0EEEEDaS11_S12_EUlS11_E_NS1_11comp_targetILNS1_3genE5ELNS1_11target_archE942ELNS1_3gpuE9ELNS1_3repE0EEENS1_30default_config_static_selectorELNS0_4arch9wavefront6targetE0EEEvT1_
		.amdhsa_group_segment_fixed_size 0
		.amdhsa_private_segment_fixed_size 0
		.amdhsa_kernarg_size 112
		.amdhsa_user_sgpr_count 15
		.amdhsa_user_sgpr_dispatch_ptr 0
		.amdhsa_user_sgpr_queue_ptr 0
		.amdhsa_user_sgpr_kernarg_segment_ptr 1
		.amdhsa_user_sgpr_dispatch_id 0
		.amdhsa_user_sgpr_private_segment_size 0
		.amdhsa_wavefront_size32 1
		.amdhsa_uses_dynamic_stack 0
		.amdhsa_enable_private_segment 0
		.amdhsa_system_sgpr_workgroup_id_x 1
		.amdhsa_system_sgpr_workgroup_id_y 0
		.amdhsa_system_sgpr_workgroup_id_z 0
		.amdhsa_system_sgpr_workgroup_info 0
		.amdhsa_system_vgpr_workitem_id 0
		.amdhsa_next_free_vgpr 1
		.amdhsa_next_free_sgpr 1
		.amdhsa_reserve_vcc 0
		.amdhsa_float_round_mode_32 0
		.amdhsa_float_round_mode_16_64 0
		.amdhsa_float_denorm_mode_32 3
		.amdhsa_float_denorm_mode_16_64 3
		.amdhsa_dx10_clamp 1
		.amdhsa_ieee_mode 1
		.amdhsa_fp16_overflow 0
		.amdhsa_workgroup_processor_mode 1
		.amdhsa_memory_ordered 1
		.amdhsa_forward_progress 0
		.amdhsa_shared_vgpr_count 0
		.amdhsa_exception_fp_ieee_invalid_op 0
		.amdhsa_exception_fp_denorm_src 0
		.amdhsa_exception_fp_ieee_div_zero 0
		.amdhsa_exception_fp_ieee_overflow 0
		.amdhsa_exception_fp_ieee_underflow 0
		.amdhsa_exception_fp_ieee_inexact 0
		.amdhsa_exception_int_div_zero 0
	.end_amdhsa_kernel
	.section	.text._ZN7rocprim17ROCPRIM_400000_NS6detail17trampoline_kernelINS0_14default_configENS1_25partition_config_selectorILNS1_17partition_subalgoE6EyNS0_10empty_typeEbEEZZNS1_14partition_implILS5_6ELb0ES3_mN6thrust23THRUST_200600_302600_NS6detail15normal_iteratorINSA_10device_ptrIyEEEEPS6_SG_NS0_5tupleIJSF_S6_EEENSH_IJSG_SG_EEES6_PlJ5mod_3IyEEEE10hipError_tPvRmT3_T4_T5_T6_T7_T9_mT8_P12ihipStream_tbDpT10_ENKUlT_T0_E_clISt17integral_constantIbLb1EES15_IbLb0EEEEDaS11_S12_EUlS11_E_NS1_11comp_targetILNS1_3genE5ELNS1_11target_archE942ELNS1_3gpuE9ELNS1_3repE0EEENS1_30default_config_static_selectorELNS0_4arch9wavefront6targetE0EEEvT1_,"axG",@progbits,_ZN7rocprim17ROCPRIM_400000_NS6detail17trampoline_kernelINS0_14default_configENS1_25partition_config_selectorILNS1_17partition_subalgoE6EyNS0_10empty_typeEbEEZZNS1_14partition_implILS5_6ELb0ES3_mN6thrust23THRUST_200600_302600_NS6detail15normal_iteratorINSA_10device_ptrIyEEEEPS6_SG_NS0_5tupleIJSF_S6_EEENSH_IJSG_SG_EEES6_PlJ5mod_3IyEEEE10hipError_tPvRmT3_T4_T5_T6_T7_T9_mT8_P12ihipStream_tbDpT10_ENKUlT_T0_E_clISt17integral_constantIbLb1EES15_IbLb0EEEEDaS11_S12_EUlS11_E_NS1_11comp_targetILNS1_3genE5ELNS1_11target_archE942ELNS1_3gpuE9ELNS1_3repE0EEENS1_30default_config_static_selectorELNS0_4arch9wavefront6targetE0EEEvT1_,comdat
.Lfunc_end473:
	.size	_ZN7rocprim17ROCPRIM_400000_NS6detail17trampoline_kernelINS0_14default_configENS1_25partition_config_selectorILNS1_17partition_subalgoE6EyNS0_10empty_typeEbEEZZNS1_14partition_implILS5_6ELb0ES3_mN6thrust23THRUST_200600_302600_NS6detail15normal_iteratorINSA_10device_ptrIyEEEEPS6_SG_NS0_5tupleIJSF_S6_EEENSH_IJSG_SG_EEES6_PlJ5mod_3IyEEEE10hipError_tPvRmT3_T4_T5_T6_T7_T9_mT8_P12ihipStream_tbDpT10_ENKUlT_T0_E_clISt17integral_constantIbLb1EES15_IbLb0EEEEDaS11_S12_EUlS11_E_NS1_11comp_targetILNS1_3genE5ELNS1_11target_archE942ELNS1_3gpuE9ELNS1_3repE0EEENS1_30default_config_static_selectorELNS0_4arch9wavefront6targetE0EEEvT1_, .Lfunc_end473-_ZN7rocprim17ROCPRIM_400000_NS6detail17trampoline_kernelINS0_14default_configENS1_25partition_config_selectorILNS1_17partition_subalgoE6EyNS0_10empty_typeEbEEZZNS1_14partition_implILS5_6ELb0ES3_mN6thrust23THRUST_200600_302600_NS6detail15normal_iteratorINSA_10device_ptrIyEEEEPS6_SG_NS0_5tupleIJSF_S6_EEENSH_IJSG_SG_EEES6_PlJ5mod_3IyEEEE10hipError_tPvRmT3_T4_T5_T6_T7_T9_mT8_P12ihipStream_tbDpT10_ENKUlT_T0_E_clISt17integral_constantIbLb1EES15_IbLb0EEEEDaS11_S12_EUlS11_E_NS1_11comp_targetILNS1_3genE5ELNS1_11target_archE942ELNS1_3gpuE9ELNS1_3repE0EEENS1_30default_config_static_selectorELNS0_4arch9wavefront6targetE0EEEvT1_
                                        ; -- End function
	.section	.AMDGPU.csdata,"",@progbits
; Kernel info:
; codeLenInByte = 0
; NumSgprs: 0
; NumVgprs: 0
; ScratchSize: 0
; MemoryBound: 0
; FloatMode: 240
; IeeeMode: 1
; LDSByteSize: 0 bytes/workgroup (compile time only)
; SGPRBlocks: 0
; VGPRBlocks: 0
; NumSGPRsForWavesPerEU: 1
; NumVGPRsForWavesPerEU: 1
; Occupancy: 16
; WaveLimiterHint : 0
; COMPUTE_PGM_RSRC2:SCRATCH_EN: 0
; COMPUTE_PGM_RSRC2:USER_SGPR: 15
; COMPUTE_PGM_RSRC2:TRAP_HANDLER: 0
; COMPUTE_PGM_RSRC2:TGID_X_EN: 1
; COMPUTE_PGM_RSRC2:TGID_Y_EN: 0
; COMPUTE_PGM_RSRC2:TGID_Z_EN: 0
; COMPUTE_PGM_RSRC2:TIDIG_COMP_CNT: 0
	.section	.text._ZN7rocprim17ROCPRIM_400000_NS6detail17trampoline_kernelINS0_14default_configENS1_25partition_config_selectorILNS1_17partition_subalgoE6EyNS0_10empty_typeEbEEZZNS1_14partition_implILS5_6ELb0ES3_mN6thrust23THRUST_200600_302600_NS6detail15normal_iteratorINSA_10device_ptrIyEEEEPS6_SG_NS0_5tupleIJSF_S6_EEENSH_IJSG_SG_EEES6_PlJ5mod_3IyEEEE10hipError_tPvRmT3_T4_T5_T6_T7_T9_mT8_P12ihipStream_tbDpT10_ENKUlT_T0_E_clISt17integral_constantIbLb1EES15_IbLb0EEEEDaS11_S12_EUlS11_E_NS1_11comp_targetILNS1_3genE4ELNS1_11target_archE910ELNS1_3gpuE8ELNS1_3repE0EEENS1_30default_config_static_selectorELNS0_4arch9wavefront6targetE0EEEvT1_,"axG",@progbits,_ZN7rocprim17ROCPRIM_400000_NS6detail17trampoline_kernelINS0_14default_configENS1_25partition_config_selectorILNS1_17partition_subalgoE6EyNS0_10empty_typeEbEEZZNS1_14partition_implILS5_6ELb0ES3_mN6thrust23THRUST_200600_302600_NS6detail15normal_iteratorINSA_10device_ptrIyEEEEPS6_SG_NS0_5tupleIJSF_S6_EEENSH_IJSG_SG_EEES6_PlJ5mod_3IyEEEE10hipError_tPvRmT3_T4_T5_T6_T7_T9_mT8_P12ihipStream_tbDpT10_ENKUlT_T0_E_clISt17integral_constantIbLb1EES15_IbLb0EEEEDaS11_S12_EUlS11_E_NS1_11comp_targetILNS1_3genE4ELNS1_11target_archE910ELNS1_3gpuE8ELNS1_3repE0EEENS1_30default_config_static_selectorELNS0_4arch9wavefront6targetE0EEEvT1_,comdat
	.protected	_ZN7rocprim17ROCPRIM_400000_NS6detail17trampoline_kernelINS0_14default_configENS1_25partition_config_selectorILNS1_17partition_subalgoE6EyNS0_10empty_typeEbEEZZNS1_14partition_implILS5_6ELb0ES3_mN6thrust23THRUST_200600_302600_NS6detail15normal_iteratorINSA_10device_ptrIyEEEEPS6_SG_NS0_5tupleIJSF_S6_EEENSH_IJSG_SG_EEES6_PlJ5mod_3IyEEEE10hipError_tPvRmT3_T4_T5_T6_T7_T9_mT8_P12ihipStream_tbDpT10_ENKUlT_T0_E_clISt17integral_constantIbLb1EES15_IbLb0EEEEDaS11_S12_EUlS11_E_NS1_11comp_targetILNS1_3genE4ELNS1_11target_archE910ELNS1_3gpuE8ELNS1_3repE0EEENS1_30default_config_static_selectorELNS0_4arch9wavefront6targetE0EEEvT1_ ; -- Begin function _ZN7rocprim17ROCPRIM_400000_NS6detail17trampoline_kernelINS0_14default_configENS1_25partition_config_selectorILNS1_17partition_subalgoE6EyNS0_10empty_typeEbEEZZNS1_14partition_implILS5_6ELb0ES3_mN6thrust23THRUST_200600_302600_NS6detail15normal_iteratorINSA_10device_ptrIyEEEEPS6_SG_NS0_5tupleIJSF_S6_EEENSH_IJSG_SG_EEES6_PlJ5mod_3IyEEEE10hipError_tPvRmT3_T4_T5_T6_T7_T9_mT8_P12ihipStream_tbDpT10_ENKUlT_T0_E_clISt17integral_constantIbLb1EES15_IbLb0EEEEDaS11_S12_EUlS11_E_NS1_11comp_targetILNS1_3genE4ELNS1_11target_archE910ELNS1_3gpuE8ELNS1_3repE0EEENS1_30default_config_static_selectorELNS0_4arch9wavefront6targetE0EEEvT1_
	.globl	_ZN7rocprim17ROCPRIM_400000_NS6detail17trampoline_kernelINS0_14default_configENS1_25partition_config_selectorILNS1_17partition_subalgoE6EyNS0_10empty_typeEbEEZZNS1_14partition_implILS5_6ELb0ES3_mN6thrust23THRUST_200600_302600_NS6detail15normal_iteratorINSA_10device_ptrIyEEEEPS6_SG_NS0_5tupleIJSF_S6_EEENSH_IJSG_SG_EEES6_PlJ5mod_3IyEEEE10hipError_tPvRmT3_T4_T5_T6_T7_T9_mT8_P12ihipStream_tbDpT10_ENKUlT_T0_E_clISt17integral_constantIbLb1EES15_IbLb0EEEEDaS11_S12_EUlS11_E_NS1_11comp_targetILNS1_3genE4ELNS1_11target_archE910ELNS1_3gpuE8ELNS1_3repE0EEENS1_30default_config_static_selectorELNS0_4arch9wavefront6targetE0EEEvT1_
	.p2align	8
	.type	_ZN7rocprim17ROCPRIM_400000_NS6detail17trampoline_kernelINS0_14default_configENS1_25partition_config_selectorILNS1_17partition_subalgoE6EyNS0_10empty_typeEbEEZZNS1_14partition_implILS5_6ELb0ES3_mN6thrust23THRUST_200600_302600_NS6detail15normal_iteratorINSA_10device_ptrIyEEEEPS6_SG_NS0_5tupleIJSF_S6_EEENSH_IJSG_SG_EEES6_PlJ5mod_3IyEEEE10hipError_tPvRmT3_T4_T5_T6_T7_T9_mT8_P12ihipStream_tbDpT10_ENKUlT_T0_E_clISt17integral_constantIbLb1EES15_IbLb0EEEEDaS11_S12_EUlS11_E_NS1_11comp_targetILNS1_3genE4ELNS1_11target_archE910ELNS1_3gpuE8ELNS1_3repE0EEENS1_30default_config_static_selectorELNS0_4arch9wavefront6targetE0EEEvT1_,@function
_ZN7rocprim17ROCPRIM_400000_NS6detail17trampoline_kernelINS0_14default_configENS1_25partition_config_selectorILNS1_17partition_subalgoE6EyNS0_10empty_typeEbEEZZNS1_14partition_implILS5_6ELb0ES3_mN6thrust23THRUST_200600_302600_NS6detail15normal_iteratorINSA_10device_ptrIyEEEEPS6_SG_NS0_5tupleIJSF_S6_EEENSH_IJSG_SG_EEES6_PlJ5mod_3IyEEEE10hipError_tPvRmT3_T4_T5_T6_T7_T9_mT8_P12ihipStream_tbDpT10_ENKUlT_T0_E_clISt17integral_constantIbLb1EES15_IbLb0EEEEDaS11_S12_EUlS11_E_NS1_11comp_targetILNS1_3genE4ELNS1_11target_archE910ELNS1_3gpuE8ELNS1_3repE0EEENS1_30default_config_static_selectorELNS0_4arch9wavefront6targetE0EEEvT1_: ; @_ZN7rocprim17ROCPRIM_400000_NS6detail17trampoline_kernelINS0_14default_configENS1_25partition_config_selectorILNS1_17partition_subalgoE6EyNS0_10empty_typeEbEEZZNS1_14partition_implILS5_6ELb0ES3_mN6thrust23THRUST_200600_302600_NS6detail15normal_iteratorINSA_10device_ptrIyEEEEPS6_SG_NS0_5tupleIJSF_S6_EEENSH_IJSG_SG_EEES6_PlJ5mod_3IyEEEE10hipError_tPvRmT3_T4_T5_T6_T7_T9_mT8_P12ihipStream_tbDpT10_ENKUlT_T0_E_clISt17integral_constantIbLb1EES15_IbLb0EEEEDaS11_S12_EUlS11_E_NS1_11comp_targetILNS1_3genE4ELNS1_11target_archE910ELNS1_3gpuE8ELNS1_3repE0EEENS1_30default_config_static_selectorELNS0_4arch9wavefront6targetE0EEEvT1_
; %bb.0:
	.section	.rodata,"a",@progbits
	.p2align	6, 0x0
	.amdhsa_kernel _ZN7rocprim17ROCPRIM_400000_NS6detail17trampoline_kernelINS0_14default_configENS1_25partition_config_selectorILNS1_17partition_subalgoE6EyNS0_10empty_typeEbEEZZNS1_14partition_implILS5_6ELb0ES3_mN6thrust23THRUST_200600_302600_NS6detail15normal_iteratorINSA_10device_ptrIyEEEEPS6_SG_NS0_5tupleIJSF_S6_EEENSH_IJSG_SG_EEES6_PlJ5mod_3IyEEEE10hipError_tPvRmT3_T4_T5_T6_T7_T9_mT8_P12ihipStream_tbDpT10_ENKUlT_T0_E_clISt17integral_constantIbLb1EES15_IbLb0EEEEDaS11_S12_EUlS11_E_NS1_11comp_targetILNS1_3genE4ELNS1_11target_archE910ELNS1_3gpuE8ELNS1_3repE0EEENS1_30default_config_static_selectorELNS0_4arch9wavefront6targetE0EEEvT1_
		.amdhsa_group_segment_fixed_size 0
		.amdhsa_private_segment_fixed_size 0
		.amdhsa_kernarg_size 112
		.amdhsa_user_sgpr_count 15
		.amdhsa_user_sgpr_dispatch_ptr 0
		.amdhsa_user_sgpr_queue_ptr 0
		.amdhsa_user_sgpr_kernarg_segment_ptr 1
		.amdhsa_user_sgpr_dispatch_id 0
		.amdhsa_user_sgpr_private_segment_size 0
		.amdhsa_wavefront_size32 1
		.amdhsa_uses_dynamic_stack 0
		.amdhsa_enable_private_segment 0
		.amdhsa_system_sgpr_workgroup_id_x 1
		.amdhsa_system_sgpr_workgroup_id_y 0
		.amdhsa_system_sgpr_workgroup_id_z 0
		.amdhsa_system_sgpr_workgroup_info 0
		.amdhsa_system_vgpr_workitem_id 0
		.amdhsa_next_free_vgpr 1
		.amdhsa_next_free_sgpr 1
		.amdhsa_reserve_vcc 0
		.amdhsa_float_round_mode_32 0
		.amdhsa_float_round_mode_16_64 0
		.amdhsa_float_denorm_mode_32 3
		.amdhsa_float_denorm_mode_16_64 3
		.amdhsa_dx10_clamp 1
		.amdhsa_ieee_mode 1
		.amdhsa_fp16_overflow 0
		.amdhsa_workgroup_processor_mode 1
		.amdhsa_memory_ordered 1
		.amdhsa_forward_progress 0
		.amdhsa_shared_vgpr_count 0
		.amdhsa_exception_fp_ieee_invalid_op 0
		.amdhsa_exception_fp_denorm_src 0
		.amdhsa_exception_fp_ieee_div_zero 0
		.amdhsa_exception_fp_ieee_overflow 0
		.amdhsa_exception_fp_ieee_underflow 0
		.amdhsa_exception_fp_ieee_inexact 0
		.amdhsa_exception_int_div_zero 0
	.end_amdhsa_kernel
	.section	.text._ZN7rocprim17ROCPRIM_400000_NS6detail17trampoline_kernelINS0_14default_configENS1_25partition_config_selectorILNS1_17partition_subalgoE6EyNS0_10empty_typeEbEEZZNS1_14partition_implILS5_6ELb0ES3_mN6thrust23THRUST_200600_302600_NS6detail15normal_iteratorINSA_10device_ptrIyEEEEPS6_SG_NS0_5tupleIJSF_S6_EEENSH_IJSG_SG_EEES6_PlJ5mod_3IyEEEE10hipError_tPvRmT3_T4_T5_T6_T7_T9_mT8_P12ihipStream_tbDpT10_ENKUlT_T0_E_clISt17integral_constantIbLb1EES15_IbLb0EEEEDaS11_S12_EUlS11_E_NS1_11comp_targetILNS1_3genE4ELNS1_11target_archE910ELNS1_3gpuE8ELNS1_3repE0EEENS1_30default_config_static_selectorELNS0_4arch9wavefront6targetE0EEEvT1_,"axG",@progbits,_ZN7rocprim17ROCPRIM_400000_NS6detail17trampoline_kernelINS0_14default_configENS1_25partition_config_selectorILNS1_17partition_subalgoE6EyNS0_10empty_typeEbEEZZNS1_14partition_implILS5_6ELb0ES3_mN6thrust23THRUST_200600_302600_NS6detail15normal_iteratorINSA_10device_ptrIyEEEEPS6_SG_NS0_5tupleIJSF_S6_EEENSH_IJSG_SG_EEES6_PlJ5mod_3IyEEEE10hipError_tPvRmT3_T4_T5_T6_T7_T9_mT8_P12ihipStream_tbDpT10_ENKUlT_T0_E_clISt17integral_constantIbLb1EES15_IbLb0EEEEDaS11_S12_EUlS11_E_NS1_11comp_targetILNS1_3genE4ELNS1_11target_archE910ELNS1_3gpuE8ELNS1_3repE0EEENS1_30default_config_static_selectorELNS0_4arch9wavefront6targetE0EEEvT1_,comdat
.Lfunc_end474:
	.size	_ZN7rocprim17ROCPRIM_400000_NS6detail17trampoline_kernelINS0_14default_configENS1_25partition_config_selectorILNS1_17partition_subalgoE6EyNS0_10empty_typeEbEEZZNS1_14partition_implILS5_6ELb0ES3_mN6thrust23THRUST_200600_302600_NS6detail15normal_iteratorINSA_10device_ptrIyEEEEPS6_SG_NS0_5tupleIJSF_S6_EEENSH_IJSG_SG_EEES6_PlJ5mod_3IyEEEE10hipError_tPvRmT3_T4_T5_T6_T7_T9_mT8_P12ihipStream_tbDpT10_ENKUlT_T0_E_clISt17integral_constantIbLb1EES15_IbLb0EEEEDaS11_S12_EUlS11_E_NS1_11comp_targetILNS1_3genE4ELNS1_11target_archE910ELNS1_3gpuE8ELNS1_3repE0EEENS1_30default_config_static_selectorELNS0_4arch9wavefront6targetE0EEEvT1_, .Lfunc_end474-_ZN7rocprim17ROCPRIM_400000_NS6detail17trampoline_kernelINS0_14default_configENS1_25partition_config_selectorILNS1_17partition_subalgoE6EyNS0_10empty_typeEbEEZZNS1_14partition_implILS5_6ELb0ES3_mN6thrust23THRUST_200600_302600_NS6detail15normal_iteratorINSA_10device_ptrIyEEEEPS6_SG_NS0_5tupleIJSF_S6_EEENSH_IJSG_SG_EEES6_PlJ5mod_3IyEEEE10hipError_tPvRmT3_T4_T5_T6_T7_T9_mT8_P12ihipStream_tbDpT10_ENKUlT_T0_E_clISt17integral_constantIbLb1EES15_IbLb0EEEEDaS11_S12_EUlS11_E_NS1_11comp_targetILNS1_3genE4ELNS1_11target_archE910ELNS1_3gpuE8ELNS1_3repE0EEENS1_30default_config_static_selectorELNS0_4arch9wavefront6targetE0EEEvT1_
                                        ; -- End function
	.section	.AMDGPU.csdata,"",@progbits
; Kernel info:
; codeLenInByte = 0
; NumSgprs: 0
; NumVgprs: 0
; ScratchSize: 0
; MemoryBound: 0
; FloatMode: 240
; IeeeMode: 1
; LDSByteSize: 0 bytes/workgroup (compile time only)
; SGPRBlocks: 0
; VGPRBlocks: 0
; NumSGPRsForWavesPerEU: 1
; NumVGPRsForWavesPerEU: 1
; Occupancy: 16
; WaveLimiterHint : 0
; COMPUTE_PGM_RSRC2:SCRATCH_EN: 0
; COMPUTE_PGM_RSRC2:USER_SGPR: 15
; COMPUTE_PGM_RSRC2:TRAP_HANDLER: 0
; COMPUTE_PGM_RSRC2:TGID_X_EN: 1
; COMPUTE_PGM_RSRC2:TGID_Y_EN: 0
; COMPUTE_PGM_RSRC2:TGID_Z_EN: 0
; COMPUTE_PGM_RSRC2:TIDIG_COMP_CNT: 0
	.section	.text._ZN7rocprim17ROCPRIM_400000_NS6detail17trampoline_kernelINS0_14default_configENS1_25partition_config_selectorILNS1_17partition_subalgoE6EyNS0_10empty_typeEbEEZZNS1_14partition_implILS5_6ELb0ES3_mN6thrust23THRUST_200600_302600_NS6detail15normal_iteratorINSA_10device_ptrIyEEEEPS6_SG_NS0_5tupleIJSF_S6_EEENSH_IJSG_SG_EEES6_PlJ5mod_3IyEEEE10hipError_tPvRmT3_T4_T5_T6_T7_T9_mT8_P12ihipStream_tbDpT10_ENKUlT_T0_E_clISt17integral_constantIbLb1EES15_IbLb0EEEEDaS11_S12_EUlS11_E_NS1_11comp_targetILNS1_3genE3ELNS1_11target_archE908ELNS1_3gpuE7ELNS1_3repE0EEENS1_30default_config_static_selectorELNS0_4arch9wavefront6targetE0EEEvT1_,"axG",@progbits,_ZN7rocprim17ROCPRIM_400000_NS6detail17trampoline_kernelINS0_14default_configENS1_25partition_config_selectorILNS1_17partition_subalgoE6EyNS0_10empty_typeEbEEZZNS1_14partition_implILS5_6ELb0ES3_mN6thrust23THRUST_200600_302600_NS6detail15normal_iteratorINSA_10device_ptrIyEEEEPS6_SG_NS0_5tupleIJSF_S6_EEENSH_IJSG_SG_EEES6_PlJ5mod_3IyEEEE10hipError_tPvRmT3_T4_T5_T6_T7_T9_mT8_P12ihipStream_tbDpT10_ENKUlT_T0_E_clISt17integral_constantIbLb1EES15_IbLb0EEEEDaS11_S12_EUlS11_E_NS1_11comp_targetILNS1_3genE3ELNS1_11target_archE908ELNS1_3gpuE7ELNS1_3repE0EEENS1_30default_config_static_selectorELNS0_4arch9wavefront6targetE0EEEvT1_,comdat
	.protected	_ZN7rocprim17ROCPRIM_400000_NS6detail17trampoline_kernelINS0_14default_configENS1_25partition_config_selectorILNS1_17partition_subalgoE6EyNS0_10empty_typeEbEEZZNS1_14partition_implILS5_6ELb0ES3_mN6thrust23THRUST_200600_302600_NS6detail15normal_iteratorINSA_10device_ptrIyEEEEPS6_SG_NS0_5tupleIJSF_S6_EEENSH_IJSG_SG_EEES6_PlJ5mod_3IyEEEE10hipError_tPvRmT3_T4_T5_T6_T7_T9_mT8_P12ihipStream_tbDpT10_ENKUlT_T0_E_clISt17integral_constantIbLb1EES15_IbLb0EEEEDaS11_S12_EUlS11_E_NS1_11comp_targetILNS1_3genE3ELNS1_11target_archE908ELNS1_3gpuE7ELNS1_3repE0EEENS1_30default_config_static_selectorELNS0_4arch9wavefront6targetE0EEEvT1_ ; -- Begin function _ZN7rocprim17ROCPRIM_400000_NS6detail17trampoline_kernelINS0_14default_configENS1_25partition_config_selectorILNS1_17partition_subalgoE6EyNS0_10empty_typeEbEEZZNS1_14partition_implILS5_6ELb0ES3_mN6thrust23THRUST_200600_302600_NS6detail15normal_iteratorINSA_10device_ptrIyEEEEPS6_SG_NS0_5tupleIJSF_S6_EEENSH_IJSG_SG_EEES6_PlJ5mod_3IyEEEE10hipError_tPvRmT3_T4_T5_T6_T7_T9_mT8_P12ihipStream_tbDpT10_ENKUlT_T0_E_clISt17integral_constantIbLb1EES15_IbLb0EEEEDaS11_S12_EUlS11_E_NS1_11comp_targetILNS1_3genE3ELNS1_11target_archE908ELNS1_3gpuE7ELNS1_3repE0EEENS1_30default_config_static_selectorELNS0_4arch9wavefront6targetE0EEEvT1_
	.globl	_ZN7rocprim17ROCPRIM_400000_NS6detail17trampoline_kernelINS0_14default_configENS1_25partition_config_selectorILNS1_17partition_subalgoE6EyNS0_10empty_typeEbEEZZNS1_14partition_implILS5_6ELb0ES3_mN6thrust23THRUST_200600_302600_NS6detail15normal_iteratorINSA_10device_ptrIyEEEEPS6_SG_NS0_5tupleIJSF_S6_EEENSH_IJSG_SG_EEES6_PlJ5mod_3IyEEEE10hipError_tPvRmT3_T4_T5_T6_T7_T9_mT8_P12ihipStream_tbDpT10_ENKUlT_T0_E_clISt17integral_constantIbLb1EES15_IbLb0EEEEDaS11_S12_EUlS11_E_NS1_11comp_targetILNS1_3genE3ELNS1_11target_archE908ELNS1_3gpuE7ELNS1_3repE0EEENS1_30default_config_static_selectorELNS0_4arch9wavefront6targetE0EEEvT1_
	.p2align	8
	.type	_ZN7rocprim17ROCPRIM_400000_NS6detail17trampoline_kernelINS0_14default_configENS1_25partition_config_selectorILNS1_17partition_subalgoE6EyNS0_10empty_typeEbEEZZNS1_14partition_implILS5_6ELb0ES3_mN6thrust23THRUST_200600_302600_NS6detail15normal_iteratorINSA_10device_ptrIyEEEEPS6_SG_NS0_5tupleIJSF_S6_EEENSH_IJSG_SG_EEES6_PlJ5mod_3IyEEEE10hipError_tPvRmT3_T4_T5_T6_T7_T9_mT8_P12ihipStream_tbDpT10_ENKUlT_T0_E_clISt17integral_constantIbLb1EES15_IbLb0EEEEDaS11_S12_EUlS11_E_NS1_11comp_targetILNS1_3genE3ELNS1_11target_archE908ELNS1_3gpuE7ELNS1_3repE0EEENS1_30default_config_static_selectorELNS0_4arch9wavefront6targetE0EEEvT1_,@function
_ZN7rocprim17ROCPRIM_400000_NS6detail17trampoline_kernelINS0_14default_configENS1_25partition_config_selectorILNS1_17partition_subalgoE6EyNS0_10empty_typeEbEEZZNS1_14partition_implILS5_6ELb0ES3_mN6thrust23THRUST_200600_302600_NS6detail15normal_iteratorINSA_10device_ptrIyEEEEPS6_SG_NS0_5tupleIJSF_S6_EEENSH_IJSG_SG_EEES6_PlJ5mod_3IyEEEE10hipError_tPvRmT3_T4_T5_T6_T7_T9_mT8_P12ihipStream_tbDpT10_ENKUlT_T0_E_clISt17integral_constantIbLb1EES15_IbLb0EEEEDaS11_S12_EUlS11_E_NS1_11comp_targetILNS1_3genE3ELNS1_11target_archE908ELNS1_3gpuE7ELNS1_3repE0EEENS1_30default_config_static_selectorELNS0_4arch9wavefront6targetE0EEEvT1_: ; @_ZN7rocprim17ROCPRIM_400000_NS6detail17trampoline_kernelINS0_14default_configENS1_25partition_config_selectorILNS1_17partition_subalgoE6EyNS0_10empty_typeEbEEZZNS1_14partition_implILS5_6ELb0ES3_mN6thrust23THRUST_200600_302600_NS6detail15normal_iteratorINSA_10device_ptrIyEEEEPS6_SG_NS0_5tupleIJSF_S6_EEENSH_IJSG_SG_EEES6_PlJ5mod_3IyEEEE10hipError_tPvRmT3_T4_T5_T6_T7_T9_mT8_P12ihipStream_tbDpT10_ENKUlT_T0_E_clISt17integral_constantIbLb1EES15_IbLb0EEEEDaS11_S12_EUlS11_E_NS1_11comp_targetILNS1_3genE3ELNS1_11target_archE908ELNS1_3gpuE7ELNS1_3repE0EEENS1_30default_config_static_selectorELNS0_4arch9wavefront6targetE0EEEvT1_
; %bb.0:
	.section	.rodata,"a",@progbits
	.p2align	6, 0x0
	.amdhsa_kernel _ZN7rocprim17ROCPRIM_400000_NS6detail17trampoline_kernelINS0_14default_configENS1_25partition_config_selectorILNS1_17partition_subalgoE6EyNS0_10empty_typeEbEEZZNS1_14partition_implILS5_6ELb0ES3_mN6thrust23THRUST_200600_302600_NS6detail15normal_iteratorINSA_10device_ptrIyEEEEPS6_SG_NS0_5tupleIJSF_S6_EEENSH_IJSG_SG_EEES6_PlJ5mod_3IyEEEE10hipError_tPvRmT3_T4_T5_T6_T7_T9_mT8_P12ihipStream_tbDpT10_ENKUlT_T0_E_clISt17integral_constantIbLb1EES15_IbLb0EEEEDaS11_S12_EUlS11_E_NS1_11comp_targetILNS1_3genE3ELNS1_11target_archE908ELNS1_3gpuE7ELNS1_3repE0EEENS1_30default_config_static_selectorELNS0_4arch9wavefront6targetE0EEEvT1_
		.amdhsa_group_segment_fixed_size 0
		.amdhsa_private_segment_fixed_size 0
		.amdhsa_kernarg_size 112
		.amdhsa_user_sgpr_count 15
		.amdhsa_user_sgpr_dispatch_ptr 0
		.amdhsa_user_sgpr_queue_ptr 0
		.amdhsa_user_sgpr_kernarg_segment_ptr 1
		.amdhsa_user_sgpr_dispatch_id 0
		.amdhsa_user_sgpr_private_segment_size 0
		.amdhsa_wavefront_size32 1
		.amdhsa_uses_dynamic_stack 0
		.amdhsa_enable_private_segment 0
		.amdhsa_system_sgpr_workgroup_id_x 1
		.amdhsa_system_sgpr_workgroup_id_y 0
		.amdhsa_system_sgpr_workgroup_id_z 0
		.amdhsa_system_sgpr_workgroup_info 0
		.amdhsa_system_vgpr_workitem_id 0
		.amdhsa_next_free_vgpr 1
		.amdhsa_next_free_sgpr 1
		.amdhsa_reserve_vcc 0
		.amdhsa_float_round_mode_32 0
		.amdhsa_float_round_mode_16_64 0
		.amdhsa_float_denorm_mode_32 3
		.amdhsa_float_denorm_mode_16_64 3
		.amdhsa_dx10_clamp 1
		.amdhsa_ieee_mode 1
		.amdhsa_fp16_overflow 0
		.amdhsa_workgroup_processor_mode 1
		.amdhsa_memory_ordered 1
		.amdhsa_forward_progress 0
		.amdhsa_shared_vgpr_count 0
		.amdhsa_exception_fp_ieee_invalid_op 0
		.amdhsa_exception_fp_denorm_src 0
		.amdhsa_exception_fp_ieee_div_zero 0
		.amdhsa_exception_fp_ieee_overflow 0
		.amdhsa_exception_fp_ieee_underflow 0
		.amdhsa_exception_fp_ieee_inexact 0
		.amdhsa_exception_int_div_zero 0
	.end_amdhsa_kernel
	.section	.text._ZN7rocprim17ROCPRIM_400000_NS6detail17trampoline_kernelINS0_14default_configENS1_25partition_config_selectorILNS1_17partition_subalgoE6EyNS0_10empty_typeEbEEZZNS1_14partition_implILS5_6ELb0ES3_mN6thrust23THRUST_200600_302600_NS6detail15normal_iteratorINSA_10device_ptrIyEEEEPS6_SG_NS0_5tupleIJSF_S6_EEENSH_IJSG_SG_EEES6_PlJ5mod_3IyEEEE10hipError_tPvRmT3_T4_T5_T6_T7_T9_mT8_P12ihipStream_tbDpT10_ENKUlT_T0_E_clISt17integral_constantIbLb1EES15_IbLb0EEEEDaS11_S12_EUlS11_E_NS1_11comp_targetILNS1_3genE3ELNS1_11target_archE908ELNS1_3gpuE7ELNS1_3repE0EEENS1_30default_config_static_selectorELNS0_4arch9wavefront6targetE0EEEvT1_,"axG",@progbits,_ZN7rocprim17ROCPRIM_400000_NS6detail17trampoline_kernelINS0_14default_configENS1_25partition_config_selectorILNS1_17partition_subalgoE6EyNS0_10empty_typeEbEEZZNS1_14partition_implILS5_6ELb0ES3_mN6thrust23THRUST_200600_302600_NS6detail15normal_iteratorINSA_10device_ptrIyEEEEPS6_SG_NS0_5tupleIJSF_S6_EEENSH_IJSG_SG_EEES6_PlJ5mod_3IyEEEE10hipError_tPvRmT3_T4_T5_T6_T7_T9_mT8_P12ihipStream_tbDpT10_ENKUlT_T0_E_clISt17integral_constantIbLb1EES15_IbLb0EEEEDaS11_S12_EUlS11_E_NS1_11comp_targetILNS1_3genE3ELNS1_11target_archE908ELNS1_3gpuE7ELNS1_3repE0EEENS1_30default_config_static_selectorELNS0_4arch9wavefront6targetE0EEEvT1_,comdat
.Lfunc_end475:
	.size	_ZN7rocprim17ROCPRIM_400000_NS6detail17trampoline_kernelINS0_14default_configENS1_25partition_config_selectorILNS1_17partition_subalgoE6EyNS0_10empty_typeEbEEZZNS1_14partition_implILS5_6ELb0ES3_mN6thrust23THRUST_200600_302600_NS6detail15normal_iteratorINSA_10device_ptrIyEEEEPS6_SG_NS0_5tupleIJSF_S6_EEENSH_IJSG_SG_EEES6_PlJ5mod_3IyEEEE10hipError_tPvRmT3_T4_T5_T6_T7_T9_mT8_P12ihipStream_tbDpT10_ENKUlT_T0_E_clISt17integral_constantIbLb1EES15_IbLb0EEEEDaS11_S12_EUlS11_E_NS1_11comp_targetILNS1_3genE3ELNS1_11target_archE908ELNS1_3gpuE7ELNS1_3repE0EEENS1_30default_config_static_selectorELNS0_4arch9wavefront6targetE0EEEvT1_, .Lfunc_end475-_ZN7rocprim17ROCPRIM_400000_NS6detail17trampoline_kernelINS0_14default_configENS1_25partition_config_selectorILNS1_17partition_subalgoE6EyNS0_10empty_typeEbEEZZNS1_14partition_implILS5_6ELb0ES3_mN6thrust23THRUST_200600_302600_NS6detail15normal_iteratorINSA_10device_ptrIyEEEEPS6_SG_NS0_5tupleIJSF_S6_EEENSH_IJSG_SG_EEES6_PlJ5mod_3IyEEEE10hipError_tPvRmT3_T4_T5_T6_T7_T9_mT8_P12ihipStream_tbDpT10_ENKUlT_T0_E_clISt17integral_constantIbLb1EES15_IbLb0EEEEDaS11_S12_EUlS11_E_NS1_11comp_targetILNS1_3genE3ELNS1_11target_archE908ELNS1_3gpuE7ELNS1_3repE0EEENS1_30default_config_static_selectorELNS0_4arch9wavefront6targetE0EEEvT1_
                                        ; -- End function
	.section	.AMDGPU.csdata,"",@progbits
; Kernel info:
; codeLenInByte = 0
; NumSgprs: 0
; NumVgprs: 0
; ScratchSize: 0
; MemoryBound: 0
; FloatMode: 240
; IeeeMode: 1
; LDSByteSize: 0 bytes/workgroup (compile time only)
; SGPRBlocks: 0
; VGPRBlocks: 0
; NumSGPRsForWavesPerEU: 1
; NumVGPRsForWavesPerEU: 1
; Occupancy: 16
; WaveLimiterHint : 0
; COMPUTE_PGM_RSRC2:SCRATCH_EN: 0
; COMPUTE_PGM_RSRC2:USER_SGPR: 15
; COMPUTE_PGM_RSRC2:TRAP_HANDLER: 0
; COMPUTE_PGM_RSRC2:TGID_X_EN: 1
; COMPUTE_PGM_RSRC2:TGID_Y_EN: 0
; COMPUTE_PGM_RSRC2:TGID_Z_EN: 0
; COMPUTE_PGM_RSRC2:TIDIG_COMP_CNT: 0
	.section	.text._ZN7rocprim17ROCPRIM_400000_NS6detail17trampoline_kernelINS0_14default_configENS1_25partition_config_selectorILNS1_17partition_subalgoE6EyNS0_10empty_typeEbEEZZNS1_14partition_implILS5_6ELb0ES3_mN6thrust23THRUST_200600_302600_NS6detail15normal_iteratorINSA_10device_ptrIyEEEEPS6_SG_NS0_5tupleIJSF_S6_EEENSH_IJSG_SG_EEES6_PlJ5mod_3IyEEEE10hipError_tPvRmT3_T4_T5_T6_T7_T9_mT8_P12ihipStream_tbDpT10_ENKUlT_T0_E_clISt17integral_constantIbLb1EES15_IbLb0EEEEDaS11_S12_EUlS11_E_NS1_11comp_targetILNS1_3genE2ELNS1_11target_archE906ELNS1_3gpuE6ELNS1_3repE0EEENS1_30default_config_static_selectorELNS0_4arch9wavefront6targetE0EEEvT1_,"axG",@progbits,_ZN7rocprim17ROCPRIM_400000_NS6detail17trampoline_kernelINS0_14default_configENS1_25partition_config_selectorILNS1_17partition_subalgoE6EyNS0_10empty_typeEbEEZZNS1_14partition_implILS5_6ELb0ES3_mN6thrust23THRUST_200600_302600_NS6detail15normal_iteratorINSA_10device_ptrIyEEEEPS6_SG_NS0_5tupleIJSF_S6_EEENSH_IJSG_SG_EEES6_PlJ5mod_3IyEEEE10hipError_tPvRmT3_T4_T5_T6_T7_T9_mT8_P12ihipStream_tbDpT10_ENKUlT_T0_E_clISt17integral_constantIbLb1EES15_IbLb0EEEEDaS11_S12_EUlS11_E_NS1_11comp_targetILNS1_3genE2ELNS1_11target_archE906ELNS1_3gpuE6ELNS1_3repE0EEENS1_30default_config_static_selectorELNS0_4arch9wavefront6targetE0EEEvT1_,comdat
	.protected	_ZN7rocprim17ROCPRIM_400000_NS6detail17trampoline_kernelINS0_14default_configENS1_25partition_config_selectorILNS1_17partition_subalgoE6EyNS0_10empty_typeEbEEZZNS1_14partition_implILS5_6ELb0ES3_mN6thrust23THRUST_200600_302600_NS6detail15normal_iteratorINSA_10device_ptrIyEEEEPS6_SG_NS0_5tupleIJSF_S6_EEENSH_IJSG_SG_EEES6_PlJ5mod_3IyEEEE10hipError_tPvRmT3_T4_T5_T6_T7_T9_mT8_P12ihipStream_tbDpT10_ENKUlT_T0_E_clISt17integral_constantIbLb1EES15_IbLb0EEEEDaS11_S12_EUlS11_E_NS1_11comp_targetILNS1_3genE2ELNS1_11target_archE906ELNS1_3gpuE6ELNS1_3repE0EEENS1_30default_config_static_selectorELNS0_4arch9wavefront6targetE0EEEvT1_ ; -- Begin function _ZN7rocprim17ROCPRIM_400000_NS6detail17trampoline_kernelINS0_14default_configENS1_25partition_config_selectorILNS1_17partition_subalgoE6EyNS0_10empty_typeEbEEZZNS1_14partition_implILS5_6ELb0ES3_mN6thrust23THRUST_200600_302600_NS6detail15normal_iteratorINSA_10device_ptrIyEEEEPS6_SG_NS0_5tupleIJSF_S6_EEENSH_IJSG_SG_EEES6_PlJ5mod_3IyEEEE10hipError_tPvRmT3_T4_T5_T6_T7_T9_mT8_P12ihipStream_tbDpT10_ENKUlT_T0_E_clISt17integral_constantIbLb1EES15_IbLb0EEEEDaS11_S12_EUlS11_E_NS1_11comp_targetILNS1_3genE2ELNS1_11target_archE906ELNS1_3gpuE6ELNS1_3repE0EEENS1_30default_config_static_selectorELNS0_4arch9wavefront6targetE0EEEvT1_
	.globl	_ZN7rocprim17ROCPRIM_400000_NS6detail17trampoline_kernelINS0_14default_configENS1_25partition_config_selectorILNS1_17partition_subalgoE6EyNS0_10empty_typeEbEEZZNS1_14partition_implILS5_6ELb0ES3_mN6thrust23THRUST_200600_302600_NS6detail15normal_iteratorINSA_10device_ptrIyEEEEPS6_SG_NS0_5tupleIJSF_S6_EEENSH_IJSG_SG_EEES6_PlJ5mod_3IyEEEE10hipError_tPvRmT3_T4_T5_T6_T7_T9_mT8_P12ihipStream_tbDpT10_ENKUlT_T0_E_clISt17integral_constantIbLb1EES15_IbLb0EEEEDaS11_S12_EUlS11_E_NS1_11comp_targetILNS1_3genE2ELNS1_11target_archE906ELNS1_3gpuE6ELNS1_3repE0EEENS1_30default_config_static_selectorELNS0_4arch9wavefront6targetE0EEEvT1_
	.p2align	8
	.type	_ZN7rocprim17ROCPRIM_400000_NS6detail17trampoline_kernelINS0_14default_configENS1_25partition_config_selectorILNS1_17partition_subalgoE6EyNS0_10empty_typeEbEEZZNS1_14partition_implILS5_6ELb0ES3_mN6thrust23THRUST_200600_302600_NS6detail15normal_iteratorINSA_10device_ptrIyEEEEPS6_SG_NS0_5tupleIJSF_S6_EEENSH_IJSG_SG_EEES6_PlJ5mod_3IyEEEE10hipError_tPvRmT3_T4_T5_T6_T7_T9_mT8_P12ihipStream_tbDpT10_ENKUlT_T0_E_clISt17integral_constantIbLb1EES15_IbLb0EEEEDaS11_S12_EUlS11_E_NS1_11comp_targetILNS1_3genE2ELNS1_11target_archE906ELNS1_3gpuE6ELNS1_3repE0EEENS1_30default_config_static_selectorELNS0_4arch9wavefront6targetE0EEEvT1_,@function
_ZN7rocprim17ROCPRIM_400000_NS6detail17trampoline_kernelINS0_14default_configENS1_25partition_config_selectorILNS1_17partition_subalgoE6EyNS0_10empty_typeEbEEZZNS1_14partition_implILS5_6ELb0ES3_mN6thrust23THRUST_200600_302600_NS6detail15normal_iteratorINSA_10device_ptrIyEEEEPS6_SG_NS0_5tupleIJSF_S6_EEENSH_IJSG_SG_EEES6_PlJ5mod_3IyEEEE10hipError_tPvRmT3_T4_T5_T6_T7_T9_mT8_P12ihipStream_tbDpT10_ENKUlT_T0_E_clISt17integral_constantIbLb1EES15_IbLb0EEEEDaS11_S12_EUlS11_E_NS1_11comp_targetILNS1_3genE2ELNS1_11target_archE906ELNS1_3gpuE6ELNS1_3repE0EEENS1_30default_config_static_selectorELNS0_4arch9wavefront6targetE0EEEvT1_: ; @_ZN7rocprim17ROCPRIM_400000_NS6detail17trampoline_kernelINS0_14default_configENS1_25partition_config_selectorILNS1_17partition_subalgoE6EyNS0_10empty_typeEbEEZZNS1_14partition_implILS5_6ELb0ES3_mN6thrust23THRUST_200600_302600_NS6detail15normal_iteratorINSA_10device_ptrIyEEEEPS6_SG_NS0_5tupleIJSF_S6_EEENSH_IJSG_SG_EEES6_PlJ5mod_3IyEEEE10hipError_tPvRmT3_T4_T5_T6_T7_T9_mT8_P12ihipStream_tbDpT10_ENKUlT_T0_E_clISt17integral_constantIbLb1EES15_IbLb0EEEEDaS11_S12_EUlS11_E_NS1_11comp_targetILNS1_3genE2ELNS1_11target_archE906ELNS1_3gpuE6ELNS1_3repE0EEENS1_30default_config_static_selectorELNS0_4arch9wavefront6targetE0EEEvT1_
; %bb.0:
	.section	.rodata,"a",@progbits
	.p2align	6, 0x0
	.amdhsa_kernel _ZN7rocprim17ROCPRIM_400000_NS6detail17trampoline_kernelINS0_14default_configENS1_25partition_config_selectorILNS1_17partition_subalgoE6EyNS0_10empty_typeEbEEZZNS1_14partition_implILS5_6ELb0ES3_mN6thrust23THRUST_200600_302600_NS6detail15normal_iteratorINSA_10device_ptrIyEEEEPS6_SG_NS0_5tupleIJSF_S6_EEENSH_IJSG_SG_EEES6_PlJ5mod_3IyEEEE10hipError_tPvRmT3_T4_T5_T6_T7_T9_mT8_P12ihipStream_tbDpT10_ENKUlT_T0_E_clISt17integral_constantIbLb1EES15_IbLb0EEEEDaS11_S12_EUlS11_E_NS1_11comp_targetILNS1_3genE2ELNS1_11target_archE906ELNS1_3gpuE6ELNS1_3repE0EEENS1_30default_config_static_selectorELNS0_4arch9wavefront6targetE0EEEvT1_
		.amdhsa_group_segment_fixed_size 0
		.amdhsa_private_segment_fixed_size 0
		.amdhsa_kernarg_size 112
		.amdhsa_user_sgpr_count 15
		.amdhsa_user_sgpr_dispatch_ptr 0
		.amdhsa_user_sgpr_queue_ptr 0
		.amdhsa_user_sgpr_kernarg_segment_ptr 1
		.amdhsa_user_sgpr_dispatch_id 0
		.amdhsa_user_sgpr_private_segment_size 0
		.amdhsa_wavefront_size32 1
		.amdhsa_uses_dynamic_stack 0
		.amdhsa_enable_private_segment 0
		.amdhsa_system_sgpr_workgroup_id_x 1
		.amdhsa_system_sgpr_workgroup_id_y 0
		.amdhsa_system_sgpr_workgroup_id_z 0
		.amdhsa_system_sgpr_workgroup_info 0
		.amdhsa_system_vgpr_workitem_id 0
		.amdhsa_next_free_vgpr 1
		.amdhsa_next_free_sgpr 1
		.amdhsa_reserve_vcc 0
		.amdhsa_float_round_mode_32 0
		.amdhsa_float_round_mode_16_64 0
		.amdhsa_float_denorm_mode_32 3
		.amdhsa_float_denorm_mode_16_64 3
		.amdhsa_dx10_clamp 1
		.amdhsa_ieee_mode 1
		.amdhsa_fp16_overflow 0
		.amdhsa_workgroup_processor_mode 1
		.amdhsa_memory_ordered 1
		.amdhsa_forward_progress 0
		.amdhsa_shared_vgpr_count 0
		.amdhsa_exception_fp_ieee_invalid_op 0
		.amdhsa_exception_fp_denorm_src 0
		.amdhsa_exception_fp_ieee_div_zero 0
		.amdhsa_exception_fp_ieee_overflow 0
		.amdhsa_exception_fp_ieee_underflow 0
		.amdhsa_exception_fp_ieee_inexact 0
		.amdhsa_exception_int_div_zero 0
	.end_amdhsa_kernel
	.section	.text._ZN7rocprim17ROCPRIM_400000_NS6detail17trampoline_kernelINS0_14default_configENS1_25partition_config_selectorILNS1_17partition_subalgoE6EyNS0_10empty_typeEbEEZZNS1_14partition_implILS5_6ELb0ES3_mN6thrust23THRUST_200600_302600_NS6detail15normal_iteratorINSA_10device_ptrIyEEEEPS6_SG_NS0_5tupleIJSF_S6_EEENSH_IJSG_SG_EEES6_PlJ5mod_3IyEEEE10hipError_tPvRmT3_T4_T5_T6_T7_T9_mT8_P12ihipStream_tbDpT10_ENKUlT_T0_E_clISt17integral_constantIbLb1EES15_IbLb0EEEEDaS11_S12_EUlS11_E_NS1_11comp_targetILNS1_3genE2ELNS1_11target_archE906ELNS1_3gpuE6ELNS1_3repE0EEENS1_30default_config_static_selectorELNS0_4arch9wavefront6targetE0EEEvT1_,"axG",@progbits,_ZN7rocprim17ROCPRIM_400000_NS6detail17trampoline_kernelINS0_14default_configENS1_25partition_config_selectorILNS1_17partition_subalgoE6EyNS0_10empty_typeEbEEZZNS1_14partition_implILS5_6ELb0ES3_mN6thrust23THRUST_200600_302600_NS6detail15normal_iteratorINSA_10device_ptrIyEEEEPS6_SG_NS0_5tupleIJSF_S6_EEENSH_IJSG_SG_EEES6_PlJ5mod_3IyEEEE10hipError_tPvRmT3_T4_T5_T6_T7_T9_mT8_P12ihipStream_tbDpT10_ENKUlT_T0_E_clISt17integral_constantIbLb1EES15_IbLb0EEEEDaS11_S12_EUlS11_E_NS1_11comp_targetILNS1_3genE2ELNS1_11target_archE906ELNS1_3gpuE6ELNS1_3repE0EEENS1_30default_config_static_selectorELNS0_4arch9wavefront6targetE0EEEvT1_,comdat
.Lfunc_end476:
	.size	_ZN7rocprim17ROCPRIM_400000_NS6detail17trampoline_kernelINS0_14default_configENS1_25partition_config_selectorILNS1_17partition_subalgoE6EyNS0_10empty_typeEbEEZZNS1_14partition_implILS5_6ELb0ES3_mN6thrust23THRUST_200600_302600_NS6detail15normal_iteratorINSA_10device_ptrIyEEEEPS6_SG_NS0_5tupleIJSF_S6_EEENSH_IJSG_SG_EEES6_PlJ5mod_3IyEEEE10hipError_tPvRmT3_T4_T5_T6_T7_T9_mT8_P12ihipStream_tbDpT10_ENKUlT_T0_E_clISt17integral_constantIbLb1EES15_IbLb0EEEEDaS11_S12_EUlS11_E_NS1_11comp_targetILNS1_3genE2ELNS1_11target_archE906ELNS1_3gpuE6ELNS1_3repE0EEENS1_30default_config_static_selectorELNS0_4arch9wavefront6targetE0EEEvT1_, .Lfunc_end476-_ZN7rocprim17ROCPRIM_400000_NS6detail17trampoline_kernelINS0_14default_configENS1_25partition_config_selectorILNS1_17partition_subalgoE6EyNS0_10empty_typeEbEEZZNS1_14partition_implILS5_6ELb0ES3_mN6thrust23THRUST_200600_302600_NS6detail15normal_iteratorINSA_10device_ptrIyEEEEPS6_SG_NS0_5tupleIJSF_S6_EEENSH_IJSG_SG_EEES6_PlJ5mod_3IyEEEE10hipError_tPvRmT3_T4_T5_T6_T7_T9_mT8_P12ihipStream_tbDpT10_ENKUlT_T0_E_clISt17integral_constantIbLb1EES15_IbLb0EEEEDaS11_S12_EUlS11_E_NS1_11comp_targetILNS1_3genE2ELNS1_11target_archE906ELNS1_3gpuE6ELNS1_3repE0EEENS1_30default_config_static_selectorELNS0_4arch9wavefront6targetE0EEEvT1_
                                        ; -- End function
	.section	.AMDGPU.csdata,"",@progbits
; Kernel info:
; codeLenInByte = 0
; NumSgprs: 0
; NumVgprs: 0
; ScratchSize: 0
; MemoryBound: 0
; FloatMode: 240
; IeeeMode: 1
; LDSByteSize: 0 bytes/workgroup (compile time only)
; SGPRBlocks: 0
; VGPRBlocks: 0
; NumSGPRsForWavesPerEU: 1
; NumVGPRsForWavesPerEU: 1
; Occupancy: 16
; WaveLimiterHint : 0
; COMPUTE_PGM_RSRC2:SCRATCH_EN: 0
; COMPUTE_PGM_RSRC2:USER_SGPR: 15
; COMPUTE_PGM_RSRC2:TRAP_HANDLER: 0
; COMPUTE_PGM_RSRC2:TGID_X_EN: 1
; COMPUTE_PGM_RSRC2:TGID_Y_EN: 0
; COMPUTE_PGM_RSRC2:TGID_Z_EN: 0
; COMPUTE_PGM_RSRC2:TIDIG_COMP_CNT: 0
	.section	.text._ZN7rocprim17ROCPRIM_400000_NS6detail17trampoline_kernelINS0_14default_configENS1_25partition_config_selectorILNS1_17partition_subalgoE6EyNS0_10empty_typeEbEEZZNS1_14partition_implILS5_6ELb0ES3_mN6thrust23THRUST_200600_302600_NS6detail15normal_iteratorINSA_10device_ptrIyEEEEPS6_SG_NS0_5tupleIJSF_S6_EEENSH_IJSG_SG_EEES6_PlJ5mod_3IyEEEE10hipError_tPvRmT3_T4_T5_T6_T7_T9_mT8_P12ihipStream_tbDpT10_ENKUlT_T0_E_clISt17integral_constantIbLb1EES15_IbLb0EEEEDaS11_S12_EUlS11_E_NS1_11comp_targetILNS1_3genE10ELNS1_11target_archE1200ELNS1_3gpuE4ELNS1_3repE0EEENS1_30default_config_static_selectorELNS0_4arch9wavefront6targetE0EEEvT1_,"axG",@progbits,_ZN7rocprim17ROCPRIM_400000_NS6detail17trampoline_kernelINS0_14default_configENS1_25partition_config_selectorILNS1_17partition_subalgoE6EyNS0_10empty_typeEbEEZZNS1_14partition_implILS5_6ELb0ES3_mN6thrust23THRUST_200600_302600_NS6detail15normal_iteratorINSA_10device_ptrIyEEEEPS6_SG_NS0_5tupleIJSF_S6_EEENSH_IJSG_SG_EEES6_PlJ5mod_3IyEEEE10hipError_tPvRmT3_T4_T5_T6_T7_T9_mT8_P12ihipStream_tbDpT10_ENKUlT_T0_E_clISt17integral_constantIbLb1EES15_IbLb0EEEEDaS11_S12_EUlS11_E_NS1_11comp_targetILNS1_3genE10ELNS1_11target_archE1200ELNS1_3gpuE4ELNS1_3repE0EEENS1_30default_config_static_selectorELNS0_4arch9wavefront6targetE0EEEvT1_,comdat
	.protected	_ZN7rocprim17ROCPRIM_400000_NS6detail17trampoline_kernelINS0_14default_configENS1_25partition_config_selectorILNS1_17partition_subalgoE6EyNS0_10empty_typeEbEEZZNS1_14partition_implILS5_6ELb0ES3_mN6thrust23THRUST_200600_302600_NS6detail15normal_iteratorINSA_10device_ptrIyEEEEPS6_SG_NS0_5tupleIJSF_S6_EEENSH_IJSG_SG_EEES6_PlJ5mod_3IyEEEE10hipError_tPvRmT3_T4_T5_T6_T7_T9_mT8_P12ihipStream_tbDpT10_ENKUlT_T0_E_clISt17integral_constantIbLb1EES15_IbLb0EEEEDaS11_S12_EUlS11_E_NS1_11comp_targetILNS1_3genE10ELNS1_11target_archE1200ELNS1_3gpuE4ELNS1_3repE0EEENS1_30default_config_static_selectorELNS0_4arch9wavefront6targetE0EEEvT1_ ; -- Begin function _ZN7rocprim17ROCPRIM_400000_NS6detail17trampoline_kernelINS0_14default_configENS1_25partition_config_selectorILNS1_17partition_subalgoE6EyNS0_10empty_typeEbEEZZNS1_14partition_implILS5_6ELb0ES3_mN6thrust23THRUST_200600_302600_NS6detail15normal_iteratorINSA_10device_ptrIyEEEEPS6_SG_NS0_5tupleIJSF_S6_EEENSH_IJSG_SG_EEES6_PlJ5mod_3IyEEEE10hipError_tPvRmT3_T4_T5_T6_T7_T9_mT8_P12ihipStream_tbDpT10_ENKUlT_T0_E_clISt17integral_constantIbLb1EES15_IbLb0EEEEDaS11_S12_EUlS11_E_NS1_11comp_targetILNS1_3genE10ELNS1_11target_archE1200ELNS1_3gpuE4ELNS1_3repE0EEENS1_30default_config_static_selectorELNS0_4arch9wavefront6targetE0EEEvT1_
	.globl	_ZN7rocprim17ROCPRIM_400000_NS6detail17trampoline_kernelINS0_14default_configENS1_25partition_config_selectorILNS1_17partition_subalgoE6EyNS0_10empty_typeEbEEZZNS1_14partition_implILS5_6ELb0ES3_mN6thrust23THRUST_200600_302600_NS6detail15normal_iteratorINSA_10device_ptrIyEEEEPS6_SG_NS0_5tupleIJSF_S6_EEENSH_IJSG_SG_EEES6_PlJ5mod_3IyEEEE10hipError_tPvRmT3_T4_T5_T6_T7_T9_mT8_P12ihipStream_tbDpT10_ENKUlT_T0_E_clISt17integral_constantIbLb1EES15_IbLb0EEEEDaS11_S12_EUlS11_E_NS1_11comp_targetILNS1_3genE10ELNS1_11target_archE1200ELNS1_3gpuE4ELNS1_3repE0EEENS1_30default_config_static_selectorELNS0_4arch9wavefront6targetE0EEEvT1_
	.p2align	8
	.type	_ZN7rocprim17ROCPRIM_400000_NS6detail17trampoline_kernelINS0_14default_configENS1_25partition_config_selectorILNS1_17partition_subalgoE6EyNS0_10empty_typeEbEEZZNS1_14partition_implILS5_6ELb0ES3_mN6thrust23THRUST_200600_302600_NS6detail15normal_iteratorINSA_10device_ptrIyEEEEPS6_SG_NS0_5tupleIJSF_S6_EEENSH_IJSG_SG_EEES6_PlJ5mod_3IyEEEE10hipError_tPvRmT3_T4_T5_T6_T7_T9_mT8_P12ihipStream_tbDpT10_ENKUlT_T0_E_clISt17integral_constantIbLb1EES15_IbLb0EEEEDaS11_S12_EUlS11_E_NS1_11comp_targetILNS1_3genE10ELNS1_11target_archE1200ELNS1_3gpuE4ELNS1_3repE0EEENS1_30default_config_static_selectorELNS0_4arch9wavefront6targetE0EEEvT1_,@function
_ZN7rocprim17ROCPRIM_400000_NS6detail17trampoline_kernelINS0_14default_configENS1_25partition_config_selectorILNS1_17partition_subalgoE6EyNS0_10empty_typeEbEEZZNS1_14partition_implILS5_6ELb0ES3_mN6thrust23THRUST_200600_302600_NS6detail15normal_iteratorINSA_10device_ptrIyEEEEPS6_SG_NS0_5tupleIJSF_S6_EEENSH_IJSG_SG_EEES6_PlJ5mod_3IyEEEE10hipError_tPvRmT3_T4_T5_T6_T7_T9_mT8_P12ihipStream_tbDpT10_ENKUlT_T0_E_clISt17integral_constantIbLb1EES15_IbLb0EEEEDaS11_S12_EUlS11_E_NS1_11comp_targetILNS1_3genE10ELNS1_11target_archE1200ELNS1_3gpuE4ELNS1_3repE0EEENS1_30default_config_static_selectorELNS0_4arch9wavefront6targetE0EEEvT1_: ; @_ZN7rocprim17ROCPRIM_400000_NS6detail17trampoline_kernelINS0_14default_configENS1_25partition_config_selectorILNS1_17partition_subalgoE6EyNS0_10empty_typeEbEEZZNS1_14partition_implILS5_6ELb0ES3_mN6thrust23THRUST_200600_302600_NS6detail15normal_iteratorINSA_10device_ptrIyEEEEPS6_SG_NS0_5tupleIJSF_S6_EEENSH_IJSG_SG_EEES6_PlJ5mod_3IyEEEE10hipError_tPvRmT3_T4_T5_T6_T7_T9_mT8_P12ihipStream_tbDpT10_ENKUlT_T0_E_clISt17integral_constantIbLb1EES15_IbLb0EEEEDaS11_S12_EUlS11_E_NS1_11comp_targetILNS1_3genE10ELNS1_11target_archE1200ELNS1_3gpuE4ELNS1_3repE0EEENS1_30default_config_static_selectorELNS0_4arch9wavefront6targetE0EEEvT1_
; %bb.0:
	.section	.rodata,"a",@progbits
	.p2align	6, 0x0
	.amdhsa_kernel _ZN7rocprim17ROCPRIM_400000_NS6detail17trampoline_kernelINS0_14default_configENS1_25partition_config_selectorILNS1_17partition_subalgoE6EyNS0_10empty_typeEbEEZZNS1_14partition_implILS5_6ELb0ES3_mN6thrust23THRUST_200600_302600_NS6detail15normal_iteratorINSA_10device_ptrIyEEEEPS6_SG_NS0_5tupleIJSF_S6_EEENSH_IJSG_SG_EEES6_PlJ5mod_3IyEEEE10hipError_tPvRmT3_T4_T5_T6_T7_T9_mT8_P12ihipStream_tbDpT10_ENKUlT_T0_E_clISt17integral_constantIbLb1EES15_IbLb0EEEEDaS11_S12_EUlS11_E_NS1_11comp_targetILNS1_3genE10ELNS1_11target_archE1200ELNS1_3gpuE4ELNS1_3repE0EEENS1_30default_config_static_selectorELNS0_4arch9wavefront6targetE0EEEvT1_
		.amdhsa_group_segment_fixed_size 0
		.amdhsa_private_segment_fixed_size 0
		.amdhsa_kernarg_size 112
		.amdhsa_user_sgpr_count 15
		.amdhsa_user_sgpr_dispatch_ptr 0
		.amdhsa_user_sgpr_queue_ptr 0
		.amdhsa_user_sgpr_kernarg_segment_ptr 1
		.amdhsa_user_sgpr_dispatch_id 0
		.amdhsa_user_sgpr_private_segment_size 0
		.amdhsa_wavefront_size32 1
		.amdhsa_uses_dynamic_stack 0
		.amdhsa_enable_private_segment 0
		.amdhsa_system_sgpr_workgroup_id_x 1
		.amdhsa_system_sgpr_workgroup_id_y 0
		.amdhsa_system_sgpr_workgroup_id_z 0
		.amdhsa_system_sgpr_workgroup_info 0
		.amdhsa_system_vgpr_workitem_id 0
		.amdhsa_next_free_vgpr 1
		.amdhsa_next_free_sgpr 1
		.amdhsa_reserve_vcc 0
		.amdhsa_float_round_mode_32 0
		.amdhsa_float_round_mode_16_64 0
		.amdhsa_float_denorm_mode_32 3
		.amdhsa_float_denorm_mode_16_64 3
		.amdhsa_dx10_clamp 1
		.amdhsa_ieee_mode 1
		.amdhsa_fp16_overflow 0
		.amdhsa_workgroup_processor_mode 1
		.amdhsa_memory_ordered 1
		.amdhsa_forward_progress 0
		.amdhsa_shared_vgpr_count 0
		.amdhsa_exception_fp_ieee_invalid_op 0
		.amdhsa_exception_fp_denorm_src 0
		.amdhsa_exception_fp_ieee_div_zero 0
		.amdhsa_exception_fp_ieee_overflow 0
		.amdhsa_exception_fp_ieee_underflow 0
		.amdhsa_exception_fp_ieee_inexact 0
		.amdhsa_exception_int_div_zero 0
	.end_amdhsa_kernel
	.section	.text._ZN7rocprim17ROCPRIM_400000_NS6detail17trampoline_kernelINS0_14default_configENS1_25partition_config_selectorILNS1_17partition_subalgoE6EyNS0_10empty_typeEbEEZZNS1_14partition_implILS5_6ELb0ES3_mN6thrust23THRUST_200600_302600_NS6detail15normal_iteratorINSA_10device_ptrIyEEEEPS6_SG_NS0_5tupleIJSF_S6_EEENSH_IJSG_SG_EEES6_PlJ5mod_3IyEEEE10hipError_tPvRmT3_T4_T5_T6_T7_T9_mT8_P12ihipStream_tbDpT10_ENKUlT_T0_E_clISt17integral_constantIbLb1EES15_IbLb0EEEEDaS11_S12_EUlS11_E_NS1_11comp_targetILNS1_3genE10ELNS1_11target_archE1200ELNS1_3gpuE4ELNS1_3repE0EEENS1_30default_config_static_selectorELNS0_4arch9wavefront6targetE0EEEvT1_,"axG",@progbits,_ZN7rocprim17ROCPRIM_400000_NS6detail17trampoline_kernelINS0_14default_configENS1_25partition_config_selectorILNS1_17partition_subalgoE6EyNS0_10empty_typeEbEEZZNS1_14partition_implILS5_6ELb0ES3_mN6thrust23THRUST_200600_302600_NS6detail15normal_iteratorINSA_10device_ptrIyEEEEPS6_SG_NS0_5tupleIJSF_S6_EEENSH_IJSG_SG_EEES6_PlJ5mod_3IyEEEE10hipError_tPvRmT3_T4_T5_T6_T7_T9_mT8_P12ihipStream_tbDpT10_ENKUlT_T0_E_clISt17integral_constantIbLb1EES15_IbLb0EEEEDaS11_S12_EUlS11_E_NS1_11comp_targetILNS1_3genE10ELNS1_11target_archE1200ELNS1_3gpuE4ELNS1_3repE0EEENS1_30default_config_static_selectorELNS0_4arch9wavefront6targetE0EEEvT1_,comdat
.Lfunc_end477:
	.size	_ZN7rocprim17ROCPRIM_400000_NS6detail17trampoline_kernelINS0_14default_configENS1_25partition_config_selectorILNS1_17partition_subalgoE6EyNS0_10empty_typeEbEEZZNS1_14partition_implILS5_6ELb0ES3_mN6thrust23THRUST_200600_302600_NS6detail15normal_iteratorINSA_10device_ptrIyEEEEPS6_SG_NS0_5tupleIJSF_S6_EEENSH_IJSG_SG_EEES6_PlJ5mod_3IyEEEE10hipError_tPvRmT3_T4_T5_T6_T7_T9_mT8_P12ihipStream_tbDpT10_ENKUlT_T0_E_clISt17integral_constantIbLb1EES15_IbLb0EEEEDaS11_S12_EUlS11_E_NS1_11comp_targetILNS1_3genE10ELNS1_11target_archE1200ELNS1_3gpuE4ELNS1_3repE0EEENS1_30default_config_static_selectorELNS0_4arch9wavefront6targetE0EEEvT1_, .Lfunc_end477-_ZN7rocprim17ROCPRIM_400000_NS6detail17trampoline_kernelINS0_14default_configENS1_25partition_config_selectorILNS1_17partition_subalgoE6EyNS0_10empty_typeEbEEZZNS1_14partition_implILS5_6ELb0ES3_mN6thrust23THRUST_200600_302600_NS6detail15normal_iteratorINSA_10device_ptrIyEEEEPS6_SG_NS0_5tupleIJSF_S6_EEENSH_IJSG_SG_EEES6_PlJ5mod_3IyEEEE10hipError_tPvRmT3_T4_T5_T6_T7_T9_mT8_P12ihipStream_tbDpT10_ENKUlT_T0_E_clISt17integral_constantIbLb1EES15_IbLb0EEEEDaS11_S12_EUlS11_E_NS1_11comp_targetILNS1_3genE10ELNS1_11target_archE1200ELNS1_3gpuE4ELNS1_3repE0EEENS1_30default_config_static_selectorELNS0_4arch9wavefront6targetE0EEEvT1_
                                        ; -- End function
	.section	.AMDGPU.csdata,"",@progbits
; Kernel info:
; codeLenInByte = 0
; NumSgprs: 0
; NumVgprs: 0
; ScratchSize: 0
; MemoryBound: 0
; FloatMode: 240
; IeeeMode: 1
; LDSByteSize: 0 bytes/workgroup (compile time only)
; SGPRBlocks: 0
; VGPRBlocks: 0
; NumSGPRsForWavesPerEU: 1
; NumVGPRsForWavesPerEU: 1
; Occupancy: 16
; WaveLimiterHint : 0
; COMPUTE_PGM_RSRC2:SCRATCH_EN: 0
; COMPUTE_PGM_RSRC2:USER_SGPR: 15
; COMPUTE_PGM_RSRC2:TRAP_HANDLER: 0
; COMPUTE_PGM_RSRC2:TGID_X_EN: 1
; COMPUTE_PGM_RSRC2:TGID_Y_EN: 0
; COMPUTE_PGM_RSRC2:TGID_Z_EN: 0
; COMPUTE_PGM_RSRC2:TIDIG_COMP_CNT: 0
	.section	.text._ZN7rocprim17ROCPRIM_400000_NS6detail17trampoline_kernelINS0_14default_configENS1_25partition_config_selectorILNS1_17partition_subalgoE6EyNS0_10empty_typeEbEEZZNS1_14partition_implILS5_6ELb0ES3_mN6thrust23THRUST_200600_302600_NS6detail15normal_iteratorINSA_10device_ptrIyEEEEPS6_SG_NS0_5tupleIJSF_S6_EEENSH_IJSG_SG_EEES6_PlJ5mod_3IyEEEE10hipError_tPvRmT3_T4_T5_T6_T7_T9_mT8_P12ihipStream_tbDpT10_ENKUlT_T0_E_clISt17integral_constantIbLb1EES15_IbLb0EEEEDaS11_S12_EUlS11_E_NS1_11comp_targetILNS1_3genE9ELNS1_11target_archE1100ELNS1_3gpuE3ELNS1_3repE0EEENS1_30default_config_static_selectorELNS0_4arch9wavefront6targetE0EEEvT1_,"axG",@progbits,_ZN7rocprim17ROCPRIM_400000_NS6detail17trampoline_kernelINS0_14default_configENS1_25partition_config_selectorILNS1_17partition_subalgoE6EyNS0_10empty_typeEbEEZZNS1_14partition_implILS5_6ELb0ES3_mN6thrust23THRUST_200600_302600_NS6detail15normal_iteratorINSA_10device_ptrIyEEEEPS6_SG_NS0_5tupleIJSF_S6_EEENSH_IJSG_SG_EEES6_PlJ5mod_3IyEEEE10hipError_tPvRmT3_T4_T5_T6_T7_T9_mT8_P12ihipStream_tbDpT10_ENKUlT_T0_E_clISt17integral_constantIbLb1EES15_IbLb0EEEEDaS11_S12_EUlS11_E_NS1_11comp_targetILNS1_3genE9ELNS1_11target_archE1100ELNS1_3gpuE3ELNS1_3repE0EEENS1_30default_config_static_selectorELNS0_4arch9wavefront6targetE0EEEvT1_,comdat
	.protected	_ZN7rocprim17ROCPRIM_400000_NS6detail17trampoline_kernelINS0_14default_configENS1_25partition_config_selectorILNS1_17partition_subalgoE6EyNS0_10empty_typeEbEEZZNS1_14partition_implILS5_6ELb0ES3_mN6thrust23THRUST_200600_302600_NS6detail15normal_iteratorINSA_10device_ptrIyEEEEPS6_SG_NS0_5tupleIJSF_S6_EEENSH_IJSG_SG_EEES6_PlJ5mod_3IyEEEE10hipError_tPvRmT3_T4_T5_T6_T7_T9_mT8_P12ihipStream_tbDpT10_ENKUlT_T0_E_clISt17integral_constantIbLb1EES15_IbLb0EEEEDaS11_S12_EUlS11_E_NS1_11comp_targetILNS1_3genE9ELNS1_11target_archE1100ELNS1_3gpuE3ELNS1_3repE0EEENS1_30default_config_static_selectorELNS0_4arch9wavefront6targetE0EEEvT1_ ; -- Begin function _ZN7rocprim17ROCPRIM_400000_NS6detail17trampoline_kernelINS0_14default_configENS1_25partition_config_selectorILNS1_17partition_subalgoE6EyNS0_10empty_typeEbEEZZNS1_14partition_implILS5_6ELb0ES3_mN6thrust23THRUST_200600_302600_NS6detail15normal_iteratorINSA_10device_ptrIyEEEEPS6_SG_NS0_5tupleIJSF_S6_EEENSH_IJSG_SG_EEES6_PlJ5mod_3IyEEEE10hipError_tPvRmT3_T4_T5_T6_T7_T9_mT8_P12ihipStream_tbDpT10_ENKUlT_T0_E_clISt17integral_constantIbLb1EES15_IbLb0EEEEDaS11_S12_EUlS11_E_NS1_11comp_targetILNS1_3genE9ELNS1_11target_archE1100ELNS1_3gpuE3ELNS1_3repE0EEENS1_30default_config_static_selectorELNS0_4arch9wavefront6targetE0EEEvT1_
	.globl	_ZN7rocprim17ROCPRIM_400000_NS6detail17trampoline_kernelINS0_14default_configENS1_25partition_config_selectorILNS1_17partition_subalgoE6EyNS0_10empty_typeEbEEZZNS1_14partition_implILS5_6ELb0ES3_mN6thrust23THRUST_200600_302600_NS6detail15normal_iteratorINSA_10device_ptrIyEEEEPS6_SG_NS0_5tupleIJSF_S6_EEENSH_IJSG_SG_EEES6_PlJ5mod_3IyEEEE10hipError_tPvRmT3_T4_T5_T6_T7_T9_mT8_P12ihipStream_tbDpT10_ENKUlT_T0_E_clISt17integral_constantIbLb1EES15_IbLb0EEEEDaS11_S12_EUlS11_E_NS1_11comp_targetILNS1_3genE9ELNS1_11target_archE1100ELNS1_3gpuE3ELNS1_3repE0EEENS1_30default_config_static_selectorELNS0_4arch9wavefront6targetE0EEEvT1_
	.p2align	8
	.type	_ZN7rocprim17ROCPRIM_400000_NS6detail17trampoline_kernelINS0_14default_configENS1_25partition_config_selectorILNS1_17partition_subalgoE6EyNS0_10empty_typeEbEEZZNS1_14partition_implILS5_6ELb0ES3_mN6thrust23THRUST_200600_302600_NS6detail15normal_iteratorINSA_10device_ptrIyEEEEPS6_SG_NS0_5tupleIJSF_S6_EEENSH_IJSG_SG_EEES6_PlJ5mod_3IyEEEE10hipError_tPvRmT3_T4_T5_T6_T7_T9_mT8_P12ihipStream_tbDpT10_ENKUlT_T0_E_clISt17integral_constantIbLb1EES15_IbLb0EEEEDaS11_S12_EUlS11_E_NS1_11comp_targetILNS1_3genE9ELNS1_11target_archE1100ELNS1_3gpuE3ELNS1_3repE0EEENS1_30default_config_static_selectorELNS0_4arch9wavefront6targetE0EEEvT1_,@function
_ZN7rocprim17ROCPRIM_400000_NS6detail17trampoline_kernelINS0_14default_configENS1_25partition_config_selectorILNS1_17partition_subalgoE6EyNS0_10empty_typeEbEEZZNS1_14partition_implILS5_6ELb0ES3_mN6thrust23THRUST_200600_302600_NS6detail15normal_iteratorINSA_10device_ptrIyEEEEPS6_SG_NS0_5tupleIJSF_S6_EEENSH_IJSG_SG_EEES6_PlJ5mod_3IyEEEE10hipError_tPvRmT3_T4_T5_T6_T7_T9_mT8_P12ihipStream_tbDpT10_ENKUlT_T0_E_clISt17integral_constantIbLb1EES15_IbLb0EEEEDaS11_S12_EUlS11_E_NS1_11comp_targetILNS1_3genE9ELNS1_11target_archE1100ELNS1_3gpuE3ELNS1_3repE0EEENS1_30default_config_static_selectorELNS0_4arch9wavefront6targetE0EEEvT1_: ; @_ZN7rocprim17ROCPRIM_400000_NS6detail17trampoline_kernelINS0_14default_configENS1_25partition_config_selectorILNS1_17partition_subalgoE6EyNS0_10empty_typeEbEEZZNS1_14partition_implILS5_6ELb0ES3_mN6thrust23THRUST_200600_302600_NS6detail15normal_iteratorINSA_10device_ptrIyEEEEPS6_SG_NS0_5tupleIJSF_S6_EEENSH_IJSG_SG_EEES6_PlJ5mod_3IyEEEE10hipError_tPvRmT3_T4_T5_T6_T7_T9_mT8_P12ihipStream_tbDpT10_ENKUlT_T0_E_clISt17integral_constantIbLb1EES15_IbLb0EEEEDaS11_S12_EUlS11_E_NS1_11comp_targetILNS1_3genE9ELNS1_11target_archE1100ELNS1_3gpuE3ELNS1_3repE0EEENS1_30default_config_static_selectorELNS0_4arch9wavefront6targetE0EEEvT1_
; %bb.0:
	s_clause 0x3
	s_load_b128 s[8:11], s[0:1], 0x8
	s_load_b128 s[4:7], s[0:1], 0x40
	s_load_b32 s14, s[0:1], 0x68
	s_load_b64 s[12:13], s[0:1], 0x50
	s_waitcnt lgkmcnt(0)
	s_lshl_b64 s[2:3], s[10:11], 3
	s_load_b64 s[6:7], s[6:7], 0x0
	s_mul_i32 s16, s14, 0x900
	s_add_u32 s17, s8, s2
	s_addc_u32 s18, s9, s3
	s_add_i32 s2, s16, s10
	s_add_i32 s14, s14, -1
	s_sub_i32 s2, s12, s2
	s_add_u32 s8, s10, s16
	s_addc_u32 s9, s11, 0
	s_cmp_eq_u32 s15, s14
	v_cmp_ge_u64_e64 s3, s[8:9], s[12:13]
	s_cselect_b32 s12, -1, 0
	s_mov_b32 s9, 0
	s_mul_i32 s8, s15, 0x900
	s_delay_alu instid0(SALU_CYCLE_1) | instskip(NEXT) | instid1(VALU_DEP_1)
	s_lshl_b64 s[8:9], s[8:9], 3
	s_and_b32 s3, s12, s3
	s_delay_alu instid0(SALU_CYCLE_1)
	s_xor_b32 s13, s3, -1
	s_add_u32 s3, s17, s8
	s_addc_u32 s8, s18, s9
	s_and_b32 vcc_lo, exec_lo, s13
	s_mov_b32 s9, -1
	s_cbranch_vccz .LBB478_2
; %bb.1:
	v_lshlrev_b32_e32 v13, 3, v0
	s_delay_alu instid0(VALU_DEP_1) | instskip(NEXT) | instid1(VALU_DEP_1)
	v_add_co_u32 v1, s9, s3, v13
	v_add_co_ci_u32_e64 v2, null, s8, 0, s9
	s_mov_b32 s9, 0
	s_delay_alu instid0(VALU_DEP_2) | instskip(NEXT) | instid1(VALU_DEP_2)
	v_add_co_u32 v3, vcc_lo, 0x1000, v1
	v_add_co_ci_u32_e32 v4, vcc_lo, 0, v2, vcc_lo
	v_add_co_u32 v5, vcc_lo, 0x2000, v1
	v_add_co_ci_u32_e32 v6, vcc_lo, 0, v2, vcc_lo
	;; [unrolled: 2-line block ×3, first 2 shown]
	s_clause 0x5
	flat_load_b64 v[9:10], v[1:2]
	flat_load_b64 v[1:2], v[1:2] offset:3072
	flat_load_b64 v[3:4], v[3:4] offset:2048
	;; [unrolled: 1-line block ×3, first 2 shown]
	flat_load_b64 v[11:12], v[7:8]
	flat_load_b64 v[7:8], v[7:8] offset:3072
	s_waitcnt vmcnt(4) lgkmcnt(0)
	ds_store_2addr_stride64_b64 v13, v[9:10], v[1:2] offset1:6
	s_waitcnt vmcnt(2)
	ds_store_2addr_stride64_b64 v13, v[3:4], v[5:6] offset0:12 offset1:18
	s_waitcnt vmcnt(0)
	ds_store_2addr_stride64_b64 v13, v[11:12], v[7:8] offset0:24 offset1:30
	s_waitcnt lgkmcnt(0)
	s_barrier
.LBB478_2:
	s_and_not1_b32 vcc_lo, exec_lo, s9
	s_addk_i32 s2, 0x900
	s_cbranch_vccnz .LBB478_16
; %bb.3:
	s_mov_b32 s9, exec_lo
                                        ; implicit-def: $vgpr1_vgpr2_vgpr3_vgpr4_vgpr5_vgpr6_vgpr7_vgpr8_vgpr9_vgpr10_vgpr11_vgpr12_vgpr13_vgpr14_vgpr15_vgpr16
	v_cmpx_gt_u32_e64 s2, v0
	s_cbranch_execz .LBB478_5
; %bb.4:
	v_lshlrev_b32_e32 v1, 3, v0
	s_delay_alu instid0(VALU_DEP_1) | instskip(NEXT) | instid1(VALU_DEP_1)
	v_add_co_u32 v1, s10, s3, v1
	v_add_co_ci_u32_e64 v2, null, s8, 0, s10
	flat_load_b64 v[1:2], v[1:2]
.LBB478_5:
	s_or_b32 exec_lo, exec_lo, s9
	v_add_nc_u32_e32 v13, 0x180, v0
	s_mov_b32 s9, exec_lo
	s_delay_alu instid0(VALU_DEP_1)
	v_cmpx_gt_u32_e64 s2, v13
	s_cbranch_execz .LBB478_7
; %bb.6:
	v_lshlrev_b32_e32 v3, 3, v0
	s_delay_alu instid0(VALU_DEP_1) | instskip(NEXT) | instid1(VALU_DEP_1)
	v_add_co_u32 v3, s10, s3, v3
	v_add_co_ci_u32_e64 v4, null, s8, 0, s10
	flat_load_b64 v[3:4], v[3:4] offset:3072
.LBB478_7:
	s_or_b32 exec_lo, exec_lo, s9
	v_add_nc_u32_e32 v13, 0x300, v0
	s_mov_b32 s9, exec_lo
	s_delay_alu instid0(VALU_DEP_1)
	v_cmpx_gt_u32_e64 s2, v13
	s_cbranch_execz .LBB478_9
; %bb.8:
	v_lshlrev_b32_e32 v5, 3, v13
	s_delay_alu instid0(VALU_DEP_1) | instskip(NEXT) | instid1(VALU_DEP_1)
	v_add_co_u32 v5, s10, s3, v5
	v_add_co_ci_u32_e64 v6, null, s8, 0, s10
	flat_load_b64 v[5:6], v[5:6]
.LBB478_9:
	s_or_b32 exec_lo, exec_lo, s9
	v_add_nc_u32_e32 v13, 0x480, v0
	s_mov_b32 s9, exec_lo
	s_delay_alu instid0(VALU_DEP_1)
	v_cmpx_gt_u32_e64 s2, v13
	s_cbranch_execz .LBB478_11
; %bb.10:
	v_lshlrev_b32_e32 v7, 3, v13
	s_delay_alu instid0(VALU_DEP_1) | instskip(NEXT) | instid1(VALU_DEP_1)
	v_add_co_u32 v7, s10, s3, v7
	v_add_co_ci_u32_e64 v8, null, s8, 0, s10
	flat_load_b64 v[7:8], v[7:8]
.LBB478_11:
	s_or_b32 exec_lo, exec_lo, s9
	v_or_b32_e32 v13, 0x600, v0
	s_mov_b32 s9, exec_lo
	s_delay_alu instid0(VALU_DEP_1)
	v_cmpx_gt_u32_e64 s2, v13
	s_cbranch_execz .LBB478_13
; %bb.12:
	v_lshlrev_b32_e32 v9, 3, v13
	s_delay_alu instid0(VALU_DEP_1) | instskip(NEXT) | instid1(VALU_DEP_1)
	v_add_co_u32 v9, s10, s3, v9
	v_add_co_ci_u32_e64 v10, null, s8, 0, s10
	flat_load_b64 v[9:10], v[9:10]
.LBB478_13:
	s_or_b32 exec_lo, exec_lo, s9
	v_add_nc_u32_e32 v13, 0x780, v0
	s_mov_b32 s9, exec_lo
	s_delay_alu instid0(VALU_DEP_1)
	v_cmpx_gt_u32_e64 s2, v13
	s_cbranch_execz .LBB478_15
; %bb.14:
	v_lshlrev_b32_e32 v11, 3, v13
	s_delay_alu instid0(VALU_DEP_1) | instskip(NEXT) | instid1(VALU_DEP_1)
	v_add_co_u32 v11, s3, s3, v11
	v_add_co_ci_u32_e64 v12, null, s8, 0, s3
	flat_load_b64 v[11:12], v[11:12]
.LBB478_15:
	s_or_b32 exec_lo, exec_lo, s9
	v_lshlrev_b32_e32 v13, 3, v0
	s_waitcnt vmcnt(0) lgkmcnt(0)
	ds_store_2addr_stride64_b64 v13, v[1:2], v[3:4] offset1:6
	ds_store_2addr_stride64_b64 v13, v[5:6], v[7:8] offset0:12 offset1:18
	ds_store_2addr_stride64_b64 v13, v[9:10], v[11:12] offset0:24 offset1:30
	s_waitcnt lgkmcnt(0)
	s_barrier
.LBB478_16:
	v_mul_u32_u24_e32 v13, 6, v0
	s_waitcnt lgkmcnt(0)
	buffer_gl0_inv
	s_and_not1_b32 vcc_lo, exec_lo, s13
	v_lshlrev_b32_e32 v35, 3, v13
	ds_load_b128 v[9:12], v35
	ds_load_b128 v[5:8], v35 offset:16
	ds_load_b128 v[1:4], v35 offset:32
	s_waitcnt lgkmcnt(0)
	s_barrier
	buffer_gl0_inv
	s_cbranch_vccnz .LBB478_18
; %bb.17:
	v_mul_lo_u32 v14, 0xaaaaaaab, v11
	v_mul_lo_u32 v15, 0xaaaaaaab, v7
	;; [unrolled: 1-line block ×5, first 2 shown]
	v_cmp_lt_u32_e32 vcc_lo, 0x55555555, v14
	v_cndmask_b32_e64 v14, 0, 1, vcc_lo
	v_cmp_lt_u32_e32 vcc_lo, 0x55555555, v15
	s_delay_alu instid0(VALU_DEP_2) | instskip(SKIP_2) | instid1(VALU_DEP_2)
	v_lshlrev_b16 v14, 8, v14
	v_cndmask_b32_e64 v15, 0, 1, vcc_lo
	v_cmp_lt_u32_e32 vcc_lo, 0x55555555, v16
	v_lshlrev_b16 v15, 8, v15
	v_cndmask_b32_e64 v16, 0, 1, vcc_lo
	v_cmp_lt_u32_e32 vcc_lo, 0x55555555, v17
	s_delay_alu instid0(VALU_DEP_2) | instskip(SKIP_3) | instid1(VALU_DEP_4)
	v_or_b32_e32 v14, v16, v14
	v_cndmask_b32_e64 v17, 0, 1, vcc_lo
	v_mul_lo_u32 v16, 0xaaaaaaab, v3
	v_cmp_lt_u32_e32 vcc_lo, 0x55555555, v18
	v_and_b32_e32 v14, 0xffff, v14
	s_delay_alu instid0(VALU_DEP_4) | instskip(SKIP_2) | instid1(VALU_DEP_3)
	v_or_b32_e32 v15, v17, v15
	v_cndmask_b32_e64 v32, 0, 1, vcc_lo
	v_cmp_lt_u32_e32 vcc_lo, 0x55555555, v16
	v_lshlrev_b32_e32 v15, 16, v15
	v_cndmask_b32_e64 v31, 0, 1, vcc_lo
	s_delay_alu instid0(VALU_DEP_2)
	v_or_b32_e32 v33, v14, v15
	s_clause 0x1
	s_load_b64 s[8:9], s[0:1], 0x28
	s_load_b64 s[10:11], s[0:1], 0x60
	s_cbranch_execz .LBB478_19
	s_branch .LBB478_32
.LBB478_18:
                                        ; implicit-def: $vgpr31
                                        ; implicit-def: $vgpr32
                                        ; implicit-def: $vgpr33
	s_clause 0x1
	s_load_b64 s[8:9], s[0:1], 0x28
	s_load_b64 s[10:11], s[0:1], 0x60
.LBB478_19:
	v_dual_mov_b32 v15, 0 :: v_dual_mov_b32 v14, 0
	s_mov_b32 s0, exec_lo
	v_cmpx_gt_u32_e64 s2, v13
; %bb.20:
	v_mul_lo_u32 v14, 0xaaaaaaab, v9
	s_delay_alu instid0(VALU_DEP_1)
	v_cmp_lt_u32_e32 vcc_lo, 0x55555555, v14
	v_cndmask_b32_e64 v14, 0, 1, vcc_lo
; %bb.21:
	s_or_b32 exec_lo, exec_lo, s0
	v_or_b32_e32 v16, 1, v13
	s_mov_b32 s0, exec_lo
	s_delay_alu instid0(VALU_DEP_1)
	v_cmpx_gt_u32_e64 s2, v16
; %bb.22:
	v_mul_lo_u32 v15, 0xaaaaaaab, v11
	s_delay_alu instid0(VALU_DEP_1)
	v_cmp_lt_u32_e32 vcc_lo, 0x55555555, v15
	v_cndmask_b32_e64 v15, 0, 1, vcc_lo
; %bb.23:
	s_or_b32 exec_lo, exec_lo, s0
	v_dual_mov_b32 v17, 0 :: v_dual_add_nc_u32 v16, 2, v13
	s_delay_alu instid0(VALU_DEP_1)
	v_cmp_gt_u32_e32 vcc_lo, s2, v16
	v_mov_b32_e32 v16, 0
	s_and_saveexec_b32 s0, vcc_lo
; %bb.24:
	v_mul_lo_u32 v16, 0xaaaaaaab, v5
	s_delay_alu instid0(VALU_DEP_1)
	v_cmp_lt_u32_e32 vcc_lo, 0x55555555, v16
	v_cndmask_b32_e64 v16, 0, 1, vcc_lo
; %bb.25:
	s_or_b32 exec_lo, exec_lo, s0
	v_add_nc_u32_e32 v18, 3, v13
	s_mov_b32 s0, exec_lo
	s_delay_alu instid0(VALU_DEP_1)
	v_cmpx_gt_u32_e64 s2, v18
; %bb.26:
	v_mul_lo_u32 v17, 0xaaaaaaab, v7
	s_delay_alu instid0(VALU_DEP_1)
	v_cmp_lt_u32_e32 vcc_lo, 0x55555555, v17
	v_cndmask_b32_e64 v17, 0, 1, vcc_lo
; %bb.27:
	s_or_b32 exec_lo, exec_lo, s0
	v_dual_mov_b32 v31, 0 :: v_dual_add_nc_u32 v18, 4, v13
	v_mov_b32_e32 v32, 0
	s_mov_b32 s0, exec_lo
	s_delay_alu instid0(VALU_DEP_2)
	v_cmpx_gt_u32_e64 s2, v18
; %bb.28:
	v_mul_lo_u32 v18, 0xaaaaaaab, v1
	s_delay_alu instid0(VALU_DEP_1)
	v_cmp_lt_u32_e32 vcc_lo, 0x55555555, v18
	v_cndmask_b32_e64 v32, 0, 1, vcc_lo
; %bb.29:
	s_or_b32 exec_lo, exec_lo, s0
	v_add_nc_u32_e32 v13, 5, v13
	s_mov_b32 s0, exec_lo
	s_delay_alu instid0(VALU_DEP_1)
	v_cmpx_gt_u32_e64 s2, v13
; %bb.30:
	v_mul_lo_u32 v13, 0xaaaaaaab, v3
	s_delay_alu instid0(VALU_DEP_1)
	v_cmp_lt_u32_e32 vcc_lo, 0x55555555, v13
	v_cndmask_b32_e64 v31, 0, 1, vcc_lo
; %bb.31:
	s_or_b32 exec_lo, exec_lo, s0
	v_lshlrev_b16 v13, 8, v15
	v_lshlrev_b16 v15, 8, v17
	s_delay_alu instid0(VALU_DEP_2) | instskip(NEXT) | instid1(VALU_DEP_2)
	v_or_b32_e32 v13, v14, v13
	v_or_b32_e32 v14, v16, v15
	s_delay_alu instid0(VALU_DEP_2) | instskip(NEXT) | instid1(VALU_DEP_2)
	v_and_b32_e32 v13, 0xffff, v13
	v_lshlrev_b32_e32 v14, 16, v14
	s_delay_alu instid0(VALU_DEP_1)
	v_or_b32_e32 v33, v13, v14
.LBB478_32:
	s_delay_alu instid0(VALU_DEP_1)
	v_dual_mov_b32 v14, 0 :: v_dual_and_b32 v39, 0xff, v33
	v_bfe_u32 v38, v33, 8, 8
	v_bfe_u32 v37, v33, 16, 8
	v_lshrrev_b32_e32 v34, 24, v33
	v_and_b32_e32 v36, 0xff, v32
	v_mbcnt_lo_u32_b32 v40, -1, 0
	v_add_co_u32 v13, s0, v38, v39
	s_delay_alu instid0(VALU_DEP_1) | instskip(SKIP_1) | instid1(VALU_DEP_3)
	v_add_co_ci_u32_e64 v15, null, 0, 0, s0
	v_and_b32_e32 v16, 0xff, v31
	v_add_co_u32 v13, vcc_lo, v13, v37
	s_delay_alu instid0(VALU_DEP_3) | instskip(SKIP_1) | instid1(VALU_DEP_3)
	v_add_co_ci_u32_e32 v15, vcc_lo, 0, v15, vcc_lo
	v_and_b32_e32 v41, 15, v40
	v_add_co_u32 v13, vcc_lo, v13, v34
	s_delay_alu instid0(VALU_DEP_3) | instskip(NEXT) | instid1(VALU_DEP_3)
	v_add_co_ci_u32_e32 v15, vcc_lo, 0, v15, vcc_lo
	v_cmp_ne_u32_e64 s0, 0, v41
	s_delay_alu instid0(VALU_DEP_3) | instskip(NEXT) | instid1(VALU_DEP_3)
	v_add_co_u32 v13, vcc_lo, v13, v36
	v_add_co_ci_u32_e32 v15, vcc_lo, 0, v15, vcc_lo
	s_cmp_lg_u32 s15, 0
	s_delay_alu instid0(VALU_DEP_2) | instskip(NEXT) | instid1(VALU_DEP_2)
	v_add_co_u32 v21, vcc_lo, v13, v16
	v_add_co_ci_u32_e32 v22, vcc_lo, 0, v15, vcc_lo
	s_mov_b32 s1, -1
	s_cbranch_scc0 .LBB478_101
; %bb.33:
	s_delay_alu instid0(VALU_DEP_2)
	v_mov_b32_e32 v15, v21
	v_mov_b32_dpp v13, v21 row_shr:1 row_mask:0xf bank_mask:0xf
	v_mov_b32_dpp v18, v14 row_shr:1 row_mask:0xf bank_mask:0xf
	v_dual_mov_b32 v17, v21 :: v_dual_mov_b32 v16, v22
	s_and_saveexec_b32 s1, s0
; %bb.34:
	s_delay_alu instid0(VALU_DEP_3) | instskip(SKIP_1) | instid1(VALU_DEP_2)
	v_add_co_u32 v17, vcc_lo, v21, v13
	v_add_co_ci_u32_e32 v14, vcc_lo, 0, v22, vcc_lo
	v_add_co_u32 v13, vcc_lo, 0, v17
	s_delay_alu instid0(VALU_DEP_2) | instskip(NEXT) | instid1(VALU_DEP_1)
	v_add_co_ci_u32_e32 v14, vcc_lo, v18, v14, vcc_lo
	v_dual_mov_b32 v16, v14 :: v_dual_mov_b32 v15, v13
; %bb.35:
	s_or_b32 exec_lo, exec_lo, s1
	v_mov_b32_dpp v13, v17 row_shr:2 row_mask:0xf bank_mask:0xf
	v_mov_b32_dpp v18, v14 row_shr:2 row_mask:0xf bank_mask:0xf
	v_cmp_lt_u32_e32 vcc_lo, 1, v41
	s_and_saveexec_b32 s2, vcc_lo
; %bb.36:
	s_delay_alu instid0(VALU_DEP_3) | instskip(NEXT) | instid1(VALU_DEP_1)
	v_add_co_u32 v17, s1, v15, v13
	v_add_co_ci_u32_e64 v14, s1, 0, v16, s1
	s_delay_alu instid0(VALU_DEP_2) | instskip(NEXT) | instid1(VALU_DEP_1)
	v_add_co_u32 v13, s1, 0, v17
	v_add_co_ci_u32_e64 v14, s1, v18, v14, s1
	s_delay_alu instid0(VALU_DEP_1)
	v_dual_mov_b32 v16, v14 :: v_dual_mov_b32 v15, v13
; %bb.37:
	s_or_b32 exec_lo, exec_lo, s2
	v_mov_b32_dpp v13, v17 row_shr:4 row_mask:0xf bank_mask:0xf
	v_mov_b32_dpp v18, v14 row_shr:4 row_mask:0xf bank_mask:0xf
	v_cmp_lt_u32_e64 s1, 3, v41
	s_delay_alu instid0(VALU_DEP_1)
	s_and_saveexec_b32 s3, s1
; %bb.38:
	s_delay_alu instid0(VALU_DEP_3) | instskip(NEXT) | instid1(VALU_DEP_1)
	v_add_co_u32 v17, s2, v15, v13
	v_add_co_ci_u32_e64 v14, s2, 0, v16, s2
	s_delay_alu instid0(VALU_DEP_2) | instskip(NEXT) | instid1(VALU_DEP_1)
	v_add_co_u32 v13, s2, 0, v17
	v_add_co_ci_u32_e64 v14, s2, v18, v14, s2
	s_delay_alu instid0(VALU_DEP_1)
	v_dual_mov_b32 v16, v14 :: v_dual_mov_b32 v15, v13
; %bb.39:
	s_or_b32 exec_lo, exec_lo, s3
	v_mov_b32_dpp v18, v17 row_shr:8 row_mask:0xf bank_mask:0xf
	v_mov_b32_dpp v13, v14 row_shr:8 row_mask:0xf bank_mask:0xf
	v_cmp_lt_u32_e64 s2, 7, v41
	s_delay_alu instid0(VALU_DEP_1)
	s_and_saveexec_b32 s14, s2
; %bb.40:
	s_delay_alu instid0(VALU_DEP_3) | instskip(NEXT) | instid1(VALU_DEP_1)
	v_add_co_u32 v17, s3, v15, v18
	v_add_co_ci_u32_e64 v14, s3, 0, v16, s3
	s_delay_alu instid0(VALU_DEP_2) | instskip(NEXT) | instid1(VALU_DEP_1)
	v_add_co_u32 v15, s3, 0, v17
	v_add_co_ci_u32_e64 v16, s3, v13, v14, s3
	s_delay_alu instid0(VALU_DEP_1)
	v_mov_b32_e32 v14, v16
; %bb.41:
	s_or_b32 exec_lo, exec_lo, s14
	ds_swizzle_b32 v13, v17 offset:swizzle(BROADCAST,32,15)
	ds_swizzle_b32 v18, v14 offset:swizzle(BROADCAST,32,15)
	v_and_b32_e32 v19, 16, v40
	s_mov_b32 s14, exec_lo
	s_delay_alu instid0(VALU_DEP_1)
	v_cmpx_ne_u32_e32 0, v19
	s_cbranch_execz .LBB478_43
; %bb.42:
	s_waitcnt lgkmcnt(0)
	v_add_co_u32 v17, s3, v15, v13
	s_delay_alu instid0(VALU_DEP_1) | instskip(NEXT) | instid1(VALU_DEP_2)
	v_add_co_ci_u32_e64 v14, s3, 0, v16, s3
	v_add_co_u32 v13, s3, 0, v17
	s_delay_alu instid0(VALU_DEP_1) | instskip(NEXT) | instid1(VALU_DEP_1)
	v_add_co_ci_u32_e64 v14, s3, v18, v14, s3
	v_dual_mov_b32 v16, v14 :: v_dual_mov_b32 v15, v13
.LBB478_43:
	s_or_b32 exec_lo, exec_lo, s14
	s_waitcnt lgkmcnt(0)
	v_and_b32_e32 v13, 0x1e0, v0
	s_mov_b32 s14, exec_lo
	s_delay_alu instid0(VALU_DEP_1) | instskip(NEXT) | instid1(VALU_DEP_1)
	v_min_u32_e32 v13, 0x160, v13
	v_or_b32_e32 v18, 31, v13
	v_lshrrev_b32_e32 v13, 5, v0
	s_delay_alu instid0(VALU_DEP_2)
	v_cmpx_eq_u32_e64 v18, v0
	s_cbranch_execz .LBB478_45
; %bb.44:
	s_delay_alu instid0(VALU_DEP_2)
	v_lshlrev_b32_e32 v18, 3, v13
	ds_store_b64 v18, v[15:16]
.LBB478_45:
	s_or_b32 exec_lo, exec_lo, s14
	s_delay_alu instid0(SALU_CYCLE_1)
	s_mov_b32 s14, exec_lo
	s_waitcnt lgkmcnt(0)
	s_barrier
	buffer_gl0_inv
	v_cmpx_gt_u32_e32 12, v0
	s_cbranch_execz .LBB478_55
; %bb.46:
	v_lshlrev_b32_e32 v18, 3, v0
	ds_load_b64 v[15:16], v18
	s_waitcnt lgkmcnt(0)
	v_mov_b32_e32 v19, v15
	v_mov_b32_dpp v23, v15 row_shr:1 row_mask:0xf bank_mask:0xf
	v_mov_b32_dpp v20, v16 row_shr:1 row_mask:0xf bank_mask:0xf
	s_and_saveexec_b32 s16, s0
; %bb.47:
	s_delay_alu instid0(VALU_DEP_2) | instskip(NEXT) | instid1(VALU_DEP_1)
	v_add_co_u32 v19, s3, v15, v23
	v_add_co_ci_u32_e64 v16, s3, 0, v16, s3
	s_delay_alu instid0(VALU_DEP_2) | instskip(NEXT) | instid1(VALU_DEP_1)
	v_add_co_u32 v15, s3, 0, v19
	v_add_co_ci_u32_e64 v16, s3, v20, v16, s3
; %bb.48:
	s_or_b32 exec_lo, exec_lo, s16
	v_mov_b32_dpp v23, v19 row_shr:2 row_mask:0xf bank_mask:0xf
	s_delay_alu instid0(VALU_DEP_2)
	v_mov_b32_dpp v20, v16 row_shr:2 row_mask:0xf bank_mask:0xf
	s_and_saveexec_b32 s3, vcc_lo
; %bb.49:
	s_delay_alu instid0(VALU_DEP_2) | instskip(SKIP_1) | instid1(VALU_DEP_2)
	v_add_co_u32 v19, vcc_lo, v15, v23
	v_add_co_ci_u32_e32 v16, vcc_lo, 0, v16, vcc_lo
	v_add_co_u32 v15, vcc_lo, 0, v19
	s_delay_alu instid0(VALU_DEP_2)
	v_add_co_ci_u32_e32 v16, vcc_lo, v20, v16, vcc_lo
; %bb.50:
	s_or_b32 exec_lo, exec_lo, s3
	v_mov_b32_dpp v23, v19 row_shr:4 row_mask:0xf bank_mask:0xf
	s_delay_alu instid0(VALU_DEP_2)
	v_mov_b32_dpp v20, v16 row_shr:4 row_mask:0xf bank_mask:0xf
	s_and_saveexec_b32 s3, s1
; %bb.51:
	s_delay_alu instid0(VALU_DEP_2) | instskip(SKIP_1) | instid1(VALU_DEP_2)
	v_add_co_u32 v19, vcc_lo, v15, v23
	v_add_co_ci_u32_e32 v16, vcc_lo, 0, v16, vcc_lo
	v_add_co_u32 v15, vcc_lo, 0, v19
	s_delay_alu instid0(VALU_DEP_2)
	v_add_co_ci_u32_e32 v16, vcc_lo, v20, v16, vcc_lo
; %bb.52:
	s_or_b32 exec_lo, exec_lo, s3
	v_mov_b32_dpp v20, v19 row_shr:8 row_mask:0xf bank_mask:0xf
	s_delay_alu instid0(VALU_DEP_2)
	v_mov_b32_dpp v19, v16 row_shr:8 row_mask:0xf bank_mask:0xf
	s_and_saveexec_b32 s1, s2
; %bb.53:
	s_delay_alu instid0(VALU_DEP_2) | instskip(SKIP_1) | instid1(VALU_DEP_2)
	v_add_co_u32 v15, vcc_lo, v15, v20
	v_add_co_ci_u32_e32 v16, vcc_lo, 0, v16, vcc_lo
	v_add_co_u32 v15, vcc_lo, v15, 0
	s_delay_alu instid0(VALU_DEP_2)
	v_add_co_ci_u32_e32 v16, vcc_lo, v16, v19, vcc_lo
; %bb.54:
	s_or_b32 exec_lo, exec_lo, s1
	ds_store_b64 v18, v[15:16]
.LBB478_55:
	s_or_b32 exec_lo, exec_lo, s14
	v_cmp_gt_u32_e32 vcc_lo, 32, v0
	s_mov_b32 s2, exec_lo
	s_waitcnt lgkmcnt(0)
	s_barrier
	buffer_gl0_inv
                                        ; implicit-def: $vgpr23_vgpr24
	v_cmpx_lt_u32_e32 31, v0
	s_cbranch_execz .LBB478_57
; %bb.56:
	v_lshl_add_u32 v13, v13, 3, -8
	ds_load_b64 v[23:24], v13
	s_waitcnt lgkmcnt(0)
	v_add_co_u32 v17, s1, v17, v23
	s_delay_alu instid0(VALU_DEP_1)
	v_add_co_ci_u32_e64 v14, s1, v14, v24, s1
.LBB478_57:
	s_or_b32 exec_lo, exec_lo, s2
	v_add_nc_u32_e32 v13, -1, v40
	s_delay_alu instid0(VALU_DEP_1) | instskip(NEXT) | instid1(VALU_DEP_1)
	v_cmp_gt_i32_e64 s1, 0, v13
	v_cndmask_b32_e64 v13, v13, v40, s1
	v_cmp_eq_u32_e64 s1, 0, v40
	s_delay_alu instid0(VALU_DEP_2)
	v_lshlrev_b32_e32 v13, 2, v13
	ds_bpermute_b32 v29, v13, v17
	ds_bpermute_b32 v30, v13, v14
	s_and_saveexec_b32 s2, vcc_lo
	s_cbranch_execz .LBB478_100
; %bb.58:
	v_mov_b32_e32 v16, 0
	ds_load_b64 v[13:14], v16 offset:88
	s_and_saveexec_b32 s3, s1
	s_cbranch_execz .LBB478_60
; %bb.59:
	s_add_i32 s16, s15, 32
	s_mov_b32 s17, 0
	s_delay_alu instid0(SALU_CYCLE_1) | instskip(NEXT) | instid1(SALU_CYCLE_1)
	s_lshl_b64 s[16:17], s[16:17], 4
	s_add_u32 s16, s10, s16
	s_addc_u32 s17, s11, s17
	s_delay_alu instid0(SALU_CYCLE_1)
	v_dual_mov_b32 v15, 1 :: v_dual_mov_b32 v18, s17
	v_mov_b32_e32 v17, s16
	s_waitcnt lgkmcnt(0)
	;;#ASMSTART
	global_store_dwordx4 v[17:18], v[13:16] off	
s_waitcnt vmcnt(0)
	;;#ASMEND
.LBB478_60:
	s_or_b32 exec_lo, exec_lo, s3
	v_xad_u32 v25, v40, -1, s15
	s_mov_b32 s14, 0
	s_mov_b32 s3, exec_lo
	s_delay_alu instid0(VALU_DEP_1) | instskip(NEXT) | instid1(VALU_DEP_1)
	v_add_nc_u32_e32 v15, 32, v25
	v_lshlrev_b64 v[15:16], 4, v[15:16]
	s_delay_alu instid0(VALU_DEP_1) | instskip(NEXT) | instid1(VALU_DEP_2)
	v_add_co_u32 v15, vcc_lo, s10, v15
	v_add_co_ci_u32_e32 v16, vcc_lo, s11, v16, vcc_lo
	;;#ASMSTART
	global_load_dwordx4 v[17:20], v[15:16] off glc	
s_waitcnt vmcnt(0)
	;;#ASMEND
	v_and_b32_e32 v20, 0xff, v18
	v_and_b32_e32 v26, 0xff00, v18
	v_or3_b32 v17, v17, 0, 0
	v_and_b32_e32 v27, 0xff000000, v18
	v_and_b32_e32 v18, 0xff0000, v18
	s_delay_alu instid0(VALU_DEP_4) | instskip(SKIP_2) | instid1(VALU_DEP_3)
	v_or3_b32 v20, 0, v20, v26
	v_and_b32_e32 v26, 0xff, v19
	v_or3_b32 v17, v17, 0, 0
	v_or3_b32 v18, v20, v18, v27
	s_delay_alu instid0(VALU_DEP_3)
	v_cmpx_eq_u16_e32 0, v26
	s_cbranch_execz .LBB478_66
; %bb.61:
	s_mov_b32 s16, 1
	.p2align	6
.LBB478_62:                             ; =>This Loop Header: Depth=1
                                        ;     Child Loop BB478_63 Depth 2
	s_delay_alu instid0(SALU_CYCLE_1)
	s_max_u32 s17, s16, 1
.LBB478_63:                             ;   Parent Loop BB478_62 Depth=1
                                        ; =>  This Inner Loop Header: Depth=2
	s_delay_alu instid0(SALU_CYCLE_1)
	s_add_i32 s17, s17, -1
	s_sleep 1
	s_cmp_eq_u32 s17, 0
	s_cbranch_scc0 .LBB478_63
; %bb.64:                               ;   in Loop: Header=BB478_62 Depth=1
	;;#ASMSTART
	global_load_dwordx4 v[17:20], v[15:16] off glc	
s_waitcnt vmcnt(0)
	;;#ASMEND
	v_and_b32_e32 v20, 0xff, v19
	s_cmp_lt_u32 s16, 32
	s_cselect_b32 s17, -1, 0
	s_delay_alu instid0(SALU_CYCLE_1) | instskip(NEXT) | instid1(VALU_DEP_1)
	s_cmp_lg_u32 s17, 0
	v_cmp_ne_u16_e32 vcc_lo, 0, v20
	s_addc_u32 s16, s16, 0
	s_or_b32 s14, vcc_lo, s14
	s_delay_alu instid0(SALU_CYCLE_1)
	s_and_not1_b32 exec_lo, exec_lo, s14
	s_cbranch_execnz .LBB478_62
; %bb.65:
	s_or_b32 exec_lo, exec_lo, s14
.LBB478_66:
	s_delay_alu instid0(SALU_CYCLE_1)
	s_or_b32 exec_lo, exec_lo, s3
	v_cmp_ne_u32_e32 vcc_lo, 31, v40
	v_and_b32_e32 v16, 0xff, v19
	v_lshlrev_b32_e64 v43, v40, -1
	s_mov_b32 s3, exec_lo
	v_add_co_ci_u32_e32 v15, vcc_lo, 0, v40, vcc_lo
	s_delay_alu instid0(VALU_DEP_3) | instskip(SKIP_1) | instid1(VALU_DEP_3)
	v_cmp_eq_u16_e32 vcc_lo, 2, v16
	v_mov_b32_e32 v16, v17
	v_lshlrev_b32_e32 v42, 2, v15
	v_and_or_b32 v15, vcc_lo, v43, 0x80000000
	ds_bpermute_b32 v26, v42, v17
	ds_bpermute_b32 v20, v42, v18
	v_ctz_i32_b32_e32 v15, v15
	s_delay_alu instid0(VALU_DEP_1)
	v_cmpx_lt_u32_e64 v40, v15
	s_cbranch_execz .LBB478_68
; %bb.67:
	s_waitcnt lgkmcnt(1)
	v_add_co_u32 v16, vcc_lo, v17, v26
	v_add_co_ci_u32_e32 v18, vcc_lo, 0, v18, vcc_lo
	s_delay_alu instid0(VALU_DEP_2) | instskip(SKIP_1) | instid1(VALU_DEP_2)
	v_add_co_u32 v17, vcc_lo, 0, v16
	s_waitcnt lgkmcnt(0)
	v_add_co_ci_u32_e32 v18, vcc_lo, v20, v18, vcc_lo
.LBB478_68:
	s_or_b32 exec_lo, exec_lo, s3
	v_cmp_gt_u32_e32 vcc_lo, 30, v40
	v_add_nc_u32_e32 v45, 2, v40
	s_mov_b32 s3, exec_lo
	s_waitcnt lgkmcnt(0)
	v_cndmask_b32_e64 v20, 0, 1, vcc_lo
	s_delay_alu instid0(VALU_DEP_1) | instskip(NEXT) | instid1(VALU_DEP_1)
	v_lshlrev_b32_e32 v20, 1, v20
	v_add_lshl_u32 v44, v20, v40, 2
	ds_bpermute_b32 v26, v44, v16
	ds_bpermute_b32 v20, v44, v18
	v_cmpx_le_u32_e64 v45, v15
	s_cbranch_execz .LBB478_70
; %bb.69:
	s_waitcnt lgkmcnt(1)
	v_add_co_u32 v16, vcc_lo, v17, v26
	v_add_co_ci_u32_e32 v18, vcc_lo, 0, v18, vcc_lo
	s_delay_alu instid0(VALU_DEP_2) | instskip(SKIP_1) | instid1(VALU_DEP_2)
	v_add_co_u32 v17, vcc_lo, 0, v16
	s_waitcnt lgkmcnt(0)
	v_add_co_ci_u32_e32 v18, vcc_lo, v20, v18, vcc_lo
.LBB478_70:
	s_or_b32 exec_lo, exec_lo, s3
	v_cmp_gt_u32_e32 vcc_lo, 28, v40
	v_add_nc_u32_e32 v47, 4, v40
	s_mov_b32 s3, exec_lo
	s_waitcnt lgkmcnt(0)
	v_cndmask_b32_e64 v20, 0, 1, vcc_lo
	s_delay_alu instid0(VALU_DEP_1) | instskip(NEXT) | instid1(VALU_DEP_1)
	v_lshlrev_b32_e32 v20, 2, v20
	v_add_lshl_u32 v46, v20, v40, 2
	ds_bpermute_b32 v26, v46, v16
	ds_bpermute_b32 v20, v46, v18
	v_cmpx_le_u32_e64 v47, v15
	;; [unrolled: 22-line block ×4, first 2 shown]
	s_cbranch_execz .LBB478_76
; %bb.75:
	s_waitcnt lgkmcnt(1)
	v_add_co_u32 v15, vcc_lo, v17, v20
	v_add_co_ci_u32_e32 v18, vcc_lo, 0, v18, vcc_lo
	s_delay_alu instid0(VALU_DEP_2) | instskip(SKIP_1) | instid1(VALU_DEP_2)
	v_add_co_u32 v17, vcc_lo, v15, 0
	s_waitcnt lgkmcnt(0)
	v_add_co_ci_u32_e32 v18, vcc_lo, v18, v16, vcc_lo
.LBB478_76:
	s_or_b32 exec_lo, exec_lo, s3
	v_mov_b32_e32 v26, 0
	s_branch .LBB478_78
.LBB478_77:                             ;   in Loop: Header=BB478_78 Depth=1
	s_or_b32 exec_lo, exec_lo, s3
	v_add_co_u32 v17, vcc_lo, v17, v15
	v_subrev_nc_u32_e32 v25, 32, v25
	v_add_co_ci_u32_e32 v18, vcc_lo, v18, v16, vcc_lo
.LBB478_78:                             ; =>This Loop Header: Depth=1
                                        ;     Child Loop BB478_81 Depth 2
                                        ;       Child Loop BB478_82 Depth 3
	v_and_b32_e32 v15, 0xff, v19
	s_delay_alu instid0(VALU_DEP_1) | instskip(SKIP_2) | instid1(VALU_DEP_1)
	v_cmp_ne_u16_e32 vcc_lo, 2, v15
	v_cndmask_b32_e64 v15, 0, 1, vcc_lo
	;;#ASMSTART
	;;#ASMEND
	v_cmp_ne_u32_e32 vcc_lo, 0, v15
	s_waitcnt lgkmcnt(0)
	v_dual_mov_b32 v15, v17 :: v_dual_mov_b32 v16, v18
	s_cmp_lg_u32 vcc_lo, exec_lo
	s_cbranch_scc1 .LBB478_95
; %bb.79:                               ;   in Loop: Header=BB478_78 Depth=1
	v_lshlrev_b64 v[17:18], 4, v[25:26]
	s_mov_b32 s3, exec_lo
	s_delay_alu instid0(VALU_DEP_1) | instskip(NEXT) | instid1(VALU_DEP_2)
	v_add_co_u32 v27, vcc_lo, s10, v17
	v_add_co_ci_u32_e32 v28, vcc_lo, s11, v18, vcc_lo
	;;#ASMSTART
	global_load_dwordx4 v[17:20], v[27:28] off glc	
s_waitcnt vmcnt(0)
	;;#ASMEND
	v_and_b32_e32 v20, 0xff, v18
	v_and_b32_e32 v52, 0xff00, v18
	v_or3_b32 v17, v17, 0, 0
	v_and_b32_e32 v53, 0xff000000, v18
	v_and_b32_e32 v18, 0xff0000, v18
	s_delay_alu instid0(VALU_DEP_4) | instskip(SKIP_2) | instid1(VALU_DEP_3)
	v_or3_b32 v20, 0, v20, v52
	v_and_b32_e32 v52, 0xff, v19
	v_or3_b32 v17, v17, 0, 0
	v_or3_b32 v18, v20, v18, v53
	s_delay_alu instid0(VALU_DEP_3)
	v_cmpx_eq_u16_e32 0, v52
	s_cbranch_execz .LBB478_85
; %bb.80:                               ;   in Loop: Header=BB478_78 Depth=1
	s_mov_b32 s16, 1
	s_mov_b32 s14, 0
	.p2align	6
.LBB478_81:                             ;   Parent Loop BB478_78 Depth=1
                                        ; =>  This Loop Header: Depth=2
                                        ;       Child Loop BB478_82 Depth 3
	s_max_u32 s17, s16, 1
.LBB478_82:                             ;   Parent Loop BB478_78 Depth=1
                                        ;     Parent Loop BB478_81 Depth=2
                                        ; =>    This Inner Loop Header: Depth=3
	s_delay_alu instid0(SALU_CYCLE_1)
	s_add_i32 s17, s17, -1
	s_sleep 1
	s_cmp_eq_u32 s17, 0
	s_cbranch_scc0 .LBB478_82
; %bb.83:                               ;   in Loop: Header=BB478_81 Depth=2
	;;#ASMSTART
	global_load_dwordx4 v[17:20], v[27:28] off glc	
s_waitcnt vmcnt(0)
	;;#ASMEND
	v_and_b32_e32 v20, 0xff, v19
	s_cmp_lt_u32 s16, 32
	s_cselect_b32 s17, -1, 0
	s_delay_alu instid0(SALU_CYCLE_1) | instskip(NEXT) | instid1(VALU_DEP_1)
	s_cmp_lg_u32 s17, 0
	v_cmp_ne_u16_e32 vcc_lo, 0, v20
	s_addc_u32 s16, s16, 0
	s_or_b32 s14, vcc_lo, s14
	s_delay_alu instid0(SALU_CYCLE_1)
	s_and_not1_b32 exec_lo, exec_lo, s14
	s_cbranch_execnz .LBB478_81
; %bb.84:                               ;   in Loop: Header=BB478_78 Depth=1
	s_or_b32 exec_lo, exec_lo, s14
.LBB478_85:                             ;   in Loop: Header=BB478_78 Depth=1
	s_delay_alu instid0(SALU_CYCLE_1)
	s_or_b32 exec_lo, exec_lo, s3
	v_dual_mov_b32 v27, v17 :: v_dual_and_b32 v20, 0xff, v19
	ds_bpermute_b32 v52, v42, v17
	ds_bpermute_b32 v28, v42, v18
	s_mov_b32 s3, exec_lo
	v_cmp_eq_u16_e32 vcc_lo, 2, v20
	v_and_or_b32 v20, vcc_lo, v43, 0x80000000
	s_delay_alu instid0(VALU_DEP_1) | instskip(NEXT) | instid1(VALU_DEP_1)
	v_ctz_i32_b32_e32 v20, v20
	v_cmpx_lt_u32_e64 v40, v20
	s_cbranch_execz .LBB478_87
; %bb.86:                               ;   in Loop: Header=BB478_78 Depth=1
	s_waitcnt lgkmcnt(1)
	v_add_co_u32 v27, vcc_lo, v17, v52
	v_add_co_ci_u32_e32 v18, vcc_lo, 0, v18, vcc_lo
	s_delay_alu instid0(VALU_DEP_2) | instskip(SKIP_1) | instid1(VALU_DEP_2)
	v_add_co_u32 v17, vcc_lo, 0, v27
	s_waitcnt lgkmcnt(0)
	v_add_co_ci_u32_e32 v18, vcc_lo, v28, v18, vcc_lo
.LBB478_87:                             ;   in Loop: Header=BB478_78 Depth=1
	s_or_b32 exec_lo, exec_lo, s3
	s_waitcnt lgkmcnt(1)
	ds_bpermute_b32 v52, v44, v27
	s_waitcnt lgkmcnt(1)
	ds_bpermute_b32 v28, v44, v18
	s_mov_b32 s3, exec_lo
	v_cmpx_le_u32_e64 v45, v20
	s_cbranch_execz .LBB478_89
; %bb.88:                               ;   in Loop: Header=BB478_78 Depth=1
	s_waitcnt lgkmcnt(1)
	v_add_co_u32 v27, vcc_lo, v17, v52
	v_add_co_ci_u32_e32 v18, vcc_lo, 0, v18, vcc_lo
	s_delay_alu instid0(VALU_DEP_2) | instskip(SKIP_1) | instid1(VALU_DEP_2)
	v_add_co_u32 v17, vcc_lo, 0, v27
	s_waitcnt lgkmcnt(0)
	v_add_co_ci_u32_e32 v18, vcc_lo, v28, v18, vcc_lo
.LBB478_89:                             ;   in Loop: Header=BB478_78 Depth=1
	s_or_b32 exec_lo, exec_lo, s3
	s_waitcnt lgkmcnt(1)
	ds_bpermute_b32 v52, v46, v27
	s_waitcnt lgkmcnt(1)
	ds_bpermute_b32 v28, v46, v18
	s_mov_b32 s3, exec_lo
	v_cmpx_le_u32_e64 v47, v20
	s_cbranch_execz .LBB478_91
; %bb.90:                               ;   in Loop: Header=BB478_78 Depth=1
	s_waitcnt lgkmcnt(1)
	v_add_co_u32 v27, vcc_lo, v17, v52
	v_add_co_ci_u32_e32 v18, vcc_lo, 0, v18, vcc_lo
	s_delay_alu instid0(VALU_DEP_2) | instskip(SKIP_1) | instid1(VALU_DEP_2)
	v_add_co_u32 v17, vcc_lo, 0, v27
	s_waitcnt lgkmcnt(0)
	v_add_co_ci_u32_e32 v18, vcc_lo, v28, v18, vcc_lo
.LBB478_91:                             ;   in Loop: Header=BB478_78 Depth=1
	s_or_b32 exec_lo, exec_lo, s3
	s_waitcnt lgkmcnt(1)
	ds_bpermute_b32 v52, v48, v27
	s_waitcnt lgkmcnt(1)
	ds_bpermute_b32 v28, v48, v18
	s_mov_b32 s3, exec_lo
	v_cmpx_le_u32_e64 v49, v20
	s_cbranch_execz .LBB478_93
; %bb.92:                               ;   in Loop: Header=BB478_78 Depth=1
	s_waitcnt lgkmcnt(1)
	v_add_co_u32 v27, vcc_lo, v17, v52
	v_add_co_ci_u32_e32 v18, vcc_lo, 0, v18, vcc_lo
	s_delay_alu instid0(VALU_DEP_2) | instskip(SKIP_1) | instid1(VALU_DEP_2)
	v_add_co_u32 v17, vcc_lo, 0, v27
	s_waitcnt lgkmcnt(0)
	v_add_co_ci_u32_e32 v18, vcc_lo, v28, v18, vcc_lo
.LBB478_93:                             ;   in Loop: Header=BB478_78 Depth=1
	s_or_b32 exec_lo, exec_lo, s3
	s_waitcnt lgkmcnt(0)
	ds_bpermute_b32 v28, v50, v27
	ds_bpermute_b32 v27, v50, v18
	s_mov_b32 s3, exec_lo
	v_cmpx_le_u32_e64 v51, v20
	s_cbranch_execz .LBB478_77
; %bb.94:                               ;   in Loop: Header=BB478_78 Depth=1
	s_waitcnt lgkmcnt(1)
	v_add_co_u32 v17, vcc_lo, v17, v28
	v_add_co_ci_u32_e32 v18, vcc_lo, 0, v18, vcc_lo
	s_delay_alu instid0(VALU_DEP_2) | instskip(SKIP_1) | instid1(VALU_DEP_2)
	v_add_co_u32 v17, vcc_lo, v17, 0
	s_waitcnt lgkmcnt(0)
	v_add_co_ci_u32_e32 v18, vcc_lo, v18, v27, vcc_lo
	s_branch .LBB478_77
.LBB478_95:                             ;   in Loop: Header=BB478_78 Depth=1
                                        ; implicit-def: $vgpr17_vgpr18
	s_cbranch_execz .LBB478_78
; %bb.96:
	s_and_saveexec_b32 s3, s1
	s_cbranch_execz .LBB478_98
; %bb.97:
	s_add_i32 s14, s15, 32
	s_mov_b32 s15, 0
	v_add_co_u32 v17, vcc_lo, v15, v13
	s_lshl_b64 s[14:15], s[14:15], 4
	v_dual_mov_b32 v19, 2 :: v_dual_mov_b32 v20, 0
	s_add_u32 s14, s10, s14
	s_addc_u32 s15, s11, s15
	v_add_co_ci_u32_e32 v18, vcc_lo, v16, v14, vcc_lo
	v_dual_mov_b32 v26, s15 :: v_dual_mov_b32 v25, s14
	;;#ASMSTART
	global_store_dwordx4 v[25:26], v[17:20] off	
s_waitcnt vmcnt(0)
	;;#ASMEND
	ds_store_b128 v20, v[13:16] offset:18432
.LBB478_98:
	s_or_b32 exec_lo, exec_lo, s3
	v_cmp_eq_u32_e32 vcc_lo, 0, v0
	s_and_b32 exec_lo, exec_lo, vcc_lo
	s_cbranch_execz .LBB478_100
; %bb.99:
	v_mov_b32_e32 v13, 0
	ds_store_b64 v13, v[15:16] offset:88
.LBB478_100:
	s_or_b32 exec_lo, exec_lo, s2
	s_waitcnt lgkmcnt(1)
	v_cndmask_b32_e64 v16, v29, v23, s1
	v_cmp_ne_u32_e32 vcc_lo, 0, v0
	v_mov_b32_e32 v15, 0
	s_waitcnt lgkmcnt(0)
	s_barrier
	buffer_gl0_inv
	v_cndmask_b32_e32 v16, 0, v16, vcc_lo
	ds_load_b64 v[13:14], v15 offset:88
	v_cndmask_b32_e64 v17, v30, v24, s1
	s_waitcnt lgkmcnt(0)
	s_barrier
	buffer_gl0_inv
	v_cndmask_b32_e32 v17, 0, v17, vcc_lo
	v_add_co_u32 v29, vcc_lo, v13, v16
	s_delay_alu instid0(VALU_DEP_2) | instskip(SKIP_3) | instid1(VALU_DEP_2)
	v_add_co_ci_u32_e32 v30, vcc_lo, v14, v17, vcc_lo
	ds_load_b128 v[13:16], v15 offset:18432
	v_add_co_u32 v27, vcc_lo, v29, v39
	v_add_co_ci_u32_e32 v28, vcc_lo, 0, v30, vcc_lo
	v_add_co_u32 v25, vcc_lo, v27, v38
	s_delay_alu instid0(VALU_DEP_2) | instskip(NEXT) | instid1(VALU_DEP_2)
	v_add_co_ci_u32_e32 v26, vcc_lo, 0, v28, vcc_lo
	v_add_co_u32 v23, vcc_lo, v25, v37
	s_delay_alu instid0(VALU_DEP_2) | instskip(NEXT) | instid1(VALU_DEP_2)
	;; [unrolled: 3-line block ×3, first 2 shown]
	v_add_co_ci_u32_e32 v20, vcc_lo, 0, v24, vcc_lo
	v_add_co_u32 v17, vcc_lo, v19, v36
	s_delay_alu instid0(VALU_DEP_2)
	v_add_co_ci_u32_e32 v18, vcc_lo, 0, v20, vcc_lo
	s_branch .LBB478_129
.LBB478_101:
                                        ; implicit-def: $vgpr17_vgpr18
                                        ; implicit-def: $vgpr19_vgpr20
                                        ; implicit-def: $vgpr23_vgpr24
                                        ; implicit-def: $vgpr25_vgpr26
                                        ; implicit-def: $vgpr27_vgpr28
                                        ; implicit-def: $vgpr29_vgpr30
                                        ; implicit-def: $vgpr15_vgpr16
	s_and_b32 vcc_lo, exec_lo, s1
	s_cbranch_vccz .LBB478_129
; %bb.102:
	s_waitcnt lgkmcnt(0)
	v_dual_mov_b32 v14, 0 :: v_dual_mov_b32 v15, v21
	v_mov_b32_dpp v16, v21 row_shr:1 row_mask:0xf bank_mask:0xf
	s_delay_alu instid0(VALU_DEP_2)
	v_mov_b32_dpp v13, v14 row_shr:1 row_mask:0xf bank_mask:0xf
	s_and_saveexec_b32 s1, s0
; %bb.103:
	s_delay_alu instid0(VALU_DEP_2) | instskip(SKIP_1) | instid1(VALU_DEP_2)
	v_add_co_u32 v15, vcc_lo, v21, v16
	v_add_co_ci_u32_e32 v14, vcc_lo, 0, v22, vcc_lo
	v_add_co_u32 v21, vcc_lo, 0, v15
	s_delay_alu instid0(VALU_DEP_2) | instskip(NEXT) | instid1(VALU_DEP_1)
	v_add_co_ci_u32_e32 v22, vcc_lo, v13, v14, vcc_lo
	v_mov_b32_e32 v14, v22
; %bb.104:
	s_or_b32 exec_lo, exec_lo, s1
	v_mov_b32_dpp v13, v15 row_shr:2 row_mask:0xf bank_mask:0xf
	s_delay_alu instid0(VALU_DEP_2)
	v_mov_b32_dpp v16, v14 row_shr:2 row_mask:0xf bank_mask:0xf
	v_cmp_lt_u32_e32 vcc_lo, 1, v41
	s_and_saveexec_b32 s2, vcc_lo
; %bb.105:
	s_delay_alu instid0(VALU_DEP_3) | instskip(NEXT) | instid1(VALU_DEP_1)
	v_add_co_u32 v15, s1, v21, v13
	v_add_co_ci_u32_e64 v14, s1, 0, v22, s1
	s_delay_alu instid0(VALU_DEP_2) | instskip(NEXT) | instid1(VALU_DEP_1)
	v_add_co_u32 v13, s1, 0, v15
	v_add_co_ci_u32_e64 v14, s1, v16, v14, s1
	s_delay_alu instid0(VALU_DEP_1)
	v_dual_mov_b32 v22, v14 :: v_dual_mov_b32 v21, v13
; %bb.106:
	s_or_b32 exec_lo, exec_lo, s2
	v_mov_b32_dpp v13, v15 row_shr:4 row_mask:0xf bank_mask:0xf
	v_mov_b32_dpp v16, v14 row_shr:4 row_mask:0xf bank_mask:0xf
	v_cmp_lt_u32_e64 s1, 3, v41
	s_delay_alu instid0(VALU_DEP_1)
	s_and_saveexec_b32 s3, s1
; %bb.107:
	s_delay_alu instid0(VALU_DEP_3) | instskip(NEXT) | instid1(VALU_DEP_1)
	v_add_co_u32 v15, s2, v21, v13
	v_add_co_ci_u32_e64 v14, s2, 0, v22, s2
	s_delay_alu instid0(VALU_DEP_2) | instskip(NEXT) | instid1(VALU_DEP_1)
	v_add_co_u32 v13, s2, 0, v15
	v_add_co_ci_u32_e64 v14, s2, v16, v14, s2
	s_delay_alu instid0(VALU_DEP_1)
	v_dual_mov_b32 v22, v14 :: v_dual_mov_b32 v21, v13
; %bb.108:
	s_or_b32 exec_lo, exec_lo, s3
	v_mov_b32_dpp v16, v15 row_shr:8 row_mask:0xf bank_mask:0xf
	v_mov_b32_dpp v13, v14 row_shr:8 row_mask:0xf bank_mask:0xf
	v_cmp_lt_u32_e64 s2, 7, v41
	s_delay_alu instid0(VALU_DEP_1)
	s_and_saveexec_b32 s14, s2
; %bb.109:
	s_delay_alu instid0(VALU_DEP_3) | instskip(NEXT) | instid1(VALU_DEP_1)
	v_add_co_u32 v15, s3, v21, v16
	v_add_co_ci_u32_e64 v14, s3, 0, v22, s3
	s_delay_alu instid0(VALU_DEP_2) | instskip(NEXT) | instid1(VALU_DEP_1)
	v_add_co_u32 v21, s3, 0, v15
	v_add_co_ci_u32_e64 v22, s3, v13, v14, s3
	s_delay_alu instid0(VALU_DEP_1)
	v_mov_b32_e32 v14, v22
; %bb.110:
	s_or_b32 exec_lo, exec_lo, s14
	ds_swizzle_b32 v15, v15 offset:swizzle(BROADCAST,32,15)
	ds_swizzle_b32 v13, v14 offset:swizzle(BROADCAST,32,15)
	v_and_b32_e32 v14, 16, v40
	s_mov_b32 s14, exec_lo
	s_delay_alu instid0(VALU_DEP_1)
	v_cmpx_ne_u32_e32 0, v14
	s_cbranch_execz .LBB478_112
; %bb.111:
	s_waitcnt lgkmcnt(1)
	v_add_co_u32 v14, s3, v21, v15
	s_delay_alu instid0(VALU_DEP_1) | instskip(NEXT) | instid1(VALU_DEP_2)
	v_add_co_ci_u32_e64 v15, s3, 0, v22, s3
	v_add_co_u32 v21, s3, v14, 0
	s_waitcnt lgkmcnt(0)
	s_delay_alu instid0(VALU_DEP_2)
	v_add_co_ci_u32_e64 v22, s3, v15, v13, s3
.LBB478_112:
	s_or_b32 exec_lo, exec_lo, s14
	s_waitcnt lgkmcnt(0)
	v_and_b32_e32 v13, 0x1e0, v0
	v_lshrrev_b32_e32 v15, 5, v0
	s_mov_b32 s14, exec_lo
	s_delay_alu instid0(VALU_DEP_2) | instskip(NEXT) | instid1(VALU_DEP_1)
	v_min_u32_e32 v13, 0x160, v13
	v_or_b32_e32 v13, 31, v13
	s_delay_alu instid0(VALU_DEP_1)
	v_cmpx_eq_u32_e64 v13, v0
	s_cbranch_execz .LBB478_114
; %bb.113:
	v_lshlrev_b32_e32 v13, 3, v15
	ds_store_b64 v13, v[21:22]
.LBB478_114:
	s_or_b32 exec_lo, exec_lo, s14
	s_delay_alu instid0(SALU_CYCLE_1)
	s_mov_b32 s14, exec_lo
	s_waitcnt lgkmcnt(0)
	s_barrier
	buffer_gl0_inv
	v_cmpx_gt_u32_e32 12, v0
	s_cbranch_execz .LBB478_124
; %bb.115:
	v_mad_i32_i24 v13, 0xffffffd8, v0, v35
	ds_load_b64 v[13:14], v13
	s_waitcnt lgkmcnt(0)
	v_mov_b32_dpp v18, v13 row_shr:1 row_mask:0xf bank_mask:0xf
	v_mov_b32_dpp v17, v14 row_shr:1 row_mask:0xf bank_mask:0xf
	v_mov_b32_e32 v16, v13
	s_and_saveexec_b32 s3, s0
; %bb.116:
	s_delay_alu instid0(VALU_DEP_3) | instskip(NEXT) | instid1(VALU_DEP_1)
	v_add_co_u32 v16, s0, v13, v18
	v_add_co_ci_u32_e64 v14, s0, 0, v14, s0
	s_delay_alu instid0(VALU_DEP_2) | instskip(NEXT) | instid1(VALU_DEP_1)
	v_add_co_u32 v13, s0, 0, v16
	v_add_co_ci_u32_e64 v14, s0, v17, v14, s0
; %bb.117:
	s_or_b32 exec_lo, exec_lo, s3
	v_mov_b32_dpp v18, v16 row_shr:2 row_mask:0xf bank_mask:0xf
	s_delay_alu instid0(VALU_DEP_2)
	v_mov_b32_dpp v17, v14 row_shr:2 row_mask:0xf bank_mask:0xf
	s_and_saveexec_b32 s0, vcc_lo
; %bb.118:
	s_delay_alu instid0(VALU_DEP_2) | instskip(SKIP_1) | instid1(VALU_DEP_2)
	v_add_co_u32 v16, vcc_lo, v13, v18
	v_add_co_ci_u32_e32 v14, vcc_lo, 0, v14, vcc_lo
	v_add_co_u32 v13, vcc_lo, 0, v16
	s_delay_alu instid0(VALU_DEP_2)
	v_add_co_ci_u32_e32 v14, vcc_lo, v17, v14, vcc_lo
; %bb.119:
	s_or_b32 exec_lo, exec_lo, s0
	v_mov_b32_dpp v18, v16 row_shr:4 row_mask:0xf bank_mask:0xf
	s_delay_alu instid0(VALU_DEP_2)
	v_mov_b32_dpp v17, v14 row_shr:4 row_mask:0xf bank_mask:0xf
	s_and_saveexec_b32 s0, s1
; %bb.120:
	s_delay_alu instid0(VALU_DEP_2) | instskip(SKIP_1) | instid1(VALU_DEP_2)
	v_add_co_u32 v16, vcc_lo, v13, v18
	v_add_co_ci_u32_e32 v14, vcc_lo, 0, v14, vcc_lo
	v_add_co_u32 v13, vcc_lo, 0, v16
	s_delay_alu instid0(VALU_DEP_2)
	v_add_co_ci_u32_e32 v14, vcc_lo, v17, v14, vcc_lo
; %bb.121:
	s_or_b32 exec_lo, exec_lo, s0
	v_mul_i32_i24_e32 v17, 0xffffffd8, v0
	v_mov_b32_dpp v18, v16 row_shr:8 row_mask:0xf bank_mask:0xf
	s_delay_alu instid0(VALU_DEP_3)
	v_mov_b32_dpp v16, v14 row_shr:8 row_mask:0xf bank_mask:0xf
	s_and_saveexec_b32 s0, s2
; %bb.122:
	s_delay_alu instid0(VALU_DEP_2) | instskip(SKIP_1) | instid1(VALU_DEP_2)
	v_add_co_u32 v13, vcc_lo, v13, v18
	v_add_co_ci_u32_e32 v14, vcc_lo, 0, v14, vcc_lo
	v_add_co_u32 v13, vcc_lo, v13, 0
	s_delay_alu instid0(VALU_DEP_2)
	v_add_co_ci_u32_e32 v14, vcc_lo, v14, v16, vcc_lo
; %bb.123:
	s_or_b32 exec_lo, exec_lo, s0
	v_add_nc_u32_e32 v16, v35, v17
	ds_store_b64 v16, v[13:14]
.LBB478_124:
	s_or_b32 exec_lo, exec_lo, s14
	v_mov_b32_e32 v17, 0
	v_mov_b32_e32 v18, 0
	s_mov_b32 s0, exec_lo
	s_waitcnt lgkmcnt(0)
	s_barrier
	buffer_gl0_inv
	v_cmpx_lt_u32_e32 31, v0
	s_cbranch_execz .LBB478_126
; %bb.125:
	v_lshl_add_u32 v13, v15, 3, -8
	ds_load_b64 v[17:18], v13
.LBB478_126:
	s_or_b32 exec_lo, exec_lo, s0
	v_dual_mov_b32 v16, 0 :: v_dual_add_nc_u32 v13, -1, v40
	s_delay_alu instid0(VALU_DEP_1) | instskip(SKIP_4) | instid1(VALU_DEP_3)
	v_cmp_gt_i32_e32 vcc_lo, 0, v13
	v_cndmask_b32_e32 v13, v13, v40, vcc_lo
	s_waitcnt lgkmcnt(0)
	v_add_co_u32 v14, vcc_lo, v17, v21
	v_add_co_ci_u32_e32 v15, vcc_lo, v18, v22, vcc_lo
	v_lshlrev_b32_e32 v13, 2, v13
	v_cmp_eq_u32_e32 vcc_lo, 0, v0
	ds_bpermute_b32 v19, v13, v14
	ds_bpermute_b32 v20, v13, v15
	ds_load_b64 v[13:14], v16 offset:88
	s_and_saveexec_b32 s0, vcc_lo
	s_cbranch_execz .LBB478_128
; %bb.127:
	s_add_u32 s2, s10, 0x200
	s_addc_u32 s3, s11, 0
	s_delay_alu instid0(SALU_CYCLE_1)
	v_dual_mov_b32 v15, 2 :: v_dual_mov_b32 v22, s3
	v_mov_b32_e32 v21, s2
	s_waitcnt lgkmcnt(0)
	;;#ASMSTART
	global_store_dwordx4 v[21:22], v[13:16] off	
s_waitcnt vmcnt(0)
	;;#ASMEND
.LBB478_128:
	s_or_b32 exec_lo, exec_lo, s0
	v_cmp_eq_u32_e64 s0, 0, v40
	s_waitcnt lgkmcnt(0)
	s_barrier
	buffer_gl0_inv
	v_cndmask_b32_e64 v15, v19, v17, s0
	v_cndmask_b32_e64 v16, v20, v18, s0
	s_delay_alu instid0(VALU_DEP_2) | instskip(NEXT) | instid1(VALU_DEP_2)
	v_cndmask_b32_e64 v29, v15, 0, vcc_lo
	v_cndmask_b32_e64 v30, v16, 0, vcc_lo
	v_mov_b32_e32 v15, 0
	v_mov_b32_e32 v16, 0
	s_delay_alu instid0(VALU_DEP_4) | instskip(NEXT) | instid1(VALU_DEP_4)
	v_add_co_u32 v27, vcc_lo, v29, v39
	v_add_co_ci_u32_e32 v28, vcc_lo, 0, v30, vcc_lo
	s_delay_alu instid0(VALU_DEP_2) | instskip(NEXT) | instid1(VALU_DEP_2)
	v_add_co_u32 v25, vcc_lo, v27, v38
	v_add_co_ci_u32_e32 v26, vcc_lo, 0, v28, vcc_lo
	s_delay_alu instid0(VALU_DEP_2) | instskip(NEXT) | instid1(VALU_DEP_2)
	v_add_co_u32 v23, vcc_lo, v25, v37
	v_add_co_ci_u32_e32 v24, vcc_lo, 0, v26, vcc_lo
	s_delay_alu instid0(VALU_DEP_2) | instskip(NEXT) | instid1(VALU_DEP_2)
	v_add_co_u32 v19, vcc_lo, v23, v34
	v_add_co_ci_u32_e32 v20, vcc_lo, 0, v24, vcc_lo
	s_delay_alu instid0(VALU_DEP_2) | instskip(NEXT) | instid1(VALU_DEP_2)
	v_add_co_u32 v17, vcc_lo, v19, v36
	v_add_co_ci_u32_e32 v18, vcc_lo, 0, v20, vcc_lo
.LBB478_129:
	s_waitcnt lgkmcnt(0)
	v_cmp_gt_u64_e32 vcc_lo, 0x181, v[13:14]
	v_lshrrev_b32_e32 v36, 8, v33
	v_lshrrev_b32_e32 v35, 16, v33
	s_mov_b32 s0, -1
	s_cbranch_vccnz .LBB478_133
; %bb.130:
	s_and_b32 vcc_lo, exec_lo, s0
	s_cbranch_vccnz .LBB478_152
.LBB478_131:
	v_cmp_eq_u32_e32 vcc_lo, 0, v0
	s_and_b32 s0, vcc_lo, s12
	s_delay_alu instid0(SALU_CYCLE_1)
	s_and_saveexec_b32 s1, s0
	s_cbranch_execnz .LBB478_168
.LBB478_132:
	s_nop 0
	s_sendmsg sendmsg(MSG_DEALLOC_VGPRS)
	s_endpgm
.LBB478_133:
	v_add_co_u32 v21, vcc_lo, v15, v13
	v_add_co_ci_u32_e32 v22, vcc_lo, v16, v14, vcc_lo
	s_lshl_b64 s[0:1], s[6:7], 3
	s_delay_alu instid0(SALU_CYCLE_1) | instskip(NEXT) | instid1(VALU_DEP_1)
	s_add_u32 s0, s8, s0
	v_cmp_lt_u64_e32 vcc_lo, v[29:30], v[21:22]
	s_addc_u32 s1, s9, s1
	s_or_b32 s3, s13, vcc_lo
	s_delay_alu instid0(SALU_CYCLE_1)
	s_and_saveexec_b32 s2, s3
	s_cbranch_execz .LBB478_136
; %bb.134:
	v_and_b32_e32 v37, 1, v33
	s_delay_alu instid0(VALU_DEP_1)
	v_cmp_eq_u32_e32 vcc_lo, 1, v37
	s_and_b32 exec_lo, exec_lo, vcc_lo
	s_cbranch_execz .LBB478_136
; %bb.135:
	v_lshlrev_b64 v[37:38], 3, v[29:30]
	s_delay_alu instid0(VALU_DEP_1) | instskip(NEXT) | instid1(VALU_DEP_2)
	v_add_co_u32 v37, vcc_lo, s0, v37
	v_add_co_ci_u32_e32 v38, vcc_lo, s1, v38, vcc_lo
	global_store_b64 v[37:38], v[9:10], off
.LBB478_136:
	s_or_b32 exec_lo, exec_lo, s2
	v_cmp_lt_u64_e32 vcc_lo, v[27:28], v[21:22]
	s_or_b32 s3, s13, vcc_lo
	s_delay_alu instid0(SALU_CYCLE_1)
	s_and_saveexec_b32 s2, s3
	s_cbranch_execz .LBB478_139
; %bb.137:
	v_and_b32_e32 v30, 1, v36
	s_delay_alu instid0(VALU_DEP_1)
	v_cmp_eq_u32_e32 vcc_lo, 1, v30
	s_and_b32 exec_lo, exec_lo, vcc_lo
	s_cbranch_execz .LBB478_139
; %bb.138:
	v_lshlrev_b64 v[37:38], 3, v[27:28]
	s_delay_alu instid0(VALU_DEP_1) | instskip(NEXT) | instid1(VALU_DEP_2)
	v_add_co_u32 v37, vcc_lo, s0, v37
	v_add_co_ci_u32_e32 v38, vcc_lo, s1, v38, vcc_lo
	global_store_b64 v[37:38], v[11:12], off
.LBB478_139:
	s_or_b32 exec_lo, exec_lo, s2
	v_cmp_lt_u64_e32 vcc_lo, v[25:26], v[21:22]
	;; [unrolled: 19-line block ×5, first 2 shown]
	s_or_b32 s3, s13, vcc_lo
	s_delay_alu instid0(SALU_CYCLE_1)
	s_and_saveexec_b32 s2, s3
	s_cbranch_execz .LBB478_151
; %bb.149:
	v_and_b32_e32 v20, 1, v31
	s_delay_alu instid0(VALU_DEP_1)
	v_cmp_eq_u32_e32 vcc_lo, 1, v20
	s_and_b32 exec_lo, exec_lo, vcc_lo
	s_cbranch_execz .LBB478_151
; %bb.150:
	v_lshlrev_b64 v[20:21], 3, v[17:18]
	s_delay_alu instid0(VALU_DEP_1) | instskip(NEXT) | instid1(VALU_DEP_2)
	v_add_co_u32 v20, vcc_lo, s0, v20
	v_add_co_ci_u32_e32 v21, vcc_lo, s1, v21, vcc_lo
	global_store_b64 v[20:21], v[3:4], off
.LBB478_151:
	s_or_b32 exec_lo, exec_lo, s2
	s_branch .LBB478_131
.LBB478_152:
	v_and_b32_e32 v18, 1, v33
	s_mov_b32 s0, exec_lo
	s_delay_alu instid0(VALU_DEP_1)
	v_cmpx_eq_u32_e32 1, v18
	s_cbranch_execz .LBB478_154
; %bb.153:
	v_sub_nc_u32_e32 v18, v29, v15
	s_delay_alu instid0(VALU_DEP_1)
	v_lshlrev_b32_e32 v18, 3, v18
	ds_store_b64 v18, v[9:10]
.LBB478_154:
	s_or_b32 exec_lo, exec_lo, s0
	v_and_b32_e32 v9, 1, v36
	s_mov_b32 s0, exec_lo
	s_delay_alu instid0(VALU_DEP_1)
	v_cmpx_eq_u32_e32 1, v9
	s_cbranch_execz .LBB478_156
; %bb.155:
	v_sub_nc_u32_e32 v9, v27, v15
	s_delay_alu instid0(VALU_DEP_1)
	v_lshlrev_b32_e32 v9, 3, v9
	ds_store_b64 v9, v[11:12]
.LBB478_156:
	s_or_b32 exec_lo, exec_lo, s0
	;; [unrolled: 12-line block ×6, first 2 shown]
	v_mov_b32_e32 v3, 0
	s_mov_b32 s1, exec_lo
	s_waitcnt lgkmcnt(0)
	s_waitcnt_vscnt null, 0x0
	s_barrier
	buffer_gl0_inv
	v_mov_b32_e32 v1, v3
	s_delay_alu instid0(VALU_DEP_1)
	v_cmpx_gt_u64_e64 v[13:14], v[0:1]
	s_cbranch_execz .LBB478_167
; %bb.165:
	v_lshlrev_b64 v[4:5], 3, v[15:16]
	s_lshl_b64 s[2:3], s[6:7], 3
	v_add_nc_u32_e32 v2, 0x180, v0
	s_delay_alu instid0(VALU_DEP_2) | instskip(NEXT) | instid1(VALU_DEP_3)
	v_add_co_u32 v4, vcc_lo, s8, v4
	v_add_co_ci_u32_e32 v5, vcc_lo, s9, v5, vcc_lo
	s_delay_alu instid0(VALU_DEP_2) | instskip(NEXT) | instid1(VALU_DEP_2)
	v_add_co_u32 v6, vcc_lo, v4, s2
	v_add_co_ci_u32_e32 v7, vcc_lo, s3, v5, vcc_lo
	v_dual_mov_b32 v5, v1 :: v_dual_mov_b32 v4, v0
	s_mov_b32 s2, 0
	.p2align	6
.LBB478_166:                            ; =>This Inner Loop Header: Depth=1
	s_delay_alu instid0(VALU_DEP_1) | instskip(NEXT) | instid1(VALU_DEP_2)
	v_lshlrev_b32_e32 v1, 3, v4
	v_lshlrev_b64 v[10:11], 3, v[4:5]
	v_dual_mov_b32 v5, v3 :: v_dual_mov_b32 v4, v2
	v_cmp_le_u64_e32 vcc_lo, v[13:14], v[2:3]
	v_add_nc_u32_e32 v2, 0x180, v2
	ds_load_b64 v[8:9], v1
	v_add_co_u32 v10, s0, v6, v10
	s_delay_alu instid0(VALU_DEP_1)
	v_add_co_ci_u32_e64 v11, s0, v7, v11, s0
	s_or_b32 s2, vcc_lo, s2
	s_waitcnt lgkmcnt(0)
	global_store_b64 v[10:11], v[8:9], off
	s_and_not1_b32 exec_lo, exec_lo, s2
	s_cbranch_execnz .LBB478_166
.LBB478_167:
	s_or_b32 exec_lo, exec_lo, s1
	v_cmp_eq_u32_e32 vcc_lo, 0, v0
	s_and_b32 s0, vcc_lo, s12
	s_delay_alu instid0(SALU_CYCLE_1)
	s_and_saveexec_b32 s1, s0
	s_cbranch_execz .LBB478_132
.LBB478_168:
	v_add_co_u32 v0, vcc_lo, v15, v13
	v_add_co_ci_u32_e32 v1, vcc_lo, v16, v14, vcc_lo
	v_mov_b32_e32 v2, 0
	s_delay_alu instid0(VALU_DEP_3) | instskip(NEXT) | instid1(VALU_DEP_3)
	v_add_co_u32 v0, vcc_lo, v0, s6
	v_add_co_ci_u32_e32 v1, vcc_lo, s7, v1, vcc_lo
	global_store_b64 v2, v[0:1], s[4:5]
	s_nop 0
	s_sendmsg sendmsg(MSG_DEALLOC_VGPRS)
	s_endpgm
	.section	.rodata,"a",@progbits
	.p2align	6, 0x0
	.amdhsa_kernel _ZN7rocprim17ROCPRIM_400000_NS6detail17trampoline_kernelINS0_14default_configENS1_25partition_config_selectorILNS1_17partition_subalgoE6EyNS0_10empty_typeEbEEZZNS1_14partition_implILS5_6ELb0ES3_mN6thrust23THRUST_200600_302600_NS6detail15normal_iteratorINSA_10device_ptrIyEEEEPS6_SG_NS0_5tupleIJSF_S6_EEENSH_IJSG_SG_EEES6_PlJ5mod_3IyEEEE10hipError_tPvRmT3_T4_T5_T6_T7_T9_mT8_P12ihipStream_tbDpT10_ENKUlT_T0_E_clISt17integral_constantIbLb1EES15_IbLb0EEEEDaS11_S12_EUlS11_E_NS1_11comp_targetILNS1_3genE9ELNS1_11target_archE1100ELNS1_3gpuE3ELNS1_3repE0EEENS1_30default_config_static_selectorELNS0_4arch9wavefront6targetE0EEEvT1_
		.amdhsa_group_segment_fixed_size 18448
		.amdhsa_private_segment_fixed_size 0
		.amdhsa_kernarg_size 112
		.amdhsa_user_sgpr_count 15
		.amdhsa_user_sgpr_dispatch_ptr 0
		.amdhsa_user_sgpr_queue_ptr 0
		.amdhsa_user_sgpr_kernarg_segment_ptr 1
		.amdhsa_user_sgpr_dispatch_id 0
		.amdhsa_user_sgpr_private_segment_size 0
		.amdhsa_wavefront_size32 1
		.amdhsa_uses_dynamic_stack 0
		.amdhsa_enable_private_segment 0
		.amdhsa_system_sgpr_workgroup_id_x 1
		.amdhsa_system_sgpr_workgroup_id_y 0
		.amdhsa_system_sgpr_workgroup_id_z 0
		.amdhsa_system_sgpr_workgroup_info 0
		.amdhsa_system_vgpr_workitem_id 0
		.amdhsa_next_free_vgpr 54
		.amdhsa_next_free_sgpr 19
		.amdhsa_reserve_vcc 1
		.amdhsa_float_round_mode_32 0
		.amdhsa_float_round_mode_16_64 0
		.amdhsa_float_denorm_mode_32 3
		.amdhsa_float_denorm_mode_16_64 3
		.amdhsa_dx10_clamp 1
		.amdhsa_ieee_mode 1
		.amdhsa_fp16_overflow 0
		.amdhsa_workgroup_processor_mode 1
		.amdhsa_memory_ordered 1
		.amdhsa_forward_progress 0
		.amdhsa_shared_vgpr_count 0
		.amdhsa_exception_fp_ieee_invalid_op 0
		.amdhsa_exception_fp_denorm_src 0
		.amdhsa_exception_fp_ieee_div_zero 0
		.amdhsa_exception_fp_ieee_overflow 0
		.amdhsa_exception_fp_ieee_underflow 0
		.amdhsa_exception_fp_ieee_inexact 0
		.amdhsa_exception_int_div_zero 0
	.end_amdhsa_kernel
	.section	.text._ZN7rocprim17ROCPRIM_400000_NS6detail17trampoline_kernelINS0_14default_configENS1_25partition_config_selectorILNS1_17partition_subalgoE6EyNS0_10empty_typeEbEEZZNS1_14partition_implILS5_6ELb0ES3_mN6thrust23THRUST_200600_302600_NS6detail15normal_iteratorINSA_10device_ptrIyEEEEPS6_SG_NS0_5tupleIJSF_S6_EEENSH_IJSG_SG_EEES6_PlJ5mod_3IyEEEE10hipError_tPvRmT3_T4_T5_T6_T7_T9_mT8_P12ihipStream_tbDpT10_ENKUlT_T0_E_clISt17integral_constantIbLb1EES15_IbLb0EEEEDaS11_S12_EUlS11_E_NS1_11comp_targetILNS1_3genE9ELNS1_11target_archE1100ELNS1_3gpuE3ELNS1_3repE0EEENS1_30default_config_static_selectorELNS0_4arch9wavefront6targetE0EEEvT1_,"axG",@progbits,_ZN7rocprim17ROCPRIM_400000_NS6detail17trampoline_kernelINS0_14default_configENS1_25partition_config_selectorILNS1_17partition_subalgoE6EyNS0_10empty_typeEbEEZZNS1_14partition_implILS5_6ELb0ES3_mN6thrust23THRUST_200600_302600_NS6detail15normal_iteratorINSA_10device_ptrIyEEEEPS6_SG_NS0_5tupleIJSF_S6_EEENSH_IJSG_SG_EEES6_PlJ5mod_3IyEEEE10hipError_tPvRmT3_T4_T5_T6_T7_T9_mT8_P12ihipStream_tbDpT10_ENKUlT_T0_E_clISt17integral_constantIbLb1EES15_IbLb0EEEEDaS11_S12_EUlS11_E_NS1_11comp_targetILNS1_3genE9ELNS1_11target_archE1100ELNS1_3gpuE3ELNS1_3repE0EEENS1_30default_config_static_selectorELNS0_4arch9wavefront6targetE0EEEvT1_,comdat
.Lfunc_end478:
	.size	_ZN7rocprim17ROCPRIM_400000_NS6detail17trampoline_kernelINS0_14default_configENS1_25partition_config_selectorILNS1_17partition_subalgoE6EyNS0_10empty_typeEbEEZZNS1_14partition_implILS5_6ELb0ES3_mN6thrust23THRUST_200600_302600_NS6detail15normal_iteratorINSA_10device_ptrIyEEEEPS6_SG_NS0_5tupleIJSF_S6_EEENSH_IJSG_SG_EEES6_PlJ5mod_3IyEEEE10hipError_tPvRmT3_T4_T5_T6_T7_T9_mT8_P12ihipStream_tbDpT10_ENKUlT_T0_E_clISt17integral_constantIbLb1EES15_IbLb0EEEEDaS11_S12_EUlS11_E_NS1_11comp_targetILNS1_3genE9ELNS1_11target_archE1100ELNS1_3gpuE3ELNS1_3repE0EEENS1_30default_config_static_selectorELNS0_4arch9wavefront6targetE0EEEvT1_, .Lfunc_end478-_ZN7rocprim17ROCPRIM_400000_NS6detail17trampoline_kernelINS0_14default_configENS1_25partition_config_selectorILNS1_17partition_subalgoE6EyNS0_10empty_typeEbEEZZNS1_14partition_implILS5_6ELb0ES3_mN6thrust23THRUST_200600_302600_NS6detail15normal_iteratorINSA_10device_ptrIyEEEEPS6_SG_NS0_5tupleIJSF_S6_EEENSH_IJSG_SG_EEES6_PlJ5mod_3IyEEEE10hipError_tPvRmT3_T4_T5_T6_T7_T9_mT8_P12ihipStream_tbDpT10_ENKUlT_T0_E_clISt17integral_constantIbLb1EES15_IbLb0EEEEDaS11_S12_EUlS11_E_NS1_11comp_targetILNS1_3genE9ELNS1_11target_archE1100ELNS1_3gpuE3ELNS1_3repE0EEENS1_30default_config_static_selectorELNS0_4arch9wavefront6targetE0EEEvT1_
                                        ; -- End function
	.section	.AMDGPU.csdata,"",@progbits
; Kernel info:
; codeLenInByte = 6972
; NumSgprs: 21
; NumVgprs: 54
; ScratchSize: 0
; MemoryBound: 0
; FloatMode: 240
; IeeeMode: 1
; LDSByteSize: 18448 bytes/workgroup (compile time only)
; SGPRBlocks: 2
; VGPRBlocks: 6
; NumSGPRsForWavesPerEU: 21
; NumVGPRsForWavesPerEU: 54
; Occupancy: 15
; WaveLimiterHint : 1
; COMPUTE_PGM_RSRC2:SCRATCH_EN: 0
; COMPUTE_PGM_RSRC2:USER_SGPR: 15
; COMPUTE_PGM_RSRC2:TRAP_HANDLER: 0
; COMPUTE_PGM_RSRC2:TGID_X_EN: 1
; COMPUTE_PGM_RSRC2:TGID_Y_EN: 0
; COMPUTE_PGM_RSRC2:TGID_Z_EN: 0
; COMPUTE_PGM_RSRC2:TIDIG_COMP_CNT: 0
	.section	.text._ZN7rocprim17ROCPRIM_400000_NS6detail17trampoline_kernelINS0_14default_configENS1_25partition_config_selectorILNS1_17partition_subalgoE6EyNS0_10empty_typeEbEEZZNS1_14partition_implILS5_6ELb0ES3_mN6thrust23THRUST_200600_302600_NS6detail15normal_iteratorINSA_10device_ptrIyEEEEPS6_SG_NS0_5tupleIJSF_S6_EEENSH_IJSG_SG_EEES6_PlJ5mod_3IyEEEE10hipError_tPvRmT3_T4_T5_T6_T7_T9_mT8_P12ihipStream_tbDpT10_ENKUlT_T0_E_clISt17integral_constantIbLb1EES15_IbLb0EEEEDaS11_S12_EUlS11_E_NS1_11comp_targetILNS1_3genE8ELNS1_11target_archE1030ELNS1_3gpuE2ELNS1_3repE0EEENS1_30default_config_static_selectorELNS0_4arch9wavefront6targetE0EEEvT1_,"axG",@progbits,_ZN7rocprim17ROCPRIM_400000_NS6detail17trampoline_kernelINS0_14default_configENS1_25partition_config_selectorILNS1_17partition_subalgoE6EyNS0_10empty_typeEbEEZZNS1_14partition_implILS5_6ELb0ES3_mN6thrust23THRUST_200600_302600_NS6detail15normal_iteratorINSA_10device_ptrIyEEEEPS6_SG_NS0_5tupleIJSF_S6_EEENSH_IJSG_SG_EEES6_PlJ5mod_3IyEEEE10hipError_tPvRmT3_T4_T5_T6_T7_T9_mT8_P12ihipStream_tbDpT10_ENKUlT_T0_E_clISt17integral_constantIbLb1EES15_IbLb0EEEEDaS11_S12_EUlS11_E_NS1_11comp_targetILNS1_3genE8ELNS1_11target_archE1030ELNS1_3gpuE2ELNS1_3repE0EEENS1_30default_config_static_selectorELNS0_4arch9wavefront6targetE0EEEvT1_,comdat
	.protected	_ZN7rocprim17ROCPRIM_400000_NS6detail17trampoline_kernelINS0_14default_configENS1_25partition_config_selectorILNS1_17partition_subalgoE6EyNS0_10empty_typeEbEEZZNS1_14partition_implILS5_6ELb0ES3_mN6thrust23THRUST_200600_302600_NS6detail15normal_iteratorINSA_10device_ptrIyEEEEPS6_SG_NS0_5tupleIJSF_S6_EEENSH_IJSG_SG_EEES6_PlJ5mod_3IyEEEE10hipError_tPvRmT3_T4_T5_T6_T7_T9_mT8_P12ihipStream_tbDpT10_ENKUlT_T0_E_clISt17integral_constantIbLb1EES15_IbLb0EEEEDaS11_S12_EUlS11_E_NS1_11comp_targetILNS1_3genE8ELNS1_11target_archE1030ELNS1_3gpuE2ELNS1_3repE0EEENS1_30default_config_static_selectorELNS0_4arch9wavefront6targetE0EEEvT1_ ; -- Begin function _ZN7rocprim17ROCPRIM_400000_NS6detail17trampoline_kernelINS0_14default_configENS1_25partition_config_selectorILNS1_17partition_subalgoE6EyNS0_10empty_typeEbEEZZNS1_14partition_implILS5_6ELb0ES3_mN6thrust23THRUST_200600_302600_NS6detail15normal_iteratorINSA_10device_ptrIyEEEEPS6_SG_NS0_5tupleIJSF_S6_EEENSH_IJSG_SG_EEES6_PlJ5mod_3IyEEEE10hipError_tPvRmT3_T4_T5_T6_T7_T9_mT8_P12ihipStream_tbDpT10_ENKUlT_T0_E_clISt17integral_constantIbLb1EES15_IbLb0EEEEDaS11_S12_EUlS11_E_NS1_11comp_targetILNS1_3genE8ELNS1_11target_archE1030ELNS1_3gpuE2ELNS1_3repE0EEENS1_30default_config_static_selectorELNS0_4arch9wavefront6targetE0EEEvT1_
	.globl	_ZN7rocprim17ROCPRIM_400000_NS6detail17trampoline_kernelINS0_14default_configENS1_25partition_config_selectorILNS1_17partition_subalgoE6EyNS0_10empty_typeEbEEZZNS1_14partition_implILS5_6ELb0ES3_mN6thrust23THRUST_200600_302600_NS6detail15normal_iteratorINSA_10device_ptrIyEEEEPS6_SG_NS0_5tupleIJSF_S6_EEENSH_IJSG_SG_EEES6_PlJ5mod_3IyEEEE10hipError_tPvRmT3_T4_T5_T6_T7_T9_mT8_P12ihipStream_tbDpT10_ENKUlT_T0_E_clISt17integral_constantIbLb1EES15_IbLb0EEEEDaS11_S12_EUlS11_E_NS1_11comp_targetILNS1_3genE8ELNS1_11target_archE1030ELNS1_3gpuE2ELNS1_3repE0EEENS1_30default_config_static_selectorELNS0_4arch9wavefront6targetE0EEEvT1_
	.p2align	8
	.type	_ZN7rocprim17ROCPRIM_400000_NS6detail17trampoline_kernelINS0_14default_configENS1_25partition_config_selectorILNS1_17partition_subalgoE6EyNS0_10empty_typeEbEEZZNS1_14partition_implILS5_6ELb0ES3_mN6thrust23THRUST_200600_302600_NS6detail15normal_iteratorINSA_10device_ptrIyEEEEPS6_SG_NS0_5tupleIJSF_S6_EEENSH_IJSG_SG_EEES6_PlJ5mod_3IyEEEE10hipError_tPvRmT3_T4_T5_T6_T7_T9_mT8_P12ihipStream_tbDpT10_ENKUlT_T0_E_clISt17integral_constantIbLb1EES15_IbLb0EEEEDaS11_S12_EUlS11_E_NS1_11comp_targetILNS1_3genE8ELNS1_11target_archE1030ELNS1_3gpuE2ELNS1_3repE0EEENS1_30default_config_static_selectorELNS0_4arch9wavefront6targetE0EEEvT1_,@function
_ZN7rocprim17ROCPRIM_400000_NS6detail17trampoline_kernelINS0_14default_configENS1_25partition_config_selectorILNS1_17partition_subalgoE6EyNS0_10empty_typeEbEEZZNS1_14partition_implILS5_6ELb0ES3_mN6thrust23THRUST_200600_302600_NS6detail15normal_iteratorINSA_10device_ptrIyEEEEPS6_SG_NS0_5tupleIJSF_S6_EEENSH_IJSG_SG_EEES6_PlJ5mod_3IyEEEE10hipError_tPvRmT3_T4_T5_T6_T7_T9_mT8_P12ihipStream_tbDpT10_ENKUlT_T0_E_clISt17integral_constantIbLb1EES15_IbLb0EEEEDaS11_S12_EUlS11_E_NS1_11comp_targetILNS1_3genE8ELNS1_11target_archE1030ELNS1_3gpuE2ELNS1_3repE0EEENS1_30default_config_static_selectorELNS0_4arch9wavefront6targetE0EEEvT1_: ; @_ZN7rocprim17ROCPRIM_400000_NS6detail17trampoline_kernelINS0_14default_configENS1_25partition_config_selectorILNS1_17partition_subalgoE6EyNS0_10empty_typeEbEEZZNS1_14partition_implILS5_6ELb0ES3_mN6thrust23THRUST_200600_302600_NS6detail15normal_iteratorINSA_10device_ptrIyEEEEPS6_SG_NS0_5tupleIJSF_S6_EEENSH_IJSG_SG_EEES6_PlJ5mod_3IyEEEE10hipError_tPvRmT3_T4_T5_T6_T7_T9_mT8_P12ihipStream_tbDpT10_ENKUlT_T0_E_clISt17integral_constantIbLb1EES15_IbLb0EEEEDaS11_S12_EUlS11_E_NS1_11comp_targetILNS1_3genE8ELNS1_11target_archE1030ELNS1_3gpuE2ELNS1_3repE0EEENS1_30default_config_static_selectorELNS0_4arch9wavefront6targetE0EEEvT1_
; %bb.0:
	.section	.rodata,"a",@progbits
	.p2align	6, 0x0
	.amdhsa_kernel _ZN7rocprim17ROCPRIM_400000_NS6detail17trampoline_kernelINS0_14default_configENS1_25partition_config_selectorILNS1_17partition_subalgoE6EyNS0_10empty_typeEbEEZZNS1_14partition_implILS5_6ELb0ES3_mN6thrust23THRUST_200600_302600_NS6detail15normal_iteratorINSA_10device_ptrIyEEEEPS6_SG_NS0_5tupleIJSF_S6_EEENSH_IJSG_SG_EEES6_PlJ5mod_3IyEEEE10hipError_tPvRmT3_T4_T5_T6_T7_T9_mT8_P12ihipStream_tbDpT10_ENKUlT_T0_E_clISt17integral_constantIbLb1EES15_IbLb0EEEEDaS11_S12_EUlS11_E_NS1_11comp_targetILNS1_3genE8ELNS1_11target_archE1030ELNS1_3gpuE2ELNS1_3repE0EEENS1_30default_config_static_selectorELNS0_4arch9wavefront6targetE0EEEvT1_
		.amdhsa_group_segment_fixed_size 0
		.amdhsa_private_segment_fixed_size 0
		.amdhsa_kernarg_size 112
		.amdhsa_user_sgpr_count 15
		.amdhsa_user_sgpr_dispatch_ptr 0
		.amdhsa_user_sgpr_queue_ptr 0
		.amdhsa_user_sgpr_kernarg_segment_ptr 1
		.amdhsa_user_sgpr_dispatch_id 0
		.amdhsa_user_sgpr_private_segment_size 0
		.amdhsa_wavefront_size32 1
		.amdhsa_uses_dynamic_stack 0
		.amdhsa_enable_private_segment 0
		.amdhsa_system_sgpr_workgroup_id_x 1
		.amdhsa_system_sgpr_workgroup_id_y 0
		.amdhsa_system_sgpr_workgroup_id_z 0
		.amdhsa_system_sgpr_workgroup_info 0
		.amdhsa_system_vgpr_workitem_id 0
		.amdhsa_next_free_vgpr 1
		.amdhsa_next_free_sgpr 1
		.amdhsa_reserve_vcc 0
		.amdhsa_float_round_mode_32 0
		.amdhsa_float_round_mode_16_64 0
		.amdhsa_float_denorm_mode_32 3
		.amdhsa_float_denorm_mode_16_64 3
		.amdhsa_dx10_clamp 1
		.amdhsa_ieee_mode 1
		.amdhsa_fp16_overflow 0
		.amdhsa_workgroup_processor_mode 1
		.amdhsa_memory_ordered 1
		.amdhsa_forward_progress 0
		.amdhsa_shared_vgpr_count 0
		.amdhsa_exception_fp_ieee_invalid_op 0
		.amdhsa_exception_fp_denorm_src 0
		.amdhsa_exception_fp_ieee_div_zero 0
		.amdhsa_exception_fp_ieee_overflow 0
		.amdhsa_exception_fp_ieee_underflow 0
		.amdhsa_exception_fp_ieee_inexact 0
		.amdhsa_exception_int_div_zero 0
	.end_amdhsa_kernel
	.section	.text._ZN7rocprim17ROCPRIM_400000_NS6detail17trampoline_kernelINS0_14default_configENS1_25partition_config_selectorILNS1_17partition_subalgoE6EyNS0_10empty_typeEbEEZZNS1_14partition_implILS5_6ELb0ES3_mN6thrust23THRUST_200600_302600_NS6detail15normal_iteratorINSA_10device_ptrIyEEEEPS6_SG_NS0_5tupleIJSF_S6_EEENSH_IJSG_SG_EEES6_PlJ5mod_3IyEEEE10hipError_tPvRmT3_T4_T5_T6_T7_T9_mT8_P12ihipStream_tbDpT10_ENKUlT_T0_E_clISt17integral_constantIbLb1EES15_IbLb0EEEEDaS11_S12_EUlS11_E_NS1_11comp_targetILNS1_3genE8ELNS1_11target_archE1030ELNS1_3gpuE2ELNS1_3repE0EEENS1_30default_config_static_selectorELNS0_4arch9wavefront6targetE0EEEvT1_,"axG",@progbits,_ZN7rocprim17ROCPRIM_400000_NS6detail17trampoline_kernelINS0_14default_configENS1_25partition_config_selectorILNS1_17partition_subalgoE6EyNS0_10empty_typeEbEEZZNS1_14partition_implILS5_6ELb0ES3_mN6thrust23THRUST_200600_302600_NS6detail15normal_iteratorINSA_10device_ptrIyEEEEPS6_SG_NS0_5tupleIJSF_S6_EEENSH_IJSG_SG_EEES6_PlJ5mod_3IyEEEE10hipError_tPvRmT3_T4_T5_T6_T7_T9_mT8_P12ihipStream_tbDpT10_ENKUlT_T0_E_clISt17integral_constantIbLb1EES15_IbLb0EEEEDaS11_S12_EUlS11_E_NS1_11comp_targetILNS1_3genE8ELNS1_11target_archE1030ELNS1_3gpuE2ELNS1_3repE0EEENS1_30default_config_static_selectorELNS0_4arch9wavefront6targetE0EEEvT1_,comdat
.Lfunc_end479:
	.size	_ZN7rocprim17ROCPRIM_400000_NS6detail17trampoline_kernelINS0_14default_configENS1_25partition_config_selectorILNS1_17partition_subalgoE6EyNS0_10empty_typeEbEEZZNS1_14partition_implILS5_6ELb0ES3_mN6thrust23THRUST_200600_302600_NS6detail15normal_iteratorINSA_10device_ptrIyEEEEPS6_SG_NS0_5tupleIJSF_S6_EEENSH_IJSG_SG_EEES6_PlJ5mod_3IyEEEE10hipError_tPvRmT3_T4_T5_T6_T7_T9_mT8_P12ihipStream_tbDpT10_ENKUlT_T0_E_clISt17integral_constantIbLb1EES15_IbLb0EEEEDaS11_S12_EUlS11_E_NS1_11comp_targetILNS1_3genE8ELNS1_11target_archE1030ELNS1_3gpuE2ELNS1_3repE0EEENS1_30default_config_static_selectorELNS0_4arch9wavefront6targetE0EEEvT1_, .Lfunc_end479-_ZN7rocprim17ROCPRIM_400000_NS6detail17trampoline_kernelINS0_14default_configENS1_25partition_config_selectorILNS1_17partition_subalgoE6EyNS0_10empty_typeEbEEZZNS1_14partition_implILS5_6ELb0ES3_mN6thrust23THRUST_200600_302600_NS6detail15normal_iteratorINSA_10device_ptrIyEEEEPS6_SG_NS0_5tupleIJSF_S6_EEENSH_IJSG_SG_EEES6_PlJ5mod_3IyEEEE10hipError_tPvRmT3_T4_T5_T6_T7_T9_mT8_P12ihipStream_tbDpT10_ENKUlT_T0_E_clISt17integral_constantIbLb1EES15_IbLb0EEEEDaS11_S12_EUlS11_E_NS1_11comp_targetILNS1_3genE8ELNS1_11target_archE1030ELNS1_3gpuE2ELNS1_3repE0EEENS1_30default_config_static_selectorELNS0_4arch9wavefront6targetE0EEEvT1_
                                        ; -- End function
	.section	.AMDGPU.csdata,"",@progbits
; Kernel info:
; codeLenInByte = 0
; NumSgprs: 0
; NumVgprs: 0
; ScratchSize: 0
; MemoryBound: 0
; FloatMode: 240
; IeeeMode: 1
; LDSByteSize: 0 bytes/workgroup (compile time only)
; SGPRBlocks: 0
; VGPRBlocks: 0
; NumSGPRsForWavesPerEU: 1
; NumVGPRsForWavesPerEU: 1
; Occupancy: 16
; WaveLimiterHint : 0
; COMPUTE_PGM_RSRC2:SCRATCH_EN: 0
; COMPUTE_PGM_RSRC2:USER_SGPR: 15
; COMPUTE_PGM_RSRC2:TRAP_HANDLER: 0
; COMPUTE_PGM_RSRC2:TGID_X_EN: 1
; COMPUTE_PGM_RSRC2:TGID_Y_EN: 0
; COMPUTE_PGM_RSRC2:TGID_Z_EN: 0
; COMPUTE_PGM_RSRC2:TIDIG_COMP_CNT: 0
	.section	.text._ZN7rocprim17ROCPRIM_400000_NS6detail17trampoline_kernelINS0_14default_configENS1_25partition_config_selectorILNS1_17partition_subalgoE6EyNS0_10empty_typeEbEEZZNS1_14partition_implILS5_6ELb0ES3_mN6thrust23THRUST_200600_302600_NS6detail15normal_iteratorINSA_10device_ptrIyEEEEPS6_SG_NS0_5tupleIJSF_S6_EEENSH_IJSG_SG_EEES6_PlJ5mod_3IyEEEE10hipError_tPvRmT3_T4_T5_T6_T7_T9_mT8_P12ihipStream_tbDpT10_ENKUlT_T0_E_clISt17integral_constantIbLb0EES15_IbLb1EEEEDaS11_S12_EUlS11_E_NS1_11comp_targetILNS1_3genE0ELNS1_11target_archE4294967295ELNS1_3gpuE0ELNS1_3repE0EEENS1_30default_config_static_selectorELNS0_4arch9wavefront6targetE0EEEvT1_,"axG",@progbits,_ZN7rocprim17ROCPRIM_400000_NS6detail17trampoline_kernelINS0_14default_configENS1_25partition_config_selectorILNS1_17partition_subalgoE6EyNS0_10empty_typeEbEEZZNS1_14partition_implILS5_6ELb0ES3_mN6thrust23THRUST_200600_302600_NS6detail15normal_iteratorINSA_10device_ptrIyEEEEPS6_SG_NS0_5tupleIJSF_S6_EEENSH_IJSG_SG_EEES6_PlJ5mod_3IyEEEE10hipError_tPvRmT3_T4_T5_T6_T7_T9_mT8_P12ihipStream_tbDpT10_ENKUlT_T0_E_clISt17integral_constantIbLb0EES15_IbLb1EEEEDaS11_S12_EUlS11_E_NS1_11comp_targetILNS1_3genE0ELNS1_11target_archE4294967295ELNS1_3gpuE0ELNS1_3repE0EEENS1_30default_config_static_selectorELNS0_4arch9wavefront6targetE0EEEvT1_,comdat
	.protected	_ZN7rocprim17ROCPRIM_400000_NS6detail17trampoline_kernelINS0_14default_configENS1_25partition_config_selectorILNS1_17partition_subalgoE6EyNS0_10empty_typeEbEEZZNS1_14partition_implILS5_6ELb0ES3_mN6thrust23THRUST_200600_302600_NS6detail15normal_iteratorINSA_10device_ptrIyEEEEPS6_SG_NS0_5tupleIJSF_S6_EEENSH_IJSG_SG_EEES6_PlJ5mod_3IyEEEE10hipError_tPvRmT3_T4_T5_T6_T7_T9_mT8_P12ihipStream_tbDpT10_ENKUlT_T0_E_clISt17integral_constantIbLb0EES15_IbLb1EEEEDaS11_S12_EUlS11_E_NS1_11comp_targetILNS1_3genE0ELNS1_11target_archE4294967295ELNS1_3gpuE0ELNS1_3repE0EEENS1_30default_config_static_selectorELNS0_4arch9wavefront6targetE0EEEvT1_ ; -- Begin function _ZN7rocprim17ROCPRIM_400000_NS6detail17trampoline_kernelINS0_14default_configENS1_25partition_config_selectorILNS1_17partition_subalgoE6EyNS0_10empty_typeEbEEZZNS1_14partition_implILS5_6ELb0ES3_mN6thrust23THRUST_200600_302600_NS6detail15normal_iteratorINSA_10device_ptrIyEEEEPS6_SG_NS0_5tupleIJSF_S6_EEENSH_IJSG_SG_EEES6_PlJ5mod_3IyEEEE10hipError_tPvRmT3_T4_T5_T6_T7_T9_mT8_P12ihipStream_tbDpT10_ENKUlT_T0_E_clISt17integral_constantIbLb0EES15_IbLb1EEEEDaS11_S12_EUlS11_E_NS1_11comp_targetILNS1_3genE0ELNS1_11target_archE4294967295ELNS1_3gpuE0ELNS1_3repE0EEENS1_30default_config_static_selectorELNS0_4arch9wavefront6targetE0EEEvT1_
	.globl	_ZN7rocprim17ROCPRIM_400000_NS6detail17trampoline_kernelINS0_14default_configENS1_25partition_config_selectorILNS1_17partition_subalgoE6EyNS0_10empty_typeEbEEZZNS1_14partition_implILS5_6ELb0ES3_mN6thrust23THRUST_200600_302600_NS6detail15normal_iteratorINSA_10device_ptrIyEEEEPS6_SG_NS0_5tupleIJSF_S6_EEENSH_IJSG_SG_EEES6_PlJ5mod_3IyEEEE10hipError_tPvRmT3_T4_T5_T6_T7_T9_mT8_P12ihipStream_tbDpT10_ENKUlT_T0_E_clISt17integral_constantIbLb0EES15_IbLb1EEEEDaS11_S12_EUlS11_E_NS1_11comp_targetILNS1_3genE0ELNS1_11target_archE4294967295ELNS1_3gpuE0ELNS1_3repE0EEENS1_30default_config_static_selectorELNS0_4arch9wavefront6targetE0EEEvT1_
	.p2align	8
	.type	_ZN7rocprim17ROCPRIM_400000_NS6detail17trampoline_kernelINS0_14default_configENS1_25partition_config_selectorILNS1_17partition_subalgoE6EyNS0_10empty_typeEbEEZZNS1_14partition_implILS5_6ELb0ES3_mN6thrust23THRUST_200600_302600_NS6detail15normal_iteratorINSA_10device_ptrIyEEEEPS6_SG_NS0_5tupleIJSF_S6_EEENSH_IJSG_SG_EEES6_PlJ5mod_3IyEEEE10hipError_tPvRmT3_T4_T5_T6_T7_T9_mT8_P12ihipStream_tbDpT10_ENKUlT_T0_E_clISt17integral_constantIbLb0EES15_IbLb1EEEEDaS11_S12_EUlS11_E_NS1_11comp_targetILNS1_3genE0ELNS1_11target_archE4294967295ELNS1_3gpuE0ELNS1_3repE0EEENS1_30default_config_static_selectorELNS0_4arch9wavefront6targetE0EEEvT1_,@function
_ZN7rocprim17ROCPRIM_400000_NS6detail17trampoline_kernelINS0_14default_configENS1_25partition_config_selectorILNS1_17partition_subalgoE6EyNS0_10empty_typeEbEEZZNS1_14partition_implILS5_6ELb0ES3_mN6thrust23THRUST_200600_302600_NS6detail15normal_iteratorINSA_10device_ptrIyEEEEPS6_SG_NS0_5tupleIJSF_S6_EEENSH_IJSG_SG_EEES6_PlJ5mod_3IyEEEE10hipError_tPvRmT3_T4_T5_T6_T7_T9_mT8_P12ihipStream_tbDpT10_ENKUlT_T0_E_clISt17integral_constantIbLb0EES15_IbLb1EEEEDaS11_S12_EUlS11_E_NS1_11comp_targetILNS1_3genE0ELNS1_11target_archE4294967295ELNS1_3gpuE0ELNS1_3repE0EEENS1_30default_config_static_selectorELNS0_4arch9wavefront6targetE0EEEvT1_: ; @_ZN7rocprim17ROCPRIM_400000_NS6detail17trampoline_kernelINS0_14default_configENS1_25partition_config_selectorILNS1_17partition_subalgoE6EyNS0_10empty_typeEbEEZZNS1_14partition_implILS5_6ELb0ES3_mN6thrust23THRUST_200600_302600_NS6detail15normal_iteratorINSA_10device_ptrIyEEEEPS6_SG_NS0_5tupleIJSF_S6_EEENSH_IJSG_SG_EEES6_PlJ5mod_3IyEEEE10hipError_tPvRmT3_T4_T5_T6_T7_T9_mT8_P12ihipStream_tbDpT10_ENKUlT_T0_E_clISt17integral_constantIbLb0EES15_IbLb1EEEEDaS11_S12_EUlS11_E_NS1_11comp_targetILNS1_3genE0ELNS1_11target_archE4294967295ELNS1_3gpuE0ELNS1_3repE0EEENS1_30default_config_static_selectorELNS0_4arch9wavefront6targetE0EEEvT1_
; %bb.0:
	.section	.rodata,"a",@progbits
	.p2align	6, 0x0
	.amdhsa_kernel _ZN7rocprim17ROCPRIM_400000_NS6detail17trampoline_kernelINS0_14default_configENS1_25partition_config_selectorILNS1_17partition_subalgoE6EyNS0_10empty_typeEbEEZZNS1_14partition_implILS5_6ELb0ES3_mN6thrust23THRUST_200600_302600_NS6detail15normal_iteratorINSA_10device_ptrIyEEEEPS6_SG_NS0_5tupleIJSF_S6_EEENSH_IJSG_SG_EEES6_PlJ5mod_3IyEEEE10hipError_tPvRmT3_T4_T5_T6_T7_T9_mT8_P12ihipStream_tbDpT10_ENKUlT_T0_E_clISt17integral_constantIbLb0EES15_IbLb1EEEEDaS11_S12_EUlS11_E_NS1_11comp_targetILNS1_3genE0ELNS1_11target_archE4294967295ELNS1_3gpuE0ELNS1_3repE0EEENS1_30default_config_static_selectorELNS0_4arch9wavefront6targetE0EEEvT1_
		.amdhsa_group_segment_fixed_size 0
		.amdhsa_private_segment_fixed_size 0
		.amdhsa_kernarg_size 128
		.amdhsa_user_sgpr_count 15
		.amdhsa_user_sgpr_dispatch_ptr 0
		.amdhsa_user_sgpr_queue_ptr 0
		.amdhsa_user_sgpr_kernarg_segment_ptr 1
		.amdhsa_user_sgpr_dispatch_id 0
		.amdhsa_user_sgpr_private_segment_size 0
		.amdhsa_wavefront_size32 1
		.amdhsa_uses_dynamic_stack 0
		.amdhsa_enable_private_segment 0
		.amdhsa_system_sgpr_workgroup_id_x 1
		.amdhsa_system_sgpr_workgroup_id_y 0
		.amdhsa_system_sgpr_workgroup_id_z 0
		.amdhsa_system_sgpr_workgroup_info 0
		.amdhsa_system_vgpr_workitem_id 0
		.amdhsa_next_free_vgpr 1
		.amdhsa_next_free_sgpr 1
		.amdhsa_reserve_vcc 0
		.amdhsa_float_round_mode_32 0
		.amdhsa_float_round_mode_16_64 0
		.amdhsa_float_denorm_mode_32 3
		.amdhsa_float_denorm_mode_16_64 3
		.amdhsa_dx10_clamp 1
		.amdhsa_ieee_mode 1
		.amdhsa_fp16_overflow 0
		.amdhsa_workgroup_processor_mode 1
		.amdhsa_memory_ordered 1
		.amdhsa_forward_progress 0
		.amdhsa_shared_vgpr_count 0
		.amdhsa_exception_fp_ieee_invalid_op 0
		.amdhsa_exception_fp_denorm_src 0
		.amdhsa_exception_fp_ieee_div_zero 0
		.amdhsa_exception_fp_ieee_overflow 0
		.amdhsa_exception_fp_ieee_underflow 0
		.amdhsa_exception_fp_ieee_inexact 0
		.amdhsa_exception_int_div_zero 0
	.end_amdhsa_kernel
	.section	.text._ZN7rocprim17ROCPRIM_400000_NS6detail17trampoline_kernelINS0_14default_configENS1_25partition_config_selectorILNS1_17partition_subalgoE6EyNS0_10empty_typeEbEEZZNS1_14partition_implILS5_6ELb0ES3_mN6thrust23THRUST_200600_302600_NS6detail15normal_iteratorINSA_10device_ptrIyEEEEPS6_SG_NS0_5tupleIJSF_S6_EEENSH_IJSG_SG_EEES6_PlJ5mod_3IyEEEE10hipError_tPvRmT3_T4_T5_T6_T7_T9_mT8_P12ihipStream_tbDpT10_ENKUlT_T0_E_clISt17integral_constantIbLb0EES15_IbLb1EEEEDaS11_S12_EUlS11_E_NS1_11comp_targetILNS1_3genE0ELNS1_11target_archE4294967295ELNS1_3gpuE0ELNS1_3repE0EEENS1_30default_config_static_selectorELNS0_4arch9wavefront6targetE0EEEvT1_,"axG",@progbits,_ZN7rocprim17ROCPRIM_400000_NS6detail17trampoline_kernelINS0_14default_configENS1_25partition_config_selectorILNS1_17partition_subalgoE6EyNS0_10empty_typeEbEEZZNS1_14partition_implILS5_6ELb0ES3_mN6thrust23THRUST_200600_302600_NS6detail15normal_iteratorINSA_10device_ptrIyEEEEPS6_SG_NS0_5tupleIJSF_S6_EEENSH_IJSG_SG_EEES6_PlJ5mod_3IyEEEE10hipError_tPvRmT3_T4_T5_T6_T7_T9_mT8_P12ihipStream_tbDpT10_ENKUlT_T0_E_clISt17integral_constantIbLb0EES15_IbLb1EEEEDaS11_S12_EUlS11_E_NS1_11comp_targetILNS1_3genE0ELNS1_11target_archE4294967295ELNS1_3gpuE0ELNS1_3repE0EEENS1_30default_config_static_selectorELNS0_4arch9wavefront6targetE0EEEvT1_,comdat
.Lfunc_end480:
	.size	_ZN7rocprim17ROCPRIM_400000_NS6detail17trampoline_kernelINS0_14default_configENS1_25partition_config_selectorILNS1_17partition_subalgoE6EyNS0_10empty_typeEbEEZZNS1_14partition_implILS5_6ELb0ES3_mN6thrust23THRUST_200600_302600_NS6detail15normal_iteratorINSA_10device_ptrIyEEEEPS6_SG_NS0_5tupleIJSF_S6_EEENSH_IJSG_SG_EEES6_PlJ5mod_3IyEEEE10hipError_tPvRmT3_T4_T5_T6_T7_T9_mT8_P12ihipStream_tbDpT10_ENKUlT_T0_E_clISt17integral_constantIbLb0EES15_IbLb1EEEEDaS11_S12_EUlS11_E_NS1_11comp_targetILNS1_3genE0ELNS1_11target_archE4294967295ELNS1_3gpuE0ELNS1_3repE0EEENS1_30default_config_static_selectorELNS0_4arch9wavefront6targetE0EEEvT1_, .Lfunc_end480-_ZN7rocprim17ROCPRIM_400000_NS6detail17trampoline_kernelINS0_14default_configENS1_25partition_config_selectorILNS1_17partition_subalgoE6EyNS0_10empty_typeEbEEZZNS1_14partition_implILS5_6ELb0ES3_mN6thrust23THRUST_200600_302600_NS6detail15normal_iteratorINSA_10device_ptrIyEEEEPS6_SG_NS0_5tupleIJSF_S6_EEENSH_IJSG_SG_EEES6_PlJ5mod_3IyEEEE10hipError_tPvRmT3_T4_T5_T6_T7_T9_mT8_P12ihipStream_tbDpT10_ENKUlT_T0_E_clISt17integral_constantIbLb0EES15_IbLb1EEEEDaS11_S12_EUlS11_E_NS1_11comp_targetILNS1_3genE0ELNS1_11target_archE4294967295ELNS1_3gpuE0ELNS1_3repE0EEENS1_30default_config_static_selectorELNS0_4arch9wavefront6targetE0EEEvT1_
                                        ; -- End function
	.section	.AMDGPU.csdata,"",@progbits
; Kernel info:
; codeLenInByte = 0
; NumSgprs: 0
; NumVgprs: 0
; ScratchSize: 0
; MemoryBound: 0
; FloatMode: 240
; IeeeMode: 1
; LDSByteSize: 0 bytes/workgroup (compile time only)
; SGPRBlocks: 0
; VGPRBlocks: 0
; NumSGPRsForWavesPerEU: 1
; NumVGPRsForWavesPerEU: 1
; Occupancy: 16
; WaveLimiterHint : 0
; COMPUTE_PGM_RSRC2:SCRATCH_EN: 0
; COMPUTE_PGM_RSRC2:USER_SGPR: 15
; COMPUTE_PGM_RSRC2:TRAP_HANDLER: 0
; COMPUTE_PGM_RSRC2:TGID_X_EN: 1
; COMPUTE_PGM_RSRC2:TGID_Y_EN: 0
; COMPUTE_PGM_RSRC2:TGID_Z_EN: 0
; COMPUTE_PGM_RSRC2:TIDIG_COMP_CNT: 0
	.section	.text._ZN7rocprim17ROCPRIM_400000_NS6detail17trampoline_kernelINS0_14default_configENS1_25partition_config_selectorILNS1_17partition_subalgoE6EyNS0_10empty_typeEbEEZZNS1_14partition_implILS5_6ELb0ES3_mN6thrust23THRUST_200600_302600_NS6detail15normal_iteratorINSA_10device_ptrIyEEEEPS6_SG_NS0_5tupleIJSF_S6_EEENSH_IJSG_SG_EEES6_PlJ5mod_3IyEEEE10hipError_tPvRmT3_T4_T5_T6_T7_T9_mT8_P12ihipStream_tbDpT10_ENKUlT_T0_E_clISt17integral_constantIbLb0EES15_IbLb1EEEEDaS11_S12_EUlS11_E_NS1_11comp_targetILNS1_3genE5ELNS1_11target_archE942ELNS1_3gpuE9ELNS1_3repE0EEENS1_30default_config_static_selectorELNS0_4arch9wavefront6targetE0EEEvT1_,"axG",@progbits,_ZN7rocprim17ROCPRIM_400000_NS6detail17trampoline_kernelINS0_14default_configENS1_25partition_config_selectorILNS1_17partition_subalgoE6EyNS0_10empty_typeEbEEZZNS1_14partition_implILS5_6ELb0ES3_mN6thrust23THRUST_200600_302600_NS6detail15normal_iteratorINSA_10device_ptrIyEEEEPS6_SG_NS0_5tupleIJSF_S6_EEENSH_IJSG_SG_EEES6_PlJ5mod_3IyEEEE10hipError_tPvRmT3_T4_T5_T6_T7_T9_mT8_P12ihipStream_tbDpT10_ENKUlT_T0_E_clISt17integral_constantIbLb0EES15_IbLb1EEEEDaS11_S12_EUlS11_E_NS1_11comp_targetILNS1_3genE5ELNS1_11target_archE942ELNS1_3gpuE9ELNS1_3repE0EEENS1_30default_config_static_selectorELNS0_4arch9wavefront6targetE0EEEvT1_,comdat
	.protected	_ZN7rocprim17ROCPRIM_400000_NS6detail17trampoline_kernelINS0_14default_configENS1_25partition_config_selectorILNS1_17partition_subalgoE6EyNS0_10empty_typeEbEEZZNS1_14partition_implILS5_6ELb0ES3_mN6thrust23THRUST_200600_302600_NS6detail15normal_iteratorINSA_10device_ptrIyEEEEPS6_SG_NS0_5tupleIJSF_S6_EEENSH_IJSG_SG_EEES6_PlJ5mod_3IyEEEE10hipError_tPvRmT3_T4_T5_T6_T7_T9_mT8_P12ihipStream_tbDpT10_ENKUlT_T0_E_clISt17integral_constantIbLb0EES15_IbLb1EEEEDaS11_S12_EUlS11_E_NS1_11comp_targetILNS1_3genE5ELNS1_11target_archE942ELNS1_3gpuE9ELNS1_3repE0EEENS1_30default_config_static_selectorELNS0_4arch9wavefront6targetE0EEEvT1_ ; -- Begin function _ZN7rocprim17ROCPRIM_400000_NS6detail17trampoline_kernelINS0_14default_configENS1_25partition_config_selectorILNS1_17partition_subalgoE6EyNS0_10empty_typeEbEEZZNS1_14partition_implILS5_6ELb0ES3_mN6thrust23THRUST_200600_302600_NS6detail15normal_iteratorINSA_10device_ptrIyEEEEPS6_SG_NS0_5tupleIJSF_S6_EEENSH_IJSG_SG_EEES6_PlJ5mod_3IyEEEE10hipError_tPvRmT3_T4_T5_T6_T7_T9_mT8_P12ihipStream_tbDpT10_ENKUlT_T0_E_clISt17integral_constantIbLb0EES15_IbLb1EEEEDaS11_S12_EUlS11_E_NS1_11comp_targetILNS1_3genE5ELNS1_11target_archE942ELNS1_3gpuE9ELNS1_3repE0EEENS1_30default_config_static_selectorELNS0_4arch9wavefront6targetE0EEEvT1_
	.globl	_ZN7rocprim17ROCPRIM_400000_NS6detail17trampoline_kernelINS0_14default_configENS1_25partition_config_selectorILNS1_17partition_subalgoE6EyNS0_10empty_typeEbEEZZNS1_14partition_implILS5_6ELb0ES3_mN6thrust23THRUST_200600_302600_NS6detail15normal_iteratorINSA_10device_ptrIyEEEEPS6_SG_NS0_5tupleIJSF_S6_EEENSH_IJSG_SG_EEES6_PlJ5mod_3IyEEEE10hipError_tPvRmT3_T4_T5_T6_T7_T9_mT8_P12ihipStream_tbDpT10_ENKUlT_T0_E_clISt17integral_constantIbLb0EES15_IbLb1EEEEDaS11_S12_EUlS11_E_NS1_11comp_targetILNS1_3genE5ELNS1_11target_archE942ELNS1_3gpuE9ELNS1_3repE0EEENS1_30default_config_static_selectorELNS0_4arch9wavefront6targetE0EEEvT1_
	.p2align	8
	.type	_ZN7rocprim17ROCPRIM_400000_NS6detail17trampoline_kernelINS0_14default_configENS1_25partition_config_selectorILNS1_17partition_subalgoE6EyNS0_10empty_typeEbEEZZNS1_14partition_implILS5_6ELb0ES3_mN6thrust23THRUST_200600_302600_NS6detail15normal_iteratorINSA_10device_ptrIyEEEEPS6_SG_NS0_5tupleIJSF_S6_EEENSH_IJSG_SG_EEES6_PlJ5mod_3IyEEEE10hipError_tPvRmT3_T4_T5_T6_T7_T9_mT8_P12ihipStream_tbDpT10_ENKUlT_T0_E_clISt17integral_constantIbLb0EES15_IbLb1EEEEDaS11_S12_EUlS11_E_NS1_11comp_targetILNS1_3genE5ELNS1_11target_archE942ELNS1_3gpuE9ELNS1_3repE0EEENS1_30default_config_static_selectorELNS0_4arch9wavefront6targetE0EEEvT1_,@function
_ZN7rocprim17ROCPRIM_400000_NS6detail17trampoline_kernelINS0_14default_configENS1_25partition_config_selectorILNS1_17partition_subalgoE6EyNS0_10empty_typeEbEEZZNS1_14partition_implILS5_6ELb0ES3_mN6thrust23THRUST_200600_302600_NS6detail15normal_iteratorINSA_10device_ptrIyEEEEPS6_SG_NS0_5tupleIJSF_S6_EEENSH_IJSG_SG_EEES6_PlJ5mod_3IyEEEE10hipError_tPvRmT3_T4_T5_T6_T7_T9_mT8_P12ihipStream_tbDpT10_ENKUlT_T0_E_clISt17integral_constantIbLb0EES15_IbLb1EEEEDaS11_S12_EUlS11_E_NS1_11comp_targetILNS1_3genE5ELNS1_11target_archE942ELNS1_3gpuE9ELNS1_3repE0EEENS1_30default_config_static_selectorELNS0_4arch9wavefront6targetE0EEEvT1_: ; @_ZN7rocprim17ROCPRIM_400000_NS6detail17trampoline_kernelINS0_14default_configENS1_25partition_config_selectorILNS1_17partition_subalgoE6EyNS0_10empty_typeEbEEZZNS1_14partition_implILS5_6ELb0ES3_mN6thrust23THRUST_200600_302600_NS6detail15normal_iteratorINSA_10device_ptrIyEEEEPS6_SG_NS0_5tupleIJSF_S6_EEENSH_IJSG_SG_EEES6_PlJ5mod_3IyEEEE10hipError_tPvRmT3_T4_T5_T6_T7_T9_mT8_P12ihipStream_tbDpT10_ENKUlT_T0_E_clISt17integral_constantIbLb0EES15_IbLb1EEEEDaS11_S12_EUlS11_E_NS1_11comp_targetILNS1_3genE5ELNS1_11target_archE942ELNS1_3gpuE9ELNS1_3repE0EEENS1_30default_config_static_selectorELNS0_4arch9wavefront6targetE0EEEvT1_
; %bb.0:
	.section	.rodata,"a",@progbits
	.p2align	6, 0x0
	.amdhsa_kernel _ZN7rocprim17ROCPRIM_400000_NS6detail17trampoline_kernelINS0_14default_configENS1_25partition_config_selectorILNS1_17partition_subalgoE6EyNS0_10empty_typeEbEEZZNS1_14partition_implILS5_6ELb0ES3_mN6thrust23THRUST_200600_302600_NS6detail15normal_iteratorINSA_10device_ptrIyEEEEPS6_SG_NS0_5tupleIJSF_S6_EEENSH_IJSG_SG_EEES6_PlJ5mod_3IyEEEE10hipError_tPvRmT3_T4_T5_T6_T7_T9_mT8_P12ihipStream_tbDpT10_ENKUlT_T0_E_clISt17integral_constantIbLb0EES15_IbLb1EEEEDaS11_S12_EUlS11_E_NS1_11comp_targetILNS1_3genE5ELNS1_11target_archE942ELNS1_3gpuE9ELNS1_3repE0EEENS1_30default_config_static_selectorELNS0_4arch9wavefront6targetE0EEEvT1_
		.amdhsa_group_segment_fixed_size 0
		.amdhsa_private_segment_fixed_size 0
		.amdhsa_kernarg_size 128
		.amdhsa_user_sgpr_count 15
		.amdhsa_user_sgpr_dispatch_ptr 0
		.amdhsa_user_sgpr_queue_ptr 0
		.amdhsa_user_sgpr_kernarg_segment_ptr 1
		.amdhsa_user_sgpr_dispatch_id 0
		.amdhsa_user_sgpr_private_segment_size 0
		.amdhsa_wavefront_size32 1
		.amdhsa_uses_dynamic_stack 0
		.amdhsa_enable_private_segment 0
		.amdhsa_system_sgpr_workgroup_id_x 1
		.amdhsa_system_sgpr_workgroup_id_y 0
		.amdhsa_system_sgpr_workgroup_id_z 0
		.amdhsa_system_sgpr_workgroup_info 0
		.amdhsa_system_vgpr_workitem_id 0
		.amdhsa_next_free_vgpr 1
		.amdhsa_next_free_sgpr 1
		.amdhsa_reserve_vcc 0
		.amdhsa_float_round_mode_32 0
		.amdhsa_float_round_mode_16_64 0
		.amdhsa_float_denorm_mode_32 3
		.amdhsa_float_denorm_mode_16_64 3
		.amdhsa_dx10_clamp 1
		.amdhsa_ieee_mode 1
		.amdhsa_fp16_overflow 0
		.amdhsa_workgroup_processor_mode 1
		.amdhsa_memory_ordered 1
		.amdhsa_forward_progress 0
		.amdhsa_shared_vgpr_count 0
		.amdhsa_exception_fp_ieee_invalid_op 0
		.amdhsa_exception_fp_denorm_src 0
		.amdhsa_exception_fp_ieee_div_zero 0
		.amdhsa_exception_fp_ieee_overflow 0
		.amdhsa_exception_fp_ieee_underflow 0
		.amdhsa_exception_fp_ieee_inexact 0
		.amdhsa_exception_int_div_zero 0
	.end_amdhsa_kernel
	.section	.text._ZN7rocprim17ROCPRIM_400000_NS6detail17trampoline_kernelINS0_14default_configENS1_25partition_config_selectorILNS1_17partition_subalgoE6EyNS0_10empty_typeEbEEZZNS1_14partition_implILS5_6ELb0ES3_mN6thrust23THRUST_200600_302600_NS6detail15normal_iteratorINSA_10device_ptrIyEEEEPS6_SG_NS0_5tupleIJSF_S6_EEENSH_IJSG_SG_EEES6_PlJ5mod_3IyEEEE10hipError_tPvRmT3_T4_T5_T6_T7_T9_mT8_P12ihipStream_tbDpT10_ENKUlT_T0_E_clISt17integral_constantIbLb0EES15_IbLb1EEEEDaS11_S12_EUlS11_E_NS1_11comp_targetILNS1_3genE5ELNS1_11target_archE942ELNS1_3gpuE9ELNS1_3repE0EEENS1_30default_config_static_selectorELNS0_4arch9wavefront6targetE0EEEvT1_,"axG",@progbits,_ZN7rocprim17ROCPRIM_400000_NS6detail17trampoline_kernelINS0_14default_configENS1_25partition_config_selectorILNS1_17partition_subalgoE6EyNS0_10empty_typeEbEEZZNS1_14partition_implILS5_6ELb0ES3_mN6thrust23THRUST_200600_302600_NS6detail15normal_iteratorINSA_10device_ptrIyEEEEPS6_SG_NS0_5tupleIJSF_S6_EEENSH_IJSG_SG_EEES6_PlJ5mod_3IyEEEE10hipError_tPvRmT3_T4_T5_T6_T7_T9_mT8_P12ihipStream_tbDpT10_ENKUlT_T0_E_clISt17integral_constantIbLb0EES15_IbLb1EEEEDaS11_S12_EUlS11_E_NS1_11comp_targetILNS1_3genE5ELNS1_11target_archE942ELNS1_3gpuE9ELNS1_3repE0EEENS1_30default_config_static_selectorELNS0_4arch9wavefront6targetE0EEEvT1_,comdat
.Lfunc_end481:
	.size	_ZN7rocprim17ROCPRIM_400000_NS6detail17trampoline_kernelINS0_14default_configENS1_25partition_config_selectorILNS1_17partition_subalgoE6EyNS0_10empty_typeEbEEZZNS1_14partition_implILS5_6ELb0ES3_mN6thrust23THRUST_200600_302600_NS6detail15normal_iteratorINSA_10device_ptrIyEEEEPS6_SG_NS0_5tupleIJSF_S6_EEENSH_IJSG_SG_EEES6_PlJ5mod_3IyEEEE10hipError_tPvRmT3_T4_T5_T6_T7_T9_mT8_P12ihipStream_tbDpT10_ENKUlT_T0_E_clISt17integral_constantIbLb0EES15_IbLb1EEEEDaS11_S12_EUlS11_E_NS1_11comp_targetILNS1_3genE5ELNS1_11target_archE942ELNS1_3gpuE9ELNS1_3repE0EEENS1_30default_config_static_selectorELNS0_4arch9wavefront6targetE0EEEvT1_, .Lfunc_end481-_ZN7rocprim17ROCPRIM_400000_NS6detail17trampoline_kernelINS0_14default_configENS1_25partition_config_selectorILNS1_17partition_subalgoE6EyNS0_10empty_typeEbEEZZNS1_14partition_implILS5_6ELb0ES3_mN6thrust23THRUST_200600_302600_NS6detail15normal_iteratorINSA_10device_ptrIyEEEEPS6_SG_NS0_5tupleIJSF_S6_EEENSH_IJSG_SG_EEES6_PlJ5mod_3IyEEEE10hipError_tPvRmT3_T4_T5_T6_T7_T9_mT8_P12ihipStream_tbDpT10_ENKUlT_T0_E_clISt17integral_constantIbLb0EES15_IbLb1EEEEDaS11_S12_EUlS11_E_NS1_11comp_targetILNS1_3genE5ELNS1_11target_archE942ELNS1_3gpuE9ELNS1_3repE0EEENS1_30default_config_static_selectorELNS0_4arch9wavefront6targetE0EEEvT1_
                                        ; -- End function
	.section	.AMDGPU.csdata,"",@progbits
; Kernel info:
; codeLenInByte = 0
; NumSgprs: 0
; NumVgprs: 0
; ScratchSize: 0
; MemoryBound: 0
; FloatMode: 240
; IeeeMode: 1
; LDSByteSize: 0 bytes/workgroup (compile time only)
; SGPRBlocks: 0
; VGPRBlocks: 0
; NumSGPRsForWavesPerEU: 1
; NumVGPRsForWavesPerEU: 1
; Occupancy: 16
; WaveLimiterHint : 0
; COMPUTE_PGM_RSRC2:SCRATCH_EN: 0
; COMPUTE_PGM_RSRC2:USER_SGPR: 15
; COMPUTE_PGM_RSRC2:TRAP_HANDLER: 0
; COMPUTE_PGM_RSRC2:TGID_X_EN: 1
; COMPUTE_PGM_RSRC2:TGID_Y_EN: 0
; COMPUTE_PGM_RSRC2:TGID_Z_EN: 0
; COMPUTE_PGM_RSRC2:TIDIG_COMP_CNT: 0
	.section	.text._ZN7rocprim17ROCPRIM_400000_NS6detail17trampoline_kernelINS0_14default_configENS1_25partition_config_selectorILNS1_17partition_subalgoE6EyNS0_10empty_typeEbEEZZNS1_14partition_implILS5_6ELb0ES3_mN6thrust23THRUST_200600_302600_NS6detail15normal_iteratorINSA_10device_ptrIyEEEEPS6_SG_NS0_5tupleIJSF_S6_EEENSH_IJSG_SG_EEES6_PlJ5mod_3IyEEEE10hipError_tPvRmT3_T4_T5_T6_T7_T9_mT8_P12ihipStream_tbDpT10_ENKUlT_T0_E_clISt17integral_constantIbLb0EES15_IbLb1EEEEDaS11_S12_EUlS11_E_NS1_11comp_targetILNS1_3genE4ELNS1_11target_archE910ELNS1_3gpuE8ELNS1_3repE0EEENS1_30default_config_static_selectorELNS0_4arch9wavefront6targetE0EEEvT1_,"axG",@progbits,_ZN7rocprim17ROCPRIM_400000_NS6detail17trampoline_kernelINS0_14default_configENS1_25partition_config_selectorILNS1_17partition_subalgoE6EyNS0_10empty_typeEbEEZZNS1_14partition_implILS5_6ELb0ES3_mN6thrust23THRUST_200600_302600_NS6detail15normal_iteratorINSA_10device_ptrIyEEEEPS6_SG_NS0_5tupleIJSF_S6_EEENSH_IJSG_SG_EEES6_PlJ5mod_3IyEEEE10hipError_tPvRmT3_T4_T5_T6_T7_T9_mT8_P12ihipStream_tbDpT10_ENKUlT_T0_E_clISt17integral_constantIbLb0EES15_IbLb1EEEEDaS11_S12_EUlS11_E_NS1_11comp_targetILNS1_3genE4ELNS1_11target_archE910ELNS1_3gpuE8ELNS1_3repE0EEENS1_30default_config_static_selectorELNS0_4arch9wavefront6targetE0EEEvT1_,comdat
	.protected	_ZN7rocprim17ROCPRIM_400000_NS6detail17trampoline_kernelINS0_14default_configENS1_25partition_config_selectorILNS1_17partition_subalgoE6EyNS0_10empty_typeEbEEZZNS1_14partition_implILS5_6ELb0ES3_mN6thrust23THRUST_200600_302600_NS6detail15normal_iteratorINSA_10device_ptrIyEEEEPS6_SG_NS0_5tupleIJSF_S6_EEENSH_IJSG_SG_EEES6_PlJ5mod_3IyEEEE10hipError_tPvRmT3_T4_T5_T6_T7_T9_mT8_P12ihipStream_tbDpT10_ENKUlT_T0_E_clISt17integral_constantIbLb0EES15_IbLb1EEEEDaS11_S12_EUlS11_E_NS1_11comp_targetILNS1_3genE4ELNS1_11target_archE910ELNS1_3gpuE8ELNS1_3repE0EEENS1_30default_config_static_selectorELNS0_4arch9wavefront6targetE0EEEvT1_ ; -- Begin function _ZN7rocprim17ROCPRIM_400000_NS6detail17trampoline_kernelINS0_14default_configENS1_25partition_config_selectorILNS1_17partition_subalgoE6EyNS0_10empty_typeEbEEZZNS1_14partition_implILS5_6ELb0ES3_mN6thrust23THRUST_200600_302600_NS6detail15normal_iteratorINSA_10device_ptrIyEEEEPS6_SG_NS0_5tupleIJSF_S6_EEENSH_IJSG_SG_EEES6_PlJ5mod_3IyEEEE10hipError_tPvRmT3_T4_T5_T6_T7_T9_mT8_P12ihipStream_tbDpT10_ENKUlT_T0_E_clISt17integral_constantIbLb0EES15_IbLb1EEEEDaS11_S12_EUlS11_E_NS1_11comp_targetILNS1_3genE4ELNS1_11target_archE910ELNS1_3gpuE8ELNS1_3repE0EEENS1_30default_config_static_selectorELNS0_4arch9wavefront6targetE0EEEvT1_
	.globl	_ZN7rocprim17ROCPRIM_400000_NS6detail17trampoline_kernelINS0_14default_configENS1_25partition_config_selectorILNS1_17partition_subalgoE6EyNS0_10empty_typeEbEEZZNS1_14partition_implILS5_6ELb0ES3_mN6thrust23THRUST_200600_302600_NS6detail15normal_iteratorINSA_10device_ptrIyEEEEPS6_SG_NS0_5tupleIJSF_S6_EEENSH_IJSG_SG_EEES6_PlJ5mod_3IyEEEE10hipError_tPvRmT3_T4_T5_T6_T7_T9_mT8_P12ihipStream_tbDpT10_ENKUlT_T0_E_clISt17integral_constantIbLb0EES15_IbLb1EEEEDaS11_S12_EUlS11_E_NS1_11comp_targetILNS1_3genE4ELNS1_11target_archE910ELNS1_3gpuE8ELNS1_3repE0EEENS1_30default_config_static_selectorELNS0_4arch9wavefront6targetE0EEEvT1_
	.p2align	8
	.type	_ZN7rocprim17ROCPRIM_400000_NS6detail17trampoline_kernelINS0_14default_configENS1_25partition_config_selectorILNS1_17partition_subalgoE6EyNS0_10empty_typeEbEEZZNS1_14partition_implILS5_6ELb0ES3_mN6thrust23THRUST_200600_302600_NS6detail15normal_iteratorINSA_10device_ptrIyEEEEPS6_SG_NS0_5tupleIJSF_S6_EEENSH_IJSG_SG_EEES6_PlJ5mod_3IyEEEE10hipError_tPvRmT3_T4_T5_T6_T7_T9_mT8_P12ihipStream_tbDpT10_ENKUlT_T0_E_clISt17integral_constantIbLb0EES15_IbLb1EEEEDaS11_S12_EUlS11_E_NS1_11comp_targetILNS1_3genE4ELNS1_11target_archE910ELNS1_3gpuE8ELNS1_3repE0EEENS1_30default_config_static_selectorELNS0_4arch9wavefront6targetE0EEEvT1_,@function
_ZN7rocprim17ROCPRIM_400000_NS6detail17trampoline_kernelINS0_14default_configENS1_25partition_config_selectorILNS1_17partition_subalgoE6EyNS0_10empty_typeEbEEZZNS1_14partition_implILS5_6ELb0ES3_mN6thrust23THRUST_200600_302600_NS6detail15normal_iteratorINSA_10device_ptrIyEEEEPS6_SG_NS0_5tupleIJSF_S6_EEENSH_IJSG_SG_EEES6_PlJ5mod_3IyEEEE10hipError_tPvRmT3_T4_T5_T6_T7_T9_mT8_P12ihipStream_tbDpT10_ENKUlT_T0_E_clISt17integral_constantIbLb0EES15_IbLb1EEEEDaS11_S12_EUlS11_E_NS1_11comp_targetILNS1_3genE4ELNS1_11target_archE910ELNS1_3gpuE8ELNS1_3repE0EEENS1_30default_config_static_selectorELNS0_4arch9wavefront6targetE0EEEvT1_: ; @_ZN7rocprim17ROCPRIM_400000_NS6detail17trampoline_kernelINS0_14default_configENS1_25partition_config_selectorILNS1_17partition_subalgoE6EyNS0_10empty_typeEbEEZZNS1_14partition_implILS5_6ELb0ES3_mN6thrust23THRUST_200600_302600_NS6detail15normal_iteratorINSA_10device_ptrIyEEEEPS6_SG_NS0_5tupleIJSF_S6_EEENSH_IJSG_SG_EEES6_PlJ5mod_3IyEEEE10hipError_tPvRmT3_T4_T5_T6_T7_T9_mT8_P12ihipStream_tbDpT10_ENKUlT_T0_E_clISt17integral_constantIbLb0EES15_IbLb1EEEEDaS11_S12_EUlS11_E_NS1_11comp_targetILNS1_3genE4ELNS1_11target_archE910ELNS1_3gpuE8ELNS1_3repE0EEENS1_30default_config_static_selectorELNS0_4arch9wavefront6targetE0EEEvT1_
; %bb.0:
	.section	.rodata,"a",@progbits
	.p2align	6, 0x0
	.amdhsa_kernel _ZN7rocprim17ROCPRIM_400000_NS6detail17trampoline_kernelINS0_14default_configENS1_25partition_config_selectorILNS1_17partition_subalgoE6EyNS0_10empty_typeEbEEZZNS1_14partition_implILS5_6ELb0ES3_mN6thrust23THRUST_200600_302600_NS6detail15normal_iteratorINSA_10device_ptrIyEEEEPS6_SG_NS0_5tupleIJSF_S6_EEENSH_IJSG_SG_EEES6_PlJ5mod_3IyEEEE10hipError_tPvRmT3_T4_T5_T6_T7_T9_mT8_P12ihipStream_tbDpT10_ENKUlT_T0_E_clISt17integral_constantIbLb0EES15_IbLb1EEEEDaS11_S12_EUlS11_E_NS1_11comp_targetILNS1_3genE4ELNS1_11target_archE910ELNS1_3gpuE8ELNS1_3repE0EEENS1_30default_config_static_selectorELNS0_4arch9wavefront6targetE0EEEvT1_
		.amdhsa_group_segment_fixed_size 0
		.amdhsa_private_segment_fixed_size 0
		.amdhsa_kernarg_size 128
		.amdhsa_user_sgpr_count 15
		.amdhsa_user_sgpr_dispatch_ptr 0
		.amdhsa_user_sgpr_queue_ptr 0
		.amdhsa_user_sgpr_kernarg_segment_ptr 1
		.amdhsa_user_sgpr_dispatch_id 0
		.amdhsa_user_sgpr_private_segment_size 0
		.amdhsa_wavefront_size32 1
		.amdhsa_uses_dynamic_stack 0
		.amdhsa_enable_private_segment 0
		.amdhsa_system_sgpr_workgroup_id_x 1
		.amdhsa_system_sgpr_workgroup_id_y 0
		.amdhsa_system_sgpr_workgroup_id_z 0
		.amdhsa_system_sgpr_workgroup_info 0
		.amdhsa_system_vgpr_workitem_id 0
		.amdhsa_next_free_vgpr 1
		.amdhsa_next_free_sgpr 1
		.amdhsa_reserve_vcc 0
		.amdhsa_float_round_mode_32 0
		.amdhsa_float_round_mode_16_64 0
		.amdhsa_float_denorm_mode_32 3
		.amdhsa_float_denorm_mode_16_64 3
		.amdhsa_dx10_clamp 1
		.amdhsa_ieee_mode 1
		.amdhsa_fp16_overflow 0
		.amdhsa_workgroup_processor_mode 1
		.amdhsa_memory_ordered 1
		.amdhsa_forward_progress 0
		.amdhsa_shared_vgpr_count 0
		.amdhsa_exception_fp_ieee_invalid_op 0
		.amdhsa_exception_fp_denorm_src 0
		.amdhsa_exception_fp_ieee_div_zero 0
		.amdhsa_exception_fp_ieee_overflow 0
		.amdhsa_exception_fp_ieee_underflow 0
		.amdhsa_exception_fp_ieee_inexact 0
		.amdhsa_exception_int_div_zero 0
	.end_amdhsa_kernel
	.section	.text._ZN7rocprim17ROCPRIM_400000_NS6detail17trampoline_kernelINS0_14default_configENS1_25partition_config_selectorILNS1_17partition_subalgoE6EyNS0_10empty_typeEbEEZZNS1_14partition_implILS5_6ELb0ES3_mN6thrust23THRUST_200600_302600_NS6detail15normal_iteratorINSA_10device_ptrIyEEEEPS6_SG_NS0_5tupleIJSF_S6_EEENSH_IJSG_SG_EEES6_PlJ5mod_3IyEEEE10hipError_tPvRmT3_T4_T5_T6_T7_T9_mT8_P12ihipStream_tbDpT10_ENKUlT_T0_E_clISt17integral_constantIbLb0EES15_IbLb1EEEEDaS11_S12_EUlS11_E_NS1_11comp_targetILNS1_3genE4ELNS1_11target_archE910ELNS1_3gpuE8ELNS1_3repE0EEENS1_30default_config_static_selectorELNS0_4arch9wavefront6targetE0EEEvT1_,"axG",@progbits,_ZN7rocprim17ROCPRIM_400000_NS6detail17trampoline_kernelINS0_14default_configENS1_25partition_config_selectorILNS1_17partition_subalgoE6EyNS0_10empty_typeEbEEZZNS1_14partition_implILS5_6ELb0ES3_mN6thrust23THRUST_200600_302600_NS6detail15normal_iteratorINSA_10device_ptrIyEEEEPS6_SG_NS0_5tupleIJSF_S6_EEENSH_IJSG_SG_EEES6_PlJ5mod_3IyEEEE10hipError_tPvRmT3_T4_T5_T6_T7_T9_mT8_P12ihipStream_tbDpT10_ENKUlT_T0_E_clISt17integral_constantIbLb0EES15_IbLb1EEEEDaS11_S12_EUlS11_E_NS1_11comp_targetILNS1_3genE4ELNS1_11target_archE910ELNS1_3gpuE8ELNS1_3repE0EEENS1_30default_config_static_selectorELNS0_4arch9wavefront6targetE0EEEvT1_,comdat
.Lfunc_end482:
	.size	_ZN7rocprim17ROCPRIM_400000_NS6detail17trampoline_kernelINS0_14default_configENS1_25partition_config_selectorILNS1_17partition_subalgoE6EyNS0_10empty_typeEbEEZZNS1_14partition_implILS5_6ELb0ES3_mN6thrust23THRUST_200600_302600_NS6detail15normal_iteratorINSA_10device_ptrIyEEEEPS6_SG_NS0_5tupleIJSF_S6_EEENSH_IJSG_SG_EEES6_PlJ5mod_3IyEEEE10hipError_tPvRmT3_T4_T5_T6_T7_T9_mT8_P12ihipStream_tbDpT10_ENKUlT_T0_E_clISt17integral_constantIbLb0EES15_IbLb1EEEEDaS11_S12_EUlS11_E_NS1_11comp_targetILNS1_3genE4ELNS1_11target_archE910ELNS1_3gpuE8ELNS1_3repE0EEENS1_30default_config_static_selectorELNS0_4arch9wavefront6targetE0EEEvT1_, .Lfunc_end482-_ZN7rocprim17ROCPRIM_400000_NS6detail17trampoline_kernelINS0_14default_configENS1_25partition_config_selectorILNS1_17partition_subalgoE6EyNS0_10empty_typeEbEEZZNS1_14partition_implILS5_6ELb0ES3_mN6thrust23THRUST_200600_302600_NS6detail15normal_iteratorINSA_10device_ptrIyEEEEPS6_SG_NS0_5tupleIJSF_S6_EEENSH_IJSG_SG_EEES6_PlJ5mod_3IyEEEE10hipError_tPvRmT3_T4_T5_T6_T7_T9_mT8_P12ihipStream_tbDpT10_ENKUlT_T0_E_clISt17integral_constantIbLb0EES15_IbLb1EEEEDaS11_S12_EUlS11_E_NS1_11comp_targetILNS1_3genE4ELNS1_11target_archE910ELNS1_3gpuE8ELNS1_3repE0EEENS1_30default_config_static_selectorELNS0_4arch9wavefront6targetE0EEEvT1_
                                        ; -- End function
	.section	.AMDGPU.csdata,"",@progbits
; Kernel info:
; codeLenInByte = 0
; NumSgprs: 0
; NumVgprs: 0
; ScratchSize: 0
; MemoryBound: 0
; FloatMode: 240
; IeeeMode: 1
; LDSByteSize: 0 bytes/workgroup (compile time only)
; SGPRBlocks: 0
; VGPRBlocks: 0
; NumSGPRsForWavesPerEU: 1
; NumVGPRsForWavesPerEU: 1
; Occupancy: 16
; WaveLimiterHint : 0
; COMPUTE_PGM_RSRC2:SCRATCH_EN: 0
; COMPUTE_PGM_RSRC2:USER_SGPR: 15
; COMPUTE_PGM_RSRC2:TRAP_HANDLER: 0
; COMPUTE_PGM_RSRC2:TGID_X_EN: 1
; COMPUTE_PGM_RSRC2:TGID_Y_EN: 0
; COMPUTE_PGM_RSRC2:TGID_Z_EN: 0
; COMPUTE_PGM_RSRC2:TIDIG_COMP_CNT: 0
	.section	.text._ZN7rocprim17ROCPRIM_400000_NS6detail17trampoline_kernelINS0_14default_configENS1_25partition_config_selectorILNS1_17partition_subalgoE6EyNS0_10empty_typeEbEEZZNS1_14partition_implILS5_6ELb0ES3_mN6thrust23THRUST_200600_302600_NS6detail15normal_iteratorINSA_10device_ptrIyEEEEPS6_SG_NS0_5tupleIJSF_S6_EEENSH_IJSG_SG_EEES6_PlJ5mod_3IyEEEE10hipError_tPvRmT3_T4_T5_T6_T7_T9_mT8_P12ihipStream_tbDpT10_ENKUlT_T0_E_clISt17integral_constantIbLb0EES15_IbLb1EEEEDaS11_S12_EUlS11_E_NS1_11comp_targetILNS1_3genE3ELNS1_11target_archE908ELNS1_3gpuE7ELNS1_3repE0EEENS1_30default_config_static_selectorELNS0_4arch9wavefront6targetE0EEEvT1_,"axG",@progbits,_ZN7rocprim17ROCPRIM_400000_NS6detail17trampoline_kernelINS0_14default_configENS1_25partition_config_selectorILNS1_17partition_subalgoE6EyNS0_10empty_typeEbEEZZNS1_14partition_implILS5_6ELb0ES3_mN6thrust23THRUST_200600_302600_NS6detail15normal_iteratorINSA_10device_ptrIyEEEEPS6_SG_NS0_5tupleIJSF_S6_EEENSH_IJSG_SG_EEES6_PlJ5mod_3IyEEEE10hipError_tPvRmT3_T4_T5_T6_T7_T9_mT8_P12ihipStream_tbDpT10_ENKUlT_T0_E_clISt17integral_constantIbLb0EES15_IbLb1EEEEDaS11_S12_EUlS11_E_NS1_11comp_targetILNS1_3genE3ELNS1_11target_archE908ELNS1_3gpuE7ELNS1_3repE0EEENS1_30default_config_static_selectorELNS0_4arch9wavefront6targetE0EEEvT1_,comdat
	.protected	_ZN7rocprim17ROCPRIM_400000_NS6detail17trampoline_kernelINS0_14default_configENS1_25partition_config_selectorILNS1_17partition_subalgoE6EyNS0_10empty_typeEbEEZZNS1_14partition_implILS5_6ELb0ES3_mN6thrust23THRUST_200600_302600_NS6detail15normal_iteratorINSA_10device_ptrIyEEEEPS6_SG_NS0_5tupleIJSF_S6_EEENSH_IJSG_SG_EEES6_PlJ5mod_3IyEEEE10hipError_tPvRmT3_T4_T5_T6_T7_T9_mT8_P12ihipStream_tbDpT10_ENKUlT_T0_E_clISt17integral_constantIbLb0EES15_IbLb1EEEEDaS11_S12_EUlS11_E_NS1_11comp_targetILNS1_3genE3ELNS1_11target_archE908ELNS1_3gpuE7ELNS1_3repE0EEENS1_30default_config_static_selectorELNS0_4arch9wavefront6targetE0EEEvT1_ ; -- Begin function _ZN7rocprim17ROCPRIM_400000_NS6detail17trampoline_kernelINS0_14default_configENS1_25partition_config_selectorILNS1_17partition_subalgoE6EyNS0_10empty_typeEbEEZZNS1_14partition_implILS5_6ELb0ES3_mN6thrust23THRUST_200600_302600_NS6detail15normal_iteratorINSA_10device_ptrIyEEEEPS6_SG_NS0_5tupleIJSF_S6_EEENSH_IJSG_SG_EEES6_PlJ5mod_3IyEEEE10hipError_tPvRmT3_T4_T5_T6_T7_T9_mT8_P12ihipStream_tbDpT10_ENKUlT_T0_E_clISt17integral_constantIbLb0EES15_IbLb1EEEEDaS11_S12_EUlS11_E_NS1_11comp_targetILNS1_3genE3ELNS1_11target_archE908ELNS1_3gpuE7ELNS1_3repE0EEENS1_30default_config_static_selectorELNS0_4arch9wavefront6targetE0EEEvT1_
	.globl	_ZN7rocprim17ROCPRIM_400000_NS6detail17trampoline_kernelINS0_14default_configENS1_25partition_config_selectorILNS1_17partition_subalgoE6EyNS0_10empty_typeEbEEZZNS1_14partition_implILS5_6ELb0ES3_mN6thrust23THRUST_200600_302600_NS6detail15normal_iteratorINSA_10device_ptrIyEEEEPS6_SG_NS0_5tupleIJSF_S6_EEENSH_IJSG_SG_EEES6_PlJ5mod_3IyEEEE10hipError_tPvRmT3_T4_T5_T6_T7_T9_mT8_P12ihipStream_tbDpT10_ENKUlT_T0_E_clISt17integral_constantIbLb0EES15_IbLb1EEEEDaS11_S12_EUlS11_E_NS1_11comp_targetILNS1_3genE3ELNS1_11target_archE908ELNS1_3gpuE7ELNS1_3repE0EEENS1_30default_config_static_selectorELNS0_4arch9wavefront6targetE0EEEvT1_
	.p2align	8
	.type	_ZN7rocprim17ROCPRIM_400000_NS6detail17trampoline_kernelINS0_14default_configENS1_25partition_config_selectorILNS1_17partition_subalgoE6EyNS0_10empty_typeEbEEZZNS1_14partition_implILS5_6ELb0ES3_mN6thrust23THRUST_200600_302600_NS6detail15normal_iteratorINSA_10device_ptrIyEEEEPS6_SG_NS0_5tupleIJSF_S6_EEENSH_IJSG_SG_EEES6_PlJ5mod_3IyEEEE10hipError_tPvRmT3_T4_T5_T6_T7_T9_mT8_P12ihipStream_tbDpT10_ENKUlT_T0_E_clISt17integral_constantIbLb0EES15_IbLb1EEEEDaS11_S12_EUlS11_E_NS1_11comp_targetILNS1_3genE3ELNS1_11target_archE908ELNS1_3gpuE7ELNS1_3repE0EEENS1_30default_config_static_selectorELNS0_4arch9wavefront6targetE0EEEvT1_,@function
_ZN7rocprim17ROCPRIM_400000_NS6detail17trampoline_kernelINS0_14default_configENS1_25partition_config_selectorILNS1_17partition_subalgoE6EyNS0_10empty_typeEbEEZZNS1_14partition_implILS5_6ELb0ES3_mN6thrust23THRUST_200600_302600_NS6detail15normal_iteratorINSA_10device_ptrIyEEEEPS6_SG_NS0_5tupleIJSF_S6_EEENSH_IJSG_SG_EEES6_PlJ5mod_3IyEEEE10hipError_tPvRmT3_T4_T5_T6_T7_T9_mT8_P12ihipStream_tbDpT10_ENKUlT_T0_E_clISt17integral_constantIbLb0EES15_IbLb1EEEEDaS11_S12_EUlS11_E_NS1_11comp_targetILNS1_3genE3ELNS1_11target_archE908ELNS1_3gpuE7ELNS1_3repE0EEENS1_30default_config_static_selectorELNS0_4arch9wavefront6targetE0EEEvT1_: ; @_ZN7rocprim17ROCPRIM_400000_NS6detail17trampoline_kernelINS0_14default_configENS1_25partition_config_selectorILNS1_17partition_subalgoE6EyNS0_10empty_typeEbEEZZNS1_14partition_implILS5_6ELb0ES3_mN6thrust23THRUST_200600_302600_NS6detail15normal_iteratorINSA_10device_ptrIyEEEEPS6_SG_NS0_5tupleIJSF_S6_EEENSH_IJSG_SG_EEES6_PlJ5mod_3IyEEEE10hipError_tPvRmT3_T4_T5_T6_T7_T9_mT8_P12ihipStream_tbDpT10_ENKUlT_T0_E_clISt17integral_constantIbLb0EES15_IbLb1EEEEDaS11_S12_EUlS11_E_NS1_11comp_targetILNS1_3genE3ELNS1_11target_archE908ELNS1_3gpuE7ELNS1_3repE0EEENS1_30default_config_static_selectorELNS0_4arch9wavefront6targetE0EEEvT1_
; %bb.0:
	.section	.rodata,"a",@progbits
	.p2align	6, 0x0
	.amdhsa_kernel _ZN7rocprim17ROCPRIM_400000_NS6detail17trampoline_kernelINS0_14default_configENS1_25partition_config_selectorILNS1_17partition_subalgoE6EyNS0_10empty_typeEbEEZZNS1_14partition_implILS5_6ELb0ES3_mN6thrust23THRUST_200600_302600_NS6detail15normal_iteratorINSA_10device_ptrIyEEEEPS6_SG_NS0_5tupleIJSF_S6_EEENSH_IJSG_SG_EEES6_PlJ5mod_3IyEEEE10hipError_tPvRmT3_T4_T5_T6_T7_T9_mT8_P12ihipStream_tbDpT10_ENKUlT_T0_E_clISt17integral_constantIbLb0EES15_IbLb1EEEEDaS11_S12_EUlS11_E_NS1_11comp_targetILNS1_3genE3ELNS1_11target_archE908ELNS1_3gpuE7ELNS1_3repE0EEENS1_30default_config_static_selectorELNS0_4arch9wavefront6targetE0EEEvT1_
		.amdhsa_group_segment_fixed_size 0
		.amdhsa_private_segment_fixed_size 0
		.amdhsa_kernarg_size 128
		.amdhsa_user_sgpr_count 15
		.amdhsa_user_sgpr_dispatch_ptr 0
		.amdhsa_user_sgpr_queue_ptr 0
		.amdhsa_user_sgpr_kernarg_segment_ptr 1
		.amdhsa_user_sgpr_dispatch_id 0
		.amdhsa_user_sgpr_private_segment_size 0
		.amdhsa_wavefront_size32 1
		.amdhsa_uses_dynamic_stack 0
		.amdhsa_enable_private_segment 0
		.amdhsa_system_sgpr_workgroup_id_x 1
		.amdhsa_system_sgpr_workgroup_id_y 0
		.amdhsa_system_sgpr_workgroup_id_z 0
		.amdhsa_system_sgpr_workgroup_info 0
		.amdhsa_system_vgpr_workitem_id 0
		.amdhsa_next_free_vgpr 1
		.amdhsa_next_free_sgpr 1
		.amdhsa_reserve_vcc 0
		.amdhsa_float_round_mode_32 0
		.amdhsa_float_round_mode_16_64 0
		.amdhsa_float_denorm_mode_32 3
		.amdhsa_float_denorm_mode_16_64 3
		.amdhsa_dx10_clamp 1
		.amdhsa_ieee_mode 1
		.amdhsa_fp16_overflow 0
		.amdhsa_workgroup_processor_mode 1
		.amdhsa_memory_ordered 1
		.amdhsa_forward_progress 0
		.amdhsa_shared_vgpr_count 0
		.amdhsa_exception_fp_ieee_invalid_op 0
		.amdhsa_exception_fp_denorm_src 0
		.amdhsa_exception_fp_ieee_div_zero 0
		.amdhsa_exception_fp_ieee_overflow 0
		.amdhsa_exception_fp_ieee_underflow 0
		.amdhsa_exception_fp_ieee_inexact 0
		.amdhsa_exception_int_div_zero 0
	.end_amdhsa_kernel
	.section	.text._ZN7rocprim17ROCPRIM_400000_NS6detail17trampoline_kernelINS0_14default_configENS1_25partition_config_selectorILNS1_17partition_subalgoE6EyNS0_10empty_typeEbEEZZNS1_14partition_implILS5_6ELb0ES3_mN6thrust23THRUST_200600_302600_NS6detail15normal_iteratorINSA_10device_ptrIyEEEEPS6_SG_NS0_5tupleIJSF_S6_EEENSH_IJSG_SG_EEES6_PlJ5mod_3IyEEEE10hipError_tPvRmT3_T4_T5_T6_T7_T9_mT8_P12ihipStream_tbDpT10_ENKUlT_T0_E_clISt17integral_constantIbLb0EES15_IbLb1EEEEDaS11_S12_EUlS11_E_NS1_11comp_targetILNS1_3genE3ELNS1_11target_archE908ELNS1_3gpuE7ELNS1_3repE0EEENS1_30default_config_static_selectorELNS0_4arch9wavefront6targetE0EEEvT1_,"axG",@progbits,_ZN7rocprim17ROCPRIM_400000_NS6detail17trampoline_kernelINS0_14default_configENS1_25partition_config_selectorILNS1_17partition_subalgoE6EyNS0_10empty_typeEbEEZZNS1_14partition_implILS5_6ELb0ES3_mN6thrust23THRUST_200600_302600_NS6detail15normal_iteratorINSA_10device_ptrIyEEEEPS6_SG_NS0_5tupleIJSF_S6_EEENSH_IJSG_SG_EEES6_PlJ5mod_3IyEEEE10hipError_tPvRmT3_T4_T5_T6_T7_T9_mT8_P12ihipStream_tbDpT10_ENKUlT_T0_E_clISt17integral_constantIbLb0EES15_IbLb1EEEEDaS11_S12_EUlS11_E_NS1_11comp_targetILNS1_3genE3ELNS1_11target_archE908ELNS1_3gpuE7ELNS1_3repE0EEENS1_30default_config_static_selectorELNS0_4arch9wavefront6targetE0EEEvT1_,comdat
.Lfunc_end483:
	.size	_ZN7rocprim17ROCPRIM_400000_NS6detail17trampoline_kernelINS0_14default_configENS1_25partition_config_selectorILNS1_17partition_subalgoE6EyNS0_10empty_typeEbEEZZNS1_14partition_implILS5_6ELb0ES3_mN6thrust23THRUST_200600_302600_NS6detail15normal_iteratorINSA_10device_ptrIyEEEEPS6_SG_NS0_5tupleIJSF_S6_EEENSH_IJSG_SG_EEES6_PlJ5mod_3IyEEEE10hipError_tPvRmT3_T4_T5_T6_T7_T9_mT8_P12ihipStream_tbDpT10_ENKUlT_T0_E_clISt17integral_constantIbLb0EES15_IbLb1EEEEDaS11_S12_EUlS11_E_NS1_11comp_targetILNS1_3genE3ELNS1_11target_archE908ELNS1_3gpuE7ELNS1_3repE0EEENS1_30default_config_static_selectorELNS0_4arch9wavefront6targetE0EEEvT1_, .Lfunc_end483-_ZN7rocprim17ROCPRIM_400000_NS6detail17trampoline_kernelINS0_14default_configENS1_25partition_config_selectorILNS1_17partition_subalgoE6EyNS0_10empty_typeEbEEZZNS1_14partition_implILS5_6ELb0ES3_mN6thrust23THRUST_200600_302600_NS6detail15normal_iteratorINSA_10device_ptrIyEEEEPS6_SG_NS0_5tupleIJSF_S6_EEENSH_IJSG_SG_EEES6_PlJ5mod_3IyEEEE10hipError_tPvRmT3_T4_T5_T6_T7_T9_mT8_P12ihipStream_tbDpT10_ENKUlT_T0_E_clISt17integral_constantIbLb0EES15_IbLb1EEEEDaS11_S12_EUlS11_E_NS1_11comp_targetILNS1_3genE3ELNS1_11target_archE908ELNS1_3gpuE7ELNS1_3repE0EEENS1_30default_config_static_selectorELNS0_4arch9wavefront6targetE0EEEvT1_
                                        ; -- End function
	.section	.AMDGPU.csdata,"",@progbits
; Kernel info:
; codeLenInByte = 0
; NumSgprs: 0
; NumVgprs: 0
; ScratchSize: 0
; MemoryBound: 0
; FloatMode: 240
; IeeeMode: 1
; LDSByteSize: 0 bytes/workgroup (compile time only)
; SGPRBlocks: 0
; VGPRBlocks: 0
; NumSGPRsForWavesPerEU: 1
; NumVGPRsForWavesPerEU: 1
; Occupancy: 16
; WaveLimiterHint : 0
; COMPUTE_PGM_RSRC2:SCRATCH_EN: 0
; COMPUTE_PGM_RSRC2:USER_SGPR: 15
; COMPUTE_PGM_RSRC2:TRAP_HANDLER: 0
; COMPUTE_PGM_RSRC2:TGID_X_EN: 1
; COMPUTE_PGM_RSRC2:TGID_Y_EN: 0
; COMPUTE_PGM_RSRC2:TGID_Z_EN: 0
; COMPUTE_PGM_RSRC2:TIDIG_COMP_CNT: 0
	.section	.text._ZN7rocprim17ROCPRIM_400000_NS6detail17trampoline_kernelINS0_14default_configENS1_25partition_config_selectorILNS1_17partition_subalgoE6EyNS0_10empty_typeEbEEZZNS1_14partition_implILS5_6ELb0ES3_mN6thrust23THRUST_200600_302600_NS6detail15normal_iteratorINSA_10device_ptrIyEEEEPS6_SG_NS0_5tupleIJSF_S6_EEENSH_IJSG_SG_EEES6_PlJ5mod_3IyEEEE10hipError_tPvRmT3_T4_T5_T6_T7_T9_mT8_P12ihipStream_tbDpT10_ENKUlT_T0_E_clISt17integral_constantIbLb0EES15_IbLb1EEEEDaS11_S12_EUlS11_E_NS1_11comp_targetILNS1_3genE2ELNS1_11target_archE906ELNS1_3gpuE6ELNS1_3repE0EEENS1_30default_config_static_selectorELNS0_4arch9wavefront6targetE0EEEvT1_,"axG",@progbits,_ZN7rocprim17ROCPRIM_400000_NS6detail17trampoline_kernelINS0_14default_configENS1_25partition_config_selectorILNS1_17partition_subalgoE6EyNS0_10empty_typeEbEEZZNS1_14partition_implILS5_6ELb0ES3_mN6thrust23THRUST_200600_302600_NS6detail15normal_iteratorINSA_10device_ptrIyEEEEPS6_SG_NS0_5tupleIJSF_S6_EEENSH_IJSG_SG_EEES6_PlJ5mod_3IyEEEE10hipError_tPvRmT3_T4_T5_T6_T7_T9_mT8_P12ihipStream_tbDpT10_ENKUlT_T0_E_clISt17integral_constantIbLb0EES15_IbLb1EEEEDaS11_S12_EUlS11_E_NS1_11comp_targetILNS1_3genE2ELNS1_11target_archE906ELNS1_3gpuE6ELNS1_3repE0EEENS1_30default_config_static_selectorELNS0_4arch9wavefront6targetE0EEEvT1_,comdat
	.protected	_ZN7rocprim17ROCPRIM_400000_NS6detail17trampoline_kernelINS0_14default_configENS1_25partition_config_selectorILNS1_17partition_subalgoE6EyNS0_10empty_typeEbEEZZNS1_14partition_implILS5_6ELb0ES3_mN6thrust23THRUST_200600_302600_NS6detail15normal_iteratorINSA_10device_ptrIyEEEEPS6_SG_NS0_5tupleIJSF_S6_EEENSH_IJSG_SG_EEES6_PlJ5mod_3IyEEEE10hipError_tPvRmT3_T4_T5_T6_T7_T9_mT8_P12ihipStream_tbDpT10_ENKUlT_T0_E_clISt17integral_constantIbLb0EES15_IbLb1EEEEDaS11_S12_EUlS11_E_NS1_11comp_targetILNS1_3genE2ELNS1_11target_archE906ELNS1_3gpuE6ELNS1_3repE0EEENS1_30default_config_static_selectorELNS0_4arch9wavefront6targetE0EEEvT1_ ; -- Begin function _ZN7rocprim17ROCPRIM_400000_NS6detail17trampoline_kernelINS0_14default_configENS1_25partition_config_selectorILNS1_17partition_subalgoE6EyNS0_10empty_typeEbEEZZNS1_14partition_implILS5_6ELb0ES3_mN6thrust23THRUST_200600_302600_NS6detail15normal_iteratorINSA_10device_ptrIyEEEEPS6_SG_NS0_5tupleIJSF_S6_EEENSH_IJSG_SG_EEES6_PlJ5mod_3IyEEEE10hipError_tPvRmT3_T4_T5_T6_T7_T9_mT8_P12ihipStream_tbDpT10_ENKUlT_T0_E_clISt17integral_constantIbLb0EES15_IbLb1EEEEDaS11_S12_EUlS11_E_NS1_11comp_targetILNS1_3genE2ELNS1_11target_archE906ELNS1_3gpuE6ELNS1_3repE0EEENS1_30default_config_static_selectorELNS0_4arch9wavefront6targetE0EEEvT1_
	.globl	_ZN7rocprim17ROCPRIM_400000_NS6detail17trampoline_kernelINS0_14default_configENS1_25partition_config_selectorILNS1_17partition_subalgoE6EyNS0_10empty_typeEbEEZZNS1_14partition_implILS5_6ELb0ES3_mN6thrust23THRUST_200600_302600_NS6detail15normal_iteratorINSA_10device_ptrIyEEEEPS6_SG_NS0_5tupleIJSF_S6_EEENSH_IJSG_SG_EEES6_PlJ5mod_3IyEEEE10hipError_tPvRmT3_T4_T5_T6_T7_T9_mT8_P12ihipStream_tbDpT10_ENKUlT_T0_E_clISt17integral_constantIbLb0EES15_IbLb1EEEEDaS11_S12_EUlS11_E_NS1_11comp_targetILNS1_3genE2ELNS1_11target_archE906ELNS1_3gpuE6ELNS1_3repE0EEENS1_30default_config_static_selectorELNS0_4arch9wavefront6targetE0EEEvT1_
	.p2align	8
	.type	_ZN7rocprim17ROCPRIM_400000_NS6detail17trampoline_kernelINS0_14default_configENS1_25partition_config_selectorILNS1_17partition_subalgoE6EyNS0_10empty_typeEbEEZZNS1_14partition_implILS5_6ELb0ES3_mN6thrust23THRUST_200600_302600_NS6detail15normal_iteratorINSA_10device_ptrIyEEEEPS6_SG_NS0_5tupleIJSF_S6_EEENSH_IJSG_SG_EEES6_PlJ5mod_3IyEEEE10hipError_tPvRmT3_T4_T5_T6_T7_T9_mT8_P12ihipStream_tbDpT10_ENKUlT_T0_E_clISt17integral_constantIbLb0EES15_IbLb1EEEEDaS11_S12_EUlS11_E_NS1_11comp_targetILNS1_3genE2ELNS1_11target_archE906ELNS1_3gpuE6ELNS1_3repE0EEENS1_30default_config_static_selectorELNS0_4arch9wavefront6targetE0EEEvT1_,@function
_ZN7rocprim17ROCPRIM_400000_NS6detail17trampoline_kernelINS0_14default_configENS1_25partition_config_selectorILNS1_17partition_subalgoE6EyNS0_10empty_typeEbEEZZNS1_14partition_implILS5_6ELb0ES3_mN6thrust23THRUST_200600_302600_NS6detail15normal_iteratorINSA_10device_ptrIyEEEEPS6_SG_NS0_5tupleIJSF_S6_EEENSH_IJSG_SG_EEES6_PlJ5mod_3IyEEEE10hipError_tPvRmT3_T4_T5_T6_T7_T9_mT8_P12ihipStream_tbDpT10_ENKUlT_T0_E_clISt17integral_constantIbLb0EES15_IbLb1EEEEDaS11_S12_EUlS11_E_NS1_11comp_targetILNS1_3genE2ELNS1_11target_archE906ELNS1_3gpuE6ELNS1_3repE0EEENS1_30default_config_static_selectorELNS0_4arch9wavefront6targetE0EEEvT1_: ; @_ZN7rocprim17ROCPRIM_400000_NS6detail17trampoline_kernelINS0_14default_configENS1_25partition_config_selectorILNS1_17partition_subalgoE6EyNS0_10empty_typeEbEEZZNS1_14partition_implILS5_6ELb0ES3_mN6thrust23THRUST_200600_302600_NS6detail15normal_iteratorINSA_10device_ptrIyEEEEPS6_SG_NS0_5tupleIJSF_S6_EEENSH_IJSG_SG_EEES6_PlJ5mod_3IyEEEE10hipError_tPvRmT3_T4_T5_T6_T7_T9_mT8_P12ihipStream_tbDpT10_ENKUlT_T0_E_clISt17integral_constantIbLb0EES15_IbLb1EEEEDaS11_S12_EUlS11_E_NS1_11comp_targetILNS1_3genE2ELNS1_11target_archE906ELNS1_3gpuE6ELNS1_3repE0EEENS1_30default_config_static_selectorELNS0_4arch9wavefront6targetE0EEEvT1_
; %bb.0:
	.section	.rodata,"a",@progbits
	.p2align	6, 0x0
	.amdhsa_kernel _ZN7rocprim17ROCPRIM_400000_NS6detail17trampoline_kernelINS0_14default_configENS1_25partition_config_selectorILNS1_17partition_subalgoE6EyNS0_10empty_typeEbEEZZNS1_14partition_implILS5_6ELb0ES3_mN6thrust23THRUST_200600_302600_NS6detail15normal_iteratorINSA_10device_ptrIyEEEEPS6_SG_NS0_5tupleIJSF_S6_EEENSH_IJSG_SG_EEES6_PlJ5mod_3IyEEEE10hipError_tPvRmT3_T4_T5_T6_T7_T9_mT8_P12ihipStream_tbDpT10_ENKUlT_T0_E_clISt17integral_constantIbLb0EES15_IbLb1EEEEDaS11_S12_EUlS11_E_NS1_11comp_targetILNS1_3genE2ELNS1_11target_archE906ELNS1_3gpuE6ELNS1_3repE0EEENS1_30default_config_static_selectorELNS0_4arch9wavefront6targetE0EEEvT1_
		.amdhsa_group_segment_fixed_size 0
		.amdhsa_private_segment_fixed_size 0
		.amdhsa_kernarg_size 128
		.amdhsa_user_sgpr_count 15
		.amdhsa_user_sgpr_dispatch_ptr 0
		.amdhsa_user_sgpr_queue_ptr 0
		.amdhsa_user_sgpr_kernarg_segment_ptr 1
		.amdhsa_user_sgpr_dispatch_id 0
		.amdhsa_user_sgpr_private_segment_size 0
		.amdhsa_wavefront_size32 1
		.amdhsa_uses_dynamic_stack 0
		.amdhsa_enable_private_segment 0
		.amdhsa_system_sgpr_workgroup_id_x 1
		.amdhsa_system_sgpr_workgroup_id_y 0
		.amdhsa_system_sgpr_workgroup_id_z 0
		.amdhsa_system_sgpr_workgroup_info 0
		.amdhsa_system_vgpr_workitem_id 0
		.amdhsa_next_free_vgpr 1
		.amdhsa_next_free_sgpr 1
		.amdhsa_reserve_vcc 0
		.amdhsa_float_round_mode_32 0
		.amdhsa_float_round_mode_16_64 0
		.amdhsa_float_denorm_mode_32 3
		.amdhsa_float_denorm_mode_16_64 3
		.amdhsa_dx10_clamp 1
		.amdhsa_ieee_mode 1
		.amdhsa_fp16_overflow 0
		.amdhsa_workgroup_processor_mode 1
		.amdhsa_memory_ordered 1
		.amdhsa_forward_progress 0
		.amdhsa_shared_vgpr_count 0
		.amdhsa_exception_fp_ieee_invalid_op 0
		.amdhsa_exception_fp_denorm_src 0
		.amdhsa_exception_fp_ieee_div_zero 0
		.amdhsa_exception_fp_ieee_overflow 0
		.amdhsa_exception_fp_ieee_underflow 0
		.amdhsa_exception_fp_ieee_inexact 0
		.amdhsa_exception_int_div_zero 0
	.end_amdhsa_kernel
	.section	.text._ZN7rocprim17ROCPRIM_400000_NS6detail17trampoline_kernelINS0_14default_configENS1_25partition_config_selectorILNS1_17partition_subalgoE6EyNS0_10empty_typeEbEEZZNS1_14partition_implILS5_6ELb0ES3_mN6thrust23THRUST_200600_302600_NS6detail15normal_iteratorINSA_10device_ptrIyEEEEPS6_SG_NS0_5tupleIJSF_S6_EEENSH_IJSG_SG_EEES6_PlJ5mod_3IyEEEE10hipError_tPvRmT3_T4_T5_T6_T7_T9_mT8_P12ihipStream_tbDpT10_ENKUlT_T0_E_clISt17integral_constantIbLb0EES15_IbLb1EEEEDaS11_S12_EUlS11_E_NS1_11comp_targetILNS1_3genE2ELNS1_11target_archE906ELNS1_3gpuE6ELNS1_3repE0EEENS1_30default_config_static_selectorELNS0_4arch9wavefront6targetE0EEEvT1_,"axG",@progbits,_ZN7rocprim17ROCPRIM_400000_NS6detail17trampoline_kernelINS0_14default_configENS1_25partition_config_selectorILNS1_17partition_subalgoE6EyNS0_10empty_typeEbEEZZNS1_14partition_implILS5_6ELb0ES3_mN6thrust23THRUST_200600_302600_NS6detail15normal_iteratorINSA_10device_ptrIyEEEEPS6_SG_NS0_5tupleIJSF_S6_EEENSH_IJSG_SG_EEES6_PlJ5mod_3IyEEEE10hipError_tPvRmT3_T4_T5_T6_T7_T9_mT8_P12ihipStream_tbDpT10_ENKUlT_T0_E_clISt17integral_constantIbLb0EES15_IbLb1EEEEDaS11_S12_EUlS11_E_NS1_11comp_targetILNS1_3genE2ELNS1_11target_archE906ELNS1_3gpuE6ELNS1_3repE0EEENS1_30default_config_static_selectorELNS0_4arch9wavefront6targetE0EEEvT1_,comdat
.Lfunc_end484:
	.size	_ZN7rocprim17ROCPRIM_400000_NS6detail17trampoline_kernelINS0_14default_configENS1_25partition_config_selectorILNS1_17partition_subalgoE6EyNS0_10empty_typeEbEEZZNS1_14partition_implILS5_6ELb0ES3_mN6thrust23THRUST_200600_302600_NS6detail15normal_iteratorINSA_10device_ptrIyEEEEPS6_SG_NS0_5tupleIJSF_S6_EEENSH_IJSG_SG_EEES6_PlJ5mod_3IyEEEE10hipError_tPvRmT3_T4_T5_T6_T7_T9_mT8_P12ihipStream_tbDpT10_ENKUlT_T0_E_clISt17integral_constantIbLb0EES15_IbLb1EEEEDaS11_S12_EUlS11_E_NS1_11comp_targetILNS1_3genE2ELNS1_11target_archE906ELNS1_3gpuE6ELNS1_3repE0EEENS1_30default_config_static_selectorELNS0_4arch9wavefront6targetE0EEEvT1_, .Lfunc_end484-_ZN7rocprim17ROCPRIM_400000_NS6detail17trampoline_kernelINS0_14default_configENS1_25partition_config_selectorILNS1_17partition_subalgoE6EyNS0_10empty_typeEbEEZZNS1_14partition_implILS5_6ELb0ES3_mN6thrust23THRUST_200600_302600_NS6detail15normal_iteratorINSA_10device_ptrIyEEEEPS6_SG_NS0_5tupleIJSF_S6_EEENSH_IJSG_SG_EEES6_PlJ5mod_3IyEEEE10hipError_tPvRmT3_T4_T5_T6_T7_T9_mT8_P12ihipStream_tbDpT10_ENKUlT_T0_E_clISt17integral_constantIbLb0EES15_IbLb1EEEEDaS11_S12_EUlS11_E_NS1_11comp_targetILNS1_3genE2ELNS1_11target_archE906ELNS1_3gpuE6ELNS1_3repE0EEENS1_30default_config_static_selectorELNS0_4arch9wavefront6targetE0EEEvT1_
                                        ; -- End function
	.section	.AMDGPU.csdata,"",@progbits
; Kernel info:
; codeLenInByte = 0
; NumSgprs: 0
; NumVgprs: 0
; ScratchSize: 0
; MemoryBound: 0
; FloatMode: 240
; IeeeMode: 1
; LDSByteSize: 0 bytes/workgroup (compile time only)
; SGPRBlocks: 0
; VGPRBlocks: 0
; NumSGPRsForWavesPerEU: 1
; NumVGPRsForWavesPerEU: 1
; Occupancy: 16
; WaveLimiterHint : 0
; COMPUTE_PGM_RSRC2:SCRATCH_EN: 0
; COMPUTE_PGM_RSRC2:USER_SGPR: 15
; COMPUTE_PGM_RSRC2:TRAP_HANDLER: 0
; COMPUTE_PGM_RSRC2:TGID_X_EN: 1
; COMPUTE_PGM_RSRC2:TGID_Y_EN: 0
; COMPUTE_PGM_RSRC2:TGID_Z_EN: 0
; COMPUTE_PGM_RSRC2:TIDIG_COMP_CNT: 0
	.section	.text._ZN7rocprim17ROCPRIM_400000_NS6detail17trampoline_kernelINS0_14default_configENS1_25partition_config_selectorILNS1_17partition_subalgoE6EyNS0_10empty_typeEbEEZZNS1_14partition_implILS5_6ELb0ES3_mN6thrust23THRUST_200600_302600_NS6detail15normal_iteratorINSA_10device_ptrIyEEEEPS6_SG_NS0_5tupleIJSF_S6_EEENSH_IJSG_SG_EEES6_PlJ5mod_3IyEEEE10hipError_tPvRmT3_T4_T5_T6_T7_T9_mT8_P12ihipStream_tbDpT10_ENKUlT_T0_E_clISt17integral_constantIbLb0EES15_IbLb1EEEEDaS11_S12_EUlS11_E_NS1_11comp_targetILNS1_3genE10ELNS1_11target_archE1200ELNS1_3gpuE4ELNS1_3repE0EEENS1_30default_config_static_selectorELNS0_4arch9wavefront6targetE0EEEvT1_,"axG",@progbits,_ZN7rocprim17ROCPRIM_400000_NS6detail17trampoline_kernelINS0_14default_configENS1_25partition_config_selectorILNS1_17partition_subalgoE6EyNS0_10empty_typeEbEEZZNS1_14partition_implILS5_6ELb0ES3_mN6thrust23THRUST_200600_302600_NS6detail15normal_iteratorINSA_10device_ptrIyEEEEPS6_SG_NS0_5tupleIJSF_S6_EEENSH_IJSG_SG_EEES6_PlJ5mod_3IyEEEE10hipError_tPvRmT3_T4_T5_T6_T7_T9_mT8_P12ihipStream_tbDpT10_ENKUlT_T0_E_clISt17integral_constantIbLb0EES15_IbLb1EEEEDaS11_S12_EUlS11_E_NS1_11comp_targetILNS1_3genE10ELNS1_11target_archE1200ELNS1_3gpuE4ELNS1_3repE0EEENS1_30default_config_static_selectorELNS0_4arch9wavefront6targetE0EEEvT1_,comdat
	.protected	_ZN7rocprim17ROCPRIM_400000_NS6detail17trampoline_kernelINS0_14default_configENS1_25partition_config_selectorILNS1_17partition_subalgoE6EyNS0_10empty_typeEbEEZZNS1_14partition_implILS5_6ELb0ES3_mN6thrust23THRUST_200600_302600_NS6detail15normal_iteratorINSA_10device_ptrIyEEEEPS6_SG_NS0_5tupleIJSF_S6_EEENSH_IJSG_SG_EEES6_PlJ5mod_3IyEEEE10hipError_tPvRmT3_T4_T5_T6_T7_T9_mT8_P12ihipStream_tbDpT10_ENKUlT_T0_E_clISt17integral_constantIbLb0EES15_IbLb1EEEEDaS11_S12_EUlS11_E_NS1_11comp_targetILNS1_3genE10ELNS1_11target_archE1200ELNS1_3gpuE4ELNS1_3repE0EEENS1_30default_config_static_selectorELNS0_4arch9wavefront6targetE0EEEvT1_ ; -- Begin function _ZN7rocprim17ROCPRIM_400000_NS6detail17trampoline_kernelINS0_14default_configENS1_25partition_config_selectorILNS1_17partition_subalgoE6EyNS0_10empty_typeEbEEZZNS1_14partition_implILS5_6ELb0ES3_mN6thrust23THRUST_200600_302600_NS6detail15normal_iteratorINSA_10device_ptrIyEEEEPS6_SG_NS0_5tupleIJSF_S6_EEENSH_IJSG_SG_EEES6_PlJ5mod_3IyEEEE10hipError_tPvRmT3_T4_T5_T6_T7_T9_mT8_P12ihipStream_tbDpT10_ENKUlT_T0_E_clISt17integral_constantIbLb0EES15_IbLb1EEEEDaS11_S12_EUlS11_E_NS1_11comp_targetILNS1_3genE10ELNS1_11target_archE1200ELNS1_3gpuE4ELNS1_3repE0EEENS1_30default_config_static_selectorELNS0_4arch9wavefront6targetE0EEEvT1_
	.globl	_ZN7rocprim17ROCPRIM_400000_NS6detail17trampoline_kernelINS0_14default_configENS1_25partition_config_selectorILNS1_17partition_subalgoE6EyNS0_10empty_typeEbEEZZNS1_14partition_implILS5_6ELb0ES3_mN6thrust23THRUST_200600_302600_NS6detail15normal_iteratorINSA_10device_ptrIyEEEEPS6_SG_NS0_5tupleIJSF_S6_EEENSH_IJSG_SG_EEES6_PlJ5mod_3IyEEEE10hipError_tPvRmT3_T4_T5_T6_T7_T9_mT8_P12ihipStream_tbDpT10_ENKUlT_T0_E_clISt17integral_constantIbLb0EES15_IbLb1EEEEDaS11_S12_EUlS11_E_NS1_11comp_targetILNS1_3genE10ELNS1_11target_archE1200ELNS1_3gpuE4ELNS1_3repE0EEENS1_30default_config_static_selectorELNS0_4arch9wavefront6targetE0EEEvT1_
	.p2align	8
	.type	_ZN7rocprim17ROCPRIM_400000_NS6detail17trampoline_kernelINS0_14default_configENS1_25partition_config_selectorILNS1_17partition_subalgoE6EyNS0_10empty_typeEbEEZZNS1_14partition_implILS5_6ELb0ES3_mN6thrust23THRUST_200600_302600_NS6detail15normal_iteratorINSA_10device_ptrIyEEEEPS6_SG_NS0_5tupleIJSF_S6_EEENSH_IJSG_SG_EEES6_PlJ5mod_3IyEEEE10hipError_tPvRmT3_T4_T5_T6_T7_T9_mT8_P12ihipStream_tbDpT10_ENKUlT_T0_E_clISt17integral_constantIbLb0EES15_IbLb1EEEEDaS11_S12_EUlS11_E_NS1_11comp_targetILNS1_3genE10ELNS1_11target_archE1200ELNS1_3gpuE4ELNS1_3repE0EEENS1_30default_config_static_selectorELNS0_4arch9wavefront6targetE0EEEvT1_,@function
_ZN7rocprim17ROCPRIM_400000_NS6detail17trampoline_kernelINS0_14default_configENS1_25partition_config_selectorILNS1_17partition_subalgoE6EyNS0_10empty_typeEbEEZZNS1_14partition_implILS5_6ELb0ES3_mN6thrust23THRUST_200600_302600_NS6detail15normal_iteratorINSA_10device_ptrIyEEEEPS6_SG_NS0_5tupleIJSF_S6_EEENSH_IJSG_SG_EEES6_PlJ5mod_3IyEEEE10hipError_tPvRmT3_T4_T5_T6_T7_T9_mT8_P12ihipStream_tbDpT10_ENKUlT_T0_E_clISt17integral_constantIbLb0EES15_IbLb1EEEEDaS11_S12_EUlS11_E_NS1_11comp_targetILNS1_3genE10ELNS1_11target_archE1200ELNS1_3gpuE4ELNS1_3repE0EEENS1_30default_config_static_selectorELNS0_4arch9wavefront6targetE0EEEvT1_: ; @_ZN7rocprim17ROCPRIM_400000_NS6detail17trampoline_kernelINS0_14default_configENS1_25partition_config_selectorILNS1_17partition_subalgoE6EyNS0_10empty_typeEbEEZZNS1_14partition_implILS5_6ELb0ES3_mN6thrust23THRUST_200600_302600_NS6detail15normal_iteratorINSA_10device_ptrIyEEEEPS6_SG_NS0_5tupleIJSF_S6_EEENSH_IJSG_SG_EEES6_PlJ5mod_3IyEEEE10hipError_tPvRmT3_T4_T5_T6_T7_T9_mT8_P12ihipStream_tbDpT10_ENKUlT_T0_E_clISt17integral_constantIbLb0EES15_IbLb1EEEEDaS11_S12_EUlS11_E_NS1_11comp_targetILNS1_3genE10ELNS1_11target_archE1200ELNS1_3gpuE4ELNS1_3repE0EEENS1_30default_config_static_selectorELNS0_4arch9wavefront6targetE0EEEvT1_
; %bb.0:
	.section	.rodata,"a",@progbits
	.p2align	6, 0x0
	.amdhsa_kernel _ZN7rocprim17ROCPRIM_400000_NS6detail17trampoline_kernelINS0_14default_configENS1_25partition_config_selectorILNS1_17partition_subalgoE6EyNS0_10empty_typeEbEEZZNS1_14partition_implILS5_6ELb0ES3_mN6thrust23THRUST_200600_302600_NS6detail15normal_iteratorINSA_10device_ptrIyEEEEPS6_SG_NS0_5tupleIJSF_S6_EEENSH_IJSG_SG_EEES6_PlJ5mod_3IyEEEE10hipError_tPvRmT3_T4_T5_T6_T7_T9_mT8_P12ihipStream_tbDpT10_ENKUlT_T0_E_clISt17integral_constantIbLb0EES15_IbLb1EEEEDaS11_S12_EUlS11_E_NS1_11comp_targetILNS1_3genE10ELNS1_11target_archE1200ELNS1_3gpuE4ELNS1_3repE0EEENS1_30default_config_static_selectorELNS0_4arch9wavefront6targetE0EEEvT1_
		.amdhsa_group_segment_fixed_size 0
		.amdhsa_private_segment_fixed_size 0
		.amdhsa_kernarg_size 128
		.amdhsa_user_sgpr_count 15
		.amdhsa_user_sgpr_dispatch_ptr 0
		.amdhsa_user_sgpr_queue_ptr 0
		.amdhsa_user_sgpr_kernarg_segment_ptr 1
		.amdhsa_user_sgpr_dispatch_id 0
		.amdhsa_user_sgpr_private_segment_size 0
		.amdhsa_wavefront_size32 1
		.amdhsa_uses_dynamic_stack 0
		.amdhsa_enable_private_segment 0
		.amdhsa_system_sgpr_workgroup_id_x 1
		.amdhsa_system_sgpr_workgroup_id_y 0
		.amdhsa_system_sgpr_workgroup_id_z 0
		.amdhsa_system_sgpr_workgroup_info 0
		.amdhsa_system_vgpr_workitem_id 0
		.amdhsa_next_free_vgpr 1
		.amdhsa_next_free_sgpr 1
		.amdhsa_reserve_vcc 0
		.amdhsa_float_round_mode_32 0
		.amdhsa_float_round_mode_16_64 0
		.amdhsa_float_denorm_mode_32 3
		.amdhsa_float_denorm_mode_16_64 3
		.amdhsa_dx10_clamp 1
		.amdhsa_ieee_mode 1
		.amdhsa_fp16_overflow 0
		.amdhsa_workgroup_processor_mode 1
		.amdhsa_memory_ordered 1
		.amdhsa_forward_progress 0
		.amdhsa_shared_vgpr_count 0
		.amdhsa_exception_fp_ieee_invalid_op 0
		.amdhsa_exception_fp_denorm_src 0
		.amdhsa_exception_fp_ieee_div_zero 0
		.amdhsa_exception_fp_ieee_overflow 0
		.amdhsa_exception_fp_ieee_underflow 0
		.amdhsa_exception_fp_ieee_inexact 0
		.amdhsa_exception_int_div_zero 0
	.end_amdhsa_kernel
	.section	.text._ZN7rocprim17ROCPRIM_400000_NS6detail17trampoline_kernelINS0_14default_configENS1_25partition_config_selectorILNS1_17partition_subalgoE6EyNS0_10empty_typeEbEEZZNS1_14partition_implILS5_6ELb0ES3_mN6thrust23THRUST_200600_302600_NS6detail15normal_iteratorINSA_10device_ptrIyEEEEPS6_SG_NS0_5tupleIJSF_S6_EEENSH_IJSG_SG_EEES6_PlJ5mod_3IyEEEE10hipError_tPvRmT3_T4_T5_T6_T7_T9_mT8_P12ihipStream_tbDpT10_ENKUlT_T0_E_clISt17integral_constantIbLb0EES15_IbLb1EEEEDaS11_S12_EUlS11_E_NS1_11comp_targetILNS1_3genE10ELNS1_11target_archE1200ELNS1_3gpuE4ELNS1_3repE0EEENS1_30default_config_static_selectorELNS0_4arch9wavefront6targetE0EEEvT1_,"axG",@progbits,_ZN7rocprim17ROCPRIM_400000_NS6detail17trampoline_kernelINS0_14default_configENS1_25partition_config_selectorILNS1_17partition_subalgoE6EyNS0_10empty_typeEbEEZZNS1_14partition_implILS5_6ELb0ES3_mN6thrust23THRUST_200600_302600_NS6detail15normal_iteratorINSA_10device_ptrIyEEEEPS6_SG_NS0_5tupleIJSF_S6_EEENSH_IJSG_SG_EEES6_PlJ5mod_3IyEEEE10hipError_tPvRmT3_T4_T5_T6_T7_T9_mT8_P12ihipStream_tbDpT10_ENKUlT_T0_E_clISt17integral_constantIbLb0EES15_IbLb1EEEEDaS11_S12_EUlS11_E_NS1_11comp_targetILNS1_3genE10ELNS1_11target_archE1200ELNS1_3gpuE4ELNS1_3repE0EEENS1_30default_config_static_selectorELNS0_4arch9wavefront6targetE0EEEvT1_,comdat
.Lfunc_end485:
	.size	_ZN7rocprim17ROCPRIM_400000_NS6detail17trampoline_kernelINS0_14default_configENS1_25partition_config_selectorILNS1_17partition_subalgoE6EyNS0_10empty_typeEbEEZZNS1_14partition_implILS5_6ELb0ES3_mN6thrust23THRUST_200600_302600_NS6detail15normal_iteratorINSA_10device_ptrIyEEEEPS6_SG_NS0_5tupleIJSF_S6_EEENSH_IJSG_SG_EEES6_PlJ5mod_3IyEEEE10hipError_tPvRmT3_T4_T5_T6_T7_T9_mT8_P12ihipStream_tbDpT10_ENKUlT_T0_E_clISt17integral_constantIbLb0EES15_IbLb1EEEEDaS11_S12_EUlS11_E_NS1_11comp_targetILNS1_3genE10ELNS1_11target_archE1200ELNS1_3gpuE4ELNS1_3repE0EEENS1_30default_config_static_selectorELNS0_4arch9wavefront6targetE0EEEvT1_, .Lfunc_end485-_ZN7rocprim17ROCPRIM_400000_NS6detail17trampoline_kernelINS0_14default_configENS1_25partition_config_selectorILNS1_17partition_subalgoE6EyNS0_10empty_typeEbEEZZNS1_14partition_implILS5_6ELb0ES3_mN6thrust23THRUST_200600_302600_NS6detail15normal_iteratorINSA_10device_ptrIyEEEEPS6_SG_NS0_5tupleIJSF_S6_EEENSH_IJSG_SG_EEES6_PlJ5mod_3IyEEEE10hipError_tPvRmT3_T4_T5_T6_T7_T9_mT8_P12ihipStream_tbDpT10_ENKUlT_T0_E_clISt17integral_constantIbLb0EES15_IbLb1EEEEDaS11_S12_EUlS11_E_NS1_11comp_targetILNS1_3genE10ELNS1_11target_archE1200ELNS1_3gpuE4ELNS1_3repE0EEENS1_30default_config_static_selectorELNS0_4arch9wavefront6targetE0EEEvT1_
                                        ; -- End function
	.section	.AMDGPU.csdata,"",@progbits
; Kernel info:
; codeLenInByte = 0
; NumSgprs: 0
; NumVgprs: 0
; ScratchSize: 0
; MemoryBound: 0
; FloatMode: 240
; IeeeMode: 1
; LDSByteSize: 0 bytes/workgroup (compile time only)
; SGPRBlocks: 0
; VGPRBlocks: 0
; NumSGPRsForWavesPerEU: 1
; NumVGPRsForWavesPerEU: 1
; Occupancy: 16
; WaveLimiterHint : 0
; COMPUTE_PGM_RSRC2:SCRATCH_EN: 0
; COMPUTE_PGM_RSRC2:USER_SGPR: 15
; COMPUTE_PGM_RSRC2:TRAP_HANDLER: 0
; COMPUTE_PGM_RSRC2:TGID_X_EN: 1
; COMPUTE_PGM_RSRC2:TGID_Y_EN: 0
; COMPUTE_PGM_RSRC2:TGID_Z_EN: 0
; COMPUTE_PGM_RSRC2:TIDIG_COMP_CNT: 0
	.section	.text._ZN7rocprim17ROCPRIM_400000_NS6detail17trampoline_kernelINS0_14default_configENS1_25partition_config_selectorILNS1_17partition_subalgoE6EyNS0_10empty_typeEbEEZZNS1_14partition_implILS5_6ELb0ES3_mN6thrust23THRUST_200600_302600_NS6detail15normal_iteratorINSA_10device_ptrIyEEEEPS6_SG_NS0_5tupleIJSF_S6_EEENSH_IJSG_SG_EEES6_PlJ5mod_3IyEEEE10hipError_tPvRmT3_T4_T5_T6_T7_T9_mT8_P12ihipStream_tbDpT10_ENKUlT_T0_E_clISt17integral_constantIbLb0EES15_IbLb1EEEEDaS11_S12_EUlS11_E_NS1_11comp_targetILNS1_3genE9ELNS1_11target_archE1100ELNS1_3gpuE3ELNS1_3repE0EEENS1_30default_config_static_selectorELNS0_4arch9wavefront6targetE0EEEvT1_,"axG",@progbits,_ZN7rocprim17ROCPRIM_400000_NS6detail17trampoline_kernelINS0_14default_configENS1_25partition_config_selectorILNS1_17partition_subalgoE6EyNS0_10empty_typeEbEEZZNS1_14partition_implILS5_6ELb0ES3_mN6thrust23THRUST_200600_302600_NS6detail15normal_iteratorINSA_10device_ptrIyEEEEPS6_SG_NS0_5tupleIJSF_S6_EEENSH_IJSG_SG_EEES6_PlJ5mod_3IyEEEE10hipError_tPvRmT3_T4_T5_T6_T7_T9_mT8_P12ihipStream_tbDpT10_ENKUlT_T0_E_clISt17integral_constantIbLb0EES15_IbLb1EEEEDaS11_S12_EUlS11_E_NS1_11comp_targetILNS1_3genE9ELNS1_11target_archE1100ELNS1_3gpuE3ELNS1_3repE0EEENS1_30default_config_static_selectorELNS0_4arch9wavefront6targetE0EEEvT1_,comdat
	.protected	_ZN7rocprim17ROCPRIM_400000_NS6detail17trampoline_kernelINS0_14default_configENS1_25partition_config_selectorILNS1_17partition_subalgoE6EyNS0_10empty_typeEbEEZZNS1_14partition_implILS5_6ELb0ES3_mN6thrust23THRUST_200600_302600_NS6detail15normal_iteratorINSA_10device_ptrIyEEEEPS6_SG_NS0_5tupleIJSF_S6_EEENSH_IJSG_SG_EEES6_PlJ5mod_3IyEEEE10hipError_tPvRmT3_T4_T5_T6_T7_T9_mT8_P12ihipStream_tbDpT10_ENKUlT_T0_E_clISt17integral_constantIbLb0EES15_IbLb1EEEEDaS11_S12_EUlS11_E_NS1_11comp_targetILNS1_3genE9ELNS1_11target_archE1100ELNS1_3gpuE3ELNS1_3repE0EEENS1_30default_config_static_selectorELNS0_4arch9wavefront6targetE0EEEvT1_ ; -- Begin function _ZN7rocprim17ROCPRIM_400000_NS6detail17trampoline_kernelINS0_14default_configENS1_25partition_config_selectorILNS1_17partition_subalgoE6EyNS0_10empty_typeEbEEZZNS1_14partition_implILS5_6ELb0ES3_mN6thrust23THRUST_200600_302600_NS6detail15normal_iteratorINSA_10device_ptrIyEEEEPS6_SG_NS0_5tupleIJSF_S6_EEENSH_IJSG_SG_EEES6_PlJ5mod_3IyEEEE10hipError_tPvRmT3_T4_T5_T6_T7_T9_mT8_P12ihipStream_tbDpT10_ENKUlT_T0_E_clISt17integral_constantIbLb0EES15_IbLb1EEEEDaS11_S12_EUlS11_E_NS1_11comp_targetILNS1_3genE9ELNS1_11target_archE1100ELNS1_3gpuE3ELNS1_3repE0EEENS1_30default_config_static_selectorELNS0_4arch9wavefront6targetE0EEEvT1_
	.globl	_ZN7rocprim17ROCPRIM_400000_NS6detail17trampoline_kernelINS0_14default_configENS1_25partition_config_selectorILNS1_17partition_subalgoE6EyNS0_10empty_typeEbEEZZNS1_14partition_implILS5_6ELb0ES3_mN6thrust23THRUST_200600_302600_NS6detail15normal_iteratorINSA_10device_ptrIyEEEEPS6_SG_NS0_5tupleIJSF_S6_EEENSH_IJSG_SG_EEES6_PlJ5mod_3IyEEEE10hipError_tPvRmT3_T4_T5_T6_T7_T9_mT8_P12ihipStream_tbDpT10_ENKUlT_T0_E_clISt17integral_constantIbLb0EES15_IbLb1EEEEDaS11_S12_EUlS11_E_NS1_11comp_targetILNS1_3genE9ELNS1_11target_archE1100ELNS1_3gpuE3ELNS1_3repE0EEENS1_30default_config_static_selectorELNS0_4arch9wavefront6targetE0EEEvT1_
	.p2align	8
	.type	_ZN7rocprim17ROCPRIM_400000_NS6detail17trampoline_kernelINS0_14default_configENS1_25partition_config_selectorILNS1_17partition_subalgoE6EyNS0_10empty_typeEbEEZZNS1_14partition_implILS5_6ELb0ES3_mN6thrust23THRUST_200600_302600_NS6detail15normal_iteratorINSA_10device_ptrIyEEEEPS6_SG_NS0_5tupleIJSF_S6_EEENSH_IJSG_SG_EEES6_PlJ5mod_3IyEEEE10hipError_tPvRmT3_T4_T5_T6_T7_T9_mT8_P12ihipStream_tbDpT10_ENKUlT_T0_E_clISt17integral_constantIbLb0EES15_IbLb1EEEEDaS11_S12_EUlS11_E_NS1_11comp_targetILNS1_3genE9ELNS1_11target_archE1100ELNS1_3gpuE3ELNS1_3repE0EEENS1_30default_config_static_selectorELNS0_4arch9wavefront6targetE0EEEvT1_,@function
_ZN7rocprim17ROCPRIM_400000_NS6detail17trampoline_kernelINS0_14default_configENS1_25partition_config_selectorILNS1_17partition_subalgoE6EyNS0_10empty_typeEbEEZZNS1_14partition_implILS5_6ELb0ES3_mN6thrust23THRUST_200600_302600_NS6detail15normal_iteratorINSA_10device_ptrIyEEEEPS6_SG_NS0_5tupleIJSF_S6_EEENSH_IJSG_SG_EEES6_PlJ5mod_3IyEEEE10hipError_tPvRmT3_T4_T5_T6_T7_T9_mT8_P12ihipStream_tbDpT10_ENKUlT_T0_E_clISt17integral_constantIbLb0EES15_IbLb1EEEEDaS11_S12_EUlS11_E_NS1_11comp_targetILNS1_3genE9ELNS1_11target_archE1100ELNS1_3gpuE3ELNS1_3repE0EEENS1_30default_config_static_selectorELNS0_4arch9wavefront6targetE0EEEvT1_: ; @_ZN7rocprim17ROCPRIM_400000_NS6detail17trampoline_kernelINS0_14default_configENS1_25partition_config_selectorILNS1_17partition_subalgoE6EyNS0_10empty_typeEbEEZZNS1_14partition_implILS5_6ELb0ES3_mN6thrust23THRUST_200600_302600_NS6detail15normal_iteratorINSA_10device_ptrIyEEEEPS6_SG_NS0_5tupleIJSF_S6_EEENSH_IJSG_SG_EEES6_PlJ5mod_3IyEEEE10hipError_tPvRmT3_T4_T5_T6_T7_T9_mT8_P12ihipStream_tbDpT10_ENKUlT_T0_E_clISt17integral_constantIbLb0EES15_IbLb1EEEEDaS11_S12_EUlS11_E_NS1_11comp_targetILNS1_3genE9ELNS1_11target_archE1100ELNS1_3gpuE3ELNS1_3repE0EEENS1_30default_config_static_selectorELNS0_4arch9wavefront6targetE0EEEvT1_
; %bb.0:
	s_clause 0x3
	s_load_b64 s[12:13], s[0:1], 0x28
	s_load_b128 s[8:11], s[0:1], 0x40
	s_load_b64 s[16:17], s[0:1], 0x50
	s_load_b64 s[14:15], s[0:1], 0x60
	v_cmp_eq_u32_e64 s2, 0, v0
	s_delay_alu instid0(VALU_DEP_1)
	s_and_saveexec_b32 s3, s2
	s_cbranch_execz .LBB486_4
; %bb.1:
	s_mov_b32 s5, exec_lo
	s_mov_b32 s4, exec_lo
	v_mbcnt_lo_u32_b32 v1, s5, 0
                                        ; implicit-def: $vgpr2
	s_delay_alu instid0(VALU_DEP_1)
	v_cmpx_eq_u32_e32 0, v1
	s_cbranch_execz .LBB486_3
; %bb.2:
	s_load_b64 s[6:7], s[0:1], 0x70
	s_bcnt1_i32_b32 s5, s5
	s_delay_alu instid0(SALU_CYCLE_1)
	v_dual_mov_b32 v2, 0 :: v_dual_mov_b32 v3, s5
	s_waitcnt lgkmcnt(0)
	global_atomic_add_u32 v2, v2, v3, s[6:7] glc
.LBB486_3:
	s_or_b32 exec_lo, exec_lo, s4
	s_waitcnt vmcnt(0)
	v_readfirstlane_b32 s4, v2
	s_delay_alu instid0(VALU_DEP_1)
	v_dual_mov_b32 v2, 0 :: v_dual_add_nc_u32 v1, s4, v1
	ds_store_b32 v2, v1
.LBB486_4:
	s_or_b32 exec_lo, exec_lo, s3
	v_mov_b32_e32 v2, 0
	s_clause 0x1
	s_load_b128 s[4:7], s[0:1], 0x8
	s_load_b32 s0, s[0:1], 0x68
	s_waitcnt lgkmcnt(0)
	s_barrier
	buffer_gl0_inv
	ds_load_b32 v1, v2
	s_waitcnt lgkmcnt(0)
	s_barrier
	buffer_gl0_inv
	global_load_b64 v[21:22], v2, s[10:11]
	s_lshl_b64 s[10:11], s[6:7], 3
	s_delay_alu instid0(SALU_CYCLE_1)
	s_add_u32 s1, s4, s10
	s_mul_i32 s4, s0, 0x900
	s_addc_u32 s3, s5, s11
	v_readfirstlane_b32 s10, v1
	v_mul_lo_u32 v1, 0x900, v1
	s_add_i32 s5, s4, s6
	s_add_i32 s11, s0, -1
	s_sub_i32 s0, s16, s5
	s_add_u32 s4, s6, s4
	s_addc_u32 s5, s7, 0
	s_cmp_eq_u32 s10, s11
	v_cmp_ge_u64_e64 s4, s[4:5], s[16:17]
	v_lshlrev_b64 v[1:2], 3, v[1:2]
	s_cselect_b32 s5, -1, 0
	s_delay_alu instid0(VALU_DEP_2) | instid1(SALU_CYCLE_1)
	s_and_b32 s4, s4, s5
	s_delay_alu instid0(VALU_DEP_1) | instskip(NEXT) | instid1(VALU_DEP_2)
	v_add_co_u32 v17, vcc_lo, s1, v1
	v_add_co_ci_u32_e32 v18, vcc_lo, s3, v2, vcc_lo
	s_xor_b32 s6, s4, -1
	s_mov_b32 s1, -1
	s_and_b32 vcc_lo, exec_lo, s6
	s_cbranch_vccz .LBB486_6
; %bb.5:
	v_lshlrev_b32_e32 v13, 3, v0
	s_mov_b32 s1, 0
	s_delay_alu instid0(VALU_DEP_1) | instskip(SKIP_1) | instid1(VALU_DEP_2)
	v_add_co_u32 v1, vcc_lo, v17, v13
	v_add_co_ci_u32_e32 v2, vcc_lo, 0, v18, vcc_lo
	v_add_co_u32 v3, vcc_lo, 0x1000, v1
	s_delay_alu instid0(VALU_DEP_2)
	v_add_co_ci_u32_e32 v4, vcc_lo, 0, v2, vcc_lo
	v_add_co_u32 v5, vcc_lo, 0x2000, v1
	v_add_co_ci_u32_e32 v6, vcc_lo, 0, v2, vcc_lo
	v_add_co_u32 v7, vcc_lo, 0x3000, v1
	v_add_co_ci_u32_e32 v8, vcc_lo, 0, v2, vcc_lo
	s_clause 0x5
	flat_load_b64 v[9:10], v[1:2]
	flat_load_b64 v[1:2], v[1:2] offset:3072
	flat_load_b64 v[3:4], v[3:4] offset:2048
	;; [unrolled: 1-line block ×3, first 2 shown]
	flat_load_b64 v[11:12], v[7:8]
	flat_load_b64 v[7:8], v[7:8] offset:3072
	s_waitcnt vmcnt(4) lgkmcnt(4)
	ds_store_2addr_stride64_b64 v13, v[9:10], v[1:2] offset1:6
	s_waitcnt vmcnt(2) lgkmcnt(3)
	ds_store_2addr_stride64_b64 v13, v[3:4], v[5:6] offset0:12 offset1:18
	s_waitcnt vmcnt(0) lgkmcnt(2)
	ds_store_2addr_stride64_b64 v13, v[11:12], v[7:8] offset0:24 offset1:30
	s_waitcnt lgkmcnt(0)
	s_barrier
.LBB486_6:
	s_and_not1_b32 vcc_lo, exec_lo, s1
	s_addk_i32 s0, 0x900
	s_cbranch_vccnz .LBB486_20
; %bb.7:
	s_mov_b32 s1, exec_lo
                                        ; implicit-def: $vgpr1_vgpr2_vgpr3_vgpr4_vgpr5_vgpr6_vgpr7_vgpr8_vgpr9_vgpr10_vgpr11_vgpr12_vgpr13_vgpr14_vgpr15_vgpr16
	v_cmpx_gt_u32_e64 s0, v0
	s_cbranch_execz .LBB486_9
; %bb.8:
	v_lshlrev_b32_e32 v1, 3, v0
	s_delay_alu instid0(VALU_DEP_1)
	v_add_co_u32 v1, vcc_lo, v17, v1
	v_add_co_ci_u32_e32 v2, vcc_lo, 0, v18, vcc_lo
	flat_load_b64 v[1:2], v[1:2]
.LBB486_9:
	s_or_b32 exec_lo, exec_lo, s1
	v_add_nc_u32_e32 v13, 0x180, v0
	s_mov_b32 s1, exec_lo
	s_delay_alu instid0(VALU_DEP_1)
	v_cmpx_gt_u32_e64 s0, v13
	s_cbranch_execz .LBB486_11
; %bb.10:
	v_lshlrev_b32_e32 v3, 3, v0
	s_delay_alu instid0(VALU_DEP_1)
	v_add_co_u32 v3, vcc_lo, v17, v3
	v_add_co_ci_u32_e32 v4, vcc_lo, 0, v18, vcc_lo
	flat_load_b64 v[3:4], v[3:4] offset:3072
.LBB486_11:
	s_or_b32 exec_lo, exec_lo, s1
	v_add_nc_u32_e32 v13, 0x300, v0
	s_mov_b32 s1, exec_lo
	s_delay_alu instid0(VALU_DEP_1)
	v_cmpx_gt_u32_e64 s0, v13
	s_cbranch_execz .LBB486_13
; %bb.12:
	v_lshlrev_b32_e32 v5, 3, v13
	s_delay_alu instid0(VALU_DEP_1)
	v_add_co_u32 v5, vcc_lo, v17, v5
	v_add_co_ci_u32_e32 v6, vcc_lo, 0, v18, vcc_lo
	flat_load_b64 v[5:6], v[5:6]
.LBB486_13:
	s_or_b32 exec_lo, exec_lo, s1
	v_add_nc_u32_e32 v13, 0x480, v0
	s_mov_b32 s1, exec_lo
	s_delay_alu instid0(VALU_DEP_1)
	v_cmpx_gt_u32_e64 s0, v13
	s_cbranch_execz .LBB486_15
; %bb.14:
	v_lshlrev_b32_e32 v7, 3, v13
	s_delay_alu instid0(VALU_DEP_1)
	v_add_co_u32 v7, vcc_lo, v17, v7
	v_add_co_ci_u32_e32 v8, vcc_lo, 0, v18, vcc_lo
	flat_load_b64 v[7:8], v[7:8]
.LBB486_15:
	s_or_b32 exec_lo, exec_lo, s1
	v_or_b32_e32 v13, 0x600, v0
	s_mov_b32 s1, exec_lo
	s_delay_alu instid0(VALU_DEP_1)
	v_cmpx_gt_u32_e64 s0, v13
	s_cbranch_execz .LBB486_17
; %bb.16:
	v_lshlrev_b32_e32 v9, 3, v13
	s_delay_alu instid0(VALU_DEP_1)
	v_add_co_u32 v9, vcc_lo, v17, v9
	v_add_co_ci_u32_e32 v10, vcc_lo, 0, v18, vcc_lo
	flat_load_b64 v[9:10], v[9:10]
.LBB486_17:
	s_or_b32 exec_lo, exec_lo, s1
	v_add_nc_u32_e32 v13, 0x780, v0
	s_mov_b32 s1, exec_lo
	s_delay_alu instid0(VALU_DEP_1)
	v_cmpx_gt_u32_e64 s0, v13
	s_cbranch_execz .LBB486_19
; %bb.18:
	v_lshlrev_b32_e32 v11, 3, v13
	s_delay_alu instid0(VALU_DEP_1)
	v_add_co_u32 v11, vcc_lo, v17, v11
	v_add_co_ci_u32_e32 v12, vcc_lo, 0, v18, vcc_lo
	flat_load_b64 v[11:12], v[11:12]
.LBB486_19:
	s_or_b32 exec_lo, exec_lo, s1
	v_lshlrev_b32_e32 v13, 3, v0
	s_waitcnt vmcnt(0) lgkmcnt(0)
	ds_store_2addr_stride64_b64 v13, v[1:2], v[3:4] offset1:6
	ds_store_2addr_stride64_b64 v13, v[5:6], v[7:8] offset0:12 offset1:18
	ds_store_2addr_stride64_b64 v13, v[9:10], v[11:12] offset0:24 offset1:30
	s_waitcnt lgkmcnt(0)
	s_barrier
.LBB486_20:
	v_mul_u32_u24_e32 v13, 6, v0
	s_waitcnt vmcnt(0)
	buffer_gl0_inv
	s_and_not1_b32 vcc_lo, exec_lo, s6
	v_lshlrev_b32_e32 v37, 3, v13
	ds_load_b128 v[9:12], v37
	ds_load_b128 v[5:8], v37 offset:16
	ds_load_b128 v[1:4], v37 offset:32
	s_waitcnt lgkmcnt(0)
	s_barrier
	buffer_gl0_inv
	s_cbranch_vccnz .LBB486_22
; %bb.21:
	v_mul_lo_u32 v14, 0xaaaaaaab, v11
	v_mul_lo_u32 v15, 0xaaaaaaab, v7
	;; [unrolled: 1-line block ×5, first 2 shown]
	v_cmp_lt_u32_e32 vcc_lo, 0x55555555, v14
	v_cndmask_b32_e64 v14, 0, 1, vcc_lo
	v_cmp_lt_u32_e32 vcc_lo, 0x55555555, v15
	s_delay_alu instid0(VALU_DEP_2) | instskip(SKIP_2) | instid1(VALU_DEP_2)
	v_lshlrev_b16 v14, 8, v14
	v_cndmask_b32_e64 v15, 0, 1, vcc_lo
	v_cmp_lt_u32_e32 vcc_lo, 0x55555555, v16
	v_lshlrev_b16 v15, 8, v15
	v_cndmask_b32_e64 v16, 0, 1, vcc_lo
	v_cmp_lt_u32_e32 vcc_lo, 0x55555555, v17
	s_delay_alu instid0(VALU_DEP_2) | instskip(SKIP_3) | instid1(VALU_DEP_4)
	v_or_b32_e32 v14, v16, v14
	v_cndmask_b32_e64 v17, 0, 1, vcc_lo
	v_mul_lo_u32 v16, 0xaaaaaaab, v3
	v_cmp_lt_u32_e32 vcc_lo, 0x55555555, v18
	v_and_b32_e32 v14, 0xffff, v14
	s_delay_alu instid0(VALU_DEP_4) | instskip(SKIP_2) | instid1(VALU_DEP_3)
	v_or_b32_e32 v15, v17, v15
	v_cndmask_b32_e64 v34, 0, 1, vcc_lo
	v_cmp_lt_u32_e32 vcc_lo, 0x55555555, v16
	v_lshlrev_b32_e32 v15, 16, v15
	v_cndmask_b32_e64 v33, 0, 1, vcc_lo
	s_delay_alu instid0(VALU_DEP_2)
	v_or_b32_e32 v35, v14, v15
	s_cbranch_execz .LBB486_23
	s_branch .LBB486_36
.LBB486_22:
                                        ; implicit-def: $vgpr33
                                        ; implicit-def: $vgpr34
                                        ; implicit-def: $vgpr35
.LBB486_23:
	v_dual_mov_b32 v15, 0 :: v_dual_mov_b32 v14, 0
	s_mov_b32 s1, exec_lo
	v_cmpx_gt_u32_e64 s0, v13
; %bb.24:
	v_mul_lo_u32 v14, 0xaaaaaaab, v9
	s_delay_alu instid0(VALU_DEP_1)
	v_cmp_lt_u32_e32 vcc_lo, 0x55555555, v14
	v_cndmask_b32_e64 v14, 0, 1, vcc_lo
; %bb.25:
	s_or_b32 exec_lo, exec_lo, s1
	v_or_b32_e32 v16, 1, v13
	s_mov_b32 s1, exec_lo
	s_delay_alu instid0(VALU_DEP_1)
	v_cmpx_gt_u32_e64 s0, v16
; %bb.26:
	v_mul_lo_u32 v15, 0xaaaaaaab, v11
	s_delay_alu instid0(VALU_DEP_1)
	v_cmp_lt_u32_e32 vcc_lo, 0x55555555, v15
	v_cndmask_b32_e64 v15, 0, 1, vcc_lo
; %bb.27:
	s_or_b32 exec_lo, exec_lo, s1
	v_dual_mov_b32 v17, 0 :: v_dual_add_nc_u32 v16, 2, v13
	s_delay_alu instid0(VALU_DEP_1)
	v_cmp_gt_u32_e32 vcc_lo, s0, v16
	v_mov_b32_e32 v16, 0
	s_and_saveexec_b32 s1, vcc_lo
; %bb.28:
	v_mul_lo_u32 v16, 0xaaaaaaab, v5
	s_delay_alu instid0(VALU_DEP_1)
	v_cmp_lt_u32_e32 vcc_lo, 0x55555555, v16
	v_cndmask_b32_e64 v16, 0, 1, vcc_lo
; %bb.29:
	s_or_b32 exec_lo, exec_lo, s1
	v_add_nc_u32_e32 v18, 3, v13
	s_mov_b32 s1, exec_lo
	s_delay_alu instid0(VALU_DEP_1)
	v_cmpx_gt_u32_e64 s0, v18
; %bb.30:
	v_mul_lo_u32 v17, 0xaaaaaaab, v7
	s_delay_alu instid0(VALU_DEP_1)
	v_cmp_lt_u32_e32 vcc_lo, 0x55555555, v17
	v_cndmask_b32_e64 v17, 0, 1, vcc_lo
; %bb.31:
	s_or_b32 exec_lo, exec_lo, s1
	v_dual_mov_b32 v33, 0 :: v_dual_add_nc_u32 v18, 4, v13
	v_mov_b32_e32 v34, 0
	s_mov_b32 s1, exec_lo
	s_delay_alu instid0(VALU_DEP_2)
	v_cmpx_gt_u32_e64 s0, v18
; %bb.32:
	v_mul_lo_u32 v18, 0xaaaaaaab, v1
	s_delay_alu instid0(VALU_DEP_1)
	v_cmp_lt_u32_e32 vcc_lo, 0x55555555, v18
	v_cndmask_b32_e64 v34, 0, 1, vcc_lo
; %bb.33:
	s_or_b32 exec_lo, exec_lo, s1
	v_add_nc_u32_e32 v13, 5, v13
	s_delay_alu instid0(VALU_DEP_1)
	v_cmp_gt_u32_e32 vcc_lo, s0, v13
	s_and_saveexec_b32 s0, vcc_lo
; %bb.34:
	v_mul_lo_u32 v13, 0xaaaaaaab, v3
	s_delay_alu instid0(VALU_DEP_1)
	v_cmp_lt_u32_e32 vcc_lo, 0x55555555, v13
	v_cndmask_b32_e64 v33, 0, 1, vcc_lo
; %bb.35:
	s_or_b32 exec_lo, exec_lo, s0
	v_lshlrev_b16 v13, 8, v15
	v_lshlrev_b16 v15, 8, v17
	s_delay_alu instid0(VALU_DEP_2) | instskip(NEXT) | instid1(VALU_DEP_2)
	v_or_b32_e32 v13, v14, v13
	v_or_b32_e32 v14, v16, v15
	s_delay_alu instid0(VALU_DEP_2) | instskip(NEXT) | instid1(VALU_DEP_2)
	v_and_b32_e32 v13, 0xffff, v13
	v_lshlrev_b32_e32 v14, 16, v14
	s_delay_alu instid0(VALU_DEP_1)
	v_or_b32_e32 v35, v13, v14
.LBB486_36:
	s_delay_alu instid0(VALU_DEP_1)
	v_dual_mov_b32 v14, 0 :: v_dual_and_b32 v41, 0xff, v35
	v_bfe_u32 v40, v35, 8, 8
	v_bfe_u32 v39, v35, 16, 8
	v_lshrrev_b32_e32 v36, 24, v35
	v_and_b32_e32 v38, 0xff, v34
	v_mbcnt_lo_u32_b32 v42, -1, 0
	v_add_co_u32 v13, s0, v40, v41
	s_delay_alu instid0(VALU_DEP_1) | instskip(SKIP_1) | instid1(VALU_DEP_3)
	v_add_co_ci_u32_e64 v15, null, 0, 0, s0
	v_and_b32_e32 v16, 0xff, v33
	v_add_co_u32 v13, vcc_lo, v13, v39
	s_delay_alu instid0(VALU_DEP_3) | instskip(SKIP_1) | instid1(VALU_DEP_3)
	v_add_co_ci_u32_e32 v15, vcc_lo, 0, v15, vcc_lo
	v_and_b32_e32 v43, 15, v42
	v_add_co_u32 v13, vcc_lo, v13, v36
	s_delay_alu instid0(VALU_DEP_3) | instskip(NEXT) | instid1(VALU_DEP_3)
	v_add_co_ci_u32_e32 v15, vcc_lo, 0, v15, vcc_lo
	v_cmp_ne_u32_e64 s0, 0, v43
	s_delay_alu instid0(VALU_DEP_3) | instskip(NEXT) | instid1(VALU_DEP_3)
	v_add_co_u32 v13, vcc_lo, v13, v38
	v_add_co_ci_u32_e32 v15, vcc_lo, 0, v15, vcc_lo
	s_cmp_lg_u32 s10, 0
	s_delay_alu instid0(VALU_DEP_2) | instskip(NEXT) | instid1(VALU_DEP_2)
	v_add_co_u32 v23, vcc_lo, v13, v16
	v_add_co_ci_u32_e32 v24, vcc_lo, 0, v15, vcc_lo
	s_mov_b32 s1, -1
	s_cbranch_scc0 .LBB486_100
; %bb.37:
	s_delay_alu instid0(VALU_DEP_2)
	v_mov_b32_e32 v15, v23
	v_mov_b32_dpp v13, v23 row_shr:1 row_mask:0xf bank_mask:0xf
	v_mov_b32_dpp v18, v14 row_shr:1 row_mask:0xf bank_mask:0xf
	v_dual_mov_b32 v17, v23 :: v_dual_mov_b32 v16, v24
	s_and_saveexec_b32 s1, s0
; %bb.38:
	s_delay_alu instid0(VALU_DEP_3) | instskip(SKIP_1) | instid1(VALU_DEP_2)
	v_add_co_u32 v17, vcc_lo, v23, v13
	v_add_co_ci_u32_e32 v14, vcc_lo, 0, v24, vcc_lo
	v_add_co_u32 v13, vcc_lo, 0, v17
	s_delay_alu instid0(VALU_DEP_2) | instskip(NEXT) | instid1(VALU_DEP_1)
	v_add_co_ci_u32_e32 v14, vcc_lo, v18, v14, vcc_lo
	v_dual_mov_b32 v16, v14 :: v_dual_mov_b32 v15, v13
; %bb.39:
	s_or_b32 exec_lo, exec_lo, s1
	v_mov_b32_dpp v13, v17 row_shr:2 row_mask:0xf bank_mask:0xf
	v_mov_b32_dpp v18, v14 row_shr:2 row_mask:0xf bank_mask:0xf
	v_cmp_lt_u32_e32 vcc_lo, 1, v43
	s_and_saveexec_b32 s3, vcc_lo
; %bb.40:
	s_delay_alu instid0(VALU_DEP_3) | instskip(NEXT) | instid1(VALU_DEP_1)
	v_add_co_u32 v17, s1, v15, v13
	v_add_co_ci_u32_e64 v14, s1, 0, v16, s1
	s_delay_alu instid0(VALU_DEP_2) | instskip(NEXT) | instid1(VALU_DEP_1)
	v_add_co_u32 v13, s1, 0, v17
	v_add_co_ci_u32_e64 v14, s1, v18, v14, s1
	s_delay_alu instid0(VALU_DEP_1)
	v_dual_mov_b32 v16, v14 :: v_dual_mov_b32 v15, v13
; %bb.41:
	s_or_b32 exec_lo, exec_lo, s3
	v_mov_b32_dpp v13, v17 row_shr:4 row_mask:0xf bank_mask:0xf
	v_mov_b32_dpp v18, v14 row_shr:4 row_mask:0xf bank_mask:0xf
	v_cmp_lt_u32_e64 s1, 3, v43
	s_delay_alu instid0(VALU_DEP_1)
	s_and_saveexec_b32 s4, s1
; %bb.42:
	s_delay_alu instid0(VALU_DEP_3) | instskip(NEXT) | instid1(VALU_DEP_1)
	v_add_co_u32 v17, s3, v15, v13
	v_add_co_ci_u32_e64 v14, s3, 0, v16, s3
	s_delay_alu instid0(VALU_DEP_2) | instskip(NEXT) | instid1(VALU_DEP_1)
	v_add_co_u32 v13, s3, 0, v17
	v_add_co_ci_u32_e64 v14, s3, v18, v14, s3
	s_delay_alu instid0(VALU_DEP_1)
	v_dual_mov_b32 v16, v14 :: v_dual_mov_b32 v15, v13
; %bb.43:
	s_or_b32 exec_lo, exec_lo, s4
	v_mov_b32_dpp v18, v17 row_shr:8 row_mask:0xf bank_mask:0xf
	v_mov_b32_dpp v13, v14 row_shr:8 row_mask:0xf bank_mask:0xf
	v_cmp_lt_u32_e64 s3, 7, v43
	s_delay_alu instid0(VALU_DEP_1)
	s_and_saveexec_b32 s7, s3
; %bb.44:
	s_delay_alu instid0(VALU_DEP_3) | instskip(NEXT) | instid1(VALU_DEP_1)
	v_add_co_u32 v17, s4, v15, v18
	v_add_co_ci_u32_e64 v14, s4, 0, v16, s4
	s_delay_alu instid0(VALU_DEP_2) | instskip(NEXT) | instid1(VALU_DEP_1)
	v_add_co_u32 v15, s4, 0, v17
	v_add_co_ci_u32_e64 v16, s4, v13, v14, s4
	s_delay_alu instid0(VALU_DEP_1)
	v_mov_b32_e32 v14, v16
; %bb.45:
	s_or_b32 exec_lo, exec_lo, s7
	ds_swizzle_b32 v13, v17 offset:swizzle(BROADCAST,32,15)
	ds_swizzle_b32 v18, v14 offset:swizzle(BROADCAST,32,15)
	v_and_b32_e32 v19, 16, v42
	s_mov_b32 s7, exec_lo
	s_delay_alu instid0(VALU_DEP_1)
	v_cmpx_ne_u32_e32 0, v19
	s_cbranch_execz .LBB486_47
; %bb.46:
	s_waitcnt lgkmcnt(1)
	v_add_co_u32 v17, s4, v15, v13
	s_delay_alu instid0(VALU_DEP_1) | instskip(NEXT) | instid1(VALU_DEP_2)
	v_add_co_ci_u32_e64 v14, s4, 0, v16, s4
	v_add_co_u32 v13, s4, 0, v17
	s_waitcnt lgkmcnt(0)
	s_delay_alu instid0(VALU_DEP_2) | instskip(NEXT) | instid1(VALU_DEP_1)
	v_add_co_ci_u32_e64 v14, s4, v18, v14, s4
	v_dual_mov_b32 v16, v14 :: v_dual_mov_b32 v15, v13
.LBB486_47:
	s_or_b32 exec_lo, exec_lo, s7
	s_waitcnt lgkmcnt(1)
	v_and_b32_e32 v13, 0x1e0, v0
	s_mov_b32 s7, exec_lo
	s_delay_alu instid0(VALU_DEP_1) | instskip(SKIP_1) | instid1(VALU_DEP_1)
	v_min_u32_e32 v13, 0x160, v13
	s_waitcnt lgkmcnt(0)
	v_or_b32_e32 v18, 31, v13
	v_lshrrev_b32_e32 v13, 5, v0
	s_delay_alu instid0(VALU_DEP_2)
	v_cmpx_eq_u32_e64 v18, v0
	s_cbranch_execz .LBB486_49
; %bb.48:
	s_delay_alu instid0(VALU_DEP_2)
	v_lshlrev_b32_e32 v18, 3, v13
	ds_store_b64 v18, v[15:16]
.LBB486_49:
	s_or_b32 exec_lo, exec_lo, s7
	s_delay_alu instid0(SALU_CYCLE_1)
	s_mov_b32 s7, exec_lo
	s_waitcnt lgkmcnt(0)
	s_barrier
	buffer_gl0_inv
	v_cmpx_gt_u32_e32 12, v0
	s_cbranch_execz .LBB486_59
; %bb.50:
	v_lshlrev_b32_e32 v18, 3, v0
	ds_load_b64 v[15:16], v18
	s_waitcnt lgkmcnt(0)
	v_mov_b32_e32 v19, v15
	v_mov_b32_dpp v25, v15 row_shr:1 row_mask:0xf bank_mask:0xf
	v_mov_b32_dpp v20, v16 row_shr:1 row_mask:0xf bank_mask:0xf
	s_and_saveexec_b32 s11, s0
; %bb.51:
	s_delay_alu instid0(VALU_DEP_2) | instskip(NEXT) | instid1(VALU_DEP_1)
	v_add_co_u32 v19, s4, v15, v25
	v_add_co_ci_u32_e64 v16, s4, 0, v16, s4
	s_delay_alu instid0(VALU_DEP_2) | instskip(NEXT) | instid1(VALU_DEP_1)
	v_add_co_u32 v15, s4, 0, v19
	v_add_co_ci_u32_e64 v16, s4, v20, v16, s4
; %bb.52:
	s_or_b32 exec_lo, exec_lo, s11
	v_mov_b32_dpp v25, v19 row_shr:2 row_mask:0xf bank_mask:0xf
	s_delay_alu instid0(VALU_DEP_2)
	v_mov_b32_dpp v20, v16 row_shr:2 row_mask:0xf bank_mask:0xf
	s_and_saveexec_b32 s4, vcc_lo
; %bb.53:
	s_delay_alu instid0(VALU_DEP_2) | instskip(SKIP_1) | instid1(VALU_DEP_2)
	v_add_co_u32 v19, vcc_lo, v15, v25
	v_add_co_ci_u32_e32 v16, vcc_lo, 0, v16, vcc_lo
	v_add_co_u32 v15, vcc_lo, 0, v19
	s_delay_alu instid0(VALU_DEP_2)
	v_add_co_ci_u32_e32 v16, vcc_lo, v20, v16, vcc_lo
; %bb.54:
	s_or_b32 exec_lo, exec_lo, s4
	v_mov_b32_dpp v25, v19 row_shr:4 row_mask:0xf bank_mask:0xf
	s_delay_alu instid0(VALU_DEP_2)
	v_mov_b32_dpp v20, v16 row_shr:4 row_mask:0xf bank_mask:0xf
	s_and_saveexec_b32 s4, s1
; %bb.55:
	s_delay_alu instid0(VALU_DEP_2) | instskip(SKIP_1) | instid1(VALU_DEP_2)
	v_add_co_u32 v19, vcc_lo, v15, v25
	v_add_co_ci_u32_e32 v16, vcc_lo, 0, v16, vcc_lo
	v_add_co_u32 v15, vcc_lo, 0, v19
	s_delay_alu instid0(VALU_DEP_2)
	v_add_co_ci_u32_e32 v16, vcc_lo, v20, v16, vcc_lo
; %bb.56:
	s_or_b32 exec_lo, exec_lo, s4
	v_mov_b32_dpp v20, v19 row_shr:8 row_mask:0xf bank_mask:0xf
	s_delay_alu instid0(VALU_DEP_2)
	v_mov_b32_dpp v19, v16 row_shr:8 row_mask:0xf bank_mask:0xf
	s_and_saveexec_b32 s1, s3
; %bb.57:
	s_delay_alu instid0(VALU_DEP_2) | instskip(SKIP_1) | instid1(VALU_DEP_2)
	v_add_co_u32 v15, vcc_lo, v15, v20
	v_add_co_ci_u32_e32 v16, vcc_lo, 0, v16, vcc_lo
	v_add_co_u32 v15, vcc_lo, v15, 0
	s_delay_alu instid0(VALU_DEP_2)
	v_add_co_ci_u32_e32 v16, vcc_lo, v16, v19, vcc_lo
; %bb.58:
	s_or_b32 exec_lo, exec_lo, s1
	ds_store_b64 v18, v[15:16]
.LBB486_59:
	s_or_b32 exec_lo, exec_lo, s7
	v_cmp_gt_u32_e32 vcc_lo, 32, v0
	s_mov_b32 s3, exec_lo
	s_waitcnt lgkmcnt(0)
	s_barrier
	buffer_gl0_inv
                                        ; implicit-def: $vgpr25_vgpr26
	v_cmpx_lt_u32_e32 31, v0
	s_cbranch_execz .LBB486_61
; %bb.60:
	v_lshl_add_u32 v13, v13, 3, -8
	ds_load_b64 v[25:26], v13
	s_waitcnt lgkmcnt(0)
	v_add_co_u32 v17, s1, v17, v25
	s_delay_alu instid0(VALU_DEP_1)
	v_add_co_ci_u32_e64 v14, s1, v14, v26, s1
.LBB486_61:
	s_or_b32 exec_lo, exec_lo, s3
	v_add_nc_u32_e32 v13, -1, v42
	s_delay_alu instid0(VALU_DEP_1) | instskip(NEXT) | instid1(VALU_DEP_1)
	v_cmp_gt_i32_e64 s1, 0, v13
	v_cndmask_b32_e64 v13, v13, v42, s1
	v_cmp_eq_u32_e64 s1, 0, v42
	s_delay_alu instid0(VALU_DEP_2)
	v_lshlrev_b32_e32 v13, 2, v13
	ds_bpermute_b32 v31, v13, v17
	ds_bpermute_b32 v32, v13, v14
	s_and_saveexec_b32 s3, vcc_lo
	s_cbranch_execz .LBB486_99
; %bb.62:
	v_mov_b32_e32 v16, 0
	ds_load_b64 v[13:14], v16 offset:88
	s_and_saveexec_b32 s4, s1
	s_cbranch_execz .LBB486_64
; %bb.63:
	s_add_i32 s16, s10, 32
	s_mov_b32 s17, 0
	s_delay_alu instid0(SALU_CYCLE_1) | instskip(NEXT) | instid1(SALU_CYCLE_1)
	s_lshl_b64 s[16:17], s[16:17], 4
	s_add_u32 s16, s14, s16
	s_addc_u32 s17, s15, s17
	s_delay_alu instid0(SALU_CYCLE_1)
	v_dual_mov_b32 v15, 1 :: v_dual_mov_b32 v18, s17
	v_mov_b32_e32 v17, s16
	s_waitcnt lgkmcnt(0)
	;;#ASMSTART
	global_store_dwordx4 v[17:18], v[13:16] off	
s_waitcnt vmcnt(0)
	;;#ASMEND
.LBB486_64:
	s_or_b32 exec_lo, exec_lo, s4
	v_xad_u32 v27, v42, -1, s10
	s_mov_b32 s7, 0
	s_mov_b32 s4, exec_lo
	s_delay_alu instid0(VALU_DEP_1) | instskip(NEXT) | instid1(VALU_DEP_1)
	v_add_nc_u32_e32 v15, 32, v27
	v_lshlrev_b64 v[15:16], 4, v[15:16]
	s_delay_alu instid0(VALU_DEP_1) | instskip(NEXT) | instid1(VALU_DEP_2)
	v_add_co_u32 v15, vcc_lo, s14, v15
	v_add_co_ci_u32_e32 v16, vcc_lo, s15, v16, vcc_lo
	;;#ASMSTART
	global_load_dwordx4 v[17:20], v[15:16] off glc	
s_waitcnt vmcnt(0)
	;;#ASMEND
	v_and_b32_e32 v20, 0xff, v18
	v_and_b32_e32 v28, 0xff00, v18
	v_or3_b32 v17, v17, 0, 0
	v_and_b32_e32 v29, 0xff000000, v18
	v_and_b32_e32 v18, 0xff0000, v18
	s_delay_alu instid0(VALU_DEP_4) | instskip(SKIP_2) | instid1(VALU_DEP_3)
	v_or3_b32 v20, 0, v20, v28
	v_and_b32_e32 v28, 0xff, v19
	v_or3_b32 v17, v17, 0, 0
	v_or3_b32 v18, v20, v18, v29
	s_delay_alu instid0(VALU_DEP_3)
	v_cmpx_eq_u16_e32 0, v28
	s_cbranch_execz .LBB486_67
.LBB486_65:                             ; =>This Inner Loop Header: Depth=1
	;;#ASMSTART
	global_load_dwordx4 v[17:20], v[15:16] off glc	
s_waitcnt vmcnt(0)
	;;#ASMEND
	v_and_b32_e32 v20, 0xff, v19
	s_delay_alu instid0(VALU_DEP_1) | instskip(SKIP_1) | instid1(SALU_CYCLE_1)
	v_cmp_ne_u16_e32 vcc_lo, 0, v20
	s_or_b32 s7, vcc_lo, s7
	s_and_not1_b32 exec_lo, exec_lo, s7
	s_cbranch_execnz .LBB486_65
; %bb.66:
	s_or_b32 exec_lo, exec_lo, s7
.LBB486_67:
	s_delay_alu instid0(SALU_CYCLE_1)
	s_or_b32 exec_lo, exec_lo, s4
	v_cmp_ne_u32_e32 vcc_lo, 31, v42
	v_and_b32_e32 v16, 0xff, v19
	v_lshlrev_b32_e64 v45, v42, -1
	s_mov_b32 s4, exec_lo
	v_add_co_ci_u32_e32 v15, vcc_lo, 0, v42, vcc_lo
	s_delay_alu instid0(VALU_DEP_3) | instskip(SKIP_1) | instid1(VALU_DEP_3)
	v_cmp_eq_u16_e32 vcc_lo, 2, v16
	v_mov_b32_e32 v16, v17
	v_lshlrev_b32_e32 v44, 2, v15
	v_and_or_b32 v15, vcc_lo, v45, 0x80000000
	ds_bpermute_b32 v28, v44, v17
	ds_bpermute_b32 v20, v44, v18
	v_ctz_i32_b32_e32 v15, v15
	s_delay_alu instid0(VALU_DEP_1)
	v_cmpx_lt_u32_e64 v42, v15
	s_cbranch_execz .LBB486_69
; %bb.68:
	s_waitcnt lgkmcnt(1)
	v_add_co_u32 v16, vcc_lo, v17, v28
	v_add_co_ci_u32_e32 v18, vcc_lo, 0, v18, vcc_lo
	s_delay_alu instid0(VALU_DEP_2) | instskip(SKIP_1) | instid1(VALU_DEP_2)
	v_add_co_u32 v17, vcc_lo, 0, v16
	s_waitcnt lgkmcnt(0)
	v_add_co_ci_u32_e32 v18, vcc_lo, v20, v18, vcc_lo
.LBB486_69:
	s_or_b32 exec_lo, exec_lo, s4
	v_cmp_gt_u32_e32 vcc_lo, 30, v42
	v_add_nc_u32_e32 v47, 2, v42
	s_mov_b32 s4, exec_lo
	s_waitcnt lgkmcnt(0)
	v_cndmask_b32_e64 v20, 0, 1, vcc_lo
	s_delay_alu instid0(VALU_DEP_1) | instskip(NEXT) | instid1(VALU_DEP_1)
	v_lshlrev_b32_e32 v20, 1, v20
	v_add_lshl_u32 v46, v20, v42, 2
	ds_bpermute_b32 v28, v46, v16
	ds_bpermute_b32 v20, v46, v18
	v_cmpx_le_u32_e64 v47, v15
	s_cbranch_execz .LBB486_71
; %bb.70:
	s_waitcnt lgkmcnt(1)
	v_add_co_u32 v16, vcc_lo, v17, v28
	v_add_co_ci_u32_e32 v18, vcc_lo, 0, v18, vcc_lo
	s_delay_alu instid0(VALU_DEP_2) | instskip(SKIP_1) | instid1(VALU_DEP_2)
	v_add_co_u32 v17, vcc_lo, 0, v16
	s_waitcnt lgkmcnt(0)
	v_add_co_ci_u32_e32 v18, vcc_lo, v20, v18, vcc_lo
.LBB486_71:
	s_or_b32 exec_lo, exec_lo, s4
	v_cmp_gt_u32_e32 vcc_lo, 28, v42
	v_add_nc_u32_e32 v49, 4, v42
	s_mov_b32 s4, exec_lo
	s_waitcnt lgkmcnt(0)
	v_cndmask_b32_e64 v20, 0, 1, vcc_lo
	s_delay_alu instid0(VALU_DEP_1) | instskip(NEXT) | instid1(VALU_DEP_1)
	v_lshlrev_b32_e32 v20, 2, v20
	v_add_lshl_u32 v48, v20, v42, 2
	ds_bpermute_b32 v28, v48, v16
	ds_bpermute_b32 v20, v48, v18
	v_cmpx_le_u32_e64 v49, v15
	;; [unrolled: 22-line block ×4, first 2 shown]
	s_cbranch_execz .LBB486_77
; %bb.76:
	s_waitcnt lgkmcnt(1)
	v_add_co_u32 v15, vcc_lo, v17, v20
	v_add_co_ci_u32_e32 v18, vcc_lo, 0, v18, vcc_lo
	s_delay_alu instid0(VALU_DEP_2) | instskip(SKIP_1) | instid1(VALU_DEP_2)
	v_add_co_u32 v17, vcc_lo, v15, 0
	s_waitcnt lgkmcnt(0)
	v_add_co_ci_u32_e32 v18, vcc_lo, v18, v16, vcc_lo
.LBB486_77:
	s_or_b32 exec_lo, exec_lo, s4
	v_mov_b32_e32 v28, 0
	s_branch .LBB486_79
.LBB486_78:                             ;   in Loop: Header=BB486_79 Depth=1
	s_or_b32 exec_lo, exec_lo, s4
	v_add_co_u32 v17, vcc_lo, v17, v15
	v_subrev_nc_u32_e32 v27, 32, v27
	v_add_co_ci_u32_e32 v18, vcc_lo, v18, v16, vcc_lo
.LBB486_79:                             ; =>This Loop Header: Depth=1
                                        ;     Child Loop BB486_82 Depth 2
	v_and_b32_e32 v15, 0xff, v19
	s_delay_alu instid0(VALU_DEP_1) | instskip(SKIP_2) | instid1(VALU_DEP_1)
	v_cmp_ne_u16_e32 vcc_lo, 2, v15
	v_cndmask_b32_e64 v15, 0, 1, vcc_lo
	;;#ASMSTART
	;;#ASMEND
	v_cmp_ne_u32_e32 vcc_lo, 0, v15
	s_waitcnt lgkmcnt(0)
	v_dual_mov_b32 v15, v17 :: v_dual_mov_b32 v16, v18
	s_cmp_lg_u32 vcc_lo, exec_lo
	s_cbranch_scc1 .LBB486_94
; %bb.80:                               ;   in Loop: Header=BB486_79 Depth=1
	v_lshlrev_b64 v[17:18], 4, v[27:28]
	s_mov_b32 s4, exec_lo
	s_delay_alu instid0(VALU_DEP_1) | instskip(NEXT) | instid1(VALU_DEP_2)
	v_add_co_u32 v29, vcc_lo, s14, v17
	v_add_co_ci_u32_e32 v30, vcc_lo, s15, v18, vcc_lo
	;;#ASMSTART
	global_load_dwordx4 v[17:20], v[29:30] off glc	
s_waitcnt vmcnt(0)
	;;#ASMEND
	v_and_b32_e32 v20, 0xff, v18
	v_and_b32_e32 v54, 0xff00, v18
	v_or3_b32 v17, v17, 0, 0
	v_and_b32_e32 v55, 0xff000000, v18
	v_and_b32_e32 v18, 0xff0000, v18
	s_delay_alu instid0(VALU_DEP_4) | instskip(SKIP_2) | instid1(VALU_DEP_3)
	v_or3_b32 v20, 0, v20, v54
	v_and_b32_e32 v54, 0xff, v19
	v_or3_b32 v17, v17, 0, 0
	v_or3_b32 v18, v20, v18, v55
	s_delay_alu instid0(VALU_DEP_3)
	v_cmpx_eq_u16_e32 0, v54
	s_cbranch_execz .LBB486_84
; %bb.81:                               ;   in Loop: Header=BB486_79 Depth=1
	s_mov_b32 s7, 0
.LBB486_82:                             ;   Parent Loop BB486_79 Depth=1
                                        ; =>  This Inner Loop Header: Depth=2
	;;#ASMSTART
	global_load_dwordx4 v[17:20], v[29:30] off glc	
s_waitcnt vmcnt(0)
	;;#ASMEND
	v_and_b32_e32 v20, 0xff, v19
	s_delay_alu instid0(VALU_DEP_1) | instskip(SKIP_1) | instid1(SALU_CYCLE_1)
	v_cmp_ne_u16_e32 vcc_lo, 0, v20
	s_or_b32 s7, vcc_lo, s7
	s_and_not1_b32 exec_lo, exec_lo, s7
	s_cbranch_execnz .LBB486_82
; %bb.83:                               ;   in Loop: Header=BB486_79 Depth=1
	s_or_b32 exec_lo, exec_lo, s7
.LBB486_84:                             ;   in Loop: Header=BB486_79 Depth=1
	s_delay_alu instid0(SALU_CYCLE_1)
	s_or_b32 exec_lo, exec_lo, s4
	v_dual_mov_b32 v29, v17 :: v_dual_and_b32 v20, 0xff, v19
	ds_bpermute_b32 v54, v44, v17
	ds_bpermute_b32 v30, v44, v18
	s_mov_b32 s4, exec_lo
	v_cmp_eq_u16_e32 vcc_lo, 2, v20
	v_and_or_b32 v20, vcc_lo, v45, 0x80000000
	s_delay_alu instid0(VALU_DEP_1) | instskip(NEXT) | instid1(VALU_DEP_1)
	v_ctz_i32_b32_e32 v20, v20
	v_cmpx_lt_u32_e64 v42, v20
	s_cbranch_execz .LBB486_86
; %bb.85:                               ;   in Loop: Header=BB486_79 Depth=1
	s_waitcnt lgkmcnt(1)
	v_add_co_u32 v29, vcc_lo, v17, v54
	v_add_co_ci_u32_e32 v18, vcc_lo, 0, v18, vcc_lo
	s_delay_alu instid0(VALU_DEP_2) | instskip(SKIP_1) | instid1(VALU_DEP_2)
	v_add_co_u32 v17, vcc_lo, 0, v29
	s_waitcnt lgkmcnt(0)
	v_add_co_ci_u32_e32 v18, vcc_lo, v30, v18, vcc_lo
.LBB486_86:                             ;   in Loop: Header=BB486_79 Depth=1
	s_or_b32 exec_lo, exec_lo, s4
	s_waitcnt lgkmcnt(1)
	ds_bpermute_b32 v54, v46, v29
	s_waitcnt lgkmcnt(1)
	ds_bpermute_b32 v30, v46, v18
	s_mov_b32 s4, exec_lo
	v_cmpx_le_u32_e64 v47, v20
	s_cbranch_execz .LBB486_88
; %bb.87:                               ;   in Loop: Header=BB486_79 Depth=1
	s_waitcnt lgkmcnt(1)
	v_add_co_u32 v29, vcc_lo, v17, v54
	v_add_co_ci_u32_e32 v18, vcc_lo, 0, v18, vcc_lo
	s_delay_alu instid0(VALU_DEP_2) | instskip(SKIP_1) | instid1(VALU_DEP_2)
	v_add_co_u32 v17, vcc_lo, 0, v29
	s_waitcnt lgkmcnt(0)
	v_add_co_ci_u32_e32 v18, vcc_lo, v30, v18, vcc_lo
.LBB486_88:                             ;   in Loop: Header=BB486_79 Depth=1
	s_or_b32 exec_lo, exec_lo, s4
	s_waitcnt lgkmcnt(1)
	ds_bpermute_b32 v54, v48, v29
	s_waitcnt lgkmcnt(1)
	ds_bpermute_b32 v30, v48, v18
	s_mov_b32 s4, exec_lo
	v_cmpx_le_u32_e64 v49, v20
	;; [unrolled: 17-line block ×3, first 2 shown]
	s_cbranch_execz .LBB486_92
; %bb.91:                               ;   in Loop: Header=BB486_79 Depth=1
	s_waitcnt lgkmcnt(1)
	v_add_co_u32 v29, vcc_lo, v17, v54
	v_add_co_ci_u32_e32 v18, vcc_lo, 0, v18, vcc_lo
	s_delay_alu instid0(VALU_DEP_2) | instskip(SKIP_1) | instid1(VALU_DEP_2)
	v_add_co_u32 v17, vcc_lo, 0, v29
	s_waitcnt lgkmcnt(0)
	v_add_co_ci_u32_e32 v18, vcc_lo, v30, v18, vcc_lo
.LBB486_92:                             ;   in Loop: Header=BB486_79 Depth=1
	s_or_b32 exec_lo, exec_lo, s4
	s_waitcnt lgkmcnt(0)
	ds_bpermute_b32 v30, v52, v29
	ds_bpermute_b32 v29, v52, v18
	s_mov_b32 s4, exec_lo
	v_cmpx_le_u32_e64 v53, v20
	s_cbranch_execz .LBB486_78
; %bb.93:                               ;   in Loop: Header=BB486_79 Depth=1
	s_waitcnt lgkmcnt(1)
	v_add_co_u32 v17, vcc_lo, v17, v30
	v_add_co_ci_u32_e32 v18, vcc_lo, 0, v18, vcc_lo
	s_delay_alu instid0(VALU_DEP_2) | instskip(SKIP_1) | instid1(VALU_DEP_2)
	v_add_co_u32 v17, vcc_lo, v17, 0
	s_waitcnt lgkmcnt(0)
	v_add_co_ci_u32_e32 v18, vcc_lo, v18, v29, vcc_lo
	s_branch .LBB486_78
.LBB486_94:                             ;   in Loop: Header=BB486_79 Depth=1
                                        ; implicit-def: $vgpr17_vgpr18
	s_cbranch_execz .LBB486_79
; %bb.95:
	s_and_saveexec_b32 s4, s1
	s_cbranch_execz .LBB486_97
; %bb.96:
	s_add_i32 s10, s10, 32
	s_mov_b32 s11, 0
	v_add_co_u32 v17, vcc_lo, v15, v13
	s_lshl_b64 s[10:11], s[10:11], 4
	v_dual_mov_b32 v19, 2 :: v_dual_mov_b32 v20, 0
	s_add_u32 s10, s14, s10
	s_addc_u32 s11, s15, s11
	v_add_co_ci_u32_e32 v18, vcc_lo, v16, v14, vcc_lo
	v_dual_mov_b32 v28, s11 :: v_dual_mov_b32 v27, s10
	;;#ASMSTART
	global_store_dwordx4 v[27:28], v[17:20] off	
s_waitcnt vmcnt(0)
	;;#ASMEND
	ds_store_b128 v20, v[13:16] offset:18432
.LBB486_97:
	s_or_b32 exec_lo, exec_lo, s4
	s_delay_alu instid0(SALU_CYCLE_1)
	s_and_b32 exec_lo, exec_lo, s2
	s_cbranch_execz .LBB486_99
; %bb.98:
	v_mov_b32_e32 v13, 0
	ds_store_b64 v13, v[15:16] offset:88
.LBB486_99:
	s_or_b32 exec_lo, exec_lo, s3
	v_mov_b32_e32 v15, 0
	s_waitcnt lgkmcnt(0)
	s_barrier
	buffer_gl0_inv
	v_cndmask_b32_e64 v16, v31, v25, s1
	ds_load_b64 v[13:14], v15 offset:88
	v_cndmask_b32_e64 v17, v32, v26, s1
	s_waitcnt lgkmcnt(0)
	s_barrier
	v_cndmask_b32_e64 v16, v16, 0, s2
	buffer_gl0_inv
	v_cndmask_b32_e64 v17, v17, 0, s2
	v_add_co_u32 v31, vcc_lo, v13, v16
	s_delay_alu instid0(VALU_DEP_2) | instskip(SKIP_3) | instid1(VALU_DEP_2)
	v_add_co_ci_u32_e32 v32, vcc_lo, v14, v17, vcc_lo
	ds_load_b128 v[13:16], v15 offset:18432
	v_add_co_u32 v29, vcc_lo, v31, v41
	v_add_co_ci_u32_e32 v30, vcc_lo, 0, v32, vcc_lo
	v_add_co_u32 v27, vcc_lo, v29, v40
	s_delay_alu instid0(VALU_DEP_2) | instskip(NEXT) | instid1(VALU_DEP_2)
	v_add_co_ci_u32_e32 v28, vcc_lo, 0, v30, vcc_lo
	v_add_co_u32 v25, vcc_lo, v27, v39
	s_delay_alu instid0(VALU_DEP_2) | instskip(NEXT) | instid1(VALU_DEP_2)
	;; [unrolled: 3-line block ×3, first 2 shown]
	v_add_co_ci_u32_e32 v20, vcc_lo, 0, v26, vcc_lo
	v_add_co_u32 v17, vcc_lo, v19, v38
	s_delay_alu instid0(VALU_DEP_2)
	v_add_co_ci_u32_e32 v18, vcc_lo, 0, v20, vcc_lo
	s_branch .LBB486_128
.LBB486_100:
                                        ; implicit-def: $vgpr17_vgpr18
                                        ; implicit-def: $vgpr19_vgpr20
                                        ; implicit-def: $vgpr25_vgpr26
                                        ; implicit-def: $vgpr27_vgpr28
                                        ; implicit-def: $vgpr29_vgpr30
                                        ; implicit-def: $vgpr31_vgpr32
                                        ; implicit-def: $vgpr15_vgpr16
	s_and_b32 vcc_lo, exec_lo, s1
	s_cbranch_vccz .LBB486_128
; %bb.101:
	s_waitcnt lgkmcnt(0)
	v_dual_mov_b32 v14, 0 :: v_dual_mov_b32 v15, v23
	v_mov_b32_dpp v16, v23 row_shr:1 row_mask:0xf bank_mask:0xf
	s_delay_alu instid0(VALU_DEP_2)
	v_mov_b32_dpp v13, v14 row_shr:1 row_mask:0xf bank_mask:0xf
	s_and_saveexec_b32 s1, s0
; %bb.102:
	s_delay_alu instid0(VALU_DEP_2) | instskip(SKIP_1) | instid1(VALU_DEP_2)
	v_add_co_u32 v15, vcc_lo, v23, v16
	v_add_co_ci_u32_e32 v14, vcc_lo, 0, v24, vcc_lo
	v_add_co_u32 v23, vcc_lo, 0, v15
	s_delay_alu instid0(VALU_DEP_2) | instskip(NEXT) | instid1(VALU_DEP_1)
	v_add_co_ci_u32_e32 v24, vcc_lo, v13, v14, vcc_lo
	v_mov_b32_e32 v14, v24
; %bb.103:
	s_or_b32 exec_lo, exec_lo, s1
	v_mov_b32_dpp v13, v15 row_shr:2 row_mask:0xf bank_mask:0xf
	s_delay_alu instid0(VALU_DEP_2)
	v_mov_b32_dpp v16, v14 row_shr:2 row_mask:0xf bank_mask:0xf
	v_cmp_lt_u32_e32 vcc_lo, 1, v43
	s_and_saveexec_b32 s3, vcc_lo
; %bb.104:
	s_delay_alu instid0(VALU_DEP_3) | instskip(NEXT) | instid1(VALU_DEP_1)
	v_add_co_u32 v15, s1, v23, v13
	v_add_co_ci_u32_e64 v14, s1, 0, v24, s1
	s_delay_alu instid0(VALU_DEP_2) | instskip(NEXT) | instid1(VALU_DEP_1)
	v_add_co_u32 v13, s1, 0, v15
	v_add_co_ci_u32_e64 v14, s1, v16, v14, s1
	s_delay_alu instid0(VALU_DEP_1)
	v_dual_mov_b32 v24, v14 :: v_dual_mov_b32 v23, v13
; %bb.105:
	s_or_b32 exec_lo, exec_lo, s3
	v_mov_b32_dpp v13, v15 row_shr:4 row_mask:0xf bank_mask:0xf
	v_mov_b32_dpp v16, v14 row_shr:4 row_mask:0xf bank_mask:0xf
	v_cmp_lt_u32_e64 s1, 3, v43
	s_delay_alu instid0(VALU_DEP_1)
	s_and_saveexec_b32 s4, s1
; %bb.106:
	s_delay_alu instid0(VALU_DEP_3) | instskip(NEXT) | instid1(VALU_DEP_1)
	v_add_co_u32 v15, s3, v23, v13
	v_add_co_ci_u32_e64 v14, s3, 0, v24, s3
	s_delay_alu instid0(VALU_DEP_2) | instskip(NEXT) | instid1(VALU_DEP_1)
	v_add_co_u32 v13, s3, 0, v15
	v_add_co_ci_u32_e64 v14, s3, v16, v14, s3
	s_delay_alu instid0(VALU_DEP_1)
	v_dual_mov_b32 v24, v14 :: v_dual_mov_b32 v23, v13
; %bb.107:
	s_or_b32 exec_lo, exec_lo, s4
	v_mov_b32_dpp v16, v15 row_shr:8 row_mask:0xf bank_mask:0xf
	v_mov_b32_dpp v13, v14 row_shr:8 row_mask:0xf bank_mask:0xf
	v_cmp_lt_u32_e64 s3, 7, v43
	s_delay_alu instid0(VALU_DEP_1)
	s_and_saveexec_b32 s7, s3
; %bb.108:
	s_delay_alu instid0(VALU_DEP_3) | instskip(NEXT) | instid1(VALU_DEP_1)
	v_add_co_u32 v15, s4, v23, v16
	v_add_co_ci_u32_e64 v14, s4, 0, v24, s4
	s_delay_alu instid0(VALU_DEP_2) | instskip(NEXT) | instid1(VALU_DEP_1)
	v_add_co_u32 v23, s4, 0, v15
	v_add_co_ci_u32_e64 v24, s4, v13, v14, s4
	s_delay_alu instid0(VALU_DEP_1)
	v_mov_b32_e32 v14, v24
; %bb.109:
	s_or_b32 exec_lo, exec_lo, s7
	ds_swizzle_b32 v15, v15 offset:swizzle(BROADCAST,32,15)
	ds_swizzle_b32 v13, v14 offset:swizzle(BROADCAST,32,15)
	v_and_b32_e32 v14, 16, v42
	s_mov_b32 s7, exec_lo
	s_delay_alu instid0(VALU_DEP_1)
	v_cmpx_ne_u32_e32 0, v14
	s_cbranch_execz .LBB486_111
; %bb.110:
	s_waitcnt lgkmcnt(1)
	v_add_co_u32 v14, s4, v23, v15
	s_delay_alu instid0(VALU_DEP_1) | instskip(NEXT) | instid1(VALU_DEP_2)
	v_add_co_ci_u32_e64 v15, s4, 0, v24, s4
	v_add_co_u32 v23, s4, v14, 0
	s_waitcnt lgkmcnt(0)
	s_delay_alu instid0(VALU_DEP_2)
	v_add_co_ci_u32_e64 v24, s4, v15, v13, s4
.LBB486_111:
	s_or_b32 exec_lo, exec_lo, s7
	s_waitcnt lgkmcnt(0)
	v_and_b32_e32 v13, 0x1e0, v0
	v_lshrrev_b32_e32 v15, 5, v0
	s_mov_b32 s7, exec_lo
	s_delay_alu instid0(VALU_DEP_2) | instskip(NEXT) | instid1(VALU_DEP_1)
	v_min_u32_e32 v13, 0x160, v13
	v_or_b32_e32 v13, 31, v13
	s_delay_alu instid0(VALU_DEP_1)
	v_cmpx_eq_u32_e64 v13, v0
	s_cbranch_execz .LBB486_113
; %bb.112:
	v_lshlrev_b32_e32 v13, 3, v15
	ds_store_b64 v13, v[23:24]
.LBB486_113:
	s_or_b32 exec_lo, exec_lo, s7
	s_delay_alu instid0(SALU_CYCLE_1)
	s_mov_b32 s7, exec_lo
	s_waitcnt lgkmcnt(0)
	s_barrier
	buffer_gl0_inv
	v_cmpx_gt_u32_e32 12, v0
	s_cbranch_execz .LBB486_123
; %bb.114:
	v_mad_i32_i24 v13, 0xffffffd8, v0, v37
	ds_load_b64 v[13:14], v13
	s_waitcnt lgkmcnt(0)
	v_mov_b32_dpp v18, v13 row_shr:1 row_mask:0xf bank_mask:0xf
	v_mov_b32_dpp v17, v14 row_shr:1 row_mask:0xf bank_mask:0xf
	v_mov_b32_e32 v16, v13
	s_and_saveexec_b32 s4, s0
; %bb.115:
	s_delay_alu instid0(VALU_DEP_3) | instskip(NEXT) | instid1(VALU_DEP_1)
	v_add_co_u32 v16, s0, v13, v18
	v_add_co_ci_u32_e64 v14, s0, 0, v14, s0
	s_delay_alu instid0(VALU_DEP_2) | instskip(NEXT) | instid1(VALU_DEP_1)
	v_add_co_u32 v13, s0, 0, v16
	v_add_co_ci_u32_e64 v14, s0, v17, v14, s0
; %bb.116:
	s_or_b32 exec_lo, exec_lo, s4
	v_mov_b32_dpp v18, v16 row_shr:2 row_mask:0xf bank_mask:0xf
	s_delay_alu instid0(VALU_DEP_2)
	v_mov_b32_dpp v17, v14 row_shr:2 row_mask:0xf bank_mask:0xf
	s_and_saveexec_b32 s0, vcc_lo
; %bb.117:
	s_delay_alu instid0(VALU_DEP_2) | instskip(SKIP_1) | instid1(VALU_DEP_2)
	v_add_co_u32 v16, vcc_lo, v13, v18
	v_add_co_ci_u32_e32 v14, vcc_lo, 0, v14, vcc_lo
	v_add_co_u32 v13, vcc_lo, 0, v16
	s_delay_alu instid0(VALU_DEP_2)
	v_add_co_ci_u32_e32 v14, vcc_lo, v17, v14, vcc_lo
; %bb.118:
	s_or_b32 exec_lo, exec_lo, s0
	v_mov_b32_dpp v18, v16 row_shr:4 row_mask:0xf bank_mask:0xf
	s_delay_alu instid0(VALU_DEP_2)
	v_mov_b32_dpp v17, v14 row_shr:4 row_mask:0xf bank_mask:0xf
	s_and_saveexec_b32 s0, s1
; %bb.119:
	s_delay_alu instid0(VALU_DEP_2) | instskip(SKIP_1) | instid1(VALU_DEP_2)
	v_add_co_u32 v16, vcc_lo, v13, v18
	v_add_co_ci_u32_e32 v14, vcc_lo, 0, v14, vcc_lo
	v_add_co_u32 v13, vcc_lo, 0, v16
	s_delay_alu instid0(VALU_DEP_2)
	v_add_co_ci_u32_e32 v14, vcc_lo, v17, v14, vcc_lo
; %bb.120:
	s_or_b32 exec_lo, exec_lo, s0
	v_mul_i32_i24_e32 v17, 0xffffffd8, v0
	v_mov_b32_dpp v18, v16 row_shr:8 row_mask:0xf bank_mask:0xf
	s_delay_alu instid0(VALU_DEP_3)
	v_mov_b32_dpp v16, v14 row_shr:8 row_mask:0xf bank_mask:0xf
	s_and_saveexec_b32 s0, s3
; %bb.121:
	s_delay_alu instid0(VALU_DEP_2) | instskip(SKIP_1) | instid1(VALU_DEP_2)
	v_add_co_u32 v13, vcc_lo, v13, v18
	v_add_co_ci_u32_e32 v14, vcc_lo, 0, v14, vcc_lo
	v_add_co_u32 v13, vcc_lo, v13, 0
	s_delay_alu instid0(VALU_DEP_2)
	v_add_co_ci_u32_e32 v14, vcc_lo, v14, v16, vcc_lo
; %bb.122:
	s_or_b32 exec_lo, exec_lo, s0
	v_add_nc_u32_e32 v16, v37, v17
	ds_store_b64 v16, v[13:14]
.LBB486_123:
	s_or_b32 exec_lo, exec_lo, s7
	v_mov_b32_e32 v17, 0
	v_mov_b32_e32 v18, 0
	s_mov_b32 s0, exec_lo
	s_waitcnt lgkmcnt(0)
	s_barrier
	buffer_gl0_inv
	v_cmpx_lt_u32_e32 31, v0
	s_cbranch_execz .LBB486_125
; %bb.124:
	v_lshl_add_u32 v13, v15, 3, -8
	ds_load_b64 v[17:18], v13
.LBB486_125:
	s_or_b32 exec_lo, exec_lo, s0
	v_dual_mov_b32 v16, 0 :: v_dual_add_nc_u32 v13, -1, v42
	s_delay_alu instid0(VALU_DEP_1) | instskip(SKIP_4) | instid1(VALU_DEP_3)
	v_cmp_gt_i32_e32 vcc_lo, 0, v13
	v_cndmask_b32_e32 v13, v13, v42, vcc_lo
	s_waitcnt lgkmcnt(0)
	v_add_co_u32 v14, vcc_lo, v17, v23
	v_add_co_ci_u32_e32 v15, vcc_lo, v18, v24, vcc_lo
	v_lshlrev_b32_e32 v13, 2, v13
	ds_bpermute_b32 v19, v13, v14
	ds_bpermute_b32 v20, v13, v15
	ds_load_b64 v[13:14], v16 offset:88
	s_and_saveexec_b32 s0, s2
	s_cbranch_execz .LBB486_127
; %bb.126:
	s_add_u32 s10, s14, 0x200
	s_addc_u32 s11, s15, 0
	s_delay_alu instid0(SALU_CYCLE_1)
	v_dual_mov_b32 v15, 2 :: v_dual_mov_b32 v24, s11
	v_mov_b32_e32 v23, s10
	s_waitcnt lgkmcnt(0)
	;;#ASMSTART
	global_store_dwordx4 v[23:24], v[13:16] off	
s_waitcnt vmcnt(0)
	;;#ASMEND
.LBB486_127:
	s_or_b32 exec_lo, exec_lo, s0
	v_cmp_eq_u32_e32 vcc_lo, 0, v42
	s_waitcnt lgkmcnt(0)
	s_barrier
	buffer_gl0_inv
	v_dual_cndmask_b32 v15, v19, v17 :: v_dual_cndmask_b32 v16, v20, v18
	s_delay_alu instid0(VALU_DEP_1) | instskip(NEXT) | instid1(VALU_DEP_2)
	v_cndmask_b32_e64 v31, v15, 0, s2
	v_cndmask_b32_e64 v32, v16, 0, s2
	v_mov_b32_e32 v15, 0
	v_mov_b32_e32 v16, 0
	s_delay_alu instid0(VALU_DEP_4) | instskip(NEXT) | instid1(VALU_DEP_4)
	v_add_co_u32 v29, vcc_lo, v31, v41
	v_add_co_ci_u32_e32 v30, vcc_lo, 0, v32, vcc_lo
	s_delay_alu instid0(VALU_DEP_2) | instskip(NEXT) | instid1(VALU_DEP_2)
	v_add_co_u32 v27, vcc_lo, v29, v40
	v_add_co_ci_u32_e32 v28, vcc_lo, 0, v30, vcc_lo
	s_delay_alu instid0(VALU_DEP_2) | instskip(NEXT) | instid1(VALU_DEP_2)
	v_add_co_u32 v25, vcc_lo, v27, v39
	v_add_co_ci_u32_e32 v26, vcc_lo, 0, v28, vcc_lo
	s_delay_alu instid0(VALU_DEP_2) | instskip(NEXT) | instid1(VALU_DEP_2)
	v_add_co_u32 v19, vcc_lo, v25, v36
	v_add_co_ci_u32_e32 v20, vcc_lo, 0, v26, vcc_lo
	s_delay_alu instid0(VALU_DEP_2) | instskip(NEXT) | instid1(VALU_DEP_2)
	v_add_co_u32 v17, vcc_lo, v19, v38
	v_add_co_ci_u32_e32 v18, vcc_lo, 0, v20, vcc_lo
.LBB486_128:
	s_waitcnt lgkmcnt(0)
	v_cmp_gt_u64_e32 vcc_lo, 0x181, v[13:14]
	v_lshrrev_b32_e32 v38, 8, v35
	v_lshrrev_b32_e32 v37, 16, v35
	s_mov_b32 s0, -1
	s_cbranch_vccnz .LBB486_132
; %bb.129:
	s_and_b32 vcc_lo, exec_lo, s0
	s_cbranch_vccnz .LBB486_151
.LBB486_130:
	s_and_b32 s0, s2, s5
	s_delay_alu instid0(SALU_CYCLE_1)
	s_and_saveexec_b32 s1, s0
	s_cbranch_execnz .LBB486_167
.LBB486_131:
	s_nop 0
	s_sendmsg sendmsg(MSG_DEALLOC_VGPRS)
	s_endpgm
.LBB486_132:
	v_add_co_u32 v23, vcc_lo, v15, v13
	v_add_co_ci_u32_e32 v24, vcc_lo, v16, v14, vcc_lo
	v_lshlrev_b64 v[39:40], 3, v[21:22]
	s_delay_alu instid0(VALU_DEP_2) | instskip(NEXT) | instid1(VALU_DEP_2)
	v_cmp_lt_u64_e32 vcc_lo, v[31:32], v[23:24]
	v_add_co_u32 v39, s0, s12, v39
	s_delay_alu instid0(VALU_DEP_1) | instskip(SKIP_1) | instid1(SALU_CYCLE_1)
	v_add_co_ci_u32_e64 v40, s0, s13, v40, s0
	s_or_b32 s1, s6, vcc_lo
	s_and_saveexec_b32 s0, s1
	s_cbranch_execz .LBB486_135
; %bb.133:
	v_and_b32_e32 v41, 1, v35
	s_delay_alu instid0(VALU_DEP_1)
	v_cmp_eq_u32_e32 vcc_lo, 1, v41
	s_and_b32 exec_lo, exec_lo, vcc_lo
	s_cbranch_execz .LBB486_135
; %bb.134:
	v_lshlrev_b64 v[41:42], 3, v[31:32]
	s_delay_alu instid0(VALU_DEP_1) | instskip(NEXT) | instid1(VALU_DEP_2)
	v_add_co_u32 v41, vcc_lo, v39, v41
	v_add_co_ci_u32_e32 v42, vcc_lo, v40, v42, vcc_lo
	global_store_b64 v[41:42], v[9:10], off
.LBB486_135:
	s_or_b32 exec_lo, exec_lo, s0
	v_cmp_lt_u64_e32 vcc_lo, v[29:30], v[23:24]
	s_or_b32 s1, s6, vcc_lo
	s_delay_alu instid0(SALU_CYCLE_1)
	s_and_saveexec_b32 s0, s1
	s_cbranch_execz .LBB486_138
; %bb.136:
	v_and_b32_e32 v32, 1, v38
	s_delay_alu instid0(VALU_DEP_1)
	v_cmp_eq_u32_e32 vcc_lo, 1, v32
	s_and_b32 exec_lo, exec_lo, vcc_lo
	s_cbranch_execz .LBB486_138
; %bb.137:
	v_lshlrev_b64 v[41:42], 3, v[29:30]
	s_delay_alu instid0(VALU_DEP_1) | instskip(NEXT) | instid1(VALU_DEP_2)
	v_add_co_u32 v41, vcc_lo, v39, v41
	v_add_co_ci_u32_e32 v42, vcc_lo, v40, v42, vcc_lo
	global_store_b64 v[41:42], v[11:12], off
.LBB486_138:
	s_or_b32 exec_lo, exec_lo, s0
	v_cmp_lt_u64_e32 vcc_lo, v[27:28], v[23:24]
	s_or_b32 s1, s6, vcc_lo
	s_delay_alu instid0(SALU_CYCLE_1)
	;; [unrolled: 19-line block ×5, first 2 shown]
	s_and_saveexec_b32 s0, s1
	s_cbranch_execz .LBB486_150
; %bb.148:
	v_and_b32_e32 v20, 1, v33
	s_delay_alu instid0(VALU_DEP_1)
	v_cmp_eq_u32_e32 vcc_lo, 1, v20
	s_and_b32 exec_lo, exec_lo, vcc_lo
	s_cbranch_execz .LBB486_150
; %bb.149:
	v_lshlrev_b64 v[23:24], 3, v[17:18]
	s_delay_alu instid0(VALU_DEP_1) | instskip(NEXT) | instid1(VALU_DEP_2)
	v_add_co_u32 v23, vcc_lo, v39, v23
	v_add_co_ci_u32_e32 v24, vcc_lo, v40, v24, vcc_lo
	global_store_b64 v[23:24], v[3:4], off
.LBB486_150:
	s_or_b32 exec_lo, exec_lo, s0
	s_branch .LBB486_130
.LBB486_151:
	v_and_b32_e32 v18, 1, v35
	s_mov_b32 s0, exec_lo
	s_delay_alu instid0(VALU_DEP_1)
	v_cmpx_eq_u32_e32 1, v18
	s_cbranch_execz .LBB486_153
; %bb.152:
	v_sub_nc_u32_e32 v18, v31, v15
	s_delay_alu instid0(VALU_DEP_1)
	v_lshlrev_b32_e32 v18, 3, v18
	ds_store_b64 v18, v[9:10]
.LBB486_153:
	s_or_b32 exec_lo, exec_lo, s0
	v_and_b32_e32 v9, 1, v38
	s_mov_b32 s0, exec_lo
	s_delay_alu instid0(VALU_DEP_1)
	v_cmpx_eq_u32_e32 1, v9
	s_cbranch_execz .LBB486_155
; %bb.154:
	v_sub_nc_u32_e32 v9, v29, v15
	s_delay_alu instid0(VALU_DEP_1)
	v_lshlrev_b32_e32 v9, 3, v9
	ds_store_b64 v9, v[11:12]
.LBB486_155:
	s_or_b32 exec_lo, exec_lo, s0
	;; [unrolled: 12-line block ×6, first 2 shown]
	v_mov_b32_e32 v1, 0
	s_mov_b32 s1, exec_lo
	s_waitcnt lgkmcnt(0)
	s_waitcnt_vscnt null, 0x0
	s_barrier
	buffer_gl0_inv
	v_cmpx_gt_u64_e64 v[13:14], v[0:1]
	s_cbranch_execz .LBB486_166
; %bb.164:
	v_lshlrev_b64 v[2:3], 3, v[15:16]
	v_lshlrev_b64 v[4:5], 3, v[21:22]
	s_mov_b32 s3, 0
	s_delay_alu instid0(VALU_DEP_2) | instskip(NEXT) | instid1(VALU_DEP_3)
	v_add_co_u32 v6, vcc_lo, s12, v2
	v_add_co_ci_u32_e32 v7, vcc_lo, s13, v3, vcc_lo
	v_dual_mov_b32 v3, v1 :: v_dual_mov_b32 v2, v0
	s_delay_alu instid0(VALU_DEP_3) | instskip(NEXT) | instid1(VALU_DEP_3)
	v_add_co_u32 v4, vcc_lo, v6, v4
	v_add_co_ci_u32_e32 v5, vcc_lo, v7, v5, vcc_lo
	v_add_nc_u32_e32 v0, 0x180, v0
	.p2align	6
.LBB486_165:                            ; =>This Inner Loop Header: Depth=1
	s_delay_alu instid0(VALU_DEP_4) | instskip(SKIP_2) | instid1(VALU_DEP_4)
	v_lshlrev_b32_e32 v6, 3, v2
	v_lshlrev_b64 v[8:9], 3, v[2:3]
	v_mov_b32_e32 v3, v1
	v_cmp_le_u64_e32 vcc_lo, v[13:14], v[0:1]
	v_mov_b32_e32 v2, v0
	ds_load_b64 v[6:7], v6
	v_add_nc_u32_e32 v0, 0x180, v0
	v_add_co_u32 v8, s0, v4, v8
	s_delay_alu instid0(VALU_DEP_1)
	v_add_co_ci_u32_e64 v9, s0, v5, v9, s0
	s_or_b32 s3, vcc_lo, s3
	s_waitcnt lgkmcnt(0)
	global_store_b64 v[8:9], v[6:7], off
	s_and_not1_b32 exec_lo, exec_lo, s3
	s_cbranch_execnz .LBB486_165
.LBB486_166:
	s_or_b32 exec_lo, exec_lo, s1
	s_and_b32 s0, s2, s5
	s_delay_alu instid0(SALU_CYCLE_1)
	s_and_saveexec_b32 s1, s0
	s_cbranch_execz .LBB486_131
.LBB486_167:
	v_add_co_u32 v0, vcc_lo, v15, v13
	v_add_co_ci_u32_e32 v1, vcc_lo, v16, v14, vcc_lo
	v_mov_b32_e32 v2, 0
	s_delay_alu instid0(VALU_DEP_3) | instskip(NEXT) | instid1(VALU_DEP_3)
	v_add_co_u32 v0, vcc_lo, v0, v21
	v_add_co_ci_u32_e32 v1, vcc_lo, v1, v22, vcc_lo
	global_store_b64 v2, v[0:1], s[8:9]
	s_nop 0
	s_sendmsg sendmsg(MSG_DEALLOC_VGPRS)
	s_endpgm
	.section	.rodata,"a",@progbits
	.p2align	6, 0x0
	.amdhsa_kernel _ZN7rocprim17ROCPRIM_400000_NS6detail17trampoline_kernelINS0_14default_configENS1_25partition_config_selectorILNS1_17partition_subalgoE6EyNS0_10empty_typeEbEEZZNS1_14partition_implILS5_6ELb0ES3_mN6thrust23THRUST_200600_302600_NS6detail15normal_iteratorINSA_10device_ptrIyEEEEPS6_SG_NS0_5tupleIJSF_S6_EEENSH_IJSG_SG_EEES6_PlJ5mod_3IyEEEE10hipError_tPvRmT3_T4_T5_T6_T7_T9_mT8_P12ihipStream_tbDpT10_ENKUlT_T0_E_clISt17integral_constantIbLb0EES15_IbLb1EEEEDaS11_S12_EUlS11_E_NS1_11comp_targetILNS1_3genE9ELNS1_11target_archE1100ELNS1_3gpuE3ELNS1_3repE0EEENS1_30default_config_static_selectorELNS0_4arch9wavefront6targetE0EEEvT1_
		.amdhsa_group_segment_fixed_size 18448
		.amdhsa_private_segment_fixed_size 0
		.amdhsa_kernarg_size 128
		.amdhsa_user_sgpr_count 15
		.amdhsa_user_sgpr_dispatch_ptr 0
		.amdhsa_user_sgpr_queue_ptr 0
		.amdhsa_user_sgpr_kernarg_segment_ptr 1
		.amdhsa_user_sgpr_dispatch_id 0
		.amdhsa_user_sgpr_private_segment_size 0
		.amdhsa_wavefront_size32 1
		.amdhsa_uses_dynamic_stack 0
		.amdhsa_enable_private_segment 0
		.amdhsa_system_sgpr_workgroup_id_x 1
		.amdhsa_system_sgpr_workgroup_id_y 0
		.amdhsa_system_sgpr_workgroup_id_z 0
		.amdhsa_system_sgpr_workgroup_info 0
		.amdhsa_system_vgpr_workitem_id 0
		.amdhsa_next_free_vgpr 56
		.amdhsa_next_free_sgpr 18
		.amdhsa_reserve_vcc 1
		.amdhsa_float_round_mode_32 0
		.amdhsa_float_round_mode_16_64 0
		.amdhsa_float_denorm_mode_32 3
		.amdhsa_float_denorm_mode_16_64 3
		.amdhsa_dx10_clamp 1
		.amdhsa_ieee_mode 1
		.amdhsa_fp16_overflow 0
		.amdhsa_workgroup_processor_mode 1
		.amdhsa_memory_ordered 1
		.amdhsa_forward_progress 0
		.amdhsa_shared_vgpr_count 0
		.amdhsa_exception_fp_ieee_invalid_op 0
		.amdhsa_exception_fp_denorm_src 0
		.amdhsa_exception_fp_ieee_div_zero 0
		.amdhsa_exception_fp_ieee_overflow 0
		.amdhsa_exception_fp_ieee_underflow 0
		.amdhsa_exception_fp_ieee_inexact 0
		.amdhsa_exception_int_div_zero 0
	.end_amdhsa_kernel
	.section	.text._ZN7rocprim17ROCPRIM_400000_NS6detail17trampoline_kernelINS0_14default_configENS1_25partition_config_selectorILNS1_17partition_subalgoE6EyNS0_10empty_typeEbEEZZNS1_14partition_implILS5_6ELb0ES3_mN6thrust23THRUST_200600_302600_NS6detail15normal_iteratorINSA_10device_ptrIyEEEEPS6_SG_NS0_5tupleIJSF_S6_EEENSH_IJSG_SG_EEES6_PlJ5mod_3IyEEEE10hipError_tPvRmT3_T4_T5_T6_T7_T9_mT8_P12ihipStream_tbDpT10_ENKUlT_T0_E_clISt17integral_constantIbLb0EES15_IbLb1EEEEDaS11_S12_EUlS11_E_NS1_11comp_targetILNS1_3genE9ELNS1_11target_archE1100ELNS1_3gpuE3ELNS1_3repE0EEENS1_30default_config_static_selectorELNS0_4arch9wavefront6targetE0EEEvT1_,"axG",@progbits,_ZN7rocprim17ROCPRIM_400000_NS6detail17trampoline_kernelINS0_14default_configENS1_25partition_config_selectorILNS1_17partition_subalgoE6EyNS0_10empty_typeEbEEZZNS1_14partition_implILS5_6ELb0ES3_mN6thrust23THRUST_200600_302600_NS6detail15normal_iteratorINSA_10device_ptrIyEEEEPS6_SG_NS0_5tupleIJSF_S6_EEENSH_IJSG_SG_EEES6_PlJ5mod_3IyEEEE10hipError_tPvRmT3_T4_T5_T6_T7_T9_mT8_P12ihipStream_tbDpT10_ENKUlT_T0_E_clISt17integral_constantIbLb0EES15_IbLb1EEEEDaS11_S12_EUlS11_E_NS1_11comp_targetILNS1_3genE9ELNS1_11target_archE1100ELNS1_3gpuE3ELNS1_3repE0EEENS1_30default_config_static_selectorELNS0_4arch9wavefront6targetE0EEEvT1_,comdat
.Lfunc_end486:
	.size	_ZN7rocprim17ROCPRIM_400000_NS6detail17trampoline_kernelINS0_14default_configENS1_25partition_config_selectorILNS1_17partition_subalgoE6EyNS0_10empty_typeEbEEZZNS1_14partition_implILS5_6ELb0ES3_mN6thrust23THRUST_200600_302600_NS6detail15normal_iteratorINSA_10device_ptrIyEEEEPS6_SG_NS0_5tupleIJSF_S6_EEENSH_IJSG_SG_EEES6_PlJ5mod_3IyEEEE10hipError_tPvRmT3_T4_T5_T6_T7_T9_mT8_P12ihipStream_tbDpT10_ENKUlT_T0_E_clISt17integral_constantIbLb0EES15_IbLb1EEEEDaS11_S12_EUlS11_E_NS1_11comp_targetILNS1_3genE9ELNS1_11target_archE1100ELNS1_3gpuE3ELNS1_3repE0EEENS1_30default_config_static_selectorELNS0_4arch9wavefront6targetE0EEEvT1_, .Lfunc_end486-_ZN7rocprim17ROCPRIM_400000_NS6detail17trampoline_kernelINS0_14default_configENS1_25partition_config_selectorILNS1_17partition_subalgoE6EyNS0_10empty_typeEbEEZZNS1_14partition_implILS5_6ELb0ES3_mN6thrust23THRUST_200600_302600_NS6detail15normal_iteratorINSA_10device_ptrIyEEEEPS6_SG_NS0_5tupleIJSF_S6_EEENSH_IJSG_SG_EEES6_PlJ5mod_3IyEEEE10hipError_tPvRmT3_T4_T5_T6_T7_T9_mT8_P12ihipStream_tbDpT10_ENKUlT_T0_E_clISt17integral_constantIbLb0EES15_IbLb1EEEEDaS11_S12_EUlS11_E_NS1_11comp_targetILNS1_3genE9ELNS1_11target_archE1100ELNS1_3gpuE3ELNS1_3repE0EEENS1_30default_config_static_selectorELNS0_4arch9wavefront6targetE0EEEvT1_
                                        ; -- End function
	.section	.AMDGPU.csdata,"",@progbits
; Kernel info:
; codeLenInByte = 6988
; NumSgprs: 20
; NumVgprs: 56
; ScratchSize: 0
; MemoryBound: 0
; FloatMode: 240
; IeeeMode: 1
; LDSByteSize: 18448 bytes/workgroup (compile time only)
; SGPRBlocks: 2
; VGPRBlocks: 6
; NumSGPRsForWavesPerEU: 20
; NumVGPRsForWavesPerEU: 56
; Occupancy: 15
; WaveLimiterHint : 1
; COMPUTE_PGM_RSRC2:SCRATCH_EN: 0
; COMPUTE_PGM_RSRC2:USER_SGPR: 15
; COMPUTE_PGM_RSRC2:TRAP_HANDLER: 0
; COMPUTE_PGM_RSRC2:TGID_X_EN: 1
; COMPUTE_PGM_RSRC2:TGID_Y_EN: 0
; COMPUTE_PGM_RSRC2:TGID_Z_EN: 0
; COMPUTE_PGM_RSRC2:TIDIG_COMP_CNT: 0
	.section	.text._ZN7rocprim17ROCPRIM_400000_NS6detail17trampoline_kernelINS0_14default_configENS1_25partition_config_selectorILNS1_17partition_subalgoE6EyNS0_10empty_typeEbEEZZNS1_14partition_implILS5_6ELb0ES3_mN6thrust23THRUST_200600_302600_NS6detail15normal_iteratorINSA_10device_ptrIyEEEEPS6_SG_NS0_5tupleIJSF_S6_EEENSH_IJSG_SG_EEES6_PlJ5mod_3IyEEEE10hipError_tPvRmT3_T4_T5_T6_T7_T9_mT8_P12ihipStream_tbDpT10_ENKUlT_T0_E_clISt17integral_constantIbLb0EES15_IbLb1EEEEDaS11_S12_EUlS11_E_NS1_11comp_targetILNS1_3genE8ELNS1_11target_archE1030ELNS1_3gpuE2ELNS1_3repE0EEENS1_30default_config_static_selectorELNS0_4arch9wavefront6targetE0EEEvT1_,"axG",@progbits,_ZN7rocprim17ROCPRIM_400000_NS6detail17trampoline_kernelINS0_14default_configENS1_25partition_config_selectorILNS1_17partition_subalgoE6EyNS0_10empty_typeEbEEZZNS1_14partition_implILS5_6ELb0ES3_mN6thrust23THRUST_200600_302600_NS6detail15normal_iteratorINSA_10device_ptrIyEEEEPS6_SG_NS0_5tupleIJSF_S6_EEENSH_IJSG_SG_EEES6_PlJ5mod_3IyEEEE10hipError_tPvRmT3_T4_T5_T6_T7_T9_mT8_P12ihipStream_tbDpT10_ENKUlT_T0_E_clISt17integral_constantIbLb0EES15_IbLb1EEEEDaS11_S12_EUlS11_E_NS1_11comp_targetILNS1_3genE8ELNS1_11target_archE1030ELNS1_3gpuE2ELNS1_3repE0EEENS1_30default_config_static_selectorELNS0_4arch9wavefront6targetE0EEEvT1_,comdat
	.protected	_ZN7rocprim17ROCPRIM_400000_NS6detail17trampoline_kernelINS0_14default_configENS1_25partition_config_selectorILNS1_17partition_subalgoE6EyNS0_10empty_typeEbEEZZNS1_14partition_implILS5_6ELb0ES3_mN6thrust23THRUST_200600_302600_NS6detail15normal_iteratorINSA_10device_ptrIyEEEEPS6_SG_NS0_5tupleIJSF_S6_EEENSH_IJSG_SG_EEES6_PlJ5mod_3IyEEEE10hipError_tPvRmT3_T4_T5_T6_T7_T9_mT8_P12ihipStream_tbDpT10_ENKUlT_T0_E_clISt17integral_constantIbLb0EES15_IbLb1EEEEDaS11_S12_EUlS11_E_NS1_11comp_targetILNS1_3genE8ELNS1_11target_archE1030ELNS1_3gpuE2ELNS1_3repE0EEENS1_30default_config_static_selectorELNS0_4arch9wavefront6targetE0EEEvT1_ ; -- Begin function _ZN7rocprim17ROCPRIM_400000_NS6detail17trampoline_kernelINS0_14default_configENS1_25partition_config_selectorILNS1_17partition_subalgoE6EyNS0_10empty_typeEbEEZZNS1_14partition_implILS5_6ELb0ES3_mN6thrust23THRUST_200600_302600_NS6detail15normal_iteratorINSA_10device_ptrIyEEEEPS6_SG_NS0_5tupleIJSF_S6_EEENSH_IJSG_SG_EEES6_PlJ5mod_3IyEEEE10hipError_tPvRmT3_T4_T5_T6_T7_T9_mT8_P12ihipStream_tbDpT10_ENKUlT_T0_E_clISt17integral_constantIbLb0EES15_IbLb1EEEEDaS11_S12_EUlS11_E_NS1_11comp_targetILNS1_3genE8ELNS1_11target_archE1030ELNS1_3gpuE2ELNS1_3repE0EEENS1_30default_config_static_selectorELNS0_4arch9wavefront6targetE0EEEvT1_
	.globl	_ZN7rocprim17ROCPRIM_400000_NS6detail17trampoline_kernelINS0_14default_configENS1_25partition_config_selectorILNS1_17partition_subalgoE6EyNS0_10empty_typeEbEEZZNS1_14partition_implILS5_6ELb0ES3_mN6thrust23THRUST_200600_302600_NS6detail15normal_iteratorINSA_10device_ptrIyEEEEPS6_SG_NS0_5tupleIJSF_S6_EEENSH_IJSG_SG_EEES6_PlJ5mod_3IyEEEE10hipError_tPvRmT3_T4_T5_T6_T7_T9_mT8_P12ihipStream_tbDpT10_ENKUlT_T0_E_clISt17integral_constantIbLb0EES15_IbLb1EEEEDaS11_S12_EUlS11_E_NS1_11comp_targetILNS1_3genE8ELNS1_11target_archE1030ELNS1_3gpuE2ELNS1_3repE0EEENS1_30default_config_static_selectorELNS0_4arch9wavefront6targetE0EEEvT1_
	.p2align	8
	.type	_ZN7rocprim17ROCPRIM_400000_NS6detail17trampoline_kernelINS0_14default_configENS1_25partition_config_selectorILNS1_17partition_subalgoE6EyNS0_10empty_typeEbEEZZNS1_14partition_implILS5_6ELb0ES3_mN6thrust23THRUST_200600_302600_NS6detail15normal_iteratorINSA_10device_ptrIyEEEEPS6_SG_NS0_5tupleIJSF_S6_EEENSH_IJSG_SG_EEES6_PlJ5mod_3IyEEEE10hipError_tPvRmT3_T4_T5_T6_T7_T9_mT8_P12ihipStream_tbDpT10_ENKUlT_T0_E_clISt17integral_constantIbLb0EES15_IbLb1EEEEDaS11_S12_EUlS11_E_NS1_11comp_targetILNS1_3genE8ELNS1_11target_archE1030ELNS1_3gpuE2ELNS1_3repE0EEENS1_30default_config_static_selectorELNS0_4arch9wavefront6targetE0EEEvT1_,@function
_ZN7rocprim17ROCPRIM_400000_NS6detail17trampoline_kernelINS0_14default_configENS1_25partition_config_selectorILNS1_17partition_subalgoE6EyNS0_10empty_typeEbEEZZNS1_14partition_implILS5_6ELb0ES3_mN6thrust23THRUST_200600_302600_NS6detail15normal_iteratorINSA_10device_ptrIyEEEEPS6_SG_NS0_5tupleIJSF_S6_EEENSH_IJSG_SG_EEES6_PlJ5mod_3IyEEEE10hipError_tPvRmT3_T4_T5_T6_T7_T9_mT8_P12ihipStream_tbDpT10_ENKUlT_T0_E_clISt17integral_constantIbLb0EES15_IbLb1EEEEDaS11_S12_EUlS11_E_NS1_11comp_targetILNS1_3genE8ELNS1_11target_archE1030ELNS1_3gpuE2ELNS1_3repE0EEENS1_30default_config_static_selectorELNS0_4arch9wavefront6targetE0EEEvT1_: ; @_ZN7rocprim17ROCPRIM_400000_NS6detail17trampoline_kernelINS0_14default_configENS1_25partition_config_selectorILNS1_17partition_subalgoE6EyNS0_10empty_typeEbEEZZNS1_14partition_implILS5_6ELb0ES3_mN6thrust23THRUST_200600_302600_NS6detail15normal_iteratorINSA_10device_ptrIyEEEEPS6_SG_NS0_5tupleIJSF_S6_EEENSH_IJSG_SG_EEES6_PlJ5mod_3IyEEEE10hipError_tPvRmT3_T4_T5_T6_T7_T9_mT8_P12ihipStream_tbDpT10_ENKUlT_T0_E_clISt17integral_constantIbLb0EES15_IbLb1EEEEDaS11_S12_EUlS11_E_NS1_11comp_targetILNS1_3genE8ELNS1_11target_archE1030ELNS1_3gpuE2ELNS1_3repE0EEENS1_30default_config_static_selectorELNS0_4arch9wavefront6targetE0EEEvT1_
; %bb.0:
	.section	.rodata,"a",@progbits
	.p2align	6, 0x0
	.amdhsa_kernel _ZN7rocprim17ROCPRIM_400000_NS6detail17trampoline_kernelINS0_14default_configENS1_25partition_config_selectorILNS1_17partition_subalgoE6EyNS0_10empty_typeEbEEZZNS1_14partition_implILS5_6ELb0ES3_mN6thrust23THRUST_200600_302600_NS6detail15normal_iteratorINSA_10device_ptrIyEEEEPS6_SG_NS0_5tupleIJSF_S6_EEENSH_IJSG_SG_EEES6_PlJ5mod_3IyEEEE10hipError_tPvRmT3_T4_T5_T6_T7_T9_mT8_P12ihipStream_tbDpT10_ENKUlT_T0_E_clISt17integral_constantIbLb0EES15_IbLb1EEEEDaS11_S12_EUlS11_E_NS1_11comp_targetILNS1_3genE8ELNS1_11target_archE1030ELNS1_3gpuE2ELNS1_3repE0EEENS1_30default_config_static_selectorELNS0_4arch9wavefront6targetE0EEEvT1_
		.amdhsa_group_segment_fixed_size 0
		.amdhsa_private_segment_fixed_size 0
		.amdhsa_kernarg_size 128
		.amdhsa_user_sgpr_count 15
		.amdhsa_user_sgpr_dispatch_ptr 0
		.amdhsa_user_sgpr_queue_ptr 0
		.amdhsa_user_sgpr_kernarg_segment_ptr 1
		.amdhsa_user_sgpr_dispatch_id 0
		.amdhsa_user_sgpr_private_segment_size 0
		.amdhsa_wavefront_size32 1
		.amdhsa_uses_dynamic_stack 0
		.amdhsa_enable_private_segment 0
		.amdhsa_system_sgpr_workgroup_id_x 1
		.amdhsa_system_sgpr_workgroup_id_y 0
		.amdhsa_system_sgpr_workgroup_id_z 0
		.amdhsa_system_sgpr_workgroup_info 0
		.amdhsa_system_vgpr_workitem_id 0
		.amdhsa_next_free_vgpr 1
		.amdhsa_next_free_sgpr 1
		.amdhsa_reserve_vcc 0
		.amdhsa_float_round_mode_32 0
		.amdhsa_float_round_mode_16_64 0
		.amdhsa_float_denorm_mode_32 3
		.amdhsa_float_denorm_mode_16_64 3
		.amdhsa_dx10_clamp 1
		.amdhsa_ieee_mode 1
		.amdhsa_fp16_overflow 0
		.amdhsa_workgroup_processor_mode 1
		.amdhsa_memory_ordered 1
		.amdhsa_forward_progress 0
		.amdhsa_shared_vgpr_count 0
		.amdhsa_exception_fp_ieee_invalid_op 0
		.amdhsa_exception_fp_denorm_src 0
		.amdhsa_exception_fp_ieee_div_zero 0
		.amdhsa_exception_fp_ieee_overflow 0
		.amdhsa_exception_fp_ieee_underflow 0
		.amdhsa_exception_fp_ieee_inexact 0
		.amdhsa_exception_int_div_zero 0
	.end_amdhsa_kernel
	.section	.text._ZN7rocprim17ROCPRIM_400000_NS6detail17trampoline_kernelINS0_14default_configENS1_25partition_config_selectorILNS1_17partition_subalgoE6EyNS0_10empty_typeEbEEZZNS1_14partition_implILS5_6ELb0ES3_mN6thrust23THRUST_200600_302600_NS6detail15normal_iteratorINSA_10device_ptrIyEEEEPS6_SG_NS0_5tupleIJSF_S6_EEENSH_IJSG_SG_EEES6_PlJ5mod_3IyEEEE10hipError_tPvRmT3_T4_T5_T6_T7_T9_mT8_P12ihipStream_tbDpT10_ENKUlT_T0_E_clISt17integral_constantIbLb0EES15_IbLb1EEEEDaS11_S12_EUlS11_E_NS1_11comp_targetILNS1_3genE8ELNS1_11target_archE1030ELNS1_3gpuE2ELNS1_3repE0EEENS1_30default_config_static_selectorELNS0_4arch9wavefront6targetE0EEEvT1_,"axG",@progbits,_ZN7rocprim17ROCPRIM_400000_NS6detail17trampoline_kernelINS0_14default_configENS1_25partition_config_selectorILNS1_17partition_subalgoE6EyNS0_10empty_typeEbEEZZNS1_14partition_implILS5_6ELb0ES3_mN6thrust23THRUST_200600_302600_NS6detail15normal_iteratorINSA_10device_ptrIyEEEEPS6_SG_NS0_5tupleIJSF_S6_EEENSH_IJSG_SG_EEES6_PlJ5mod_3IyEEEE10hipError_tPvRmT3_T4_T5_T6_T7_T9_mT8_P12ihipStream_tbDpT10_ENKUlT_T0_E_clISt17integral_constantIbLb0EES15_IbLb1EEEEDaS11_S12_EUlS11_E_NS1_11comp_targetILNS1_3genE8ELNS1_11target_archE1030ELNS1_3gpuE2ELNS1_3repE0EEENS1_30default_config_static_selectorELNS0_4arch9wavefront6targetE0EEEvT1_,comdat
.Lfunc_end487:
	.size	_ZN7rocprim17ROCPRIM_400000_NS6detail17trampoline_kernelINS0_14default_configENS1_25partition_config_selectorILNS1_17partition_subalgoE6EyNS0_10empty_typeEbEEZZNS1_14partition_implILS5_6ELb0ES3_mN6thrust23THRUST_200600_302600_NS6detail15normal_iteratorINSA_10device_ptrIyEEEEPS6_SG_NS0_5tupleIJSF_S6_EEENSH_IJSG_SG_EEES6_PlJ5mod_3IyEEEE10hipError_tPvRmT3_T4_T5_T6_T7_T9_mT8_P12ihipStream_tbDpT10_ENKUlT_T0_E_clISt17integral_constantIbLb0EES15_IbLb1EEEEDaS11_S12_EUlS11_E_NS1_11comp_targetILNS1_3genE8ELNS1_11target_archE1030ELNS1_3gpuE2ELNS1_3repE0EEENS1_30default_config_static_selectorELNS0_4arch9wavefront6targetE0EEEvT1_, .Lfunc_end487-_ZN7rocprim17ROCPRIM_400000_NS6detail17trampoline_kernelINS0_14default_configENS1_25partition_config_selectorILNS1_17partition_subalgoE6EyNS0_10empty_typeEbEEZZNS1_14partition_implILS5_6ELb0ES3_mN6thrust23THRUST_200600_302600_NS6detail15normal_iteratorINSA_10device_ptrIyEEEEPS6_SG_NS0_5tupleIJSF_S6_EEENSH_IJSG_SG_EEES6_PlJ5mod_3IyEEEE10hipError_tPvRmT3_T4_T5_T6_T7_T9_mT8_P12ihipStream_tbDpT10_ENKUlT_T0_E_clISt17integral_constantIbLb0EES15_IbLb1EEEEDaS11_S12_EUlS11_E_NS1_11comp_targetILNS1_3genE8ELNS1_11target_archE1030ELNS1_3gpuE2ELNS1_3repE0EEENS1_30default_config_static_selectorELNS0_4arch9wavefront6targetE0EEEvT1_
                                        ; -- End function
	.section	.AMDGPU.csdata,"",@progbits
; Kernel info:
; codeLenInByte = 0
; NumSgprs: 0
; NumVgprs: 0
; ScratchSize: 0
; MemoryBound: 0
; FloatMode: 240
; IeeeMode: 1
; LDSByteSize: 0 bytes/workgroup (compile time only)
; SGPRBlocks: 0
; VGPRBlocks: 0
; NumSGPRsForWavesPerEU: 1
; NumVGPRsForWavesPerEU: 1
; Occupancy: 16
; WaveLimiterHint : 0
; COMPUTE_PGM_RSRC2:SCRATCH_EN: 0
; COMPUTE_PGM_RSRC2:USER_SGPR: 15
; COMPUTE_PGM_RSRC2:TRAP_HANDLER: 0
; COMPUTE_PGM_RSRC2:TGID_X_EN: 1
; COMPUTE_PGM_RSRC2:TGID_Y_EN: 0
; COMPUTE_PGM_RSRC2:TGID_Z_EN: 0
; COMPUTE_PGM_RSRC2:TIDIG_COMP_CNT: 0
	.section	.text._ZN7rocprim17ROCPRIM_400000_NS6detail17trampoline_kernelINS0_14default_configENS1_25partition_config_selectorILNS1_17partition_subalgoE6EjNS0_10empty_typeEbEEZZNS1_14partition_implILS5_6ELb0ES3_mN6thrust23THRUST_200600_302600_NS6detail15normal_iteratorINSA_10device_ptrIjEEEEPS6_SG_NS0_5tupleIJSF_S6_EEENSH_IJSG_SG_EEES6_PlJ5mod_3IjEEEE10hipError_tPvRmT3_T4_T5_T6_T7_T9_mT8_P12ihipStream_tbDpT10_ENKUlT_T0_E_clISt17integral_constantIbLb0EES16_EEDaS11_S12_EUlS11_E_NS1_11comp_targetILNS1_3genE0ELNS1_11target_archE4294967295ELNS1_3gpuE0ELNS1_3repE0EEENS1_30default_config_static_selectorELNS0_4arch9wavefront6targetE0EEEvT1_,"axG",@progbits,_ZN7rocprim17ROCPRIM_400000_NS6detail17trampoline_kernelINS0_14default_configENS1_25partition_config_selectorILNS1_17partition_subalgoE6EjNS0_10empty_typeEbEEZZNS1_14partition_implILS5_6ELb0ES3_mN6thrust23THRUST_200600_302600_NS6detail15normal_iteratorINSA_10device_ptrIjEEEEPS6_SG_NS0_5tupleIJSF_S6_EEENSH_IJSG_SG_EEES6_PlJ5mod_3IjEEEE10hipError_tPvRmT3_T4_T5_T6_T7_T9_mT8_P12ihipStream_tbDpT10_ENKUlT_T0_E_clISt17integral_constantIbLb0EES16_EEDaS11_S12_EUlS11_E_NS1_11comp_targetILNS1_3genE0ELNS1_11target_archE4294967295ELNS1_3gpuE0ELNS1_3repE0EEENS1_30default_config_static_selectorELNS0_4arch9wavefront6targetE0EEEvT1_,comdat
	.protected	_ZN7rocprim17ROCPRIM_400000_NS6detail17trampoline_kernelINS0_14default_configENS1_25partition_config_selectorILNS1_17partition_subalgoE6EjNS0_10empty_typeEbEEZZNS1_14partition_implILS5_6ELb0ES3_mN6thrust23THRUST_200600_302600_NS6detail15normal_iteratorINSA_10device_ptrIjEEEEPS6_SG_NS0_5tupleIJSF_S6_EEENSH_IJSG_SG_EEES6_PlJ5mod_3IjEEEE10hipError_tPvRmT3_T4_T5_T6_T7_T9_mT8_P12ihipStream_tbDpT10_ENKUlT_T0_E_clISt17integral_constantIbLb0EES16_EEDaS11_S12_EUlS11_E_NS1_11comp_targetILNS1_3genE0ELNS1_11target_archE4294967295ELNS1_3gpuE0ELNS1_3repE0EEENS1_30default_config_static_selectorELNS0_4arch9wavefront6targetE0EEEvT1_ ; -- Begin function _ZN7rocprim17ROCPRIM_400000_NS6detail17trampoline_kernelINS0_14default_configENS1_25partition_config_selectorILNS1_17partition_subalgoE6EjNS0_10empty_typeEbEEZZNS1_14partition_implILS5_6ELb0ES3_mN6thrust23THRUST_200600_302600_NS6detail15normal_iteratorINSA_10device_ptrIjEEEEPS6_SG_NS0_5tupleIJSF_S6_EEENSH_IJSG_SG_EEES6_PlJ5mod_3IjEEEE10hipError_tPvRmT3_T4_T5_T6_T7_T9_mT8_P12ihipStream_tbDpT10_ENKUlT_T0_E_clISt17integral_constantIbLb0EES16_EEDaS11_S12_EUlS11_E_NS1_11comp_targetILNS1_3genE0ELNS1_11target_archE4294967295ELNS1_3gpuE0ELNS1_3repE0EEENS1_30default_config_static_selectorELNS0_4arch9wavefront6targetE0EEEvT1_
	.globl	_ZN7rocprim17ROCPRIM_400000_NS6detail17trampoline_kernelINS0_14default_configENS1_25partition_config_selectorILNS1_17partition_subalgoE6EjNS0_10empty_typeEbEEZZNS1_14partition_implILS5_6ELb0ES3_mN6thrust23THRUST_200600_302600_NS6detail15normal_iteratorINSA_10device_ptrIjEEEEPS6_SG_NS0_5tupleIJSF_S6_EEENSH_IJSG_SG_EEES6_PlJ5mod_3IjEEEE10hipError_tPvRmT3_T4_T5_T6_T7_T9_mT8_P12ihipStream_tbDpT10_ENKUlT_T0_E_clISt17integral_constantIbLb0EES16_EEDaS11_S12_EUlS11_E_NS1_11comp_targetILNS1_3genE0ELNS1_11target_archE4294967295ELNS1_3gpuE0ELNS1_3repE0EEENS1_30default_config_static_selectorELNS0_4arch9wavefront6targetE0EEEvT1_
	.p2align	8
	.type	_ZN7rocprim17ROCPRIM_400000_NS6detail17trampoline_kernelINS0_14default_configENS1_25partition_config_selectorILNS1_17partition_subalgoE6EjNS0_10empty_typeEbEEZZNS1_14partition_implILS5_6ELb0ES3_mN6thrust23THRUST_200600_302600_NS6detail15normal_iteratorINSA_10device_ptrIjEEEEPS6_SG_NS0_5tupleIJSF_S6_EEENSH_IJSG_SG_EEES6_PlJ5mod_3IjEEEE10hipError_tPvRmT3_T4_T5_T6_T7_T9_mT8_P12ihipStream_tbDpT10_ENKUlT_T0_E_clISt17integral_constantIbLb0EES16_EEDaS11_S12_EUlS11_E_NS1_11comp_targetILNS1_3genE0ELNS1_11target_archE4294967295ELNS1_3gpuE0ELNS1_3repE0EEENS1_30default_config_static_selectorELNS0_4arch9wavefront6targetE0EEEvT1_,@function
_ZN7rocprim17ROCPRIM_400000_NS6detail17trampoline_kernelINS0_14default_configENS1_25partition_config_selectorILNS1_17partition_subalgoE6EjNS0_10empty_typeEbEEZZNS1_14partition_implILS5_6ELb0ES3_mN6thrust23THRUST_200600_302600_NS6detail15normal_iteratorINSA_10device_ptrIjEEEEPS6_SG_NS0_5tupleIJSF_S6_EEENSH_IJSG_SG_EEES6_PlJ5mod_3IjEEEE10hipError_tPvRmT3_T4_T5_T6_T7_T9_mT8_P12ihipStream_tbDpT10_ENKUlT_T0_E_clISt17integral_constantIbLb0EES16_EEDaS11_S12_EUlS11_E_NS1_11comp_targetILNS1_3genE0ELNS1_11target_archE4294967295ELNS1_3gpuE0ELNS1_3repE0EEENS1_30default_config_static_selectorELNS0_4arch9wavefront6targetE0EEEvT1_: ; @_ZN7rocprim17ROCPRIM_400000_NS6detail17trampoline_kernelINS0_14default_configENS1_25partition_config_selectorILNS1_17partition_subalgoE6EjNS0_10empty_typeEbEEZZNS1_14partition_implILS5_6ELb0ES3_mN6thrust23THRUST_200600_302600_NS6detail15normal_iteratorINSA_10device_ptrIjEEEEPS6_SG_NS0_5tupleIJSF_S6_EEENSH_IJSG_SG_EEES6_PlJ5mod_3IjEEEE10hipError_tPvRmT3_T4_T5_T6_T7_T9_mT8_P12ihipStream_tbDpT10_ENKUlT_T0_E_clISt17integral_constantIbLb0EES16_EEDaS11_S12_EUlS11_E_NS1_11comp_targetILNS1_3genE0ELNS1_11target_archE4294967295ELNS1_3gpuE0ELNS1_3repE0EEENS1_30default_config_static_selectorELNS0_4arch9wavefront6targetE0EEEvT1_
; %bb.0:
	.section	.rodata,"a",@progbits
	.p2align	6, 0x0
	.amdhsa_kernel _ZN7rocprim17ROCPRIM_400000_NS6detail17trampoline_kernelINS0_14default_configENS1_25partition_config_selectorILNS1_17partition_subalgoE6EjNS0_10empty_typeEbEEZZNS1_14partition_implILS5_6ELb0ES3_mN6thrust23THRUST_200600_302600_NS6detail15normal_iteratorINSA_10device_ptrIjEEEEPS6_SG_NS0_5tupleIJSF_S6_EEENSH_IJSG_SG_EEES6_PlJ5mod_3IjEEEE10hipError_tPvRmT3_T4_T5_T6_T7_T9_mT8_P12ihipStream_tbDpT10_ENKUlT_T0_E_clISt17integral_constantIbLb0EES16_EEDaS11_S12_EUlS11_E_NS1_11comp_targetILNS1_3genE0ELNS1_11target_archE4294967295ELNS1_3gpuE0ELNS1_3repE0EEENS1_30default_config_static_selectorELNS0_4arch9wavefront6targetE0EEEvT1_
		.amdhsa_group_segment_fixed_size 0
		.amdhsa_private_segment_fixed_size 0
		.amdhsa_kernarg_size 112
		.amdhsa_user_sgpr_count 15
		.amdhsa_user_sgpr_dispatch_ptr 0
		.amdhsa_user_sgpr_queue_ptr 0
		.amdhsa_user_sgpr_kernarg_segment_ptr 1
		.amdhsa_user_sgpr_dispatch_id 0
		.amdhsa_user_sgpr_private_segment_size 0
		.amdhsa_wavefront_size32 1
		.amdhsa_uses_dynamic_stack 0
		.amdhsa_enable_private_segment 0
		.amdhsa_system_sgpr_workgroup_id_x 1
		.amdhsa_system_sgpr_workgroup_id_y 0
		.amdhsa_system_sgpr_workgroup_id_z 0
		.amdhsa_system_sgpr_workgroup_info 0
		.amdhsa_system_vgpr_workitem_id 0
		.amdhsa_next_free_vgpr 1
		.amdhsa_next_free_sgpr 1
		.amdhsa_reserve_vcc 0
		.amdhsa_float_round_mode_32 0
		.amdhsa_float_round_mode_16_64 0
		.amdhsa_float_denorm_mode_32 3
		.amdhsa_float_denorm_mode_16_64 3
		.amdhsa_dx10_clamp 1
		.amdhsa_ieee_mode 1
		.amdhsa_fp16_overflow 0
		.amdhsa_workgroup_processor_mode 1
		.amdhsa_memory_ordered 1
		.amdhsa_forward_progress 0
		.amdhsa_shared_vgpr_count 0
		.amdhsa_exception_fp_ieee_invalid_op 0
		.amdhsa_exception_fp_denorm_src 0
		.amdhsa_exception_fp_ieee_div_zero 0
		.amdhsa_exception_fp_ieee_overflow 0
		.amdhsa_exception_fp_ieee_underflow 0
		.amdhsa_exception_fp_ieee_inexact 0
		.amdhsa_exception_int_div_zero 0
	.end_amdhsa_kernel
	.section	.text._ZN7rocprim17ROCPRIM_400000_NS6detail17trampoline_kernelINS0_14default_configENS1_25partition_config_selectorILNS1_17partition_subalgoE6EjNS0_10empty_typeEbEEZZNS1_14partition_implILS5_6ELb0ES3_mN6thrust23THRUST_200600_302600_NS6detail15normal_iteratorINSA_10device_ptrIjEEEEPS6_SG_NS0_5tupleIJSF_S6_EEENSH_IJSG_SG_EEES6_PlJ5mod_3IjEEEE10hipError_tPvRmT3_T4_T5_T6_T7_T9_mT8_P12ihipStream_tbDpT10_ENKUlT_T0_E_clISt17integral_constantIbLb0EES16_EEDaS11_S12_EUlS11_E_NS1_11comp_targetILNS1_3genE0ELNS1_11target_archE4294967295ELNS1_3gpuE0ELNS1_3repE0EEENS1_30default_config_static_selectorELNS0_4arch9wavefront6targetE0EEEvT1_,"axG",@progbits,_ZN7rocprim17ROCPRIM_400000_NS6detail17trampoline_kernelINS0_14default_configENS1_25partition_config_selectorILNS1_17partition_subalgoE6EjNS0_10empty_typeEbEEZZNS1_14partition_implILS5_6ELb0ES3_mN6thrust23THRUST_200600_302600_NS6detail15normal_iteratorINSA_10device_ptrIjEEEEPS6_SG_NS0_5tupleIJSF_S6_EEENSH_IJSG_SG_EEES6_PlJ5mod_3IjEEEE10hipError_tPvRmT3_T4_T5_T6_T7_T9_mT8_P12ihipStream_tbDpT10_ENKUlT_T0_E_clISt17integral_constantIbLb0EES16_EEDaS11_S12_EUlS11_E_NS1_11comp_targetILNS1_3genE0ELNS1_11target_archE4294967295ELNS1_3gpuE0ELNS1_3repE0EEENS1_30default_config_static_selectorELNS0_4arch9wavefront6targetE0EEEvT1_,comdat
.Lfunc_end488:
	.size	_ZN7rocprim17ROCPRIM_400000_NS6detail17trampoline_kernelINS0_14default_configENS1_25partition_config_selectorILNS1_17partition_subalgoE6EjNS0_10empty_typeEbEEZZNS1_14partition_implILS5_6ELb0ES3_mN6thrust23THRUST_200600_302600_NS6detail15normal_iteratorINSA_10device_ptrIjEEEEPS6_SG_NS0_5tupleIJSF_S6_EEENSH_IJSG_SG_EEES6_PlJ5mod_3IjEEEE10hipError_tPvRmT3_T4_T5_T6_T7_T9_mT8_P12ihipStream_tbDpT10_ENKUlT_T0_E_clISt17integral_constantIbLb0EES16_EEDaS11_S12_EUlS11_E_NS1_11comp_targetILNS1_3genE0ELNS1_11target_archE4294967295ELNS1_3gpuE0ELNS1_3repE0EEENS1_30default_config_static_selectorELNS0_4arch9wavefront6targetE0EEEvT1_, .Lfunc_end488-_ZN7rocprim17ROCPRIM_400000_NS6detail17trampoline_kernelINS0_14default_configENS1_25partition_config_selectorILNS1_17partition_subalgoE6EjNS0_10empty_typeEbEEZZNS1_14partition_implILS5_6ELb0ES3_mN6thrust23THRUST_200600_302600_NS6detail15normal_iteratorINSA_10device_ptrIjEEEEPS6_SG_NS0_5tupleIJSF_S6_EEENSH_IJSG_SG_EEES6_PlJ5mod_3IjEEEE10hipError_tPvRmT3_T4_T5_T6_T7_T9_mT8_P12ihipStream_tbDpT10_ENKUlT_T0_E_clISt17integral_constantIbLb0EES16_EEDaS11_S12_EUlS11_E_NS1_11comp_targetILNS1_3genE0ELNS1_11target_archE4294967295ELNS1_3gpuE0ELNS1_3repE0EEENS1_30default_config_static_selectorELNS0_4arch9wavefront6targetE0EEEvT1_
                                        ; -- End function
	.section	.AMDGPU.csdata,"",@progbits
; Kernel info:
; codeLenInByte = 0
; NumSgprs: 0
; NumVgprs: 0
; ScratchSize: 0
; MemoryBound: 0
; FloatMode: 240
; IeeeMode: 1
; LDSByteSize: 0 bytes/workgroup (compile time only)
; SGPRBlocks: 0
; VGPRBlocks: 0
; NumSGPRsForWavesPerEU: 1
; NumVGPRsForWavesPerEU: 1
; Occupancy: 16
; WaveLimiterHint : 0
; COMPUTE_PGM_RSRC2:SCRATCH_EN: 0
; COMPUTE_PGM_RSRC2:USER_SGPR: 15
; COMPUTE_PGM_RSRC2:TRAP_HANDLER: 0
; COMPUTE_PGM_RSRC2:TGID_X_EN: 1
; COMPUTE_PGM_RSRC2:TGID_Y_EN: 0
; COMPUTE_PGM_RSRC2:TGID_Z_EN: 0
; COMPUTE_PGM_RSRC2:TIDIG_COMP_CNT: 0
	.section	.text._ZN7rocprim17ROCPRIM_400000_NS6detail17trampoline_kernelINS0_14default_configENS1_25partition_config_selectorILNS1_17partition_subalgoE6EjNS0_10empty_typeEbEEZZNS1_14partition_implILS5_6ELb0ES3_mN6thrust23THRUST_200600_302600_NS6detail15normal_iteratorINSA_10device_ptrIjEEEEPS6_SG_NS0_5tupleIJSF_S6_EEENSH_IJSG_SG_EEES6_PlJ5mod_3IjEEEE10hipError_tPvRmT3_T4_T5_T6_T7_T9_mT8_P12ihipStream_tbDpT10_ENKUlT_T0_E_clISt17integral_constantIbLb0EES16_EEDaS11_S12_EUlS11_E_NS1_11comp_targetILNS1_3genE5ELNS1_11target_archE942ELNS1_3gpuE9ELNS1_3repE0EEENS1_30default_config_static_selectorELNS0_4arch9wavefront6targetE0EEEvT1_,"axG",@progbits,_ZN7rocprim17ROCPRIM_400000_NS6detail17trampoline_kernelINS0_14default_configENS1_25partition_config_selectorILNS1_17partition_subalgoE6EjNS0_10empty_typeEbEEZZNS1_14partition_implILS5_6ELb0ES3_mN6thrust23THRUST_200600_302600_NS6detail15normal_iteratorINSA_10device_ptrIjEEEEPS6_SG_NS0_5tupleIJSF_S6_EEENSH_IJSG_SG_EEES6_PlJ5mod_3IjEEEE10hipError_tPvRmT3_T4_T5_T6_T7_T9_mT8_P12ihipStream_tbDpT10_ENKUlT_T0_E_clISt17integral_constantIbLb0EES16_EEDaS11_S12_EUlS11_E_NS1_11comp_targetILNS1_3genE5ELNS1_11target_archE942ELNS1_3gpuE9ELNS1_3repE0EEENS1_30default_config_static_selectorELNS0_4arch9wavefront6targetE0EEEvT1_,comdat
	.protected	_ZN7rocprim17ROCPRIM_400000_NS6detail17trampoline_kernelINS0_14default_configENS1_25partition_config_selectorILNS1_17partition_subalgoE6EjNS0_10empty_typeEbEEZZNS1_14partition_implILS5_6ELb0ES3_mN6thrust23THRUST_200600_302600_NS6detail15normal_iteratorINSA_10device_ptrIjEEEEPS6_SG_NS0_5tupleIJSF_S6_EEENSH_IJSG_SG_EEES6_PlJ5mod_3IjEEEE10hipError_tPvRmT3_T4_T5_T6_T7_T9_mT8_P12ihipStream_tbDpT10_ENKUlT_T0_E_clISt17integral_constantIbLb0EES16_EEDaS11_S12_EUlS11_E_NS1_11comp_targetILNS1_3genE5ELNS1_11target_archE942ELNS1_3gpuE9ELNS1_3repE0EEENS1_30default_config_static_selectorELNS0_4arch9wavefront6targetE0EEEvT1_ ; -- Begin function _ZN7rocprim17ROCPRIM_400000_NS6detail17trampoline_kernelINS0_14default_configENS1_25partition_config_selectorILNS1_17partition_subalgoE6EjNS0_10empty_typeEbEEZZNS1_14partition_implILS5_6ELb0ES3_mN6thrust23THRUST_200600_302600_NS6detail15normal_iteratorINSA_10device_ptrIjEEEEPS6_SG_NS0_5tupleIJSF_S6_EEENSH_IJSG_SG_EEES6_PlJ5mod_3IjEEEE10hipError_tPvRmT3_T4_T5_T6_T7_T9_mT8_P12ihipStream_tbDpT10_ENKUlT_T0_E_clISt17integral_constantIbLb0EES16_EEDaS11_S12_EUlS11_E_NS1_11comp_targetILNS1_3genE5ELNS1_11target_archE942ELNS1_3gpuE9ELNS1_3repE0EEENS1_30default_config_static_selectorELNS0_4arch9wavefront6targetE0EEEvT1_
	.globl	_ZN7rocprim17ROCPRIM_400000_NS6detail17trampoline_kernelINS0_14default_configENS1_25partition_config_selectorILNS1_17partition_subalgoE6EjNS0_10empty_typeEbEEZZNS1_14partition_implILS5_6ELb0ES3_mN6thrust23THRUST_200600_302600_NS6detail15normal_iteratorINSA_10device_ptrIjEEEEPS6_SG_NS0_5tupleIJSF_S6_EEENSH_IJSG_SG_EEES6_PlJ5mod_3IjEEEE10hipError_tPvRmT3_T4_T5_T6_T7_T9_mT8_P12ihipStream_tbDpT10_ENKUlT_T0_E_clISt17integral_constantIbLb0EES16_EEDaS11_S12_EUlS11_E_NS1_11comp_targetILNS1_3genE5ELNS1_11target_archE942ELNS1_3gpuE9ELNS1_3repE0EEENS1_30default_config_static_selectorELNS0_4arch9wavefront6targetE0EEEvT1_
	.p2align	8
	.type	_ZN7rocprim17ROCPRIM_400000_NS6detail17trampoline_kernelINS0_14default_configENS1_25partition_config_selectorILNS1_17partition_subalgoE6EjNS0_10empty_typeEbEEZZNS1_14partition_implILS5_6ELb0ES3_mN6thrust23THRUST_200600_302600_NS6detail15normal_iteratorINSA_10device_ptrIjEEEEPS6_SG_NS0_5tupleIJSF_S6_EEENSH_IJSG_SG_EEES6_PlJ5mod_3IjEEEE10hipError_tPvRmT3_T4_T5_T6_T7_T9_mT8_P12ihipStream_tbDpT10_ENKUlT_T0_E_clISt17integral_constantIbLb0EES16_EEDaS11_S12_EUlS11_E_NS1_11comp_targetILNS1_3genE5ELNS1_11target_archE942ELNS1_3gpuE9ELNS1_3repE0EEENS1_30default_config_static_selectorELNS0_4arch9wavefront6targetE0EEEvT1_,@function
_ZN7rocprim17ROCPRIM_400000_NS6detail17trampoline_kernelINS0_14default_configENS1_25partition_config_selectorILNS1_17partition_subalgoE6EjNS0_10empty_typeEbEEZZNS1_14partition_implILS5_6ELb0ES3_mN6thrust23THRUST_200600_302600_NS6detail15normal_iteratorINSA_10device_ptrIjEEEEPS6_SG_NS0_5tupleIJSF_S6_EEENSH_IJSG_SG_EEES6_PlJ5mod_3IjEEEE10hipError_tPvRmT3_T4_T5_T6_T7_T9_mT8_P12ihipStream_tbDpT10_ENKUlT_T0_E_clISt17integral_constantIbLb0EES16_EEDaS11_S12_EUlS11_E_NS1_11comp_targetILNS1_3genE5ELNS1_11target_archE942ELNS1_3gpuE9ELNS1_3repE0EEENS1_30default_config_static_selectorELNS0_4arch9wavefront6targetE0EEEvT1_: ; @_ZN7rocprim17ROCPRIM_400000_NS6detail17trampoline_kernelINS0_14default_configENS1_25partition_config_selectorILNS1_17partition_subalgoE6EjNS0_10empty_typeEbEEZZNS1_14partition_implILS5_6ELb0ES3_mN6thrust23THRUST_200600_302600_NS6detail15normal_iteratorINSA_10device_ptrIjEEEEPS6_SG_NS0_5tupleIJSF_S6_EEENSH_IJSG_SG_EEES6_PlJ5mod_3IjEEEE10hipError_tPvRmT3_T4_T5_T6_T7_T9_mT8_P12ihipStream_tbDpT10_ENKUlT_T0_E_clISt17integral_constantIbLb0EES16_EEDaS11_S12_EUlS11_E_NS1_11comp_targetILNS1_3genE5ELNS1_11target_archE942ELNS1_3gpuE9ELNS1_3repE0EEENS1_30default_config_static_selectorELNS0_4arch9wavefront6targetE0EEEvT1_
; %bb.0:
	.section	.rodata,"a",@progbits
	.p2align	6, 0x0
	.amdhsa_kernel _ZN7rocprim17ROCPRIM_400000_NS6detail17trampoline_kernelINS0_14default_configENS1_25partition_config_selectorILNS1_17partition_subalgoE6EjNS0_10empty_typeEbEEZZNS1_14partition_implILS5_6ELb0ES3_mN6thrust23THRUST_200600_302600_NS6detail15normal_iteratorINSA_10device_ptrIjEEEEPS6_SG_NS0_5tupleIJSF_S6_EEENSH_IJSG_SG_EEES6_PlJ5mod_3IjEEEE10hipError_tPvRmT3_T4_T5_T6_T7_T9_mT8_P12ihipStream_tbDpT10_ENKUlT_T0_E_clISt17integral_constantIbLb0EES16_EEDaS11_S12_EUlS11_E_NS1_11comp_targetILNS1_3genE5ELNS1_11target_archE942ELNS1_3gpuE9ELNS1_3repE0EEENS1_30default_config_static_selectorELNS0_4arch9wavefront6targetE0EEEvT1_
		.amdhsa_group_segment_fixed_size 0
		.amdhsa_private_segment_fixed_size 0
		.amdhsa_kernarg_size 112
		.amdhsa_user_sgpr_count 15
		.amdhsa_user_sgpr_dispatch_ptr 0
		.amdhsa_user_sgpr_queue_ptr 0
		.amdhsa_user_sgpr_kernarg_segment_ptr 1
		.amdhsa_user_sgpr_dispatch_id 0
		.amdhsa_user_sgpr_private_segment_size 0
		.amdhsa_wavefront_size32 1
		.amdhsa_uses_dynamic_stack 0
		.amdhsa_enable_private_segment 0
		.amdhsa_system_sgpr_workgroup_id_x 1
		.amdhsa_system_sgpr_workgroup_id_y 0
		.amdhsa_system_sgpr_workgroup_id_z 0
		.amdhsa_system_sgpr_workgroup_info 0
		.amdhsa_system_vgpr_workitem_id 0
		.amdhsa_next_free_vgpr 1
		.amdhsa_next_free_sgpr 1
		.amdhsa_reserve_vcc 0
		.amdhsa_float_round_mode_32 0
		.amdhsa_float_round_mode_16_64 0
		.amdhsa_float_denorm_mode_32 3
		.amdhsa_float_denorm_mode_16_64 3
		.amdhsa_dx10_clamp 1
		.amdhsa_ieee_mode 1
		.amdhsa_fp16_overflow 0
		.amdhsa_workgroup_processor_mode 1
		.amdhsa_memory_ordered 1
		.amdhsa_forward_progress 0
		.amdhsa_shared_vgpr_count 0
		.amdhsa_exception_fp_ieee_invalid_op 0
		.amdhsa_exception_fp_denorm_src 0
		.amdhsa_exception_fp_ieee_div_zero 0
		.amdhsa_exception_fp_ieee_overflow 0
		.amdhsa_exception_fp_ieee_underflow 0
		.amdhsa_exception_fp_ieee_inexact 0
		.amdhsa_exception_int_div_zero 0
	.end_amdhsa_kernel
	.section	.text._ZN7rocprim17ROCPRIM_400000_NS6detail17trampoline_kernelINS0_14default_configENS1_25partition_config_selectorILNS1_17partition_subalgoE6EjNS0_10empty_typeEbEEZZNS1_14partition_implILS5_6ELb0ES3_mN6thrust23THRUST_200600_302600_NS6detail15normal_iteratorINSA_10device_ptrIjEEEEPS6_SG_NS0_5tupleIJSF_S6_EEENSH_IJSG_SG_EEES6_PlJ5mod_3IjEEEE10hipError_tPvRmT3_T4_T5_T6_T7_T9_mT8_P12ihipStream_tbDpT10_ENKUlT_T0_E_clISt17integral_constantIbLb0EES16_EEDaS11_S12_EUlS11_E_NS1_11comp_targetILNS1_3genE5ELNS1_11target_archE942ELNS1_3gpuE9ELNS1_3repE0EEENS1_30default_config_static_selectorELNS0_4arch9wavefront6targetE0EEEvT1_,"axG",@progbits,_ZN7rocprim17ROCPRIM_400000_NS6detail17trampoline_kernelINS0_14default_configENS1_25partition_config_selectorILNS1_17partition_subalgoE6EjNS0_10empty_typeEbEEZZNS1_14partition_implILS5_6ELb0ES3_mN6thrust23THRUST_200600_302600_NS6detail15normal_iteratorINSA_10device_ptrIjEEEEPS6_SG_NS0_5tupleIJSF_S6_EEENSH_IJSG_SG_EEES6_PlJ5mod_3IjEEEE10hipError_tPvRmT3_T4_T5_T6_T7_T9_mT8_P12ihipStream_tbDpT10_ENKUlT_T0_E_clISt17integral_constantIbLb0EES16_EEDaS11_S12_EUlS11_E_NS1_11comp_targetILNS1_3genE5ELNS1_11target_archE942ELNS1_3gpuE9ELNS1_3repE0EEENS1_30default_config_static_selectorELNS0_4arch9wavefront6targetE0EEEvT1_,comdat
.Lfunc_end489:
	.size	_ZN7rocprim17ROCPRIM_400000_NS6detail17trampoline_kernelINS0_14default_configENS1_25partition_config_selectorILNS1_17partition_subalgoE6EjNS0_10empty_typeEbEEZZNS1_14partition_implILS5_6ELb0ES3_mN6thrust23THRUST_200600_302600_NS6detail15normal_iteratorINSA_10device_ptrIjEEEEPS6_SG_NS0_5tupleIJSF_S6_EEENSH_IJSG_SG_EEES6_PlJ5mod_3IjEEEE10hipError_tPvRmT3_T4_T5_T6_T7_T9_mT8_P12ihipStream_tbDpT10_ENKUlT_T0_E_clISt17integral_constantIbLb0EES16_EEDaS11_S12_EUlS11_E_NS1_11comp_targetILNS1_3genE5ELNS1_11target_archE942ELNS1_3gpuE9ELNS1_3repE0EEENS1_30default_config_static_selectorELNS0_4arch9wavefront6targetE0EEEvT1_, .Lfunc_end489-_ZN7rocprim17ROCPRIM_400000_NS6detail17trampoline_kernelINS0_14default_configENS1_25partition_config_selectorILNS1_17partition_subalgoE6EjNS0_10empty_typeEbEEZZNS1_14partition_implILS5_6ELb0ES3_mN6thrust23THRUST_200600_302600_NS6detail15normal_iteratorINSA_10device_ptrIjEEEEPS6_SG_NS0_5tupleIJSF_S6_EEENSH_IJSG_SG_EEES6_PlJ5mod_3IjEEEE10hipError_tPvRmT3_T4_T5_T6_T7_T9_mT8_P12ihipStream_tbDpT10_ENKUlT_T0_E_clISt17integral_constantIbLb0EES16_EEDaS11_S12_EUlS11_E_NS1_11comp_targetILNS1_3genE5ELNS1_11target_archE942ELNS1_3gpuE9ELNS1_3repE0EEENS1_30default_config_static_selectorELNS0_4arch9wavefront6targetE0EEEvT1_
                                        ; -- End function
	.section	.AMDGPU.csdata,"",@progbits
; Kernel info:
; codeLenInByte = 0
; NumSgprs: 0
; NumVgprs: 0
; ScratchSize: 0
; MemoryBound: 0
; FloatMode: 240
; IeeeMode: 1
; LDSByteSize: 0 bytes/workgroup (compile time only)
; SGPRBlocks: 0
; VGPRBlocks: 0
; NumSGPRsForWavesPerEU: 1
; NumVGPRsForWavesPerEU: 1
; Occupancy: 16
; WaveLimiterHint : 0
; COMPUTE_PGM_RSRC2:SCRATCH_EN: 0
; COMPUTE_PGM_RSRC2:USER_SGPR: 15
; COMPUTE_PGM_RSRC2:TRAP_HANDLER: 0
; COMPUTE_PGM_RSRC2:TGID_X_EN: 1
; COMPUTE_PGM_RSRC2:TGID_Y_EN: 0
; COMPUTE_PGM_RSRC2:TGID_Z_EN: 0
; COMPUTE_PGM_RSRC2:TIDIG_COMP_CNT: 0
	.section	.text._ZN7rocprim17ROCPRIM_400000_NS6detail17trampoline_kernelINS0_14default_configENS1_25partition_config_selectorILNS1_17partition_subalgoE6EjNS0_10empty_typeEbEEZZNS1_14partition_implILS5_6ELb0ES3_mN6thrust23THRUST_200600_302600_NS6detail15normal_iteratorINSA_10device_ptrIjEEEEPS6_SG_NS0_5tupleIJSF_S6_EEENSH_IJSG_SG_EEES6_PlJ5mod_3IjEEEE10hipError_tPvRmT3_T4_T5_T6_T7_T9_mT8_P12ihipStream_tbDpT10_ENKUlT_T0_E_clISt17integral_constantIbLb0EES16_EEDaS11_S12_EUlS11_E_NS1_11comp_targetILNS1_3genE4ELNS1_11target_archE910ELNS1_3gpuE8ELNS1_3repE0EEENS1_30default_config_static_selectorELNS0_4arch9wavefront6targetE0EEEvT1_,"axG",@progbits,_ZN7rocprim17ROCPRIM_400000_NS6detail17trampoline_kernelINS0_14default_configENS1_25partition_config_selectorILNS1_17partition_subalgoE6EjNS0_10empty_typeEbEEZZNS1_14partition_implILS5_6ELb0ES3_mN6thrust23THRUST_200600_302600_NS6detail15normal_iteratorINSA_10device_ptrIjEEEEPS6_SG_NS0_5tupleIJSF_S6_EEENSH_IJSG_SG_EEES6_PlJ5mod_3IjEEEE10hipError_tPvRmT3_T4_T5_T6_T7_T9_mT8_P12ihipStream_tbDpT10_ENKUlT_T0_E_clISt17integral_constantIbLb0EES16_EEDaS11_S12_EUlS11_E_NS1_11comp_targetILNS1_3genE4ELNS1_11target_archE910ELNS1_3gpuE8ELNS1_3repE0EEENS1_30default_config_static_selectorELNS0_4arch9wavefront6targetE0EEEvT1_,comdat
	.protected	_ZN7rocprim17ROCPRIM_400000_NS6detail17trampoline_kernelINS0_14default_configENS1_25partition_config_selectorILNS1_17partition_subalgoE6EjNS0_10empty_typeEbEEZZNS1_14partition_implILS5_6ELb0ES3_mN6thrust23THRUST_200600_302600_NS6detail15normal_iteratorINSA_10device_ptrIjEEEEPS6_SG_NS0_5tupleIJSF_S6_EEENSH_IJSG_SG_EEES6_PlJ5mod_3IjEEEE10hipError_tPvRmT3_T4_T5_T6_T7_T9_mT8_P12ihipStream_tbDpT10_ENKUlT_T0_E_clISt17integral_constantIbLb0EES16_EEDaS11_S12_EUlS11_E_NS1_11comp_targetILNS1_3genE4ELNS1_11target_archE910ELNS1_3gpuE8ELNS1_3repE0EEENS1_30default_config_static_selectorELNS0_4arch9wavefront6targetE0EEEvT1_ ; -- Begin function _ZN7rocprim17ROCPRIM_400000_NS6detail17trampoline_kernelINS0_14default_configENS1_25partition_config_selectorILNS1_17partition_subalgoE6EjNS0_10empty_typeEbEEZZNS1_14partition_implILS5_6ELb0ES3_mN6thrust23THRUST_200600_302600_NS6detail15normal_iteratorINSA_10device_ptrIjEEEEPS6_SG_NS0_5tupleIJSF_S6_EEENSH_IJSG_SG_EEES6_PlJ5mod_3IjEEEE10hipError_tPvRmT3_T4_T5_T6_T7_T9_mT8_P12ihipStream_tbDpT10_ENKUlT_T0_E_clISt17integral_constantIbLb0EES16_EEDaS11_S12_EUlS11_E_NS1_11comp_targetILNS1_3genE4ELNS1_11target_archE910ELNS1_3gpuE8ELNS1_3repE0EEENS1_30default_config_static_selectorELNS0_4arch9wavefront6targetE0EEEvT1_
	.globl	_ZN7rocprim17ROCPRIM_400000_NS6detail17trampoline_kernelINS0_14default_configENS1_25partition_config_selectorILNS1_17partition_subalgoE6EjNS0_10empty_typeEbEEZZNS1_14partition_implILS5_6ELb0ES3_mN6thrust23THRUST_200600_302600_NS6detail15normal_iteratorINSA_10device_ptrIjEEEEPS6_SG_NS0_5tupleIJSF_S6_EEENSH_IJSG_SG_EEES6_PlJ5mod_3IjEEEE10hipError_tPvRmT3_T4_T5_T6_T7_T9_mT8_P12ihipStream_tbDpT10_ENKUlT_T0_E_clISt17integral_constantIbLb0EES16_EEDaS11_S12_EUlS11_E_NS1_11comp_targetILNS1_3genE4ELNS1_11target_archE910ELNS1_3gpuE8ELNS1_3repE0EEENS1_30default_config_static_selectorELNS0_4arch9wavefront6targetE0EEEvT1_
	.p2align	8
	.type	_ZN7rocprim17ROCPRIM_400000_NS6detail17trampoline_kernelINS0_14default_configENS1_25partition_config_selectorILNS1_17partition_subalgoE6EjNS0_10empty_typeEbEEZZNS1_14partition_implILS5_6ELb0ES3_mN6thrust23THRUST_200600_302600_NS6detail15normal_iteratorINSA_10device_ptrIjEEEEPS6_SG_NS0_5tupleIJSF_S6_EEENSH_IJSG_SG_EEES6_PlJ5mod_3IjEEEE10hipError_tPvRmT3_T4_T5_T6_T7_T9_mT8_P12ihipStream_tbDpT10_ENKUlT_T0_E_clISt17integral_constantIbLb0EES16_EEDaS11_S12_EUlS11_E_NS1_11comp_targetILNS1_3genE4ELNS1_11target_archE910ELNS1_3gpuE8ELNS1_3repE0EEENS1_30default_config_static_selectorELNS0_4arch9wavefront6targetE0EEEvT1_,@function
_ZN7rocprim17ROCPRIM_400000_NS6detail17trampoline_kernelINS0_14default_configENS1_25partition_config_selectorILNS1_17partition_subalgoE6EjNS0_10empty_typeEbEEZZNS1_14partition_implILS5_6ELb0ES3_mN6thrust23THRUST_200600_302600_NS6detail15normal_iteratorINSA_10device_ptrIjEEEEPS6_SG_NS0_5tupleIJSF_S6_EEENSH_IJSG_SG_EEES6_PlJ5mod_3IjEEEE10hipError_tPvRmT3_T4_T5_T6_T7_T9_mT8_P12ihipStream_tbDpT10_ENKUlT_T0_E_clISt17integral_constantIbLb0EES16_EEDaS11_S12_EUlS11_E_NS1_11comp_targetILNS1_3genE4ELNS1_11target_archE910ELNS1_3gpuE8ELNS1_3repE0EEENS1_30default_config_static_selectorELNS0_4arch9wavefront6targetE0EEEvT1_: ; @_ZN7rocprim17ROCPRIM_400000_NS6detail17trampoline_kernelINS0_14default_configENS1_25partition_config_selectorILNS1_17partition_subalgoE6EjNS0_10empty_typeEbEEZZNS1_14partition_implILS5_6ELb0ES3_mN6thrust23THRUST_200600_302600_NS6detail15normal_iteratorINSA_10device_ptrIjEEEEPS6_SG_NS0_5tupleIJSF_S6_EEENSH_IJSG_SG_EEES6_PlJ5mod_3IjEEEE10hipError_tPvRmT3_T4_T5_T6_T7_T9_mT8_P12ihipStream_tbDpT10_ENKUlT_T0_E_clISt17integral_constantIbLb0EES16_EEDaS11_S12_EUlS11_E_NS1_11comp_targetILNS1_3genE4ELNS1_11target_archE910ELNS1_3gpuE8ELNS1_3repE0EEENS1_30default_config_static_selectorELNS0_4arch9wavefront6targetE0EEEvT1_
; %bb.0:
	.section	.rodata,"a",@progbits
	.p2align	6, 0x0
	.amdhsa_kernel _ZN7rocprim17ROCPRIM_400000_NS6detail17trampoline_kernelINS0_14default_configENS1_25partition_config_selectorILNS1_17partition_subalgoE6EjNS0_10empty_typeEbEEZZNS1_14partition_implILS5_6ELb0ES3_mN6thrust23THRUST_200600_302600_NS6detail15normal_iteratorINSA_10device_ptrIjEEEEPS6_SG_NS0_5tupleIJSF_S6_EEENSH_IJSG_SG_EEES6_PlJ5mod_3IjEEEE10hipError_tPvRmT3_T4_T5_T6_T7_T9_mT8_P12ihipStream_tbDpT10_ENKUlT_T0_E_clISt17integral_constantIbLb0EES16_EEDaS11_S12_EUlS11_E_NS1_11comp_targetILNS1_3genE4ELNS1_11target_archE910ELNS1_3gpuE8ELNS1_3repE0EEENS1_30default_config_static_selectorELNS0_4arch9wavefront6targetE0EEEvT1_
		.amdhsa_group_segment_fixed_size 0
		.amdhsa_private_segment_fixed_size 0
		.amdhsa_kernarg_size 112
		.amdhsa_user_sgpr_count 15
		.amdhsa_user_sgpr_dispatch_ptr 0
		.amdhsa_user_sgpr_queue_ptr 0
		.amdhsa_user_sgpr_kernarg_segment_ptr 1
		.amdhsa_user_sgpr_dispatch_id 0
		.amdhsa_user_sgpr_private_segment_size 0
		.amdhsa_wavefront_size32 1
		.amdhsa_uses_dynamic_stack 0
		.amdhsa_enable_private_segment 0
		.amdhsa_system_sgpr_workgroup_id_x 1
		.amdhsa_system_sgpr_workgroup_id_y 0
		.amdhsa_system_sgpr_workgroup_id_z 0
		.amdhsa_system_sgpr_workgroup_info 0
		.amdhsa_system_vgpr_workitem_id 0
		.amdhsa_next_free_vgpr 1
		.amdhsa_next_free_sgpr 1
		.amdhsa_reserve_vcc 0
		.amdhsa_float_round_mode_32 0
		.amdhsa_float_round_mode_16_64 0
		.amdhsa_float_denorm_mode_32 3
		.amdhsa_float_denorm_mode_16_64 3
		.amdhsa_dx10_clamp 1
		.amdhsa_ieee_mode 1
		.amdhsa_fp16_overflow 0
		.amdhsa_workgroup_processor_mode 1
		.amdhsa_memory_ordered 1
		.amdhsa_forward_progress 0
		.amdhsa_shared_vgpr_count 0
		.amdhsa_exception_fp_ieee_invalid_op 0
		.amdhsa_exception_fp_denorm_src 0
		.amdhsa_exception_fp_ieee_div_zero 0
		.amdhsa_exception_fp_ieee_overflow 0
		.amdhsa_exception_fp_ieee_underflow 0
		.amdhsa_exception_fp_ieee_inexact 0
		.amdhsa_exception_int_div_zero 0
	.end_amdhsa_kernel
	.section	.text._ZN7rocprim17ROCPRIM_400000_NS6detail17trampoline_kernelINS0_14default_configENS1_25partition_config_selectorILNS1_17partition_subalgoE6EjNS0_10empty_typeEbEEZZNS1_14partition_implILS5_6ELb0ES3_mN6thrust23THRUST_200600_302600_NS6detail15normal_iteratorINSA_10device_ptrIjEEEEPS6_SG_NS0_5tupleIJSF_S6_EEENSH_IJSG_SG_EEES6_PlJ5mod_3IjEEEE10hipError_tPvRmT3_T4_T5_T6_T7_T9_mT8_P12ihipStream_tbDpT10_ENKUlT_T0_E_clISt17integral_constantIbLb0EES16_EEDaS11_S12_EUlS11_E_NS1_11comp_targetILNS1_3genE4ELNS1_11target_archE910ELNS1_3gpuE8ELNS1_3repE0EEENS1_30default_config_static_selectorELNS0_4arch9wavefront6targetE0EEEvT1_,"axG",@progbits,_ZN7rocprim17ROCPRIM_400000_NS6detail17trampoline_kernelINS0_14default_configENS1_25partition_config_selectorILNS1_17partition_subalgoE6EjNS0_10empty_typeEbEEZZNS1_14partition_implILS5_6ELb0ES3_mN6thrust23THRUST_200600_302600_NS6detail15normal_iteratorINSA_10device_ptrIjEEEEPS6_SG_NS0_5tupleIJSF_S6_EEENSH_IJSG_SG_EEES6_PlJ5mod_3IjEEEE10hipError_tPvRmT3_T4_T5_T6_T7_T9_mT8_P12ihipStream_tbDpT10_ENKUlT_T0_E_clISt17integral_constantIbLb0EES16_EEDaS11_S12_EUlS11_E_NS1_11comp_targetILNS1_3genE4ELNS1_11target_archE910ELNS1_3gpuE8ELNS1_3repE0EEENS1_30default_config_static_selectorELNS0_4arch9wavefront6targetE0EEEvT1_,comdat
.Lfunc_end490:
	.size	_ZN7rocprim17ROCPRIM_400000_NS6detail17trampoline_kernelINS0_14default_configENS1_25partition_config_selectorILNS1_17partition_subalgoE6EjNS0_10empty_typeEbEEZZNS1_14partition_implILS5_6ELb0ES3_mN6thrust23THRUST_200600_302600_NS6detail15normal_iteratorINSA_10device_ptrIjEEEEPS6_SG_NS0_5tupleIJSF_S6_EEENSH_IJSG_SG_EEES6_PlJ5mod_3IjEEEE10hipError_tPvRmT3_T4_T5_T6_T7_T9_mT8_P12ihipStream_tbDpT10_ENKUlT_T0_E_clISt17integral_constantIbLb0EES16_EEDaS11_S12_EUlS11_E_NS1_11comp_targetILNS1_3genE4ELNS1_11target_archE910ELNS1_3gpuE8ELNS1_3repE0EEENS1_30default_config_static_selectorELNS0_4arch9wavefront6targetE0EEEvT1_, .Lfunc_end490-_ZN7rocprim17ROCPRIM_400000_NS6detail17trampoline_kernelINS0_14default_configENS1_25partition_config_selectorILNS1_17partition_subalgoE6EjNS0_10empty_typeEbEEZZNS1_14partition_implILS5_6ELb0ES3_mN6thrust23THRUST_200600_302600_NS6detail15normal_iteratorINSA_10device_ptrIjEEEEPS6_SG_NS0_5tupleIJSF_S6_EEENSH_IJSG_SG_EEES6_PlJ5mod_3IjEEEE10hipError_tPvRmT3_T4_T5_T6_T7_T9_mT8_P12ihipStream_tbDpT10_ENKUlT_T0_E_clISt17integral_constantIbLb0EES16_EEDaS11_S12_EUlS11_E_NS1_11comp_targetILNS1_3genE4ELNS1_11target_archE910ELNS1_3gpuE8ELNS1_3repE0EEENS1_30default_config_static_selectorELNS0_4arch9wavefront6targetE0EEEvT1_
                                        ; -- End function
	.section	.AMDGPU.csdata,"",@progbits
; Kernel info:
; codeLenInByte = 0
; NumSgprs: 0
; NumVgprs: 0
; ScratchSize: 0
; MemoryBound: 0
; FloatMode: 240
; IeeeMode: 1
; LDSByteSize: 0 bytes/workgroup (compile time only)
; SGPRBlocks: 0
; VGPRBlocks: 0
; NumSGPRsForWavesPerEU: 1
; NumVGPRsForWavesPerEU: 1
; Occupancy: 16
; WaveLimiterHint : 0
; COMPUTE_PGM_RSRC2:SCRATCH_EN: 0
; COMPUTE_PGM_RSRC2:USER_SGPR: 15
; COMPUTE_PGM_RSRC2:TRAP_HANDLER: 0
; COMPUTE_PGM_RSRC2:TGID_X_EN: 1
; COMPUTE_PGM_RSRC2:TGID_Y_EN: 0
; COMPUTE_PGM_RSRC2:TGID_Z_EN: 0
; COMPUTE_PGM_RSRC2:TIDIG_COMP_CNT: 0
	.section	.text._ZN7rocprim17ROCPRIM_400000_NS6detail17trampoline_kernelINS0_14default_configENS1_25partition_config_selectorILNS1_17partition_subalgoE6EjNS0_10empty_typeEbEEZZNS1_14partition_implILS5_6ELb0ES3_mN6thrust23THRUST_200600_302600_NS6detail15normal_iteratorINSA_10device_ptrIjEEEEPS6_SG_NS0_5tupleIJSF_S6_EEENSH_IJSG_SG_EEES6_PlJ5mod_3IjEEEE10hipError_tPvRmT3_T4_T5_T6_T7_T9_mT8_P12ihipStream_tbDpT10_ENKUlT_T0_E_clISt17integral_constantIbLb0EES16_EEDaS11_S12_EUlS11_E_NS1_11comp_targetILNS1_3genE3ELNS1_11target_archE908ELNS1_3gpuE7ELNS1_3repE0EEENS1_30default_config_static_selectorELNS0_4arch9wavefront6targetE0EEEvT1_,"axG",@progbits,_ZN7rocprim17ROCPRIM_400000_NS6detail17trampoline_kernelINS0_14default_configENS1_25partition_config_selectorILNS1_17partition_subalgoE6EjNS0_10empty_typeEbEEZZNS1_14partition_implILS5_6ELb0ES3_mN6thrust23THRUST_200600_302600_NS6detail15normal_iteratorINSA_10device_ptrIjEEEEPS6_SG_NS0_5tupleIJSF_S6_EEENSH_IJSG_SG_EEES6_PlJ5mod_3IjEEEE10hipError_tPvRmT3_T4_T5_T6_T7_T9_mT8_P12ihipStream_tbDpT10_ENKUlT_T0_E_clISt17integral_constantIbLb0EES16_EEDaS11_S12_EUlS11_E_NS1_11comp_targetILNS1_3genE3ELNS1_11target_archE908ELNS1_3gpuE7ELNS1_3repE0EEENS1_30default_config_static_selectorELNS0_4arch9wavefront6targetE0EEEvT1_,comdat
	.protected	_ZN7rocprim17ROCPRIM_400000_NS6detail17trampoline_kernelINS0_14default_configENS1_25partition_config_selectorILNS1_17partition_subalgoE6EjNS0_10empty_typeEbEEZZNS1_14partition_implILS5_6ELb0ES3_mN6thrust23THRUST_200600_302600_NS6detail15normal_iteratorINSA_10device_ptrIjEEEEPS6_SG_NS0_5tupleIJSF_S6_EEENSH_IJSG_SG_EEES6_PlJ5mod_3IjEEEE10hipError_tPvRmT3_T4_T5_T6_T7_T9_mT8_P12ihipStream_tbDpT10_ENKUlT_T0_E_clISt17integral_constantIbLb0EES16_EEDaS11_S12_EUlS11_E_NS1_11comp_targetILNS1_3genE3ELNS1_11target_archE908ELNS1_3gpuE7ELNS1_3repE0EEENS1_30default_config_static_selectorELNS0_4arch9wavefront6targetE0EEEvT1_ ; -- Begin function _ZN7rocprim17ROCPRIM_400000_NS6detail17trampoline_kernelINS0_14default_configENS1_25partition_config_selectorILNS1_17partition_subalgoE6EjNS0_10empty_typeEbEEZZNS1_14partition_implILS5_6ELb0ES3_mN6thrust23THRUST_200600_302600_NS6detail15normal_iteratorINSA_10device_ptrIjEEEEPS6_SG_NS0_5tupleIJSF_S6_EEENSH_IJSG_SG_EEES6_PlJ5mod_3IjEEEE10hipError_tPvRmT3_T4_T5_T6_T7_T9_mT8_P12ihipStream_tbDpT10_ENKUlT_T0_E_clISt17integral_constantIbLb0EES16_EEDaS11_S12_EUlS11_E_NS1_11comp_targetILNS1_3genE3ELNS1_11target_archE908ELNS1_3gpuE7ELNS1_3repE0EEENS1_30default_config_static_selectorELNS0_4arch9wavefront6targetE0EEEvT1_
	.globl	_ZN7rocprim17ROCPRIM_400000_NS6detail17trampoline_kernelINS0_14default_configENS1_25partition_config_selectorILNS1_17partition_subalgoE6EjNS0_10empty_typeEbEEZZNS1_14partition_implILS5_6ELb0ES3_mN6thrust23THRUST_200600_302600_NS6detail15normal_iteratorINSA_10device_ptrIjEEEEPS6_SG_NS0_5tupleIJSF_S6_EEENSH_IJSG_SG_EEES6_PlJ5mod_3IjEEEE10hipError_tPvRmT3_T4_T5_T6_T7_T9_mT8_P12ihipStream_tbDpT10_ENKUlT_T0_E_clISt17integral_constantIbLb0EES16_EEDaS11_S12_EUlS11_E_NS1_11comp_targetILNS1_3genE3ELNS1_11target_archE908ELNS1_3gpuE7ELNS1_3repE0EEENS1_30default_config_static_selectorELNS0_4arch9wavefront6targetE0EEEvT1_
	.p2align	8
	.type	_ZN7rocprim17ROCPRIM_400000_NS6detail17trampoline_kernelINS0_14default_configENS1_25partition_config_selectorILNS1_17partition_subalgoE6EjNS0_10empty_typeEbEEZZNS1_14partition_implILS5_6ELb0ES3_mN6thrust23THRUST_200600_302600_NS6detail15normal_iteratorINSA_10device_ptrIjEEEEPS6_SG_NS0_5tupleIJSF_S6_EEENSH_IJSG_SG_EEES6_PlJ5mod_3IjEEEE10hipError_tPvRmT3_T4_T5_T6_T7_T9_mT8_P12ihipStream_tbDpT10_ENKUlT_T0_E_clISt17integral_constantIbLb0EES16_EEDaS11_S12_EUlS11_E_NS1_11comp_targetILNS1_3genE3ELNS1_11target_archE908ELNS1_3gpuE7ELNS1_3repE0EEENS1_30default_config_static_selectorELNS0_4arch9wavefront6targetE0EEEvT1_,@function
_ZN7rocprim17ROCPRIM_400000_NS6detail17trampoline_kernelINS0_14default_configENS1_25partition_config_selectorILNS1_17partition_subalgoE6EjNS0_10empty_typeEbEEZZNS1_14partition_implILS5_6ELb0ES3_mN6thrust23THRUST_200600_302600_NS6detail15normal_iteratorINSA_10device_ptrIjEEEEPS6_SG_NS0_5tupleIJSF_S6_EEENSH_IJSG_SG_EEES6_PlJ5mod_3IjEEEE10hipError_tPvRmT3_T4_T5_T6_T7_T9_mT8_P12ihipStream_tbDpT10_ENKUlT_T0_E_clISt17integral_constantIbLb0EES16_EEDaS11_S12_EUlS11_E_NS1_11comp_targetILNS1_3genE3ELNS1_11target_archE908ELNS1_3gpuE7ELNS1_3repE0EEENS1_30default_config_static_selectorELNS0_4arch9wavefront6targetE0EEEvT1_: ; @_ZN7rocprim17ROCPRIM_400000_NS6detail17trampoline_kernelINS0_14default_configENS1_25partition_config_selectorILNS1_17partition_subalgoE6EjNS0_10empty_typeEbEEZZNS1_14partition_implILS5_6ELb0ES3_mN6thrust23THRUST_200600_302600_NS6detail15normal_iteratorINSA_10device_ptrIjEEEEPS6_SG_NS0_5tupleIJSF_S6_EEENSH_IJSG_SG_EEES6_PlJ5mod_3IjEEEE10hipError_tPvRmT3_T4_T5_T6_T7_T9_mT8_P12ihipStream_tbDpT10_ENKUlT_T0_E_clISt17integral_constantIbLb0EES16_EEDaS11_S12_EUlS11_E_NS1_11comp_targetILNS1_3genE3ELNS1_11target_archE908ELNS1_3gpuE7ELNS1_3repE0EEENS1_30default_config_static_selectorELNS0_4arch9wavefront6targetE0EEEvT1_
; %bb.0:
	.section	.rodata,"a",@progbits
	.p2align	6, 0x0
	.amdhsa_kernel _ZN7rocprim17ROCPRIM_400000_NS6detail17trampoline_kernelINS0_14default_configENS1_25partition_config_selectorILNS1_17partition_subalgoE6EjNS0_10empty_typeEbEEZZNS1_14partition_implILS5_6ELb0ES3_mN6thrust23THRUST_200600_302600_NS6detail15normal_iteratorINSA_10device_ptrIjEEEEPS6_SG_NS0_5tupleIJSF_S6_EEENSH_IJSG_SG_EEES6_PlJ5mod_3IjEEEE10hipError_tPvRmT3_T4_T5_T6_T7_T9_mT8_P12ihipStream_tbDpT10_ENKUlT_T0_E_clISt17integral_constantIbLb0EES16_EEDaS11_S12_EUlS11_E_NS1_11comp_targetILNS1_3genE3ELNS1_11target_archE908ELNS1_3gpuE7ELNS1_3repE0EEENS1_30default_config_static_selectorELNS0_4arch9wavefront6targetE0EEEvT1_
		.amdhsa_group_segment_fixed_size 0
		.amdhsa_private_segment_fixed_size 0
		.amdhsa_kernarg_size 112
		.amdhsa_user_sgpr_count 15
		.amdhsa_user_sgpr_dispatch_ptr 0
		.amdhsa_user_sgpr_queue_ptr 0
		.amdhsa_user_sgpr_kernarg_segment_ptr 1
		.amdhsa_user_sgpr_dispatch_id 0
		.amdhsa_user_sgpr_private_segment_size 0
		.amdhsa_wavefront_size32 1
		.amdhsa_uses_dynamic_stack 0
		.amdhsa_enable_private_segment 0
		.amdhsa_system_sgpr_workgroup_id_x 1
		.amdhsa_system_sgpr_workgroup_id_y 0
		.amdhsa_system_sgpr_workgroup_id_z 0
		.amdhsa_system_sgpr_workgroup_info 0
		.amdhsa_system_vgpr_workitem_id 0
		.amdhsa_next_free_vgpr 1
		.amdhsa_next_free_sgpr 1
		.amdhsa_reserve_vcc 0
		.amdhsa_float_round_mode_32 0
		.amdhsa_float_round_mode_16_64 0
		.amdhsa_float_denorm_mode_32 3
		.amdhsa_float_denorm_mode_16_64 3
		.amdhsa_dx10_clamp 1
		.amdhsa_ieee_mode 1
		.amdhsa_fp16_overflow 0
		.amdhsa_workgroup_processor_mode 1
		.amdhsa_memory_ordered 1
		.amdhsa_forward_progress 0
		.amdhsa_shared_vgpr_count 0
		.amdhsa_exception_fp_ieee_invalid_op 0
		.amdhsa_exception_fp_denorm_src 0
		.amdhsa_exception_fp_ieee_div_zero 0
		.amdhsa_exception_fp_ieee_overflow 0
		.amdhsa_exception_fp_ieee_underflow 0
		.amdhsa_exception_fp_ieee_inexact 0
		.amdhsa_exception_int_div_zero 0
	.end_amdhsa_kernel
	.section	.text._ZN7rocprim17ROCPRIM_400000_NS6detail17trampoline_kernelINS0_14default_configENS1_25partition_config_selectorILNS1_17partition_subalgoE6EjNS0_10empty_typeEbEEZZNS1_14partition_implILS5_6ELb0ES3_mN6thrust23THRUST_200600_302600_NS6detail15normal_iteratorINSA_10device_ptrIjEEEEPS6_SG_NS0_5tupleIJSF_S6_EEENSH_IJSG_SG_EEES6_PlJ5mod_3IjEEEE10hipError_tPvRmT3_T4_T5_T6_T7_T9_mT8_P12ihipStream_tbDpT10_ENKUlT_T0_E_clISt17integral_constantIbLb0EES16_EEDaS11_S12_EUlS11_E_NS1_11comp_targetILNS1_3genE3ELNS1_11target_archE908ELNS1_3gpuE7ELNS1_3repE0EEENS1_30default_config_static_selectorELNS0_4arch9wavefront6targetE0EEEvT1_,"axG",@progbits,_ZN7rocprim17ROCPRIM_400000_NS6detail17trampoline_kernelINS0_14default_configENS1_25partition_config_selectorILNS1_17partition_subalgoE6EjNS0_10empty_typeEbEEZZNS1_14partition_implILS5_6ELb0ES3_mN6thrust23THRUST_200600_302600_NS6detail15normal_iteratorINSA_10device_ptrIjEEEEPS6_SG_NS0_5tupleIJSF_S6_EEENSH_IJSG_SG_EEES6_PlJ5mod_3IjEEEE10hipError_tPvRmT3_T4_T5_T6_T7_T9_mT8_P12ihipStream_tbDpT10_ENKUlT_T0_E_clISt17integral_constantIbLb0EES16_EEDaS11_S12_EUlS11_E_NS1_11comp_targetILNS1_3genE3ELNS1_11target_archE908ELNS1_3gpuE7ELNS1_3repE0EEENS1_30default_config_static_selectorELNS0_4arch9wavefront6targetE0EEEvT1_,comdat
.Lfunc_end491:
	.size	_ZN7rocprim17ROCPRIM_400000_NS6detail17trampoline_kernelINS0_14default_configENS1_25partition_config_selectorILNS1_17partition_subalgoE6EjNS0_10empty_typeEbEEZZNS1_14partition_implILS5_6ELb0ES3_mN6thrust23THRUST_200600_302600_NS6detail15normal_iteratorINSA_10device_ptrIjEEEEPS6_SG_NS0_5tupleIJSF_S6_EEENSH_IJSG_SG_EEES6_PlJ5mod_3IjEEEE10hipError_tPvRmT3_T4_T5_T6_T7_T9_mT8_P12ihipStream_tbDpT10_ENKUlT_T0_E_clISt17integral_constantIbLb0EES16_EEDaS11_S12_EUlS11_E_NS1_11comp_targetILNS1_3genE3ELNS1_11target_archE908ELNS1_3gpuE7ELNS1_3repE0EEENS1_30default_config_static_selectorELNS0_4arch9wavefront6targetE0EEEvT1_, .Lfunc_end491-_ZN7rocprim17ROCPRIM_400000_NS6detail17trampoline_kernelINS0_14default_configENS1_25partition_config_selectorILNS1_17partition_subalgoE6EjNS0_10empty_typeEbEEZZNS1_14partition_implILS5_6ELb0ES3_mN6thrust23THRUST_200600_302600_NS6detail15normal_iteratorINSA_10device_ptrIjEEEEPS6_SG_NS0_5tupleIJSF_S6_EEENSH_IJSG_SG_EEES6_PlJ5mod_3IjEEEE10hipError_tPvRmT3_T4_T5_T6_T7_T9_mT8_P12ihipStream_tbDpT10_ENKUlT_T0_E_clISt17integral_constantIbLb0EES16_EEDaS11_S12_EUlS11_E_NS1_11comp_targetILNS1_3genE3ELNS1_11target_archE908ELNS1_3gpuE7ELNS1_3repE0EEENS1_30default_config_static_selectorELNS0_4arch9wavefront6targetE0EEEvT1_
                                        ; -- End function
	.section	.AMDGPU.csdata,"",@progbits
; Kernel info:
; codeLenInByte = 0
; NumSgprs: 0
; NumVgprs: 0
; ScratchSize: 0
; MemoryBound: 0
; FloatMode: 240
; IeeeMode: 1
; LDSByteSize: 0 bytes/workgroup (compile time only)
; SGPRBlocks: 0
; VGPRBlocks: 0
; NumSGPRsForWavesPerEU: 1
; NumVGPRsForWavesPerEU: 1
; Occupancy: 16
; WaveLimiterHint : 0
; COMPUTE_PGM_RSRC2:SCRATCH_EN: 0
; COMPUTE_PGM_RSRC2:USER_SGPR: 15
; COMPUTE_PGM_RSRC2:TRAP_HANDLER: 0
; COMPUTE_PGM_RSRC2:TGID_X_EN: 1
; COMPUTE_PGM_RSRC2:TGID_Y_EN: 0
; COMPUTE_PGM_RSRC2:TGID_Z_EN: 0
; COMPUTE_PGM_RSRC2:TIDIG_COMP_CNT: 0
	.section	.text._ZN7rocprim17ROCPRIM_400000_NS6detail17trampoline_kernelINS0_14default_configENS1_25partition_config_selectorILNS1_17partition_subalgoE6EjNS0_10empty_typeEbEEZZNS1_14partition_implILS5_6ELb0ES3_mN6thrust23THRUST_200600_302600_NS6detail15normal_iteratorINSA_10device_ptrIjEEEEPS6_SG_NS0_5tupleIJSF_S6_EEENSH_IJSG_SG_EEES6_PlJ5mod_3IjEEEE10hipError_tPvRmT3_T4_T5_T6_T7_T9_mT8_P12ihipStream_tbDpT10_ENKUlT_T0_E_clISt17integral_constantIbLb0EES16_EEDaS11_S12_EUlS11_E_NS1_11comp_targetILNS1_3genE2ELNS1_11target_archE906ELNS1_3gpuE6ELNS1_3repE0EEENS1_30default_config_static_selectorELNS0_4arch9wavefront6targetE0EEEvT1_,"axG",@progbits,_ZN7rocprim17ROCPRIM_400000_NS6detail17trampoline_kernelINS0_14default_configENS1_25partition_config_selectorILNS1_17partition_subalgoE6EjNS0_10empty_typeEbEEZZNS1_14partition_implILS5_6ELb0ES3_mN6thrust23THRUST_200600_302600_NS6detail15normal_iteratorINSA_10device_ptrIjEEEEPS6_SG_NS0_5tupleIJSF_S6_EEENSH_IJSG_SG_EEES6_PlJ5mod_3IjEEEE10hipError_tPvRmT3_T4_T5_T6_T7_T9_mT8_P12ihipStream_tbDpT10_ENKUlT_T0_E_clISt17integral_constantIbLb0EES16_EEDaS11_S12_EUlS11_E_NS1_11comp_targetILNS1_3genE2ELNS1_11target_archE906ELNS1_3gpuE6ELNS1_3repE0EEENS1_30default_config_static_selectorELNS0_4arch9wavefront6targetE0EEEvT1_,comdat
	.protected	_ZN7rocprim17ROCPRIM_400000_NS6detail17trampoline_kernelINS0_14default_configENS1_25partition_config_selectorILNS1_17partition_subalgoE6EjNS0_10empty_typeEbEEZZNS1_14partition_implILS5_6ELb0ES3_mN6thrust23THRUST_200600_302600_NS6detail15normal_iteratorINSA_10device_ptrIjEEEEPS6_SG_NS0_5tupleIJSF_S6_EEENSH_IJSG_SG_EEES6_PlJ5mod_3IjEEEE10hipError_tPvRmT3_T4_T5_T6_T7_T9_mT8_P12ihipStream_tbDpT10_ENKUlT_T0_E_clISt17integral_constantIbLb0EES16_EEDaS11_S12_EUlS11_E_NS1_11comp_targetILNS1_3genE2ELNS1_11target_archE906ELNS1_3gpuE6ELNS1_3repE0EEENS1_30default_config_static_selectorELNS0_4arch9wavefront6targetE0EEEvT1_ ; -- Begin function _ZN7rocprim17ROCPRIM_400000_NS6detail17trampoline_kernelINS0_14default_configENS1_25partition_config_selectorILNS1_17partition_subalgoE6EjNS0_10empty_typeEbEEZZNS1_14partition_implILS5_6ELb0ES3_mN6thrust23THRUST_200600_302600_NS6detail15normal_iteratorINSA_10device_ptrIjEEEEPS6_SG_NS0_5tupleIJSF_S6_EEENSH_IJSG_SG_EEES6_PlJ5mod_3IjEEEE10hipError_tPvRmT3_T4_T5_T6_T7_T9_mT8_P12ihipStream_tbDpT10_ENKUlT_T0_E_clISt17integral_constantIbLb0EES16_EEDaS11_S12_EUlS11_E_NS1_11comp_targetILNS1_3genE2ELNS1_11target_archE906ELNS1_3gpuE6ELNS1_3repE0EEENS1_30default_config_static_selectorELNS0_4arch9wavefront6targetE0EEEvT1_
	.globl	_ZN7rocprim17ROCPRIM_400000_NS6detail17trampoline_kernelINS0_14default_configENS1_25partition_config_selectorILNS1_17partition_subalgoE6EjNS0_10empty_typeEbEEZZNS1_14partition_implILS5_6ELb0ES3_mN6thrust23THRUST_200600_302600_NS6detail15normal_iteratorINSA_10device_ptrIjEEEEPS6_SG_NS0_5tupleIJSF_S6_EEENSH_IJSG_SG_EEES6_PlJ5mod_3IjEEEE10hipError_tPvRmT3_T4_T5_T6_T7_T9_mT8_P12ihipStream_tbDpT10_ENKUlT_T0_E_clISt17integral_constantIbLb0EES16_EEDaS11_S12_EUlS11_E_NS1_11comp_targetILNS1_3genE2ELNS1_11target_archE906ELNS1_3gpuE6ELNS1_3repE0EEENS1_30default_config_static_selectorELNS0_4arch9wavefront6targetE0EEEvT1_
	.p2align	8
	.type	_ZN7rocprim17ROCPRIM_400000_NS6detail17trampoline_kernelINS0_14default_configENS1_25partition_config_selectorILNS1_17partition_subalgoE6EjNS0_10empty_typeEbEEZZNS1_14partition_implILS5_6ELb0ES3_mN6thrust23THRUST_200600_302600_NS6detail15normal_iteratorINSA_10device_ptrIjEEEEPS6_SG_NS0_5tupleIJSF_S6_EEENSH_IJSG_SG_EEES6_PlJ5mod_3IjEEEE10hipError_tPvRmT3_T4_T5_T6_T7_T9_mT8_P12ihipStream_tbDpT10_ENKUlT_T0_E_clISt17integral_constantIbLb0EES16_EEDaS11_S12_EUlS11_E_NS1_11comp_targetILNS1_3genE2ELNS1_11target_archE906ELNS1_3gpuE6ELNS1_3repE0EEENS1_30default_config_static_selectorELNS0_4arch9wavefront6targetE0EEEvT1_,@function
_ZN7rocprim17ROCPRIM_400000_NS6detail17trampoline_kernelINS0_14default_configENS1_25partition_config_selectorILNS1_17partition_subalgoE6EjNS0_10empty_typeEbEEZZNS1_14partition_implILS5_6ELb0ES3_mN6thrust23THRUST_200600_302600_NS6detail15normal_iteratorINSA_10device_ptrIjEEEEPS6_SG_NS0_5tupleIJSF_S6_EEENSH_IJSG_SG_EEES6_PlJ5mod_3IjEEEE10hipError_tPvRmT3_T4_T5_T6_T7_T9_mT8_P12ihipStream_tbDpT10_ENKUlT_T0_E_clISt17integral_constantIbLb0EES16_EEDaS11_S12_EUlS11_E_NS1_11comp_targetILNS1_3genE2ELNS1_11target_archE906ELNS1_3gpuE6ELNS1_3repE0EEENS1_30default_config_static_selectorELNS0_4arch9wavefront6targetE0EEEvT1_: ; @_ZN7rocprim17ROCPRIM_400000_NS6detail17trampoline_kernelINS0_14default_configENS1_25partition_config_selectorILNS1_17partition_subalgoE6EjNS0_10empty_typeEbEEZZNS1_14partition_implILS5_6ELb0ES3_mN6thrust23THRUST_200600_302600_NS6detail15normal_iteratorINSA_10device_ptrIjEEEEPS6_SG_NS0_5tupleIJSF_S6_EEENSH_IJSG_SG_EEES6_PlJ5mod_3IjEEEE10hipError_tPvRmT3_T4_T5_T6_T7_T9_mT8_P12ihipStream_tbDpT10_ENKUlT_T0_E_clISt17integral_constantIbLb0EES16_EEDaS11_S12_EUlS11_E_NS1_11comp_targetILNS1_3genE2ELNS1_11target_archE906ELNS1_3gpuE6ELNS1_3repE0EEENS1_30default_config_static_selectorELNS0_4arch9wavefront6targetE0EEEvT1_
; %bb.0:
	.section	.rodata,"a",@progbits
	.p2align	6, 0x0
	.amdhsa_kernel _ZN7rocprim17ROCPRIM_400000_NS6detail17trampoline_kernelINS0_14default_configENS1_25partition_config_selectorILNS1_17partition_subalgoE6EjNS0_10empty_typeEbEEZZNS1_14partition_implILS5_6ELb0ES3_mN6thrust23THRUST_200600_302600_NS6detail15normal_iteratorINSA_10device_ptrIjEEEEPS6_SG_NS0_5tupleIJSF_S6_EEENSH_IJSG_SG_EEES6_PlJ5mod_3IjEEEE10hipError_tPvRmT3_T4_T5_T6_T7_T9_mT8_P12ihipStream_tbDpT10_ENKUlT_T0_E_clISt17integral_constantIbLb0EES16_EEDaS11_S12_EUlS11_E_NS1_11comp_targetILNS1_3genE2ELNS1_11target_archE906ELNS1_3gpuE6ELNS1_3repE0EEENS1_30default_config_static_selectorELNS0_4arch9wavefront6targetE0EEEvT1_
		.amdhsa_group_segment_fixed_size 0
		.amdhsa_private_segment_fixed_size 0
		.amdhsa_kernarg_size 112
		.amdhsa_user_sgpr_count 15
		.amdhsa_user_sgpr_dispatch_ptr 0
		.amdhsa_user_sgpr_queue_ptr 0
		.amdhsa_user_sgpr_kernarg_segment_ptr 1
		.amdhsa_user_sgpr_dispatch_id 0
		.amdhsa_user_sgpr_private_segment_size 0
		.amdhsa_wavefront_size32 1
		.amdhsa_uses_dynamic_stack 0
		.amdhsa_enable_private_segment 0
		.amdhsa_system_sgpr_workgroup_id_x 1
		.amdhsa_system_sgpr_workgroup_id_y 0
		.amdhsa_system_sgpr_workgroup_id_z 0
		.amdhsa_system_sgpr_workgroup_info 0
		.amdhsa_system_vgpr_workitem_id 0
		.amdhsa_next_free_vgpr 1
		.amdhsa_next_free_sgpr 1
		.amdhsa_reserve_vcc 0
		.amdhsa_float_round_mode_32 0
		.amdhsa_float_round_mode_16_64 0
		.amdhsa_float_denorm_mode_32 3
		.amdhsa_float_denorm_mode_16_64 3
		.amdhsa_dx10_clamp 1
		.amdhsa_ieee_mode 1
		.amdhsa_fp16_overflow 0
		.amdhsa_workgroup_processor_mode 1
		.amdhsa_memory_ordered 1
		.amdhsa_forward_progress 0
		.amdhsa_shared_vgpr_count 0
		.amdhsa_exception_fp_ieee_invalid_op 0
		.amdhsa_exception_fp_denorm_src 0
		.amdhsa_exception_fp_ieee_div_zero 0
		.amdhsa_exception_fp_ieee_overflow 0
		.amdhsa_exception_fp_ieee_underflow 0
		.amdhsa_exception_fp_ieee_inexact 0
		.amdhsa_exception_int_div_zero 0
	.end_amdhsa_kernel
	.section	.text._ZN7rocprim17ROCPRIM_400000_NS6detail17trampoline_kernelINS0_14default_configENS1_25partition_config_selectorILNS1_17partition_subalgoE6EjNS0_10empty_typeEbEEZZNS1_14partition_implILS5_6ELb0ES3_mN6thrust23THRUST_200600_302600_NS6detail15normal_iteratorINSA_10device_ptrIjEEEEPS6_SG_NS0_5tupleIJSF_S6_EEENSH_IJSG_SG_EEES6_PlJ5mod_3IjEEEE10hipError_tPvRmT3_T4_T5_T6_T7_T9_mT8_P12ihipStream_tbDpT10_ENKUlT_T0_E_clISt17integral_constantIbLb0EES16_EEDaS11_S12_EUlS11_E_NS1_11comp_targetILNS1_3genE2ELNS1_11target_archE906ELNS1_3gpuE6ELNS1_3repE0EEENS1_30default_config_static_selectorELNS0_4arch9wavefront6targetE0EEEvT1_,"axG",@progbits,_ZN7rocprim17ROCPRIM_400000_NS6detail17trampoline_kernelINS0_14default_configENS1_25partition_config_selectorILNS1_17partition_subalgoE6EjNS0_10empty_typeEbEEZZNS1_14partition_implILS5_6ELb0ES3_mN6thrust23THRUST_200600_302600_NS6detail15normal_iteratorINSA_10device_ptrIjEEEEPS6_SG_NS0_5tupleIJSF_S6_EEENSH_IJSG_SG_EEES6_PlJ5mod_3IjEEEE10hipError_tPvRmT3_T4_T5_T6_T7_T9_mT8_P12ihipStream_tbDpT10_ENKUlT_T0_E_clISt17integral_constantIbLb0EES16_EEDaS11_S12_EUlS11_E_NS1_11comp_targetILNS1_3genE2ELNS1_11target_archE906ELNS1_3gpuE6ELNS1_3repE0EEENS1_30default_config_static_selectorELNS0_4arch9wavefront6targetE0EEEvT1_,comdat
.Lfunc_end492:
	.size	_ZN7rocprim17ROCPRIM_400000_NS6detail17trampoline_kernelINS0_14default_configENS1_25partition_config_selectorILNS1_17partition_subalgoE6EjNS0_10empty_typeEbEEZZNS1_14partition_implILS5_6ELb0ES3_mN6thrust23THRUST_200600_302600_NS6detail15normal_iteratorINSA_10device_ptrIjEEEEPS6_SG_NS0_5tupleIJSF_S6_EEENSH_IJSG_SG_EEES6_PlJ5mod_3IjEEEE10hipError_tPvRmT3_T4_T5_T6_T7_T9_mT8_P12ihipStream_tbDpT10_ENKUlT_T0_E_clISt17integral_constantIbLb0EES16_EEDaS11_S12_EUlS11_E_NS1_11comp_targetILNS1_3genE2ELNS1_11target_archE906ELNS1_3gpuE6ELNS1_3repE0EEENS1_30default_config_static_selectorELNS0_4arch9wavefront6targetE0EEEvT1_, .Lfunc_end492-_ZN7rocprim17ROCPRIM_400000_NS6detail17trampoline_kernelINS0_14default_configENS1_25partition_config_selectorILNS1_17partition_subalgoE6EjNS0_10empty_typeEbEEZZNS1_14partition_implILS5_6ELb0ES3_mN6thrust23THRUST_200600_302600_NS6detail15normal_iteratorINSA_10device_ptrIjEEEEPS6_SG_NS0_5tupleIJSF_S6_EEENSH_IJSG_SG_EEES6_PlJ5mod_3IjEEEE10hipError_tPvRmT3_T4_T5_T6_T7_T9_mT8_P12ihipStream_tbDpT10_ENKUlT_T0_E_clISt17integral_constantIbLb0EES16_EEDaS11_S12_EUlS11_E_NS1_11comp_targetILNS1_3genE2ELNS1_11target_archE906ELNS1_3gpuE6ELNS1_3repE0EEENS1_30default_config_static_selectorELNS0_4arch9wavefront6targetE0EEEvT1_
                                        ; -- End function
	.section	.AMDGPU.csdata,"",@progbits
; Kernel info:
; codeLenInByte = 0
; NumSgprs: 0
; NumVgprs: 0
; ScratchSize: 0
; MemoryBound: 0
; FloatMode: 240
; IeeeMode: 1
; LDSByteSize: 0 bytes/workgroup (compile time only)
; SGPRBlocks: 0
; VGPRBlocks: 0
; NumSGPRsForWavesPerEU: 1
; NumVGPRsForWavesPerEU: 1
; Occupancy: 15
; WaveLimiterHint : 0
; COMPUTE_PGM_RSRC2:SCRATCH_EN: 0
; COMPUTE_PGM_RSRC2:USER_SGPR: 15
; COMPUTE_PGM_RSRC2:TRAP_HANDLER: 0
; COMPUTE_PGM_RSRC2:TGID_X_EN: 1
; COMPUTE_PGM_RSRC2:TGID_Y_EN: 0
; COMPUTE_PGM_RSRC2:TGID_Z_EN: 0
; COMPUTE_PGM_RSRC2:TIDIG_COMP_CNT: 0
	.section	.text._ZN7rocprim17ROCPRIM_400000_NS6detail17trampoline_kernelINS0_14default_configENS1_25partition_config_selectorILNS1_17partition_subalgoE6EjNS0_10empty_typeEbEEZZNS1_14partition_implILS5_6ELb0ES3_mN6thrust23THRUST_200600_302600_NS6detail15normal_iteratorINSA_10device_ptrIjEEEEPS6_SG_NS0_5tupleIJSF_S6_EEENSH_IJSG_SG_EEES6_PlJ5mod_3IjEEEE10hipError_tPvRmT3_T4_T5_T6_T7_T9_mT8_P12ihipStream_tbDpT10_ENKUlT_T0_E_clISt17integral_constantIbLb0EES16_EEDaS11_S12_EUlS11_E_NS1_11comp_targetILNS1_3genE10ELNS1_11target_archE1200ELNS1_3gpuE4ELNS1_3repE0EEENS1_30default_config_static_selectorELNS0_4arch9wavefront6targetE0EEEvT1_,"axG",@progbits,_ZN7rocprim17ROCPRIM_400000_NS6detail17trampoline_kernelINS0_14default_configENS1_25partition_config_selectorILNS1_17partition_subalgoE6EjNS0_10empty_typeEbEEZZNS1_14partition_implILS5_6ELb0ES3_mN6thrust23THRUST_200600_302600_NS6detail15normal_iteratorINSA_10device_ptrIjEEEEPS6_SG_NS0_5tupleIJSF_S6_EEENSH_IJSG_SG_EEES6_PlJ5mod_3IjEEEE10hipError_tPvRmT3_T4_T5_T6_T7_T9_mT8_P12ihipStream_tbDpT10_ENKUlT_T0_E_clISt17integral_constantIbLb0EES16_EEDaS11_S12_EUlS11_E_NS1_11comp_targetILNS1_3genE10ELNS1_11target_archE1200ELNS1_3gpuE4ELNS1_3repE0EEENS1_30default_config_static_selectorELNS0_4arch9wavefront6targetE0EEEvT1_,comdat
	.protected	_ZN7rocprim17ROCPRIM_400000_NS6detail17trampoline_kernelINS0_14default_configENS1_25partition_config_selectorILNS1_17partition_subalgoE6EjNS0_10empty_typeEbEEZZNS1_14partition_implILS5_6ELb0ES3_mN6thrust23THRUST_200600_302600_NS6detail15normal_iteratorINSA_10device_ptrIjEEEEPS6_SG_NS0_5tupleIJSF_S6_EEENSH_IJSG_SG_EEES6_PlJ5mod_3IjEEEE10hipError_tPvRmT3_T4_T5_T6_T7_T9_mT8_P12ihipStream_tbDpT10_ENKUlT_T0_E_clISt17integral_constantIbLb0EES16_EEDaS11_S12_EUlS11_E_NS1_11comp_targetILNS1_3genE10ELNS1_11target_archE1200ELNS1_3gpuE4ELNS1_3repE0EEENS1_30default_config_static_selectorELNS0_4arch9wavefront6targetE0EEEvT1_ ; -- Begin function _ZN7rocprim17ROCPRIM_400000_NS6detail17trampoline_kernelINS0_14default_configENS1_25partition_config_selectorILNS1_17partition_subalgoE6EjNS0_10empty_typeEbEEZZNS1_14partition_implILS5_6ELb0ES3_mN6thrust23THRUST_200600_302600_NS6detail15normal_iteratorINSA_10device_ptrIjEEEEPS6_SG_NS0_5tupleIJSF_S6_EEENSH_IJSG_SG_EEES6_PlJ5mod_3IjEEEE10hipError_tPvRmT3_T4_T5_T6_T7_T9_mT8_P12ihipStream_tbDpT10_ENKUlT_T0_E_clISt17integral_constantIbLb0EES16_EEDaS11_S12_EUlS11_E_NS1_11comp_targetILNS1_3genE10ELNS1_11target_archE1200ELNS1_3gpuE4ELNS1_3repE0EEENS1_30default_config_static_selectorELNS0_4arch9wavefront6targetE0EEEvT1_
	.globl	_ZN7rocprim17ROCPRIM_400000_NS6detail17trampoline_kernelINS0_14default_configENS1_25partition_config_selectorILNS1_17partition_subalgoE6EjNS0_10empty_typeEbEEZZNS1_14partition_implILS5_6ELb0ES3_mN6thrust23THRUST_200600_302600_NS6detail15normal_iteratorINSA_10device_ptrIjEEEEPS6_SG_NS0_5tupleIJSF_S6_EEENSH_IJSG_SG_EEES6_PlJ5mod_3IjEEEE10hipError_tPvRmT3_T4_T5_T6_T7_T9_mT8_P12ihipStream_tbDpT10_ENKUlT_T0_E_clISt17integral_constantIbLb0EES16_EEDaS11_S12_EUlS11_E_NS1_11comp_targetILNS1_3genE10ELNS1_11target_archE1200ELNS1_3gpuE4ELNS1_3repE0EEENS1_30default_config_static_selectorELNS0_4arch9wavefront6targetE0EEEvT1_
	.p2align	8
	.type	_ZN7rocprim17ROCPRIM_400000_NS6detail17trampoline_kernelINS0_14default_configENS1_25partition_config_selectorILNS1_17partition_subalgoE6EjNS0_10empty_typeEbEEZZNS1_14partition_implILS5_6ELb0ES3_mN6thrust23THRUST_200600_302600_NS6detail15normal_iteratorINSA_10device_ptrIjEEEEPS6_SG_NS0_5tupleIJSF_S6_EEENSH_IJSG_SG_EEES6_PlJ5mod_3IjEEEE10hipError_tPvRmT3_T4_T5_T6_T7_T9_mT8_P12ihipStream_tbDpT10_ENKUlT_T0_E_clISt17integral_constantIbLb0EES16_EEDaS11_S12_EUlS11_E_NS1_11comp_targetILNS1_3genE10ELNS1_11target_archE1200ELNS1_3gpuE4ELNS1_3repE0EEENS1_30default_config_static_selectorELNS0_4arch9wavefront6targetE0EEEvT1_,@function
_ZN7rocprim17ROCPRIM_400000_NS6detail17trampoline_kernelINS0_14default_configENS1_25partition_config_selectorILNS1_17partition_subalgoE6EjNS0_10empty_typeEbEEZZNS1_14partition_implILS5_6ELb0ES3_mN6thrust23THRUST_200600_302600_NS6detail15normal_iteratorINSA_10device_ptrIjEEEEPS6_SG_NS0_5tupleIJSF_S6_EEENSH_IJSG_SG_EEES6_PlJ5mod_3IjEEEE10hipError_tPvRmT3_T4_T5_T6_T7_T9_mT8_P12ihipStream_tbDpT10_ENKUlT_T0_E_clISt17integral_constantIbLb0EES16_EEDaS11_S12_EUlS11_E_NS1_11comp_targetILNS1_3genE10ELNS1_11target_archE1200ELNS1_3gpuE4ELNS1_3repE0EEENS1_30default_config_static_selectorELNS0_4arch9wavefront6targetE0EEEvT1_: ; @_ZN7rocprim17ROCPRIM_400000_NS6detail17trampoline_kernelINS0_14default_configENS1_25partition_config_selectorILNS1_17partition_subalgoE6EjNS0_10empty_typeEbEEZZNS1_14partition_implILS5_6ELb0ES3_mN6thrust23THRUST_200600_302600_NS6detail15normal_iteratorINSA_10device_ptrIjEEEEPS6_SG_NS0_5tupleIJSF_S6_EEENSH_IJSG_SG_EEES6_PlJ5mod_3IjEEEE10hipError_tPvRmT3_T4_T5_T6_T7_T9_mT8_P12ihipStream_tbDpT10_ENKUlT_T0_E_clISt17integral_constantIbLb0EES16_EEDaS11_S12_EUlS11_E_NS1_11comp_targetILNS1_3genE10ELNS1_11target_archE1200ELNS1_3gpuE4ELNS1_3repE0EEENS1_30default_config_static_selectorELNS0_4arch9wavefront6targetE0EEEvT1_
; %bb.0:
	.section	.rodata,"a",@progbits
	.p2align	6, 0x0
	.amdhsa_kernel _ZN7rocprim17ROCPRIM_400000_NS6detail17trampoline_kernelINS0_14default_configENS1_25partition_config_selectorILNS1_17partition_subalgoE6EjNS0_10empty_typeEbEEZZNS1_14partition_implILS5_6ELb0ES3_mN6thrust23THRUST_200600_302600_NS6detail15normal_iteratorINSA_10device_ptrIjEEEEPS6_SG_NS0_5tupleIJSF_S6_EEENSH_IJSG_SG_EEES6_PlJ5mod_3IjEEEE10hipError_tPvRmT3_T4_T5_T6_T7_T9_mT8_P12ihipStream_tbDpT10_ENKUlT_T0_E_clISt17integral_constantIbLb0EES16_EEDaS11_S12_EUlS11_E_NS1_11comp_targetILNS1_3genE10ELNS1_11target_archE1200ELNS1_3gpuE4ELNS1_3repE0EEENS1_30default_config_static_selectorELNS0_4arch9wavefront6targetE0EEEvT1_
		.amdhsa_group_segment_fixed_size 0
		.amdhsa_private_segment_fixed_size 0
		.amdhsa_kernarg_size 112
		.amdhsa_user_sgpr_count 15
		.amdhsa_user_sgpr_dispatch_ptr 0
		.amdhsa_user_sgpr_queue_ptr 0
		.amdhsa_user_sgpr_kernarg_segment_ptr 1
		.amdhsa_user_sgpr_dispatch_id 0
		.amdhsa_user_sgpr_private_segment_size 0
		.amdhsa_wavefront_size32 1
		.amdhsa_uses_dynamic_stack 0
		.amdhsa_enable_private_segment 0
		.amdhsa_system_sgpr_workgroup_id_x 1
		.amdhsa_system_sgpr_workgroup_id_y 0
		.amdhsa_system_sgpr_workgroup_id_z 0
		.amdhsa_system_sgpr_workgroup_info 0
		.amdhsa_system_vgpr_workitem_id 0
		.amdhsa_next_free_vgpr 1
		.amdhsa_next_free_sgpr 1
		.amdhsa_reserve_vcc 0
		.amdhsa_float_round_mode_32 0
		.amdhsa_float_round_mode_16_64 0
		.amdhsa_float_denorm_mode_32 3
		.amdhsa_float_denorm_mode_16_64 3
		.amdhsa_dx10_clamp 1
		.amdhsa_ieee_mode 1
		.amdhsa_fp16_overflow 0
		.amdhsa_workgroup_processor_mode 1
		.amdhsa_memory_ordered 1
		.amdhsa_forward_progress 0
		.amdhsa_shared_vgpr_count 0
		.amdhsa_exception_fp_ieee_invalid_op 0
		.amdhsa_exception_fp_denorm_src 0
		.amdhsa_exception_fp_ieee_div_zero 0
		.amdhsa_exception_fp_ieee_overflow 0
		.amdhsa_exception_fp_ieee_underflow 0
		.amdhsa_exception_fp_ieee_inexact 0
		.amdhsa_exception_int_div_zero 0
	.end_amdhsa_kernel
	.section	.text._ZN7rocprim17ROCPRIM_400000_NS6detail17trampoline_kernelINS0_14default_configENS1_25partition_config_selectorILNS1_17partition_subalgoE6EjNS0_10empty_typeEbEEZZNS1_14partition_implILS5_6ELb0ES3_mN6thrust23THRUST_200600_302600_NS6detail15normal_iteratorINSA_10device_ptrIjEEEEPS6_SG_NS0_5tupleIJSF_S6_EEENSH_IJSG_SG_EEES6_PlJ5mod_3IjEEEE10hipError_tPvRmT3_T4_T5_T6_T7_T9_mT8_P12ihipStream_tbDpT10_ENKUlT_T0_E_clISt17integral_constantIbLb0EES16_EEDaS11_S12_EUlS11_E_NS1_11comp_targetILNS1_3genE10ELNS1_11target_archE1200ELNS1_3gpuE4ELNS1_3repE0EEENS1_30default_config_static_selectorELNS0_4arch9wavefront6targetE0EEEvT1_,"axG",@progbits,_ZN7rocprim17ROCPRIM_400000_NS6detail17trampoline_kernelINS0_14default_configENS1_25partition_config_selectorILNS1_17partition_subalgoE6EjNS0_10empty_typeEbEEZZNS1_14partition_implILS5_6ELb0ES3_mN6thrust23THRUST_200600_302600_NS6detail15normal_iteratorINSA_10device_ptrIjEEEEPS6_SG_NS0_5tupleIJSF_S6_EEENSH_IJSG_SG_EEES6_PlJ5mod_3IjEEEE10hipError_tPvRmT3_T4_T5_T6_T7_T9_mT8_P12ihipStream_tbDpT10_ENKUlT_T0_E_clISt17integral_constantIbLb0EES16_EEDaS11_S12_EUlS11_E_NS1_11comp_targetILNS1_3genE10ELNS1_11target_archE1200ELNS1_3gpuE4ELNS1_3repE0EEENS1_30default_config_static_selectorELNS0_4arch9wavefront6targetE0EEEvT1_,comdat
.Lfunc_end493:
	.size	_ZN7rocprim17ROCPRIM_400000_NS6detail17trampoline_kernelINS0_14default_configENS1_25partition_config_selectorILNS1_17partition_subalgoE6EjNS0_10empty_typeEbEEZZNS1_14partition_implILS5_6ELb0ES3_mN6thrust23THRUST_200600_302600_NS6detail15normal_iteratorINSA_10device_ptrIjEEEEPS6_SG_NS0_5tupleIJSF_S6_EEENSH_IJSG_SG_EEES6_PlJ5mod_3IjEEEE10hipError_tPvRmT3_T4_T5_T6_T7_T9_mT8_P12ihipStream_tbDpT10_ENKUlT_T0_E_clISt17integral_constantIbLb0EES16_EEDaS11_S12_EUlS11_E_NS1_11comp_targetILNS1_3genE10ELNS1_11target_archE1200ELNS1_3gpuE4ELNS1_3repE0EEENS1_30default_config_static_selectorELNS0_4arch9wavefront6targetE0EEEvT1_, .Lfunc_end493-_ZN7rocprim17ROCPRIM_400000_NS6detail17trampoline_kernelINS0_14default_configENS1_25partition_config_selectorILNS1_17partition_subalgoE6EjNS0_10empty_typeEbEEZZNS1_14partition_implILS5_6ELb0ES3_mN6thrust23THRUST_200600_302600_NS6detail15normal_iteratorINSA_10device_ptrIjEEEEPS6_SG_NS0_5tupleIJSF_S6_EEENSH_IJSG_SG_EEES6_PlJ5mod_3IjEEEE10hipError_tPvRmT3_T4_T5_T6_T7_T9_mT8_P12ihipStream_tbDpT10_ENKUlT_T0_E_clISt17integral_constantIbLb0EES16_EEDaS11_S12_EUlS11_E_NS1_11comp_targetILNS1_3genE10ELNS1_11target_archE1200ELNS1_3gpuE4ELNS1_3repE0EEENS1_30default_config_static_selectorELNS0_4arch9wavefront6targetE0EEEvT1_
                                        ; -- End function
	.section	.AMDGPU.csdata,"",@progbits
; Kernel info:
; codeLenInByte = 0
; NumSgprs: 0
; NumVgprs: 0
; ScratchSize: 0
; MemoryBound: 0
; FloatMode: 240
; IeeeMode: 1
; LDSByteSize: 0 bytes/workgroup (compile time only)
; SGPRBlocks: 0
; VGPRBlocks: 0
; NumSGPRsForWavesPerEU: 1
; NumVGPRsForWavesPerEU: 1
; Occupancy: 15
; WaveLimiterHint : 0
; COMPUTE_PGM_RSRC2:SCRATCH_EN: 0
; COMPUTE_PGM_RSRC2:USER_SGPR: 15
; COMPUTE_PGM_RSRC2:TRAP_HANDLER: 0
; COMPUTE_PGM_RSRC2:TGID_X_EN: 1
; COMPUTE_PGM_RSRC2:TGID_Y_EN: 0
; COMPUTE_PGM_RSRC2:TGID_Z_EN: 0
; COMPUTE_PGM_RSRC2:TIDIG_COMP_CNT: 0
	.section	.text._ZN7rocprim17ROCPRIM_400000_NS6detail17trampoline_kernelINS0_14default_configENS1_25partition_config_selectorILNS1_17partition_subalgoE6EjNS0_10empty_typeEbEEZZNS1_14partition_implILS5_6ELb0ES3_mN6thrust23THRUST_200600_302600_NS6detail15normal_iteratorINSA_10device_ptrIjEEEEPS6_SG_NS0_5tupleIJSF_S6_EEENSH_IJSG_SG_EEES6_PlJ5mod_3IjEEEE10hipError_tPvRmT3_T4_T5_T6_T7_T9_mT8_P12ihipStream_tbDpT10_ENKUlT_T0_E_clISt17integral_constantIbLb0EES16_EEDaS11_S12_EUlS11_E_NS1_11comp_targetILNS1_3genE9ELNS1_11target_archE1100ELNS1_3gpuE3ELNS1_3repE0EEENS1_30default_config_static_selectorELNS0_4arch9wavefront6targetE0EEEvT1_,"axG",@progbits,_ZN7rocprim17ROCPRIM_400000_NS6detail17trampoline_kernelINS0_14default_configENS1_25partition_config_selectorILNS1_17partition_subalgoE6EjNS0_10empty_typeEbEEZZNS1_14partition_implILS5_6ELb0ES3_mN6thrust23THRUST_200600_302600_NS6detail15normal_iteratorINSA_10device_ptrIjEEEEPS6_SG_NS0_5tupleIJSF_S6_EEENSH_IJSG_SG_EEES6_PlJ5mod_3IjEEEE10hipError_tPvRmT3_T4_T5_T6_T7_T9_mT8_P12ihipStream_tbDpT10_ENKUlT_T0_E_clISt17integral_constantIbLb0EES16_EEDaS11_S12_EUlS11_E_NS1_11comp_targetILNS1_3genE9ELNS1_11target_archE1100ELNS1_3gpuE3ELNS1_3repE0EEENS1_30default_config_static_selectorELNS0_4arch9wavefront6targetE0EEEvT1_,comdat
	.protected	_ZN7rocprim17ROCPRIM_400000_NS6detail17trampoline_kernelINS0_14default_configENS1_25partition_config_selectorILNS1_17partition_subalgoE6EjNS0_10empty_typeEbEEZZNS1_14partition_implILS5_6ELb0ES3_mN6thrust23THRUST_200600_302600_NS6detail15normal_iteratorINSA_10device_ptrIjEEEEPS6_SG_NS0_5tupleIJSF_S6_EEENSH_IJSG_SG_EEES6_PlJ5mod_3IjEEEE10hipError_tPvRmT3_T4_T5_T6_T7_T9_mT8_P12ihipStream_tbDpT10_ENKUlT_T0_E_clISt17integral_constantIbLb0EES16_EEDaS11_S12_EUlS11_E_NS1_11comp_targetILNS1_3genE9ELNS1_11target_archE1100ELNS1_3gpuE3ELNS1_3repE0EEENS1_30default_config_static_selectorELNS0_4arch9wavefront6targetE0EEEvT1_ ; -- Begin function _ZN7rocprim17ROCPRIM_400000_NS6detail17trampoline_kernelINS0_14default_configENS1_25partition_config_selectorILNS1_17partition_subalgoE6EjNS0_10empty_typeEbEEZZNS1_14partition_implILS5_6ELb0ES3_mN6thrust23THRUST_200600_302600_NS6detail15normal_iteratorINSA_10device_ptrIjEEEEPS6_SG_NS0_5tupleIJSF_S6_EEENSH_IJSG_SG_EEES6_PlJ5mod_3IjEEEE10hipError_tPvRmT3_T4_T5_T6_T7_T9_mT8_P12ihipStream_tbDpT10_ENKUlT_T0_E_clISt17integral_constantIbLb0EES16_EEDaS11_S12_EUlS11_E_NS1_11comp_targetILNS1_3genE9ELNS1_11target_archE1100ELNS1_3gpuE3ELNS1_3repE0EEENS1_30default_config_static_selectorELNS0_4arch9wavefront6targetE0EEEvT1_
	.globl	_ZN7rocprim17ROCPRIM_400000_NS6detail17trampoline_kernelINS0_14default_configENS1_25partition_config_selectorILNS1_17partition_subalgoE6EjNS0_10empty_typeEbEEZZNS1_14partition_implILS5_6ELb0ES3_mN6thrust23THRUST_200600_302600_NS6detail15normal_iteratorINSA_10device_ptrIjEEEEPS6_SG_NS0_5tupleIJSF_S6_EEENSH_IJSG_SG_EEES6_PlJ5mod_3IjEEEE10hipError_tPvRmT3_T4_T5_T6_T7_T9_mT8_P12ihipStream_tbDpT10_ENKUlT_T0_E_clISt17integral_constantIbLb0EES16_EEDaS11_S12_EUlS11_E_NS1_11comp_targetILNS1_3genE9ELNS1_11target_archE1100ELNS1_3gpuE3ELNS1_3repE0EEENS1_30default_config_static_selectorELNS0_4arch9wavefront6targetE0EEEvT1_
	.p2align	8
	.type	_ZN7rocprim17ROCPRIM_400000_NS6detail17trampoline_kernelINS0_14default_configENS1_25partition_config_selectorILNS1_17partition_subalgoE6EjNS0_10empty_typeEbEEZZNS1_14partition_implILS5_6ELb0ES3_mN6thrust23THRUST_200600_302600_NS6detail15normal_iteratorINSA_10device_ptrIjEEEEPS6_SG_NS0_5tupleIJSF_S6_EEENSH_IJSG_SG_EEES6_PlJ5mod_3IjEEEE10hipError_tPvRmT3_T4_T5_T6_T7_T9_mT8_P12ihipStream_tbDpT10_ENKUlT_T0_E_clISt17integral_constantIbLb0EES16_EEDaS11_S12_EUlS11_E_NS1_11comp_targetILNS1_3genE9ELNS1_11target_archE1100ELNS1_3gpuE3ELNS1_3repE0EEENS1_30default_config_static_selectorELNS0_4arch9wavefront6targetE0EEEvT1_,@function
_ZN7rocprim17ROCPRIM_400000_NS6detail17trampoline_kernelINS0_14default_configENS1_25partition_config_selectorILNS1_17partition_subalgoE6EjNS0_10empty_typeEbEEZZNS1_14partition_implILS5_6ELb0ES3_mN6thrust23THRUST_200600_302600_NS6detail15normal_iteratorINSA_10device_ptrIjEEEEPS6_SG_NS0_5tupleIJSF_S6_EEENSH_IJSG_SG_EEES6_PlJ5mod_3IjEEEE10hipError_tPvRmT3_T4_T5_T6_T7_T9_mT8_P12ihipStream_tbDpT10_ENKUlT_T0_E_clISt17integral_constantIbLb0EES16_EEDaS11_S12_EUlS11_E_NS1_11comp_targetILNS1_3genE9ELNS1_11target_archE1100ELNS1_3gpuE3ELNS1_3repE0EEENS1_30default_config_static_selectorELNS0_4arch9wavefront6targetE0EEEvT1_: ; @_ZN7rocprim17ROCPRIM_400000_NS6detail17trampoline_kernelINS0_14default_configENS1_25partition_config_selectorILNS1_17partition_subalgoE6EjNS0_10empty_typeEbEEZZNS1_14partition_implILS5_6ELb0ES3_mN6thrust23THRUST_200600_302600_NS6detail15normal_iteratorINSA_10device_ptrIjEEEEPS6_SG_NS0_5tupleIJSF_S6_EEENSH_IJSG_SG_EEES6_PlJ5mod_3IjEEEE10hipError_tPvRmT3_T4_T5_T6_T7_T9_mT8_P12ihipStream_tbDpT10_ENKUlT_T0_E_clISt17integral_constantIbLb0EES16_EEDaS11_S12_EUlS11_E_NS1_11comp_targetILNS1_3genE9ELNS1_11target_archE1100ELNS1_3gpuE3ELNS1_3repE0EEENS1_30default_config_static_selectorELNS0_4arch9wavefront6targetE0EEEvT1_
; %bb.0:
	s_clause 0x3
	s_load_b128 s[8:11], s[0:1], 0x8
	s_load_b128 s[4:7], s[0:1], 0x40
	s_load_b32 s14, s[0:1], 0x68
	s_load_b64 s[16:17], s[0:1], 0x50
	v_lshlrev_b32_e32 v17, 2, v0
	s_waitcnt lgkmcnt(0)
	s_lshl_b64 s[12:13], s[10:11], 2
	s_load_b64 s[2:3], s[6:7], 0x0
	s_mul_i32 s6, s14, 0x700
	s_add_u32 s8, s8, s12
	s_addc_u32 s9, s9, s13
	s_add_i32 s7, s6, s10
	s_add_i32 s14, s14, -1
	s_sub_i32 s12, s16, s7
	s_add_u32 s6, s10, s6
	s_addc_u32 s7, s11, 0
	s_cmp_eq_u32 s15, s14
	v_cmp_ge_u64_e64 s11, s[6:7], s[16:17]
	s_cselect_b32 s10, -1, 0
	s_mov_b32 s7, 0
	s_mul_i32 s6, s15, 0x700
	s_delay_alu instid0(SALU_CYCLE_1) | instskip(NEXT) | instid1(VALU_DEP_1)
	s_lshl_b64 s[6:7], s[6:7], 2
	s_and_b32 s11, s10, s11
	s_delay_alu instid0(SALU_CYCLE_1)
	s_xor_b32 s11, s11, -1
	s_add_u32 s6, s8, s6
	s_addc_u32 s7, s9, s7
	s_and_b32 vcc_lo, exec_lo, s11
	s_mov_b32 s8, -1
	s_cbranch_vccz .LBB494_2
; %bb.1:
	v_add_co_u32 v1, s8, s6, v17
	s_delay_alu instid0(VALU_DEP_1) | instskip(SKIP_1) | instid1(VALU_DEP_2)
	v_add_co_ci_u32_e64 v2, null, s7, 0, s8
	s_mov_b32 s8, 0
	v_add_co_u32 v3, vcc_lo, 0x1000, v1
	s_delay_alu instid0(VALU_DEP_2)
	v_add_co_ci_u32_e32 v4, vcc_lo, 0, v2, vcc_lo
	s_clause 0xd
	flat_load_b32 v5, v[1:2]
	flat_load_b32 v6, v[1:2] offset:512
	flat_load_b32 v7, v[1:2] offset:1024
	flat_load_b32 v8, v[1:2] offset:1536
	flat_load_b32 v9, v[1:2] offset:2048
	flat_load_b32 v10, v[1:2] offset:2560
	flat_load_b32 v11, v[1:2] offset:3072
	flat_load_b32 v1, v[1:2] offset:3584
	flat_load_b32 v2, v[3:4]
	flat_load_b32 v12, v[3:4] offset:512
	flat_load_b32 v13, v[3:4] offset:1024
	;; [unrolled: 1-line block ×5, first 2 shown]
	s_waitcnt vmcnt(12) lgkmcnt(0)
	ds_store_2addr_stride64_b32 v17, v5, v6 offset1:2
	s_waitcnt vmcnt(10)
	ds_store_2addr_stride64_b32 v17, v7, v8 offset0:4 offset1:6
	s_waitcnt vmcnt(8)
	ds_store_2addr_stride64_b32 v17, v9, v10 offset0:8 offset1:10
	s_waitcnt vmcnt(6)
	ds_store_2addr_stride64_b32 v17, v11, v1 offset0:12 offset1:14
	s_waitcnt vmcnt(4)
	ds_store_2addr_stride64_b32 v17, v2, v12 offset0:16 offset1:18
	s_waitcnt vmcnt(2)
	ds_store_2addr_stride64_b32 v17, v13, v14 offset0:20 offset1:22
	s_waitcnt vmcnt(0)
	ds_store_2addr_stride64_b32 v17, v15, v3 offset0:24 offset1:26
	s_waitcnt lgkmcnt(0)
	s_barrier
.LBB494_2:
	s_and_not1_b32 vcc_lo, exec_lo, s8
	s_addk_i32 s12, 0x700
	s_cbranch_vccnz .LBB494_32
; %bb.3:
	s_mov_b32 s8, exec_lo
                                        ; implicit-def: $vgpr1_vgpr2_vgpr3_vgpr4_vgpr5_vgpr6_vgpr7_vgpr8_vgpr9_vgpr10_vgpr11_vgpr12_vgpr13_vgpr14_vgpr15_vgpr16
	v_cmpx_gt_u32_e64 s12, v0
	s_cbranch_execz .LBB494_5
; %bb.4:
	v_add_co_u32 v1, s9, s6, v17
	s_delay_alu instid0(VALU_DEP_1)
	v_add_co_ci_u32_e64 v2, null, s7, 0, s9
	flat_load_b32 v1, v[1:2]
.LBB494_5:
	s_or_b32 exec_lo, exec_lo, s8
	v_or_b32_e32 v15, 0x80, v0
	s_mov_b32 s8, exec_lo
	s_delay_alu instid0(VALU_DEP_1)
	v_cmpx_gt_u32_e64 s12, v15
	s_cbranch_execz .LBB494_7
; %bb.6:
	v_add_co_u32 v15, s9, s6, v17
	s_delay_alu instid0(VALU_DEP_1)
	v_add_co_ci_u32_e64 v16, null, s7, 0, s9
	flat_load_b32 v2, v[15:16] offset:512
.LBB494_7:
	s_or_b32 exec_lo, exec_lo, s8
	v_or_b32_e32 v15, 0x100, v0
	s_mov_b32 s8, exec_lo
	s_delay_alu instid0(VALU_DEP_1)
	v_cmpx_gt_u32_e64 s12, v15
	s_cbranch_execz .LBB494_9
; %bb.8:
	v_add_co_u32 v15, s9, s6, v17
	s_delay_alu instid0(VALU_DEP_1)
	v_add_co_ci_u32_e64 v16, null, s7, 0, s9
	flat_load_b32 v3, v[15:16] offset:1024
.LBB494_9:
	;; [unrolled: 12-line block ×7, first 2 shown]
	s_or_b32 exec_lo, exec_lo, s8
	v_or_b32_e32 v15, 0x400, v0
	s_mov_b32 s8, exec_lo
	s_delay_alu instid0(VALU_DEP_1)
	v_cmpx_gt_u32_e64 s12, v15
	s_cbranch_execz .LBB494_21
; %bb.20:
	v_lshlrev_b32_e32 v9, 2, v15
	s_delay_alu instid0(VALU_DEP_1) | instskip(NEXT) | instid1(VALU_DEP_1)
	v_add_co_u32 v15, s9, s6, v9
	v_add_co_ci_u32_e64 v16, null, s7, 0, s9
	flat_load_b32 v9, v[15:16]
.LBB494_21:
	s_or_b32 exec_lo, exec_lo, s8
	v_or_b32_e32 v15, 0x480, v0
	s_mov_b32 s8, exec_lo
	s_delay_alu instid0(VALU_DEP_1)
	v_cmpx_gt_u32_e64 s12, v15
	s_cbranch_execz .LBB494_23
; %bb.22:
	v_lshlrev_b32_e32 v10, 2, v15
	s_delay_alu instid0(VALU_DEP_1) | instskip(NEXT) | instid1(VALU_DEP_1)
	v_add_co_u32 v15, s9, s6, v10
	v_add_co_ci_u32_e64 v16, null, s7, 0, s9
	flat_load_b32 v10, v[15:16]
.LBB494_23:
	;; [unrolled: 13-line block ×6, first 2 shown]
	s_or_b32 exec_lo, exec_lo, s8
	s_waitcnt vmcnt(0) lgkmcnt(0)
	ds_store_2addr_stride64_b32 v17, v1, v2 offset1:2
	ds_store_2addr_stride64_b32 v17, v3, v4 offset0:4 offset1:6
	ds_store_2addr_stride64_b32 v17, v5, v6 offset0:8 offset1:10
	;; [unrolled: 1-line block ×6, first 2 shown]
	s_waitcnt lgkmcnt(0)
	s_barrier
.LBB494_32:
	v_mul_u32_u24_e32 v1, 14, v0
	s_waitcnt lgkmcnt(0)
	buffer_gl0_inv
	s_and_not1_b32 vcc_lo, exec_lo, s11
	v_lshlrev_b32_e32 v61, 2, v1
	ds_load_2addr_b64 v[41:44], v61 offset1:1
	ds_load_2addr_b64 v[37:40], v61 offset0:2 offset1:3
	ds_load_2addr_b64 v[33:36], v61 offset0:4 offset1:5
	ds_load_b64 v[49:50], v61 offset:48
	s_waitcnt lgkmcnt(0)
	s_barrier
	buffer_gl0_inv
	s_cbranch_vccnz .LBB494_34
; %bb.33:
	v_mul_lo_u32 v2, 0xaaaaaaab, v41
	v_mul_lo_u32 v3, 0xaaaaaaab, v42
	;; [unrolled: 1-line block ×8, first 2 shown]
	v_cmp_lt_u32_e32 vcc_lo, 0x55555555, v2
	v_mul_lo_u32 v10, 0xaaaaaaab, v33
	v_mul_lo_u32 v11, 0xaaaaaaab, v34
	;; [unrolled: 1-line block ×4, first 2 shown]
	v_cndmask_b32_e64 v2, 0, 1, vcc_lo
	v_cmp_lt_u32_e32 vcc_lo, 0x55555555, v3
	v_mul_lo_u32 v14, 0xaaaaaaab, v49
	v_cndmask_b32_e64 v3, 0, 1, vcc_lo
	v_cmp_lt_u32_e32 vcc_lo, 0x55555555, v4
	s_delay_alu instid0(VALU_DEP_2) | instskip(SKIP_2) | instid1(VALU_DEP_3)
	v_lshlrev_b16 v3, 8, v3
	v_cndmask_b32_e64 v4, 0, 1, vcc_lo
	v_cmp_lt_u32_e32 vcc_lo, 0x55555555, v5
	v_or_b32_e32 v2, v2, v3
	v_cndmask_b32_e64 v5, 0, 1, vcc_lo
	v_cmp_lt_u32_e32 vcc_lo, 0x55555555, v6
	s_delay_alu instid0(VALU_DEP_3) | instskip(NEXT) | instid1(VALU_DEP_3)
	v_and_b32_e32 v2, 0xffff, v2
	v_lshlrev_b16 v5, 8, v5
	v_cndmask_b32_e64 v6, 0, 1, vcc_lo
	v_cmp_lt_u32_e32 vcc_lo, 0x55555555, v7
	s_delay_alu instid0(VALU_DEP_3) | instskip(SKIP_2) | instid1(VALU_DEP_3)
	v_or_b32_e32 v4, v4, v5
	v_cndmask_b32_e64 v7, 0, 1, vcc_lo
	v_cmp_lt_u32_e32 vcc_lo, 0x55555555, v8
	v_lshlrev_b32_e32 v4, 16, v4
	s_delay_alu instid0(VALU_DEP_3) | instskip(SKIP_2) | instid1(VALU_DEP_4)
	v_lshlrev_b16 v7, 8, v7
	v_cndmask_b32_e64 v8, 0, 1, vcc_lo
	v_cmp_lt_u32_e32 vcc_lo, 0x55555555, v9
	v_or_b32_e32 v59, v2, v4
	s_delay_alu instid0(VALU_DEP_4) | instskip(SKIP_2) | instid1(VALU_DEP_3)
	v_or_b32_e32 v5, v6, v7
	v_cndmask_b32_e64 v9, 0, 1, vcc_lo
	v_cmp_lt_u32_e32 vcc_lo, 0x55555555, v10
	v_and_b32_e32 v5, 0xffff, v5
	s_delay_alu instid0(VALU_DEP_3) | instskip(SKIP_2) | instid1(VALU_DEP_3)
	v_lshlrev_b16 v9, 8, v9
	v_cndmask_b32_e64 v10, 0, 1, vcc_lo
	v_cmp_lt_u32_e32 vcc_lo, 0x55555555, v11
	v_or_b32_e32 v6, v8, v9
	v_cndmask_b32_e64 v11, 0, 1, vcc_lo
	v_cmp_lt_u32_e32 vcc_lo, 0x55555555, v12
	s_delay_alu instid0(VALU_DEP_3) | instskip(NEXT) | instid1(VALU_DEP_3)
	v_lshlrev_b32_e32 v6, 16, v6
	v_lshlrev_b16 v11, 8, v11
	v_cndmask_b32_e64 v12, 0, 1, vcc_lo
	v_cmp_lt_u32_e32 vcc_lo, 0x55555555, v13
	v_mul_lo_u32 v13, 0xaaaaaaab, v50
	v_or_b32_e32 v56, v5, v6
	v_or_b32_e32 v7, v10, v11
	v_cndmask_b32_e64 v3, 0, 1, vcc_lo
	v_cmp_lt_u32_e32 vcc_lo, 0x55555555, v14
	s_delay_alu instid0(VALU_DEP_3) | instskip(NEXT) | instid1(VALU_DEP_3)
	v_and_b32_e32 v7, 0xffff, v7
	v_lshlrev_b16 v3, 8, v3
	v_cndmask_b32_e64 v53, 0, 1, vcc_lo
	v_cmp_lt_u32_e32 vcc_lo, 0x55555555, v13
	s_delay_alu instid0(VALU_DEP_3) | instskip(SKIP_1) | instid1(VALU_DEP_2)
	v_or_b32_e32 v3, v12, v3
	v_cndmask_b32_e64 v54, 0, 1, vcc_lo
	v_lshlrev_b32_e32 v3, 16, v3
	s_delay_alu instid0(VALU_DEP_1)
	v_or_b32_e32 v55, v7, v3
	s_clause 0x1
	s_load_b64 s[6:7], s[0:1], 0x28
	s_load_b64 s[8:9], s[0:1], 0x60
	s_cbranch_execz .LBB494_35
	s_branch .LBB494_64
.LBB494_34:
                                        ; implicit-def: $vgpr54
                                        ; implicit-def: $vgpr53
                                        ; implicit-def: $vgpr55
                                        ; implicit-def: $vgpr56
                                        ; implicit-def: $vgpr59
	s_clause 0x1
	s_load_b64 s[6:7], s[0:1], 0x28
	s_load_b64 s[8:9], s[0:1], 0x60
.LBB494_35:
	v_dual_mov_b32 v3, 0 :: v_dual_mov_b32 v2, 0
	s_mov_b32 s0, exec_lo
	v_cmpx_gt_u32_e64 s12, v1
; %bb.36:
	v_mul_lo_u32 v2, 0xaaaaaaab, v41
	s_delay_alu instid0(VALU_DEP_1)
	v_cmp_lt_u32_e32 vcc_lo, 0x55555555, v2
	v_cndmask_b32_e64 v2, 0, 1, vcc_lo
; %bb.37:
	s_or_b32 exec_lo, exec_lo, s0
	v_or_b32_e32 v4, 1, v1
	s_mov_b32 s0, exec_lo
	s_delay_alu instid0(VALU_DEP_1)
	v_cmpx_gt_u32_e64 s12, v4
; %bb.38:
	v_mul_lo_u32 v3, 0xaaaaaaab, v42
	s_delay_alu instid0(VALU_DEP_1)
	v_cmp_lt_u32_e32 vcc_lo, 0x55555555, v3
	v_cndmask_b32_e64 v3, 0, 1, vcc_lo
; %bb.39:
	s_or_b32 exec_lo, exec_lo, s0
	v_dual_mov_b32 v5, 0 :: v_dual_add_nc_u32 v4, 2, v1
	s_delay_alu instid0(VALU_DEP_1)
	v_cmp_gt_u32_e32 vcc_lo, s12, v4
	v_mov_b32_e32 v4, 0
	s_and_saveexec_b32 s0, vcc_lo
; %bb.40:
	v_mul_lo_u32 v4, 0xaaaaaaab, v43
	s_delay_alu instid0(VALU_DEP_1)
	v_cmp_lt_u32_e32 vcc_lo, 0x55555555, v4
	v_cndmask_b32_e64 v4, 0, 1, vcc_lo
; %bb.41:
	s_or_b32 exec_lo, exec_lo, s0
	v_add_nc_u32_e32 v6, 3, v1
	s_mov_b32 s0, exec_lo
	s_delay_alu instid0(VALU_DEP_1)
	v_cmpx_gt_u32_e64 s12, v6
; %bb.42:
	v_mul_lo_u32 v5, 0xaaaaaaab, v44
	s_delay_alu instid0(VALU_DEP_1)
	v_cmp_lt_u32_e32 vcc_lo, 0x55555555, v5
	v_cndmask_b32_e64 v5, 0, 1, vcc_lo
; %bb.43:
	s_or_b32 exec_lo, exec_lo, s0
	v_dual_mov_b32 v7, 0 :: v_dual_add_nc_u32 v6, 4, v1
	s_delay_alu instid0(VALU_DEP_1)
	v_cmp_gt_u32_e32 vcc_lo, s12, v6
	v_mov_b32_e32 v6, 0
	s_and_saveexec_b32 s0, vcc_lo
; %bb.44:
	v_mul_lo_u32 v6, 0xaaaaaaab, v37
	s_delay_alu instid0(VALU_DEP_1)
	v_cmp_lt_u32_e32 vcc_lo, 0x55555555, v6
	v_cndmask_b32_e64 v6, 0, 1, vcc_lo
; %bb.45:
	s_or_b32 exec_lo, exec_lo, s0
	v_add_nc_u32_e32 v8, 5, v1
	;; [unrolled: 23-line block ×5, first 2 shown]
	s_mov_b32 s0, exec_lo
	s_delay_alu instid0(VALU_DEP_1)
	v_cmpx_gt_u32_e64 s12, v14
; %bb.58:
	v_mul_lo_u32 v13, 0xaaaaaaab, v36
	s_delay_alu instid0(VALU_DEP_1)
	v_cmp_lt_u32_e32 vcc_lo, 0x55555555, v13
	v_cndmask_b32_e64 v13, 0, 1, vcc_lo
; %bb.59:
	s_or_b32 exec_lo, exec_lo, s0
	v_dual_mov_b32 v53, 0 :: v_dual_add_nc_u32 v14, 12, v1
	v_mov_b32_e32 v54, 0
	s_mov_b32 s0, exec_lo
	s_delay_alu instid0(VALU_DEP_2)
	v_cmpx_gt_u32_e64 s12, v14
; %bb.60:
	v_mul_lo_u32 v14, 0xaaaaaaab, v49
	s_delay_alu instid0(VALU_DEP_1)
	v_cmp_lt_u32_e32 vcc_lo, 0x55555555, v14
	v_cndmask_b32_e64 v53, 0, 1, vcc_lo
; %bb.61:
	s_or_b32 exec_lo, exec_lo, s0
	v_add_nc_u32_e32 v1, 13, v1
	s_mov_b32 s0, exec_lo
	s_delay_alu instid0(VALU_DEP_1)
	v_cmpx_gt_u32_e64 s12, v1
; %bb.62:
	v_mul_lo_u32 v1, 0xaaaaaaab, v50
	s_delay_alu instid0(VALU_DEP_1)
	v_cmp_lt_u32_e32 vcc_lo, 0x55555555, v1
	v_cndmask_b32_e64 v54, 0, 1, vcc_lo
; %bb.63:
	s_or_b32 exec_lo, exec_lo, s0
	v_lshlrev_b16 v1, 8, v3
	v_lshlrev_b16 v3, 8, v5
	;; [unrolled: 1-line block ×5, first 2 shown]
	v_or_b32_e32 v1, v2, v1
	v_lshlrev_b16 v2, 8, v13
	v_or_b32_e32 v3, v4, v3
	v_or_b32_e32 v4, v6, v5
	v_or_b32_e32 v5, v8, v7
	v_or_b32_e32 v6, v10, v9
	v_or_b32_e32 v2, v12, v2
	v_and_b32_e32 v1, 0xffff, v1
	v_lshlrev_b32_e32 v3, 16, v3
	v_and_b32_e32 v4, 0xffff, v4
	v_lshlrev_b32_e32 v5, 16, v5
	;; [unrolled: 2-line block ×3, first 2 shown]
	v_or_b32_e32 v59, v1, v3
	s_delay_alu instid0(VALU_DEP_4) | instskip(NEXT) | instid1(VALU_DEP_3)
	v_or_b32_e32 v56, v4, v5
	v_or_b32_e32 v55, v6, v2
.LBB494_64:
	s_delay_alu instid0(VALU_DEP_3)
	v_dual_mov_b32 v2, 0 :: v_dual_and_b32 v63, 0xff, v59
	v_bfe_u32 v64, v59, 8, 8
	v_bfe_u32 v65, v59, 16, 8
	v_lshrrev_b32_e32 v60, 24, v59
	v_and_b32_e32 v66, 0xff, v56
	v_bfe_u32 v67, v56, 8, 8
	v_add_co_u32 v1, s0, v64, v63
	s_delay_alu instid0(VALU_DEP_1) | instskip(SKIP_1) | instid1(VALU_DEP_3)
	v_add_co_ci_u32_e64 v3, null, 0, 0, s0
	v_bfe_u32 v68, v56, 16, 8
	v_add_co_u32 v1, vcc_lo, v1, v65
	s_delay_alu instid0(VALU_DEP_3) | instskip(SKIP_1) | instid1(VALU_DEP_3)
	v_add_co_ci_u32_e32 v3, vcc_lo, 0, v3, vcc_lo
	v_lshrrev_b32_e32 v58, 24, v56
	v_add_co_u32 v1, vcc_lo, v1, v60
	s_delay_alu instid0(VALU_DEP_3) | instskip(SKIP_1) | instid1(VALU_DEP_3)
	v_add_co_ci_u32_e32 v3, vcc_lo, 0, v3, vcc_lo
	v_and_b32_e32 v69, 0xff, v55
	v_add_co_u32 v1, vcc_lo, v1, v66
	s_delay_alu instid0(VALU_DEP_3) | instskip(SKIP_1) | instid1(VALU_DEP_3)
	v_add_co_ci_u32_e32 v3, vcc_lo, 0, v3, vcc_lo
	v_bfe_u32 v70, v55, 8, 8
	v_add_co_u32 v1, vcc_lo, v1, v67
	s_delay_alu instid0(VALU_DEP_3) | instskip(SKIP_1) | instid1(VALU_DEP_3)
	v_add_co_ci_u32_e32 v3, vcc_lo, 0, v3, vcc_lo
	v_bfe_u32 v71, v55, 16, 8
	v_add_co_u32 v1, vcc_lo, v1, v68
	s_delay_alu instid0(VALU_DEP_3) | instskip(SKIP_1) | instid1(VALU_DEP_3)
	v_add_co_ci_u32_e32 v3, vcc_lo, 0, v3, vcc_lo
	v_lshrrev_b32_e32 v57, 24, v55
	v_add_co_u32 v1, vcc_lo, v1, v58
	s_delay_alu instid0(VALU_DEP_3) | instskip(SKIP_1) | instid1(VALU_DEP_3)
	v_add_co_ci_u32_e32 v3, vcc_lo, 0, v3, vcc_lo
	v_and_b32_e32 v62, 0xff, v53
	v_add_co_u32 v1, vcc_lo, v1, v69
	s_delay_alu instid0(VALU_DEP_3) | instskip(SKIP_1) | instid1(VALU_DEP_3)
	v_add_co_ci_u32_e32 v3, vcc_lo, 0, v3, vcc_lo
	v_mbcnt_lo_u32_b32 v72, -1, 0
	v_add_co_u32 v1, vcc_lo, v1, v70
	s_delay_alu instid0(VALU_DEP_3) | instskip(SKIP_1) | instid1(VALU_DEP_3)
	v_add_co_ci_u32_e32 v3, vcc_lo, 0, v3, vcc_lo
	v_and_b32_e32 v4, 0xff, v54
	v_add_co_u32 v1, vcc_lo, v1, v71
	s_delay_alu instid0(VALU_DEP_3) | instskip(SKIP_1) | instid1(VALU_DEP_3)
	v_add_co_ci_u32_e32 v3, vcc_lo, 0, v3, vcc_lo
	v_and_b32_e32 v73, 15, v72
	v_add_co_u32 v1, vcc_lo, v1, v57
	s_delay_alu instid0(VALU_DEP_3) | instskip(NEXT) | instid1(VALU_DEP_3)
	v_add_co_ci_u32_e32 v3, vcc_lo, 0, v3, vcc_lo
	v_cmp_ne_u32_e64 s0, 0, v73
	s_delay_alu instid0(VALU_DEP_3) | instskip(NEXT) | instid1(VALU_DEP_3)
	v_add_co_u32 v1, vcc_lo, v1, v62
	v_add_co_ci_u32_e32 v3, vcc_lo, 0, v3, vcc_lo
	s_cmp_lg_u32 s15, 0
	s_delay_alu instid0(VALU_DEP_2) | instskip(NEXT) | instid1(VALU_DEP_2)
	v_add_co_u32 v51, vcc_lo, v1, v4
	v_add_co_ci_u32_e32 v52, vcc_lo, 0, v3, vcc_lo
	s_mov_b32 s1, -1
	s_cbranch_scc0 .LBB494_124
; %bb.65:
	s_delay_alu instid0(VALU_DEP_2)
	v_mov_b32_e32 v3, v51
	v_mov_b32_dpp v1, v51 row_shr:1 row_mask:0xf bank_mask:0xf
	v_mov_b32_dpp v6, v2 row_shr:1 row_mask:0xf bank_mask:0xf
	v_dual_mov_b32 v5, v51 :: v_dual_mov_b32 v4, v52
	s_and_saveexec_b32 s1, s0
; %bb.66:
	s_delay_alu instid0(VALU_DEP_3) | instskip(SKIP_1) | instid1(VALU_DEP_2)
	v_add_co_u32 v5, vcc_lo, v51, v1
	v_add_co_ci_u32_e32 v2, vcc_lo, 0, v52, vcc_lo
	v_add_co_u32 v1, vcc_lo, 0, v5
	s_delay_alu instid0(VALU_DEP_2) | instskip(NEXT) | instid1(VALU_DEP_1)
	v_add_co_ci_u32_e32 v2, vcc_lo, v6, v2, vcc_lo
	v_dual_mov_b32 v4, v2 :: v_dual_mov_b32 v3, v1
; %bb.67:
	s_or_b32 exec_lo, exec_lo, s1
	v_mov_b32_dpp v1, v5 row_shr:2 row_mask:0xf bank_mask:0xf
	v_mov_b32_dpp v6, v2 row_shr:2 row_mask:0xf bank_mask:0xf
	s_mov_b32 s1, exec_lo
	v_cmpx_lt_u32_e32 1, v73
; %bb.68:
	s_delay_alu instid0(VALU_DEP_3) | instskip(SKIP_1) | instid1(VALU_DEP_2)
	v_add_co_u32 v5, vcc_lo, v3, v1
	v_add_co_ci_u32_e32 v2, vcc_lo, 0, v4, vcc_lo
	v_add_co_u32 v1, vcc_lo, 0, v5
	s_delay_alu instid0(VALU_DEP_2) | instskip(NEXT) | instid1(VALU_DEP_1)
	v_add_co_ci_u32_e32 v2, vcc_lo, v6, v2, vcc_lo
	v_dual_mov_b32 v4, v2 :: v_dual_mov_b32 v3, v1
; %bb.69:
	s_or_b32 exec_lo, exec_lo, s1
	v_mov_b32_dpp v1, v5 row_shr:4 row_mask:0xf bank_mask:0xf
	v_mov_b32_dpp v6, v2 row_shr:4 row_mask:0xf bank_mask:0xf
	s_mov_b32 s1, exec_lo
	v_cmpx_lt_u32_e32 3, v73
	;; [unrolled: 14-line block ×3, first 2 shown]
; %bb.72:
	s_delay_alu instid0(VALU_DEP_3) | instskip(SKIP_1) | instid1(VALU_DEP_2)
	v_add_co_u32 v5, vcc_lo, v3, v6
	v_add_co_ci_u32_e32 v2, vcc_lo, 0, v4, vcc_lo
	v_add_co_u32 v3, vcc_lo, 0, v5
	s_delay_alu instid0(VALU_DEP_2) | instskip(NEXT) | instid1(VALU_DEP_1)
	v_add_co_ci_u32_e32 v4, vcc_lo, v1, v2, vcc_lo
	v_mov_b32_e32 v2, v4
; %bb.73:
	s_or_b32 exec_lo, exec_lo, s1
	ds_swizzle_b32 v1, v5 offset:swizzle(BROADCAST,32,15)
	ds_swizzle_b32 v6, v2 offset:swizzle(BROADCAST,32,15)
	v_and_b32_e32 v7, 16, v72
	s_mov_b32 s1, exec_lo
	s_delay_alu instid0(VALU_DEP_1)
	v_cmpx_ne_u32_e32 0, v7
	s_cbranch_execz .LBB494_75
; %bb.74:
	s_waitcnt lgkmcnt(0)
	v_add_co_u32 v5, vcc_lo, v3, v1
	v_add_co_ci_u32_e32 v2, vcc_lo, 0, v4, vcc_lo
	s_delay_alu instid0(VALU_DEP_2) | instskip(NEXT) | instid1(VALU_DEP_2)
	v_add_co_u32 v1, vcc_lo, 0, v5
	v_add_co_ci_u32_e32 v2, vcc_lo, v6, v2, vcc_lo
	s_delay_alu instid0(VALU_DEP_1)
	v_dual_mov_b32 v4, v2 :: v_dual_mov_b32 v3, v1
.LBB494_75:
	s_or_b32 exec_lo, exec_lo, s1
	s_waitcnt lgkmcnt(0)
	v_or_b32_e32 v6, 31, v0
	v_lshrrev_b32_e32 v1, 5, v0
	s_mov_b32 s1, exec_lo
	s_delay_alu instid0(VALU_DEP_2)
	v_cmpx_eq_u32_e64 v6, v0
	s_cbranch_execz .LBB494_77
; %bb.76:
	s_delay_alu instid0(VALU_DEP_2)
	v_lshlrev_b32_e32 v6, 3, v1
	ds_store_b64 v6, v[3:4]
.LBB494_77:
	s_or_b32 exec_lo, exec_lo, s1
	s_delay_alu instid0(SALU_CYCLE_1)
	s_mov_b32 s1, exec_lo
	s_waitcnt lgkmcnt(0)
	s_barrier
	buffer_gl0_inv
	v_cmpx_gt_u32_e32 4, v0
	s_cbranch_execz .LBB494_83
; %bb.78:
	v_lshlrev_b32_e32 v6, 3, v0
	s_mov_b32 s12, exec_lo
	ds_load_b64 v[3:4], v6
	s_waitcnt lgkmcnt(0)
	v_dual_mov_b32 v8, v3 :: v_dual_and_b32 v7, 3, v72
	v_mov_b32_dpp v10, v3 row_shr:1 row_mask:0xf bank_mask:0xf
	v_mov_b32_dpp v9, v4 row_shr:1 row_mask:0xf bank_mask:0xf
	s_delay_alu instid0(VALU_DEP_3)
	v_cmpx_ne_u32_e32 0, v7
; %bb.79:
	s_delay_alu instid0(VALU_DEP_3) | instskip(SKIP_1) | instid1(VALU_DEP_2)
	v_add_co_u32 v8, vcc_lo, v3, v10
	v_add_co_ci_u32_e32 v4, vcc_lo, 0, v4, vcc_lo
	v_add_co_u32 v3, vcc_lo, 0, v8
	s_delay_alu instid0(VALU_DEP_2)
	v_add_co_ci_u32_e32 v4, vcc_lo, v9, v4, vcc_lo
; %bb.80:
	s_or_b32 exec_lo, exec_lo, s12
	v_mov_b32_dpp v9, v8 row_shr:2 row_mask:0xf bank_mask:0xf
	s_delay_alu instid0(VALU_DEP_2)
	v_mov_b32_dpp v8, v4 row_shr:2 row_mask:0xf bank_mask:0xf
	s_mov_b32 s12, exec_lo
	v_cmpx_lt_u32_e32 1, v7
; %bb.81:
	s_delay_alu instid0(VALU_DEP_3) | instskip(SKIP_1) | instid1(VALU_DEP_2)
	v_add_co_u32 v3, vcc_lo, v3, v9
	v_add_co_ci_u32_e32 v4, vcc_lo, 0, v4, vcc_lo
	v_add_co_u32 v3, vcc_lo, v3, 0
	s_delay_alu instid0(VALU_DEP_2)
	v_add_co_ci_u32_e32 v4, vcc_lo, v4, v8, vcc_lo
; %bb.82:
	s_or_b32 exec_lo, exec_lo, s12
	ds_store_b64 v6, v[3:4]
.LBB494_83:
	s_or_b32 exec_lo, exec_lo, s1
	v_cmp_gt_u32_e32 vcc_lo, 32, v0
	s_mov_b32 s12, exec_lo
	s_waitcnt lgkmcnt(0)
	s_barrier
	buffer_gl0_inv
                                        ; implicit-def: $vgpr9_vgpr10
	v_cmpx_lt_u32_e32 31, v0
	s_cbranch_execz .LBB494_85
; %bb.84:
	v_lshl_add_u32 v1, v1, 3, -8
	ds_load_b64 v[9:10], v1
	s_waitcnt lgkmcnt(0)
	v_add_co_u32 v5, s1, v5, v9
	s_delay_alu instid0(VALU_DEP_1)
	v_add_co_ci_u32_e64 v2, s1, v2, v10, s1
.LBB494_85:
	s_or_b32 exec_lo, exec_lo, s12
	v_add_nc_u32_e32 v1, -1, v72
	s_delay_alu instid0(VALU_DEP_1) | instskip(NEXT) | instid1(VALU_DEP_1)
	v_cmp_gt_i32_e64 s1, 0, v1
	v_cndmask_b32_e64 v1, v1, v72, s1
	v_cmp_eq_u32_e64 s1, 0, v72
	s_delay_alu instid0(VALU_DEP_2)
	v_lshlrev_b32_e32 v1, 2, v1
	ds_bpermute_b32 v15, v1, v5
	ds_bpermute_b32 v16, v1, v2
	s_and_saveexec_b32 s12, vcc_lo
	s_cbranch_execz .LBB494_123
; %bb.86:
	v_mov_b32_e32 v4, 0
	ds_load_b64 v[1:2], v4 offset:24
	s_and_saveexec_b32 s13, s1
	s_cbranch_execz .LBB494_88
; %bb.87:
	s_add_i32 s16, s15, 32
	s_mov_b32 s17, 0
	s_delay_alu instid0(SALU_CYCLE_1) | instskip(NEXT) | instid1(SALU_CYCLE_1)
	s_lshl_b64 s[16:17], s[16:17], 4
	s_add_u32 s16, s8, s16
	s_addc_u32 s17, s9, s17
	v_mov_b32_e32 v5, s16
	v_dual_mov_b32 v3, 1 :: v_dual_mov_b32 v6, s17
	s_waitcnt lgkmcnt(0)
	;;#ASMSTART
	global_store_dwordx4 v[5:6], v[1:4] off	
s_waitcnt vmcnt(0)
	;;#ASMEND
.LBB494_88:
	s_or_b32 exec_lo, exec_lo, s13
	v_xad_u32 v11, v72, -1, s15
	s_mov_b32 s14, 0
	s_mov_b32 s13, exec_lo
	s_delay_alu instid0(VALU_DEP_1) | instskip(NEXT) | instid1(VALU_DEP_1)
	v_add_nc_u32_e32 v3, 32, v11
	v_lshlrev_b64 v[3:4], 4, v[3:4]
	s_delay_alu instid0(VALU_DEP_1) | instskip(NEXT) | instid1(VALU_DEP_2)
	v_add_co_u32 v3, vcc_lo, s8, v3
	v_add_co_ci_u32_e32 v4, vcc_lo, s9, v4, vcc_lo
	;;#ASMSTART
	global_load_dwordx4 v[5:8], v[3:4] off glc	
s_waitcnt vmcnt(0)
	;;#ASMEND
	v_and_b32_e32 v8, 0xff, v6
	v_and_b32_e32 v12, 0xff00, v6
	v_or3_b32 v5, v5, 0, 0
	v_and_b32_e32 v13, 0xff000000, v6
	v_and_b32_e32 v6, 0xff0000, v6
	s_delay_alu instid0(VALU_DEP_4) | instskip(SKIP_2) | instid1(VALU_DEP_3)
	v_or3_b32 v8, 0, v8, v12
	v_and_b32_e32 v12, 0xff, v7
	v_or3_b32 v5, v5, 0, 0
	v_or3_b32 v6, v8, v6, v13
	s_delay_alu instid0(VALU_DEP_3)
	v_cmpx_eq_u16_e32 0, v12
	s_cbranch_execz .LBB494_91
.LBB494_89:                             ; =>This Inner Loop Header: Depth=1
	;;#ASMSTART
	global_load_dwordx4 v[5:8], v[3:4] off glc	
s_waitcnt vmcnt(0)
	;;#ASMEND
	v_and_b32_e32 v8, 0xff, v7
	s_delay_alu instid0(VALU_DEP_1) | instskip(SKIP_1) | instid1(SALU_CYCLE_1)
	v_cmp_ne_u16_e32 vcc_lo, 0, v8
	s_or_b32 s14, vcc_lo, s14
	s_and_not1_b32 exec_lo, exec_lo, s14
	s_cbranch_execnz .LBB494_89
; %bb.90:
	s_or_b32 exec_lo, exec_lo, s14
.LBB494_91:
	s_delay_alu instid0(SALU_CYCLE_1)
	s_or_b32 exec_lo, exec_lo, s13
	v_cmp_ne_u32_e32 vcc_lo, 31, v72
	v_and_b32_e32 v4, 0xff, v7
	v_lshlrev_b32_e64 v18, v72, -1
	s_mov_b32 s13, exec_lo
	v_add_co_ci_u32_e32 v3, vcc_lo, 0, v72, vcc_lo
	s_delay_alu instid0(VALU_DEP_3) | instskip(NEXT) | instid1(VALU_DEP_2)
	v_cmp_eq_u16_e32 vcc_lo, 2, v4
	v_dual_mov_b32 v4, v5 :: v_dual_lshlrev_b32 v17, 2, v3
	v_and_or_b32 v3, vcc_lo, v18, 0x80000000
	ds_bpermute_b32 v12, v17, v5
	ds_bpermute_b32 v8, v17, v6
	v_ctz_i32_b32_e32 v3, v3
	s_delay_alu instid0(VALU_DEP_1)
	v_cmpx_lt_u32_e64 v72, v3
	s_cbranch_execz .LBB494_93
; %bb.92:
	s_waitcnt lgkmcnt(1)
	v_add_co_u32 v4, vcc_lo, v5, v12
	v_add_co_ci_u32_e32 v6, vcc_lo, 0, v6, vcc_lo
	s_delay_alu instid0(VALU_DEP_2) | instskip(SKIP_1) | instid1(VALU_DEP_2)
	v_add_co_u32 v5, vcc_lo, 0, v4
	s_waitcnt lgkmcnt(0)
	v_add_co_ci_u32_e32 v6, vcc_lo, v8, v6, vcc_lo
.LBB494_93:
	s_or_b32 exec_lo, exec_lo, s13
	v_cmp_gt_u32_e32 vcc_lo, 30, v72
	v_add_nc_u32_e32 v20, 2, v72
	s_mov_b32 s13, exec_lo
	s_waitcnt lgkmcnt(0)
	v_cndmask_b32_e64 v8, 0, 1, vcc_lo
	s_delay_alu instid0(VALU_DEP_1) | instskip(NEXT) | instid1(VALU_DEP_1)
	v_lshlrev_b32_e32 v8, 1, v8
	v_add_lshl_u32 v19, v8, v72, 2
	ds_bpermute_b32 v12, v19, v4
	ds_bpermute_b32 v8, v19, v6
	v_cmpx_le_u32_e64 v20, v3
	s_cbranch_execz .LBB494_95
; %bb.94:
	s_waitcnt lgkmcnt(1)
	v_add_co_u32 v4, vcc_lo, v5, v12
	v_add_co_ci_u32_e32 v6, vcc_lo, 0, v6, vcc_lo
	s_delay_alu instid0(VALU_DEP_2) | instskip(SKIP_1) | instid1(VALU_DEP_2)
	v_add_co_u32 v5, vcc_lo, 0, v4
	s_waitcnt lgkmcnt(0)
	v_add_co_ci_u32_e32 v6, vcc_lo, v8, v6, vcc_lo
.LBB494_95:
	s_or_b32 exec_lo, exec_lo, s13
	v_cmp_gt_u32_e32 vcc_lo, 28, v72
	v_add_nc_u32_e32 v22, 4, v72
	s_mov_b32 s13, exec_lo
	s_waitcnt lgkmcnt(0)
	v_cndmask_b32_e64 v8, 0, 1, vcc_lo
	s_delay_alu instid0(VALU_DEP_1) | instskip(NEXT) | instid1(VALU_DEP_1)
	v_lshlrev_b32_e32 v8, 2, v8
	v_add_lshl_u32 v21, v8, v72, 2
	ds_bpermute_b32 v12, v21, v4
	ds_bpermute_b32 v8, v21, v6
	v_cmpx_le_u32_e64 v22, v3
	s_cbranch_execz .LBB494_97
; %bb.96:
	s_waitcnt lgkmcnt(1)
	v_add_co_u32 v4, vcc_lo, v5, v12
	v_add_co_ci_u32_e32 v6, vcc_lo, 0, v6, vcc_lo
	s_delay_alu instid0(VALU_DEP_2) | instskip(SKIP_1) | instid1(VALU_DEP_2)
	v_add_co_u32 v5, vcc_lo, 0, v4
	s_waitcnt lgkmcnt(0)
	v_add_co_ci_u32_e32 v6, vcc_lo, v8, v6, vcc_lo
.LBB494_97:
	s_or_b32 exec_lo, exec_lo, s13
	v_cmp_gt_u32_e32 vcc_lo, 24, v72
	v_add_nc_u32_e32 v24, 8, v72
	s_mov_b32 s13, exec_lo
	s_waitcnt lgkmcnt(0)
	v_cndmask_b32_e64 v8, 0, 1, vcc_lo
	s_delay_alu instid0(VALU_DEP_1) | instskip(NEXT) | instid1(VALU_DEP_1)
	v_lshlrev_b32_e32 v8, 3, v8
	v_add_lshl_u32 v23, v8, v72, 2
	ds_bpermute_b32 v12, v23, v4
	ds_bpermute_b32 v8, v23, v6
	v_cmpx_le_u32_e64 v24, v3
	s_cbranch_execz .LBB494_99
; %bb.98:
	s_waitcnt lgkmcnt(1)
	v_add_co_u32 v4, vcc_lo, v5, v12
	v_add_co_ci_u32_e32 v6, vcc_lo, 0, v6, vcc_lo
	s_delay_alu instid0(VALU_DEP_2) | instskip(SKIP_1) | instid1(VALU_DEP_2)
	v_add_co_u32 v5, vcc_lo, 0, v4
	s_waitcnt lgkmcnt(0)
	v_add_co_ci_u32_e32 v6, vcc_lo, v8, v6, vcc_lo
.LBB494_99:
	s_or_b32 exec_lo, exec_lo, s13
	v_cmp_gt_u32_e32 vcc_lo, 16, v72
	v_add_nc_u32_e32 v26, 16, v72
	s_mov_b32 s13, exec_lo
	s_waitcnt lgkmcnt(0)
	v_cndmask_b32_e64 v8, 0, 1, vcc_lo
	s_delay_alu instid0(VALU_DEP_1) | instskip(NEXT) | instid1(VALU_DEP_1)
	v_lshlrev_b32_e32 v8, 4, v8
	v_add_lshl_u32 v25, v8, v72, 2
	ds_bpermute_b32 v8, v25, v4
	ds_bpermute_b32 v4, v25, v6
	v_cmpx_le_u32_e64 v26, v3
	s_cbranch_execz .LBB494_101
; %bb.100:
	s_waitcnt lgkmcnt(1)
	v_add_co_u32 v3, vcc_lo, v5, v8
	v_add_co_ci_u32_e32 v6, vcc_lo, 0, v6, vcc_lo
	s_delay_alu instid0(VALU_DEP_2) | instskip(SKIP_1) | instid1(VALU_DEP_2)
	v_add_co_u32 v5, vcc_lo, v3, 0
	s_waitcnt lgkmcnt(0)
	v_add_co_ci_u32_e32 v6, vcc_lo, v6, v4, vcc_lo
.LBB494_101:
	s_or_b32 exec_lo, exec_lo, s13
	v_mov_b32_e32 v12, 0
	s_branch .LBB494_103
.LBB494_102:                            ;   in Loop: Header=BB494_103 Depth=1
	s_or_b32 exec_lo, exec_lo, s13
	v_add_co_u32 v5, vcc_lo, v5, v3
	v_subrev_nc_u32_e32 v11, 32, v11
	v_add_co_ci_u32_e32 v6, vcc_lo, v6, v4, vcc_lo
.LBB494_103:                            ; =>This Loop Header: Depth=1
                                        ;     Child Loop BB494_106 Depth 2
	v_and_b32_e32 v3, 0xff, v7
	s_delay_alu instid0(VALU_DEP_1) | instskip(SKIP_2) | instid1(VALU_DEP_1)
	v_cmp_ne_u16_e32 vcc_lo, 2, v3
	v_cndmask_b32_e64 v3, 0, 1, vcc_lo
	;;#ASMSTART
	;;#ASMEND
	v_cmp_ne_u32_e32 vcc_lo, 0, v3
	s_waitcnt lgkmcnt(0)
	v_dual_mov_b32 v3, v5 :: v_dual_mov_b32 v4, v6
	s_cmp_lg_u32 vcc_lo, exec_lo
	s_cbranch_scc1 .LBB494_118
; %bb.104:                              ;   in Loop: Header=BB494_103 Depth=1
	v_lshlrev_b64 v[5:6], 4, v[11:12]
	s_mov_b32 s13, exec_lo
	s_delay_alu instid0(VALU_DEP_1) | instskip(NEXT) | instid1(VALU_DEP_2)
	v_add_co_u32 v13, vcc_lo, s8, v5
	v_add_co_ci_u32_e32 v14, vcc_lo, s9, v6, vcc_lo
	;;#ASMSTART
	global_load_dwordx4 v[5:8], v[13:14] off glc	
s_waitcnt vmcnt(0)
	;;#ASMEND
	v_and_b32_e32 v8, 0xff, v6
	v_and_b32_e32 v27, 0xff00, v6
	v_or3_b32 v5, v5, 0, 0
	v_and_b32_e32 v28, 0xff000000, v6
	v_and_b32_e32 v6, 0xff0000, v6
	s_delay_alu instid0(VALU_DEP_4) | instskip(SKIP_2) | instid1(VALU_DEP_3)
	v_or3_b32 v8, 0, v8, v27
	v_and_b32_e32 v27, 0xff, v7
	v_or3_b32 v5, v5, 0, 0
	v_or3_b32 v6, v8, v6, v28
	s_delay_alu instid0(VALU_DEP_3)
	v_cmpx_eq_u16_e32 0, v27
	s_cbranch_execz .LBB494_108
; %bb.105:                              ;   in Loop: Header=BB494_103 Depth=1
	s_mov_b32 s14, 0
.LBB494_106:                            ;   Parent Loop BB494_103 Depth=1
                                        ; =>  This Inner Loop Header: Depth=2
	;;#ASMSTART
	global_load_dwordx4 v[5:8], v[13:14] off glc	
s_waitcnt vmcnt(0)
	;;#ASMEND
	v_and_b32_e32 v8, 0xff, v7
	s_delay_alu instid0(VALU_DEP_1) | instskip(SKIP_1) | instid1(SALU_CYCLE_1)
	v_cmp_ne_u16_e32 vcc_lo, 0, v8
	s_or_b32 s14, vcc_lo, s14
	s_and_not1_b32 exec_lo, exec_lo, s14
	s_cbranch_execnz .LBB494_106
; %bb.107:                              ;   in Loop: Header=BB494_103 Depth=1
	s_or_b32 exec_lo, exec_lo, s14
.LBB494_108:                            ;   in Loop: Header=BB494_103 Depth=1
	s_delay_alu instid0(SALU_CYCLE_1)
	s_or_b32 exec_lo, exec_lo, s13
	v_dual_mov_b32 v13, v5 :: v_dual_and_b32 v8, 0xff, v7
	ds_bpermute_b32 v27, v17, v5
	ds_bpermute_b32 v14, v17, v6
	s_mov_b32 s13, exec_lo
	v_cmp_eq_u16_e32 vcc_lo, 2, v8
	v_and_or_b32 v8, vcc_lo, v18, 0x80000000
	s_delay_alu instid0(VALU_DEP_1) | instskip(NEXT) | instid1(VALU_DEP_1)
	v_ctz_i32_b32_e32 v8, v8
	v_cmpx_lt_u32_e64 v72, v8
	s_cbranch_execz .LBB494_110
; %bb.109:                              ;   in Loop: Header=BB494_103 Depth=1
	s_waitcnt lgkmcnt(1)
	v_add_co_u32 v13, vcc_lo, v5, v27
	v_add_co_ci_u32_e32 v6, vcc_lo, 0, v6, vcc_lo
	s_delay_alu instid0(VALU_DEP_2) | instskip(SKIP_1) | instid1(VALU_DEP_2)
	v_add_co_u32 v5, vcc_lo, 0, v13
	s_waitcnt lgkmcnt(0)
	v_add_co_ci_u32_e32 v6, vcc_lo, v14, v6, vcc_lo
.LBB494_110:                            ;   in Loop: Header=BB494_103 Depth=1
	s_or_b32 exec_lo, exec_lo, s13
	s_waitcnt lgkmcnt(1)
	ds_bpermute_b32 v27, v19, v13
	s_waitcnt lgkmcnt(1)
	ds_bpermute_b32 v14, v19, v6
	s_mov_b32 s13, exec_lo
	v_cmpx_le_u32_e64 v20, v8
	s_cbranch_execz .LBB494_112
; %bb.111:                              ;   in Loop: Header=BB494_103 Depth=1
	s_waitcnt lgkmcnt(1)
	v_add_co_u32 v13, vcc_lo, v5, v27
	v_add_co_ci_u32_e32 v6, vcc_lo, 0, v6, vcc_lo
	s_delay_alu instid0(VALU_DEP_2) | instskip(SKIP_1) | instid1(VALU_DEP_2)
	v_add_co_u32 v5, vcc_lo, 0, v13
	s_waitcnt lgkmcnt(0)
	v_add_co_ci_u32_e32 v6, vcc_lo, v14, v6, vcc_lo
.LBB494_112:                            ;   in Loop: Header=BB494_103 Depth=1
	s_or_b32 exec_lo, exec_lo, s13
	s_waitcnt lgkmcnt(1)
	ds_bpermute_b32 v27, v21, v13
	s_waitcnt lgkmcnt(1)
	ds_bpermute_b32 v14, v21, v6
	s_mov_b32 s13, exec_lo
	v_cmpx_le_u32_e64 v22, v8
	;; [unrolled: 17-line block ×3, first 2 shown]
	s_cbranch_execz .LBB494_116
; %bb.115:                              ;   in Loop: Header=BB494_103 Depth=1
	s_waitcnt lgkmcnt(1)
	v_add_co_u32 v13, vcc_lo, v5, v27
	v_add_co_ci_u32_e32 v6, vcc_lo, 0, v6, vcc_lo
	s_delay_alu instid0(VALU_DEP_2) | instskip(SKIP_1) | instid1(VALU_DEP_2)
	v_add_co_u32 v5, vcc_lo, 0, v13
	s_waitcnt lgkmcnt(0)
	v_add_co_ci_u32_e32 v6, vcc_lo, v14, v6, vcc_lo
.LBB494_116:                            ;   in Loop: Header=BB494_103 Depth=1
	s_or_b32 exec_lo, exec_lo, s13
	s_waitcnt lgkmcnt(0)
	ds_bpermute_b32 v14, v25, v13
	ds_bpermute_b32 v13, v25, v6
	s_mov_b32 s13, exec_lo
	v_cmpx_le_u32_e64 v26, v8
	s_cbranch_execz .LBB494_102
; %bb.117:                              ;   in Loop: Header=BB494_103 Depth=1
	s_waitcnt lgkmcnt(1)
	v_add_co_u32 v5, vcc_lo, v5, v14
	v_add_co_ci_u32_e32 v6, vcc_lo, 0, v6, vcc_lo
	s_delay_alu instid0(VALU_DEP_2) | instskip(SKIP_1) | instid1(VALU_DEP_2)
	v_add_co_u32 v5, vcc_lo, v5, 0
	s_waitcnt lgkmcnt(0)
	v_add_co_ci_u32_e32 v6, vcc_lo, v6, v13, vcc_lo
	s_branch .LBB494_102
.LBB494_118:                            ;   in Loop: Header=BB494_103 Depth=1
                                        ; implicit-def: $vgpr5_vgpr6
	s_cbranch_execz .LBB494_103
; %bb.119:
	s_and_saveexec_b32 s13, s1
	s_cbranch_execz .LBB494_121
; %bb.120:
	s_add_i32 s14, s15, 32
	s_mov_b32 s15, 0
	v_add_co_u32 v5, vcc_lo, v3, v1
	s_lshl_b64 s[14:15], s[14:15], 4
	v_dual_mov_b32 v7, 2 :: v_dual_mov_b32 v8, 0
	s_add_u32 s14, s8, s14
	s_addc_u32 s15, s9, s15
	v_add_co_ci_u32_e32 v6, vcc_lo, v4, v2, vcc_lo
	v_dual_mov_b32 v11, s14 :: v_dual_mov_b32 v12, s15
	;;#ASMSTART
	global_store_dwordx4 v[11:12], v[5:8] off	
s_waitcnt vmcnt(0)
	;;#ASMEND
	ds_store_b128 v8, v[1:4] offset:7168
.LBB494_121:
	s_or_b32 exec_lo, exec_lo, s13
	v_cmp_eq_u32_e32 vcc_lo, 0, v0
	s_and_b32 exec_lo, exec_lo, vcc_lo
	s_cbranch_execz .LBB494_123
; %bb.122:
	v_mov_b32_e32 v1, 0
	ds_store_b64 v1, v[3:4] offset:24
.LBB494_123:
	s_or_b32 exec_lo, exec_lo, s12
	s_waitcnt lgkmcnt(0)
	v_cndmask_b32_e64 v4, v16, v10, s1
	v_cmp_ne_u32_e32 vcc_lo, 0, v0
	v_mov_b32_e32 v21, 0
	s_barrier
	buffer_gl0_inv
	v_cndmask_b32_e32 v4, 0, v4, vcc_lo
	ds_load_b64 v[1:2], v21 offset:24
	v_cndmask_b32_e64 v3, v15, v9, s1
	s_waitcnt lgkmcnt(0)
	s_barrier
	buffer_gl0_inv
	ds_load_b128 v[45:48], v21 offset:7168
	v_cndmask_b32_e32 v3, 0, v3, vcc_lo
	s_delay_alu instid0(VALU_DEP_1) | instskip(SKIP_1) | instid1(VALU_DEP_2)
	v_add_co_u32 v1, vcc_lo, v1, v3
	v_add_co_ci_u32_e32 v2, vcc_lo, v2, v4, vcc_lo
	v_add_co_u32 v3, vcc_lo, v1, v63
	s_delay_alu instid0(VALU_DEP_2) | instskip(NEXT) | instid1(VALU_DEP_2)
	v_add_co_ci_u32_e32 v4, vcc_lo, 0, v2, vcc_lo
	v_add_co_u32 v5, vcc_lo, v3, v64
	s_delay_alu instid0(VALU_DEP_2) | instskip(NEXT) | instid1(VALU_DEP_2)
	v_add_co_ci_u32_e32 v6, vcc_lo, 0, v4, vcc_lo
	v_add_co_u32 v7, vcc_lo, v5, v65
	s_delay_alu instid0(VALU_DEP_2) | instskip(NEXT) | instid1(VALU_DEP_2)
	v_add_co_ci_u32_e32 v8, vcc_lo, 0, v6, vcc_lo
	v_add_co_u32 v9, vcc_lo, v7, v60
	s_delay_alu instid0(VALU_DEP_2) | instskip(NEXT) | instid1(VALU_DEP_2)
	v_add_co_ci_u32_e32 v10, vcc_lo, 0, v8, vcc_lo
	v_add_co_u32 v11, vcc_lo, v9, v66
	s_delay_alu instid0(VALU_DEP_2) | instskip(NEXT) | instid1(VALU_DEP_2)
	v_add_co_ci_u32_e32 v12, vcc_lo, 0, v10, vcc_lo
	v_add_co_u32 v13, vcc_lo, v11, v67
	s_delay_alu instid0(VALU_DEP_2) | instskip(NEXT) | instid1(VALU_DEP_2)
	v_add_co_ci_u32_e32 v14, vcc_lo, 0, v12, vcc_lo
	v_add_co_u32 v15, vcc_lo, v13, v68
	s_delay_alu instid0(VALU_DEP_2) | instskip(NEXT) | instid1(VALU_DEP_2)
	v_add_co_ci_u32_e32 v16, vcc_lo, 0, v14, vcc_lo
	v_add_co_u32 v17, vcc_lo, v15, v58
	s_delay_alu instid0(VALU_DEP_2) | instskip(NEXT) | instid1(VALU_DEP_2)
	v_add_co_ci_u32_e32 v18, vcc_lo, 0, v16, vcc_lo
	v_add_co_u32 v19, vcc_lo, v17, v69
	s_delay_alu instid0(VALU_DEP_2) | instskip(NEXT) | instid1(VALU_DEP_2)
	v_add_co_ci_u32_e32 v20, vcc_lo, 0, v18, vcc_lo
	v_add_co_u32 v21, vcc_lo, v19, v70
	s_delay_alu instid0(VALU_DEP_2) | instskip(NEXT) | instid1(VALU_DEP_2)
	v_add_co_ci_u32_e32 v22, vcc_lo, 0, v20, vcc_lo
	v_add_co_u32 v23, vcc_lo, v21, v71
	s_delay_alu instid0(VALU_DEP_2) | instskip(NEXT) | instid1(VALU_DEP_2)
	v_add_co_ci_u32_e32 v24, vcc_lo, 0, v22, vcc_lo
	v_add_co_u32 v25, vcc_lo, v23, v57
	s_delay_alu instid0(VALU_DEP_2) | instskip(NEXT) | instid1(VALU_DEP_2)
	v_add_co_ci_u32_e32 v26, vcc_lo, 0, v24, vcc_lo
	v_add_co_u32 v27, vcc_lo, v25, v62
	s_delay_alu instid0(VALU_DEP_2)
	v_add_co_ci_u32_e32 v28, vcc_lo, 0, v26, vcc_lo
	s_branch .LBB494_148
.LBB494_124:
                                        ; implicit-def: $vgpr47_vgpr48
                                        ; implicit-def: $vgpr1_vgpr2_vgpr3_vgpr4_vgpr5_vgpr6_vgpr7_vgpr8_vgpr9_vgpr10_vgpr11_vgpr12_vgpr13_vgpr14_vgpr15_vgpr16_vgpr17_vgpr18_vgpr19_vgpr20_vgpr21_vgpr22_vgpr23_vgpr24_vgpr25_vgpr26_vgpr27_vgpr28_vgpr29_vgpr30_vgpr31_vgpr32
	s_and_b32 vcc_lo, exec_lo, s1
	s_cbranch_vccz .LBB494_148
; %bb.125:
	v_dual_mov_b32 v2, 0 :: v_dual_mov_b32 v3, v51
	v_mov_b32_dpp v4, v51 row_shr:1 row_mask:0xf bank_mask:0xf
	s_delay_alu instid0(VALU_DEP_2)
	v_mov_b32_dpp v1, v2 row_shr:1 row_mask:0xf bank_mask:0xf
	s_and_saveexec_b32 s1, s0
; %bb.126:
	s_delay_alu instid0(VALU_DEP_2) | instskip(SKIP_1) | instid1(VALU_DEP_2)
	v_add_co_u32 v3, vcc_lo, v51, v4
	v_add_co_ci_u32_e32 v2, vcc_lo, 0, v52, vcc_lo
	v_add_co_u32 v51, vcc_lo, 0, v3
	s_delay_alu instid0(VALU_DEP_2) | instskip(NEXT) | instid1(VALU_DEP_1)
	v_add_co_ci_u32_e32 v52, vcc_lo, v1, v2, vcc_lo
	v_mov_b32_e32 v2, v52
; %bb.127:
	s_or_b32 exec_lo, exec_lo, s1
	v_mov_b32_dpp v1, v3 row_shr:2 row_mask:0xf bank_mask:0xf
	s_delay_alu instid0(VALU_DEP_2)
	v_mov_b32_dpp v4, v2 row_shr:2 row_mask:0xf bank_mask:0xf
	s_mov_b32 s0, exec_lo
	v_cmpx_lt_u32_e32 1, v73
; %bb.128:
	s_delay_alu instid0(VALU_DEP_3) | instskip(SKIP_1) | instid1(VALU_DEP_2)
	v_add_co_u32 v3, vcc_lo, v51, v1
	v_add_co_ci_u32_e32 v2, vcc_lo, 0, v52, vcc_lo
	v_add_co_u32 v1, vcc_lo, 0, v3
	s_delay_alu instid0(VALU_DEP_2) | instskip(NEXT) | instid1(VALU_DEP_1)
	v_add_co_ci_u32_e32 v2, vcc_lo, v4, v2, vcc_lo
	v_dual_mov_b32 v52, v2 :: v_dual_mov_b32 v51, v1
; %bb.129:
	s_or_b32 exec_lo, exec_lo, s0
	v_mov_b32_dpp v1, v3 row_shr:4 row_mask:0xf bank_mask:0xf
	v_mov_b32_dpp v4, v2 row_shr:4 row_mask:0xf bank_mask:0xf
	s_mov_b32 s0, exec_lo
	v_cmpx_lt_u32_e32 3, v73
; %bb.130:
	s_delay_alu instid0(VALU_DEP_3) | instskip(SKIP_1) | instid1(VALU_DEP_2)
	v_add_co_u32 v3, vcc_lo, v51, v1
	v_add_co_ci_u32_e32 v2, vcc_lo, 0, v52, vcc_lo
	v_add_co_u32 v1, vcc_lo, 0, v3
	s_delay_alu instid0(VALU_DEP_2) | instskip(NEXT) | instid1(VALU_DEP_1)
	v_add_co_ci_u32_e32 v2, vcc_lo, v4, v2, vcc_lo
	v_dual_mov_b32 v52, v2 :: v_dual_mov_b32 v51, v1
; %bb.131:
	s_or_b32 exec_lo, exec_lo, s0
	v_mov_b32_dpp v4, v3 row_shr:8 row_mask:0xf bank_mask:0xf
	v_mov_b32_dpp v1, v2 row_shr:8 row_mask:0xf bank_mask:0xf
	s_mov_b32 s0, exec_lo
	v_cmpx_lt_u32_e32 7, v73
; %bb.132:
	s_delay_alu instid0(VALU_DEP_3) | instskip(SKIP_1) | instid1(VALU_DEP_2)
	v_add_co_u32 v3, vcc_lo, v51, v4
	v_add_co_ci_u32_e32 v2, vcc_lo, 0, v52, vcc_lo
	v_add_co_u32 v51, vcc_lo, 0, v3
	s_delay_alu instid0(VALU_DEP_2) | instskip(NEXT) | instid1(VALU_DEP_1)
	v_add_co_ci_u32_e32 v52, vcc_lo, v1, v2, vcc_lo
	v_mov_b32_e32 v2, v52
; %bb.133:
	s_or_b32 exec_lo, exec_lo, s0
	ds_swizzle_b32 v3, v3 offset:swizzle(BROADCAST,32,15)
	ds_swizzle_b32 v1, v2 offset:swizzle(BROADCAST,32,15)
	v_and_b32_e32 v2, 16, v72
	s_mov_b32 s0, exec_lo
	s_delay_alu instid0(VALU_DEP_1)
	v_cmpx_ne_u32_e32 0, v2
	s_cbranch_execz .LBB494_135
; %bb.134:
	s_waitcnt lgkmcnt(0)
	v_add_co_u32 v2, vcc_lo, v51, v3
	v_add_co_ci_u32_e32 v3, vcc_lo, 0, v52, vcc_lo
	s_delay_alu instid0(VALU_DEP_2) | instskip(NEXT) | instid1(VALU_DEP_2)
	v_add_co_u32 v51, vcc_lo, v2, 0
	v_add_co_ci_u32_e32 v52, vcc_lo, v3, v1, vcc_lo
.LBB494_135:
	s_or_b32 exec_lo, exec_lo, s0
	s_waitcnt lgkmcnt(0)
	v_or_b32_e32 v1, 31, v0
	v_lshrrev_b32_e32 v3, 5, v0
	s_mov_b32 s0, exec_lo
	s_delay_alu instid0(VALU_DEP_2)
	v_cmpx_eq_u32_e64 v1, v0
	s_cbranch_execz .LBB494_137
; %bb.136:
	s_delay_alu instid0(VALU_DEP_2)
	v_lshlrev_b32_e32 v1, 3, v3
	ds_store_b64 v1, v[51:52]
.LBB494_137:
	s_or_b32 exec_lo, exec_lo, s0
	s_delay_alu instid0(SALU_CYCLE_1)
	s_mov_b32 s0, exec_lo
	s_waitcnt lgkmcnt(0)
	s_barrier
	buffer_gl0_inv
	v_cmpx_gt_u32_e32 4, v0
	s_cbranch_execz .LBB494_143
; %bb.138:
	v_mad_i32_i24 v1, 0xffffffd0, v0, v61
	s_mov_b32 s1, exec_lo
	ds_load_b64 v[1:2], v1
	s_waitcnt lgkmcnt(0)
	v_dual_mov_b32 v5, v1 :: v_dual_and_b32 v4, 3, v72
	v_mov_b32_dpp v7, v1 row_shr:1 row_mask:0xf bank_mask:0xf
	v_mov_b32_dpp v6, v2 row_shr:1 row_mask:0xf bank_mask:0xf
	s_delay_alu instid0(VALU_DEP_3)
	v_cmpx_ne_u32_e32 0, v4
; %bb.139:
	s_delay_alu instid0(VALU_DEP_3) | instskip(SKIP_1) | instid1(VALU_DEP_2)
	v_add_co_u32 v5, vcc_lo, v1, v7
	v_add_co_ci_u32_e32 v2, vcc_lo, 0, v2, vcc_lo
	v_add_co_u32 v1, vcc_lo, 0, v5
	s_delay_alu instid0(VALU_DEP_2)
	v_add_co_ci_u32_e32 v2, vcc_lo, v6, v2, vcc_lo
; %bb.140:
	s_or_b32 exec_lo, exec_lo, s1
	v_mul_i32_i24_e32 v6, 0xffffffd0, v0
	v_mov_b32_dpp v7, v5 row_shr:2 row_mask:0xf bank_mask:0xf
	s_delay_alu instid0(VALU_DEP_3)
	v_mov_b32_dpp v5, v2 row_shr:2 row_mask:0xf bank_mask:0xf
	s_mov_b32 s1, exec_lo
	v_cmpx_lt_u32_e32 1, v4
; %bb.141:
	s_delay_alu instid0(VALU_DEP_3) | instskip(SKIP_1) | instid1(VALU_DEP_2)
	v_add_co_u32 v1, vcc_lo, v1, v7
	v_add_co_ci_u32_e32 v2, vcc_lo, 0, v2, vcc_lo
	v_add_co_u32 v1, vcc_lo, v1, 0
	s_delay_alu instid0(VALU_DEP_2)
	v_add_co_ci_u32_e32 v2, vcc_lo, v2, v5, vcc_lo
; %bb.142:
	s_or_b32 exec_lo, exec_lo, s1
	v_add_nc_u32_e32 v4, v61, v6
	ds_store_b64 v4, v[1:2]
.LBB494_143:
	s_or_b32 exec_lo, exec_lo, s0
	v_mov_b32_e32 v1, 0
	v_mov_b32_e32 v2, 0
	s_mov_b32 s0, exec_lo
	s_waitcnt lgkmcnt(0)
	s_barrier
	buffer_gl0_inv
	v_cmpx_lt_u32_e32 31, v0
	s_cbranch_execz .LBB494_145
; %bb.144:
	v_lshl_add_u32 v1, v3, 3, -8
	ds_load_b64 v[1:2], v1
.LBB494_145:
	s_or_b32 exec_lo, exec_lo, s0
	v_dual_mov_b32 v48, 0 :: v_dual_add_nc_u32 v3, -1, v72
	s_delay_alu instid0(VALU_DEP_1) | instskip(SKIP_2) | instid1(VALU_DEP_1)
	v_cmp_gt_i32_e32 vcc_lo, 0, v3
	ds_load_b64 v[45:46], v48 offset:24
	v_cndmask_b32_e32 v3, v3, v72, vcc_lo
	v_lshlrev_b32_e32 v4, 2, v3
	s_waitcnt lgkmcnt(1)
	v_add_co_u32 v3, vcc_lo, v1, v51
	v_add_co_ci_u32_e32 v5, vcc_lo, v2, v52, vcc_lo
	v_cmp_eq_u32_e32 vcc_lo, 0, v0
	ds_bpermute_b32 v3, v4, v3
	ds_bpermute_b32 v4, v4, v5
	s_and_saveexec_b32 s0, vcc_lo
	s_cbranch_execz .LBB494_147
; %bb.146:
	s_add_u32 s8, s8, 0x200
	s_addc_u32 s9, s9, 0
	v_mov_b32_e32 v5, s8
	v_dual_mov_b32 v47, 2 :: v_dual_mov_b32 v6, s9
	s_waitcnt lgkmcnt(2)
	;;#ASMSTART
	global_store_dwordx4 v[5:6], v[45:48] off	
s_waitcnt vmcnt(0)
	;;#ASMEND
.LBB494_147:
	s_or_b32 exec_lo, exec_lo, s0
	v_cmp_eq_u32_e64 s0, 0, v72
	v_mov_b32_e32 v47, 0
	v_mov_b32_e32 v48, 0
	s_waitcnt lgkmcnt(0)
	s_barrier
	v_cndmask_b32_e64 v1, v3, v1, s0
	v_cndmask_b32_e64 v2, v4, v2, s0
	buffer_gl0_inv
	v_cndmask_b32_e64 v1, v1, 0, vcc_lo
	v_cndmask_b32_e64 v2, v2, 0, vcc_lo
	s_delay_alu instid0(VALU_DEP_2) | instskip(NEXT) | instid1(VALU_DEP_2)
	v_add_co_u32 v3, vcc_lo, v1, v63
	v_add_co_ci_u32_e32 v4, vcc_lo, 0, v2, vcc_lo
	s_delay_alu instid0(VALU_DEP_2) | instskip(NEXT) | instid1(VALU_DEP_2)
	v_add_co_u32 v5, vcc_lo, v3, v64
	v_add_co_ci_u32_e32 v6, vcc_lo, 0, v4, vcc_lo
	;; [unrolled: 3-line block ×13, first 2 shown]
.LBB494_148:
	s_waitcnt lgkmcnt(0)
	v_cmp_gt_u64_e32 vcc_lo, 0x81, v[45:46]
	v_lshrrev_b32_e32 v51, 16, v56
	v_lshrrev_b32_e32 v52, 8, v56
	;; [unrolled: 1-line block ×6, first 2 shown]
	s_mov_b32 s0, -1
	s_cbranch_vccnz .LBB494_152
; %bb.149:
	s_and_b32 vcc_lo, exec_lo, s0
	s_cbranch_vccnz .LBB494_195
.LBB494_150:
	v_cmp_eq_u32_e32 vcc_lo, 0, v0
	s_and_b32 s0, vcc_lo, s10
	s_delay_alu instid0(SALU_CYCLE_1)
	s_and_saveexec_b32 s1, s0
	s_cbranch_execnz .LBB494_227
.LBB494_151:
	s_nop 0
	s_sendmsg sendmsg(MSG_DEALLOC_VGPRS)
	s_endpgm
.LBB494_152:
	v_add_co_u32 v29, vcc_lo, v47, v45
	v_add_co_ci_u32_e32 v30, vcc_lo, v48, v46, vcc_lo
	s_lshl_b64 s[0:1], s[2:3], 2
	s_delay_alu instid0(SALU_CYCLE_1) | instskip(NEXT) | instid1(VALU_DEP_1)
	s_add_u32 s0, s6, s0
	v_cmp_lt_u64_e32 vcc_lo, v[1:2], v[29:30]
	s_addc_u32 s1, s7, s1
	s_or_b32 s9, s11, vcc_lo
	s_delay_alu instid0(SALU_CYCLE_1)
	s_and_saveexec_b32 s8, s9
	s_cbranch_execz .LBB494_155
; %bb.153:
	v_and_b32_e32 v63, 1, v59
	s_delay_alu instid0(VALU_DEP_1)
	v_cmp_eq_u32_e32 vcc_lo, 1, v63
	s_and_b32 exec_lo, exec_lo, vcc_lo
	s_cbranch_execz .LBB494_155
; %bb.154:
	v_lshlrev_b64 v[63:64], 2, v[1:2]
	s_delay_alu instid0(VALU_DEP_1) | instskip(NEXT) | instid1(VALU_DEP_2)
	v_add_co_u32 v63, vcc_lo, s0, v63
	v_add_co_ci_u32_e32 v64, vcc_lo, s1, v64, vcc_lo
	global_store_b32 v[63:64], v41, off
.LBB494_155:
	s_or_b32 exec_lo, exec_lo, s8
	v_cmp_lt_u64_e32 vcc_lo, v[3:4], v[29:30]
	s_or_b32 s9, s11, vcc_lo
	s_delay_alu instid0(SALU_CYCLE_1)
	s_and_saveexec_b32 s8, s9
	s_cbranch_execz .LBB494_158
; %bb.156:
	v_and_b32_e32 v2, 1, v62
	s_delay_alu instid0(VALU_DEP_1)
	v_cmp_eq_u32_e32 vcc_lo, 1, v2
	s_and_b32 exec_lo, exec_lo, vcc_lo
	s_cbranch_execz .LBB494_158
; %bb.157:
	v_lshlrev_b64 v[63:64], 2, v[3:4]
	s_delay_alu instid0(VALU_DEP_1) | instskip(NEXT) | instid1(VALU_DEP_2)
	v_add_co_u32 v63, vcc_lo, s0, v63
	v_add_co_ci_u32_e32 v64, vcc_lo, s1, v64, vcc_lo
	global_store_b32 v[63:64], v42, off
.LBB494_158:
	s_or_b32 exec_lo, exec_lo, s8
	v_cmp_lt_u64_e32 vcc_lo, v[5:6], v[29:30]
	;; [unrolled: 19-line block ×13, first 2 shown]
	s_or_b32 s9, s11, vcc_lo
	s_delay_alu instid0(SALU_CYCLE_1)
	s_and_saveexec_b32 s8, s9
	s_cbranch_execz .LBB494_194
; %bb.192:
	v_and_b32_e32 v2, 1, v54
	s_delay_alu instid0(VALU_DEP_1)
	v_cmp_eq_u32_e32 vcc_lo, 1, v2
	s_and_b32 exec_lo, exec_lo, vcc_lo
	s_cbranch_execz .LBB494_194
; %bb.193:
	v_lshlrev_b64 v[28:29], 2, v[27:28]
	s_delay_alu instid0(VALU_DEP_1) | instskip(NEXT) | instid1(VALU_DEP_2)
	v_add_co_u32 v28, vcc_lo, s0, v28
	v_add_co_ci_u32_e32 v29, vcc_lo, s1, v29, vcc_lo
	global_store_b32 v[28:29], v50, off
.LBB494_194:
	s_or_b32 exec_lo, exec_lo, s8
	s_branch .LBB494_150
.LBB494_195:
	v_and_b32_e32 v2, 1, v59
	s_mov_b32 s0, exec_lo
	s_delay_alu instid0(VALU_DEP_1)
	v_cmpx_eq_u32_e32 1, v2
	s_cbranch_execz .LBB494_197
; %bb.196:
	v_sub_nc_u32_e32 v1, v1, v47
	s_delay_alu instid0(VALU_DEP_1)
	v_lshlrev_b32_e32 v1, 2, v1
	ds_store_b32 v1, v41
.LBB494_197:
	s_or_b32 exec_lo, exec_lo, s0
	v_and_b32_e32 v1, 1, v62
	s_mov_b32 s0, exec_lo
	s_delay_alu instid0(VALU_DEP_1)
	v_cmpx_eq_u32_e32 1, v1
	s_cbranch_execz .LBB494_199
; %bb.198:
	v_sub_nc_u32_e32 v1, v3, v47
	s_delay_alu instid0(VALU_DEP_1)
	v_lshlrev_b32_e32 v1, 2, v1
	ds_store_b32 v1, v42
.LBB494_199:
	s_or_b32 exec_lo, exec_lo, s0
	;; [unrolled: 12-line block ×14, first 2 shown]
	v_mov_b32_e32 v3, 0
	s_mov_b32 s1, exec_lo
	s_waitcnt lgkmcnt(0)
	s_waitcnt_vscnt null, 0x0
	s_barrier
	buffer_gl0_inv
	v_mov_b32_e32 v1, v3
	s_delay_alu instid0(VALU_DEP_1)
	v_cmpx_gt_u64_e64 v[45:46], v[0:1]
	s_cbranch_execz .LBB494_226
; %bb.224:
	v_lshlrev_b64 v[4:5], 2, v[47:48]
	s_lshl_b64 s[8:9], s[2:3], 2
	v_or_b32_e32 v2, 0x80, v0
	s_delay_alu instid0(VALU_DEP_2) | instskip(NEXT) | instid1(VALU_DEP_3)
	v_add_co_u32 v4, vcc_lo, s6, v4
	v_add_co_ci_u32_e32 v5, vcc_lo, s7, v5, vcc_lo
	s_mov_b32 s6, 0
	s_delay_alu instid0(VALU_DEP_2) | instskip(NEXT) | instid1(VALU_DEP_2)
	v_add_co_u32 v6, vcc_lo, v4, s8
	v_add_co_ci_u32_e32 v7, vcc_lo, s9, v5, vcc_lo
	v_dual_mov_b32 v5, v1 :: v_dual_mov_b32 v4, v0
	.p2align	6
.LBB494_225:                            ; =>This Inner Loop Header: Depth=1
	s_delay_alu instid0(VALU_DEP_1) | instskip(NEXT) | instid1(VALU_DEP_2)
	v_lshlrev_b32_e32 v1, 2, v4
	v_lshlrev_b64 v[8:9], 2, v[4:5]
	v_dual_mov_b32 v5, v3 :: v_dual_mov_b32 v4, v2
	v_cmp_le_u64_e32 vcc_lo, v[45:46], v[2:3]
	v_add_nc_u32_e32 v2, 0x80, v2
	ds_load_b32 v1, v1
	v_add_co_u32 v8, s0, v6, v8
	s_delay_alu instid0(VALU_DEP_1)
	v_add_co_ci_u32_e64 v9, s0, v7, v9, s0
	s_or_b32 s6, vcc_lo, s6
	s_waitcnt lgkmcnt(0)
	global_store_b32 v[8:9], v1, off
	s_and_not1_b32 exec_lo, exec_lo, s6
	s_cbranch_execnz .LBB494_225
.LBB494_226:
	s_or_b32 exec_lo, exec_lo, s1
	v_cmp_eq_u32_e32 vcc_lo, 0, v0
	s_and_b32 s0, vcc_lo, s10
	s_delay_alu instid0(SALU_CYCLE_1)
	s_and_saveexec_b32 s1, s0
	s_cbranch_execz .LBB494_151
.LBB494_227:
	v_add_co_u32 v0, vcc_lo, v47, v45
	v_add_co_ci_u32_e32 v1, vcc_lo, v48, v46, vcc_lo
	v_mov_b32_e32 v2, 0
	s_delay_alu instid0(VALU_DEP_3) | instskip(NEXT) | instid1(VALU_DEP_3)
	v_add_co_u32 v0, vcc_lo, v0, s2
	v_add_co_ci_u32_e32 v1, vcc_lo, s3, v1, vcc_lo
	global_store_b64 v2, v[0:1], s[4:5]
	s_nop 0
	s_sendmsg sendmsg(MSG_DEALLOC_VGPRS)
	s_endpgm
	.section	.rodata,"a",@progbits
	.p2align	6, 0x0
	.amdhsa_kernel _ZN7rocprim17ROCPRIM_400000_NS6detail17trampoline_kernelINS0_14default_configENS1_25partition_config_selectorILNS1_17partition_subalgoE6EjNS0_10empty_typeEbEEZZNS1_14partition_implILS5_6ELb0ES3_mN6thrust23THRUST_200600_302600_NS6detail15normal_iteratorINSA_10device_ptrIjEEEEPS6_SG_NS0_5tupleIJSF_S6_EEENSH_IJSG_SG_EEES6_PlJ5mod_3IjEEEE10hipError_tPvRmT3_T4_T5_T6_T7_T9_mT8_P12ihipStream_tbDpT10_ENKUlT_T0_E_clISt17integral_constantIbLb0EES16_EEDaS11_S12_EUlS11_E_NS1_11comp_targetILNS1_3genE9ELNS1_11target_archE1100ELNS1_3gpuE3ELNS1_3repE0EEENS1_30default_config_static_selectorELNS0_4arch9wavefront6targetE0EEEvT1_
		.amdhsa_group_segment_fixed_size 7184
		.amdhsa_private_segment_fixed_size 0
		.amdhsa_kernarg_size 112
		.amdhsa_user_sgpr_count 15
		.amdhsa_user_sgpr_dispatch_ptr 0
		.amdhsa_user_sgpr_queue_ptr 0
		.amdhsa_user_sgpr_kernarg_segment_ptr 1
		.amdhsa_user_sgpr_dispatch_id 0
		.amdhsa_user_sgpr_private_segment_size 0
		.amdhsa_wavefront_size32 1
		.amdhsa_uses_dynamic_stack 0
		.amdhsa_enable_private_segment 0
		.amdhsa_system_sgpr_workgroup_id_x 1
		.amdhsa_system_sgpr_workgroup_id_y 0
		.amdhsa_system_sgpr_workgroup_id_z 0
		.amdhsa_system_sgpr_workgroup_info 0
		.amdhsa_system_vgpr_workitem_id 0
		.amdhsa_next_free_vgpr 74
		.amdhsa_next_free_sgpr 18
		.amdhsa_reserve_vcc 1
		.amdhsa_float_round_mode_32 0
		.amdhsa_float_round_mode_16_64 0
		.amdhsa_float_denorm_mode_32 3
		.amdhsa_float_denorm_mode_16_64 3
		.amdhsa_dx10_clamp 1
		.amdhsa_ieee_mode 1
		.amdhsa_fp16_overflow 0
		.amdhsa_workgroup_processor_mode 1
		.amdhsa_memory_ordered 1
		.amdhsa_forward_progress 0
		.amdhsa_shared_vgpr_count 0
		.amdhsa_exception_fp_ieee_invalid_op 0
		.amdhsa_exception_fp_denorm_src 0
		.amdhsa_exception_fp_ieee_div_zero 0
		.amdhsa_exception_fp_ieee_overflow 0
		.amdhsa_exception_fp_ieee_underflow 0
		.amdhsa_exception_fp_ieee_inexact 0
		.amdhsa_exception_int_div_zero 0
	.end_amdhsa_kernel
	.section	.text._ZN7rocprim17ROCPRIM_400000_NS6detail17trampoline_kernelINS0_14default_configENS1_25partition_config_selectorILNS1_17partition_subalgoE6EjNS0_10empty_typeEbEEZZNS1_14partition_implILS5_6ELb0ES3_mN6thrust23THRUST_200600_302600_NS6detail15normal_iteratorINSA_10device_ptrIjEEEEPS6_SG_NS0_5tupleIJSF_S6_EEENSH_IJSG_SG_EEES6_PlJ5mod_3IjEEEE10hipError_tPvRmT3_T4_T5_T6_T7_T9_mT8_P12ihipStream_tbDpT10_ENKUlT_T0_E_clISt17integral_constantIbLb0EES16_EEDaS11_S12_EUlS11_E_NS1_11comp_targetILNS1_3genE9ELNS1_11target_archE1100ELNS1_3gpuE3ELNS1_3repE0EEENS1_30default_config_static_selectorELNS0_4arch9wavefront6targetE0EEEvT1_,"axG",@progbits,_ZN7rocprim17ROCPRIM_400000_NS6detail17trampoline_kernelINS0_14default_configENS1_25partition_config_selectorILNS1_17partition_subalgoE6EjNS0_10empty_typeEbEEZZNS1_14partition_implILS5_6ELb0ES3_mN6thrust23THRUST_200600_302600_NS6detail15normal_iteratorINSA_10device_ptrIjEEEEPS6_SG_NS0_5tupleIJSF_S6_EEENSH_IJSG_SG_EEES6_PlJ5mod_3IjEEEE10hipError_tPvRmT3_T4_T5_T6_T7_T9_mT8_P12ihipStream_tbDpT10_ENKUlT_T0_E_clISt17integral_constantIbLb0EES16_EEDaS11_S12_EUlS11_E_NS1_11comp_targetILNS1_3genE9ELNS1_11target_archE1100ELNS1_3gpuE3ELNS1_3repE0EEENS1_30default_config_static_selectorELNS0_4arch9wavefront6targetE0EEEvT1_,comdat
.Lfunc_end494:
	.size	_ZN7rocprim17ROCPRIM_400000_NS6detail17trampoline_kernelINS0_14default_configENS1_25partition_config_selectorILNS1_17partition_subalgoE6EjNS0_10empty_typeEbEEZZNS1_14partition_implILS5_6ELb0ES3_mN6thrust23THRUST_200600_302600_NS6detail15normal_iteratorINSA_10device_ptrIjEEEEPS6_SG_NS0_5tupleIJSF_S6_EEENSH_IJSG_SG_EEES6_PlJ5mod_3IjEEEE10hipError_tPvRmT3_T4_T5_T6_T7_T9_mT8_P12ihipStream_tbDpT10_ENKUlT_T0_E_clISt17integral_constantIbLb0EES16_EEDaS11_S12_EUlS11_E_NS1_11comp_targetILNS1_3genE9ELNS1_11target_archE1100ELNS1_3gpuE3ELNS1_3repE0EEENS1_30default_config_static_selectorELNS0_4arch9wavefront6targetE0EEEvT1_, .Lfunc_end494-_ZN7rocprim17ROCPRIM_400000_NS6detail17trampoline_kernelINS0_14default_configENS1_25partition_config_selectorILNS1_17partition_subalgoE6EjNS0_10empty_typeEbEEZZNS1_14partition_implILS5_6ELb0ES3_mN6thrust23THRUST_200600_302600_NS6detail15normal_iteratorINSA_10device_ptrIjEEEEPS6_SG_NS0_5tupleIJSF_S6_EEENSH_IJSG_SG_EEES6_PlJ5mod_3IjEEEE10hipError_tPvRmT3_T4_T5_T6_T7_T9_mT8_P12ihipStream_tbDpT10_ENKUlT_T0_E_clISt17integral_constantIbLb0EES16_EEDaS11_S12_EUlS11_E_NS1_11comp_targetILNS1_3genE9ELNS1_11target_archE1100ELNS1_3gpuE3ELNS1_3repE0EEENS1_30default_config_static_selectorELNS0_4arch9wavefront6targetE0EEEvT1_
                                        ; -- End function
	.section	.AMDGPU.csdata,"",@progbits
; Kernel info:
; codeLenInByte = 9344
; NumSgprs: 20
; NumVgprs: 74
; ScratchSize: 0
; MemoryBound: 0
; FloatMode: 240
; IeeeMode: 1
; LDSByteSize: 7184 bytes/workgroup (compile time only)
; SGPRBlocks: 2
; VGPRBlocks: 9
; NumSGPRsForWavesPerEU: 20
; NumVGPRsForWavesPerEU: 74
; Occupancy: 16
; WaveLimiterHint : 1
; COMPUTE_PGM_RSRC2:SCRATCH_EN: 0
; COMPUTE_PGM_RSRC2:USER_SGPR: 15
; COMPUTE_PGM_RSRC2:TRAP_HANDLER: 0
; COMPUTE_PGM_RSRC2:TGID_X_EN: 1
; COMPUTE_PGM_RSRC2:TGID_Y_EN: 0
; COMPUTE_PGM_RSRC2:TGID_Z_EN: 0
; COMPUTE_PGM_RSRC2:TIDIG_COMP_CNT: 0
	.section	.text._ZN7rocprim17ROCPRIM_400000_NS6detail17trampoline_kernelINS0_14default_configENS1_25partition_config_selectorILNS1_17partition_subalgoE6EjNS0_10empty_typeEbEEZZNS1_14partition_implILS5_6ELb0ES3_mN6thrust23THRUST_200600_302600_NS6detail15normal_iteratorINSA_10device_ptrIjEEEEPS6_SG_NS0_5tupleIJSF_S6_EEENSH_IJSG_SG_EEES6_PlJ5mod_3IjEEEE10hipError_tPvRmT3_T4_T5_T6_T7_T9_mT8_P12ihipStream_tbDpT10_ENKUlT_T0_E_clISt17integral_constantIbLb0EES16_EEDaS11_S12_EUlS11_E_NS1_11comp_targetILNS1_3genE8ELNS1_11target_archE1030ELNS1_3gpuE2ELNS1_3repE0EEENS1_30default_config_static_selectorELNS0_4arch9wavefront6targetE0EEEvT1_,"axG",@progbits,_ZN7rocprim17ROCPRIM_400000_NS6detail17trampoline_kernelINS0_14default_configENS1_25partition_config_selectorILNS1_17partition_subalgoE6EjNS0_10empty_typeEbEEZZNS1_14partition_implILS5_6ELb0ES3_mN6thrust23THRUST_200600_302600_NS6detail15normal_iteratorINSA_10device_ptrIjEEEEPS6_SG_NS0_5tupleIJSF_S6_EEENSH_IJSG_SG_EEES6_PlJ5mod_3IjEEEE10hipError_tPvRmT3_T4_T5_T6_T7_T9_mT8_P12ihipStream_tbDpT10_ENKUlT_T0_E_clISt17integral_constantIbLb0EES16_EEDaS11_S12_EUlS11_E_NS1_11comp_targetILNS1_3genE8ELNS1_11target_archE1030ELNS1_3gpuE2ELNS1_3repE0EEENS1_30default_config_static_selectorELNS0_4arch9wavefront6targetE0EEEvT1_,comdat
	.protected	_ZN7rocprim17ROCPRIM_400000_NS6detail17trampoline_kernelINS0_14default_configENS1_25partition_config_selectorILNS1_17partition_subalgoE6EjNS0_10empty_typeEbEEZZNS1_14partition_implILS5_6ELb0ES3_mN6thrust23THRUST_200600_302600_NS6detail15normal_iteratorINSA_10device_ptrIjEEEEPS6_SG_NS0_5tupleIJSF_S6_EEENSH_IJSG_SG_EEES6_PlJ5mod_3IjEEEE10hipError_tPvRmT3_T4_T5_T6_T7_T9_mT8_P12ihipStream_tbDpT10_ENKUlT_T0_E_clISt17integral_constantIbLb0EES16_EEDaS11_S12_EUlS11_E_NS1_11comp_targetILNS1_3genE8ELNS1_11target_archE1030ELNS1_3gpuE2ELNS1_3repE0EEENS1_30default_config_static_selectorELNS0_4arch9wavefront6targetE0EEEvT1_ ; -- Begin function _ZN7rocprim17ROCPRIM_400000_NS6detail17trampoline_kernelINS0_14default_configENS1_25partition_config_selectorILNS1_17partition_subalgoE6EjNS0_10empty_typeEbEEZZNS1_14partition_implILS5_6ELb0ES3_mN6thrust23THRUST_200600_302600_NS6detail15normal_iteratorINSA_10device_ptrIjEEEEPS6_SG_NS0_5tupleIJSF_S6_EEENSH_IJSG_SG_EEES6_PlJ5mod_3IjEEEE10hipError_tPvRmT3_T4_T5_T6_T7_T9_mT8_P12ihipStream_tbDpT10_ENKUlT_T0_E_clISt17integral_constantIbLb0EES16_EEDaS11_S12_EUlS11_E_NS1_11comp_targetILNS1_3genE8ELNS1_11target_archE1030ELNS1_3gpuE2ELNS1_3repE0EEENS1_30default_config_static_selectorELNS0_4arch9wavefront6targetE0EEEvT1_
	.globl	_ZN7rocprim17ROCPRIM_400000_NS6detail17trampoline_kernelINS0_14default_configENS1_25partition_config_selectorILNS1_17partition_subalgoE6EjNS0_10empty_typeEbEEZZNS1_14partition_implILS5_6ELb0ES3_mN6thrust23THRUST_200600_302600_NS6detail15normal_iteratorINSA_10device_ptrIjEEEEPS6_SG_NS0_5tupleIJSF_S6_EEENSH_IJSG_SG_EEES6_PlJ5mod_3IjEEEE10hipError_tPvRmT3_T4_T5_T6_T7_T9_mT8_P12ihipStream_tbDpT10_ENKUlT_T0_E_clISt17integral_constantIbLb0EES16_EEDaS11_S12_EUlS11_E_NS1_11comp_targetILNS1_3genE8ELNS1_11target_archE1030ELNS1_3gpuE2ELNS1_3repE0EEENS1_30default_config_static_selectorELNS0_4arch9wavefront6targetE0EEEvT1_
	.p2align	8
	.type	_ZN7rocprim17ROCPRIM_400000_NS6detail17trampoline_kernelINS0_14default_configENS1_25partition_config_selectorILNS1_17partition_subalgoE6EjNS0_10empty_typeEbEEZZNS1_14partition_implILS5_6ELb0ES3_mN6thrust23THRUST_200600_302600_NS6detail15normal_iteratorINSA_10device_ptrIjEEEEPS6_SG_NS0_5tupleIJSF_S6_EEENSH_IJSG_SG_EEES6_PlJ5mod_3IjEEEE10hipError_tPvRmT3_T4_T5_T6_T7_T9_mT8_P12ihipStream_tbDpT10_ENKUlT_T0_E_clISt17integral_constantIbLb0EES16_EEDaS11_S12_EUlS11_E_NS1_11comp_targetILNS1_3genE8ELNS1_11target_archE1030ELNS1_3gpuE2ELNS1_3repE0EEENS1_30default_config_static_selectorELNS0_4arch9wavefront6targetE0EEEvT1_,@function
_ZN7rocprim17ROCPRIM_400000_NS6detail17trampoline_kernelINS0_14default_configENS1_25partition_config_selectorILNS1_17partition_subalgoE6EjNS0_10empty_typeEbEEZZNS1_14partition_implILS5_6ELb0ES3_mN6thrust23THRUST_200600_302600_NS6detail15normal_iteratorINSA_10device_ptrIjEEEEPS6_SG_NS0_5tupleIJSF_S6_EEENSH_IJSG_SG_EEES6_PlJ5mod_3IjEEEE10hipError_tPvRmT3_T4_T5_T6_T7_T9_mT8_P12ihipStream_tbDpT10_ENKUlT_T0_E_clISt17integral_constantIbLb0EES16_EEDaS11_S12_EUlS11_E_NS1_11comp_targetILNS1_3genE8ELNS1_11target_archE1030ELNS1_3gpuE2ELNS1_3repE0EEENS1_30default_config_static_selectorELNS0_4arch9wavefront6targetE0EEEvT1_: ; @_ZN7rocprim17ROCPRIM_400000_NS6detail17trampoline_kernelINS0_14default_configENS1_25partition_config_selectorILNS1_17partition_subalgoE6EjNS0_10empty_typeEbEEZZNS1_14partition_implILS5_6ELb0ES3_mN6thrust23THRUST_200600_302600_NS6detail15normal_iteratorINSA_10device_ptrIjEEEEPS6_SG_NS0_5tupleIJSF_S6_EEENSH_IJSG_SG_EEES6_PlJ5mod_3IjEEEE10hipError_tPvRmT3_T4_T5_T6_T7_T9_mT8_P12ihipStream_tbDpT10_ENKUlT_T0_E_clISt17integral_constantIbLb0EES16_EEDaS11_S12_EUlS11_E_NS1_11comp_targetILNS1_3genE8ELNS1_11target_archE1030ELNS1_3gpuE2ELNS1_3repE0EEENS1_30default_config_static_selectorELNS0_4arch9wavefront6targetE0EEEvT1_
; %bb.0:
	.section	.rodata,"a",@progbits
	.p2align	6, 0x0
	.amdhsa_kernel _ZN7rocprim17ROCPRIM_400000_NS6detail17trampoline_kernelINS0_14default_configENS1_25partition_config_selectorILNS1_17partition_subalgoE6EjNS0_10empty_typeEbEEZZNS1_14partition_implILS5_6ELb0ES3_mN6thrust23THRUST_200600_302600_NS6detail15normal_iteratorINSA_10device_ptrIjEEEEPS6_SG_NS0_5tupleIJSF_S6_EEENSH_IJSG_SG_EEES6_PlJ5mod_3IjEEEE10hipError_tPvRmT3_T4_T5_T6_T7_T9_mT8_P12ihipStream_tbDpT10_ENKUlT_T0_E_clISt17integral_constantIbLb0EES16_EEDaS11_S12_EUlS11_E_NS1_11comp_targetILNS1_3genE8ELNS1_11target_archE1030ELNS1_3gpuE2ELNS1_3repE0EEENS1_30default_config_static_selectorELNS0_4arch9wavefront6targetE0EEEvT1_
		.amdhsa_group_segment_fixed_size 0
		.amdhsa_private_segment_fixed_size 0
		.amdhsa_kernarg_size 112
		.amdhsa_user_sgpr_count 15
		.amdhsa_user_sgpr_dispatch_ptr 0
		.amdhsa_user_sgpr_queue_ptr 0
		.amdhsa_user_sgpr_kernarg_segment_ptr 1
		.amdhsa_user_sgpr_dispatch_id 0
		.amdhsa_user_sgpr_private_segment_size 0
		.amdhsa_wavefront_size32 1
		.amdhsa_uses_dynamic_stack 0
		.amdhsa_enable_private_segment 0
		.amdhsa_system_sgpr_workgroup_id_x 1
		.amdhsa_system_sgpr_workgroup_id_y 0
		.amdhsa_system_sgpr_workgroup_id_z 0
		.amdhsa_system_sgpr_workgroup_info 0
		.amdhsa_system_vgpr_workitem_id 0
		.amdhsa_next_free_vgpr 1
		.amdhsa_next_free_sgpr 1
		.amdhsa_reserve_vcc 0
		.amdhsa_float_round_mode_32 0
		.amdhsa_float_round_mode_16_64 0
		.amdhsa_float_denorm_mode_32 3
		.amdhsa_float_denorm_mode_16_64 3
		.amdhsa_dx10_clamp 1
		.amdhsa_ieee_mode 1
		.amdhsa_fp16_overflow 0
		.amdhsa_workgroup_processor_mode 1
		.amdhsa_memory_ordered 1
		.amdhsa_forward_progress 0
		.amdhsa_shared_vgpr_count 0
		.amdhsa_exception_fp_ieee_invalid_op 0
		.amdhsa_exception_fp_denorm_src 0
		.amdhsa_exception_fp_ieee_div_zero 0
		.amdhsa_exception_fp_ieee_overflow 0
		.amdhsa_exception_fp_ieee_underflow 0
		.amdhsa_exception_fp_ieee_inexact 0
		.amdhsa_exception_int_div_zero 0
	.end_amdhsa_kernel
	.section	.text._ZN7rocprim17ROCPRIM_400000_NS6detail17trampoline_kernelINS0_14default_configENS1_25partition_config_selectorILNS1_17partition_subalgoE6EjNS0_10empty_typeEbEEZZNS1_14partition_implILS5_6ELb0ES3_mN6thrust23THRUST_200600_302600_NS6detail15normal_iteratorINSA_10device_ptrIjEEEEPS6_SG_NS0_5tupleIJSF_S6_EEENSH_IJSG_SG_EEES6_PlJ5mod_3IjEEEE10hipError_tPvRmT3_T4_T5_T6_T7_T9_mT8_P12ihipStream_tbDpT10_ENKUlT_T0_E_clISt17integral_constantIbLb0EES16_EEDaS11_S12_EUlS11_E_NS1_11comp_targetILNS1_3genE8ELNS1_11target_archE1030ELNS1_3gpuE2ELNS1_3repE0EEENS1_30default_config_static_selectorELNS0_4arch9wavefront6targetE0EEEvT1_,"axG",@progbits,_ZN7rocprim17ROCPRIM_400000_NS6detail17trampoline_kernelINS0_14default_configENS1_25partition_config_selectorILNS1_17partition_subalgoE6EjNS0_10empty_typeEbEEZZNS1_14partition_implILS5_6ELb0ES3_mN6thrust23THRUST_200600_302600_NS6detail15normal_iteratorINSA_10device_ptrIjEEEEPS6_SG_NS0_5tupleIJSF_S6_EEENSH_IJSG_SG_EEES6_PlJ5mod_3IjEEEE10hipError_tPvRmT3_T4_T5_T6_T7_T9_mT8_P12ihipStream_tbDpT10_ENKUlT_T0_E_clISt17integral_constantIbLb0EES16_EEDaS11_S12_EUlS11_E_NS1_11comp_targetILNS1_3genE8ELNS1_11target_archE1030ELNS1_3gpuE2ELNS1_3repE0EEENS1_30default_config_static_selectorELNS0_4arch9wavefront6targetE0EEEvT1_,comdat
.Lfunc_end495:
	.size	_ZN7rocprim17ROCPRIM_400000_NS6detail17trampoline_kernelINS0_14default_configENS1_25partition_config_selectorILNS1_17partition_subalgoE6EjNS0_10empty_typeEbEEZZNS1_14partition_implILS5_6ELb0ES3_mN6thrust23THRUST_200600_302600_NS6detail15normal_iteratorINSA_10device_ptrIjEEEEPS6_SG_NS0_5tupleIJSF_S6_EEENSH_IJSG_SG_EEES6_PlJ5mod_3IjEEEE10hipError_tPvRmT3_T4_T5_T6_T7_T9_mT8_P12ihipStream_tbDpT10_ENKUlT_T0_E_clISt17integral_constantIbLb0EES16_EEDaS11_S12_EUlS11_E_NS1_11comp_targetILNS1_3genE8ELNS1_11target_archE1030ELNS1_3gpuE2ELNS1_3repE0EEENS1_30default_config_static_selectorELNS0_4arch9wavefront6targetE0EEEvT1_, .Lfunc_end495-_ZN7rocprim17ROCPRIM_400000_NS6detail17trampoline_kernelINS0_14default_configENS1_25partition_config_selectorILNS1_17partition_subalgoE6EjNS0_10empty_typeEbEEZZNS1_14partition_implILS5_6ELb0ES3_mN6thrust23THRUST_200600_302600_NS6detail15normal_iteratorINSA_10device_ptrIjEEEEPS6_SG_NS0_5tupleIJSF_S6_EEENSH_IJSG_SG_EEES6_PlJ5mod_3IjEEEE10hipError_tPvRmT3_T4_T5_T6_T7_T9_mT8_P12ihipStream_tbDpT10_ENKUlT_T0_E_clISt17integral_constantIbLb0EES16_EEDaS11_S12_EUlS11_E_NS1_11comp_targetILNS1_3genE8ELNS1_11target_archE1030ELNS1_3gpuE2ELNS1_3repE0EEENS1_30default_config_static_selectorELNS0_4arch9wavefront6targetE0EEEvT1_
                                        ; -- End function
	.section	.AMDGPU.csdata,"",@progbits
; Kernel info:
; codeLenInByte = 0
; NumSgprs: 0
; NumVgprs: 0
; ScratchSize: 0
; MemoryBound: 0
; FloatMode: 240
; IeeeMode: 1
; LDSByteSize: 0 bytes/workgroup (compile time only)
; SGPRBlocks: 0
; VGPRBlocks: 0
; NumSGPRsForWavesPerEU: 1
; NumVGPRsForWavesPerEU: 1
; Occupancy: 16
; WaveLimiterHint : 0
; COMPUTE_PGM_RSRC2:SCRATCH_EN: 0
; COMPUTE_PGM_RSRC2:USER_SGPR: 15
; COMPUTE_PGM_RSRC2:TRAP_HANDLER: 0
; COMPUTE_PGM_RSRC2:TGID_X_EN: 1
; COMPUTE_PGM_RSRC2:TGID_Y_EN: 0
; COMPUTE_PGM_RSRC2:TGID_Z_EN: 0
; COMPUTE_PGM_RSRC2:TIDIG_COMP_CNT: 0
	.section	.text._ZN7rocprim17ROCPRIM_400000_NS6detail17trampoline_kernelINS0_14default_configENS1_25partition_config_selectorILNS1_17partition_subalgoE6EjNS0_10empty_typeEbEEZZNS1_14partition_implILS5_6ELb0ES3_mN6thrust23THRUST_200600_302600_NS6detail15normal_iteratorINSA_10device_ptrIjEEEEPS6_SG_NS0_5tupleIJSF_S6_EEENSH_IJSG_SG_EEES6_PlJ5mod_3IjEEEE10hipError_tPvRmT3_T4_T5_T6_T7_T9_mT8_P12ihipStream_tbDpT10_ENKUlT_T0_E_clISt17integral_constantIbLb1EES16_EEDaS11_S12_EUlS11_E_NS1_11comp_targetILNS1_3genE0ELNS1_11target_archE4294967295ELNS1_3gpuE0ELNS1_3repE0EEENS1_30default_config_static_selectorELNS0_4arch9wavefront6targetE0EEEvT1_,"axG",@progbits,_ZN7rocprim17ROCPRIM_400000_NS6detail17trampoline_kernelINS0_14default_configENS1_25partition_config_selectorILNS1_17partition_subalgoE6EjNS0_10empty_typeEbEEZZNS1_14partition_implILS5_6ELb0ES3_mN6thrust23THRUST_200600_302600_NS6detail15normal_iteratorINSA_10device_ptrIjEEEEPS6_SG_NS0_5tupleIJSF_S6_EEENSH_IJSG_SG_EEES6_PlJ5mod_3IjEEEE10hipError_tPvRmT3_T4_T5_T6_T7_T9_mT8_P12ihipStream_tbDpT10_ENKUlT_T0_E_clISt17integral_constantIbLb1EES16_EEDaS11_S12_EUlS11_E_NS1_11comp_targetILNS1_3genE0ELNS1_11target_archE4294967295ELNS1_3gpuE0ELNS1_3repE0EEENS1_30default_config_static_selectorELNS0_4arch9wavefront6targetE0EEEvT1_,comdat
	.protected	_ZN7rocprim17ROCPRIM_400000_NS6detail17trampoline_kernelINS0_14default_configENS1_25partition_config_selectorILNS1_17partition_subalgoE6EjNS0_10empty_typeEbEEZZNS1_14partition_implILS5_6ELb0ES3_mN6thrust23THRUST_200600_302600_NS6detail15normal_iteratorINSA_10device_ptrIjEEEEPS6_SG_NS0_5tupleIJSF_S6_EEENSH_IJSG_SG_EEES6_PlJ5mod_3IjEEEE10hipError_tPvRmT3_T4_T5_T6_T7_T9_mT8_P12ihipStream_tbDpT10_ENKUlT_T0_E_clISt17integral_constantIbLb1EES16_EEDaS11_S12_EUlS11_E_NS1_11comp_targetILNS1_3genE0ELNS1_11target_archE4294967295ELNS1_3gpuE0ELNS1_3repE0EEENS1_30default_config_static_selectorELNS0_4arch9wavefront6targetE0EEEvT1_ ; -- Begin function _ZN7rocprim17ROCPRIM_400000_NS6detail17trampoline_kernelINS0_14default_configENS1_25partition_config_selectorILNS1_17partition_subalgoE6EjNS0_10empty_typeEbEEZZNS1_14partition_implILS5_6ELb0ES3_mN6thrust23THRUST_200600_302600_NS6detail15normal_iteratorINSA_10device_ptrIjEEEEPS6_SG_NS0_5tupleIJSF_S6_EEENSH_IJSG_SG_EEES6_PlJ5mod_3IjEEEE10hipError_tPvRmT3_T4_T5_T6_T7_T9_mT8_P12ihipStream_tbDpT10_ENKUlT_T0_E_clISt17integral_constantIbLb1EES16_EEDaS11_S12_EUlS11_E_NS1_11comp_targetILNS1_3genE0ELNS1_11target_archE4294967295ELNS1_3gpuE0ELNS1_3repE0EEENS1_30default_config_static_selectorELNS0_4arch9wavefront6targetE0EEEvT1_
	.globl	_ZN7rocprim17ROCPRIM_400000_NS6detail17trampoline_kernelINS0_14default_configENS1_25partition_config_selectorILNS1_17partition_subalgoE6EjNS0_10empty_typeEbEEZZNS1_14partition_implILS5_6ELb0ES3_mN6thrust23THRUST_200600_302600_NS6detail15normal_iteratorINSA_10device_ptrIjEEEEPS6_SG_NS0_5tupleIJSF_S6_EEENSH_IJSG_SG_EEES6_PlJ5mod_3IjEEEE10hipError_tPvRmT3_T4_T5_T6_T7_T9_mT8_P12ihipStream_tbDpT10_ENKUlT_T0_E_clISt17integral_constantIbLb1EES16_EEDaS11_S12_EUlS11_E_NS1_11comp_targetILNS1_3genE0ELNS1_11target_archE4294967295ELNS1_3gpuE0ELNS1_3repE0EEENS1_30default_config_static_selectorELNS0_4arch9wavefront6targetE0EEEvT1_
	.p2align	8
	.type	_ZN7rocprim17ROCPRIM_400000_NS6detail17trampoline_kernelINS0_14default_configENS1_25partition_config_selectorILNS1_17partition_subalgoE6EjNS0_10empty_typeEbEEZZNS1_14partition_implILS5_6ELb0ES3_mN6thrust23THRUST_200600_302600_NS6detail15normal_iteratorINSA_10device_ptrIjEEEEPS6_SG_NS0_5tupleIJSF_S6_EEENSH_IJSG_SG_EEES6_PlJ5mod_3IjEEEE10hipError_tPvRmT3_T4_T5_T6_T7_T9_mT8_P12ihipStream_tbDpT10_ENKUlT_T0_E_clISt17integral_constantIbLb1EES16_EEDaS11_S12_EUlS11_E_NS1_11comp_targetILNS1_3genE0ELNS1_11target_archE4294967295ELNS1_3gpuE0ELNS1_3repE0EEENS1_30default_config_static_selectorELNS0_4arch9wavefront6targetE0EEEvT1_,@function
_ZN7rocprim17ROCPRIM_400000_NS6detail17trampoline_kernelINS0_14default_configENS1_25partition_config_selectorILNS1_17partition_subalgoE6EjNS0_10empty_typeEbEEZZNS1_14partition_implILS5_6ELb0ES3_mN6thrust23THRUST_200600_302600_NS6detail15normal_iteratorINSA_10device_ptrIjEEEEPS6_SG_NS0_5tupleIJSF_S6_EEENSH_IJSG_SG_EEES6_PlJ5mod_3IjEEEE10hipError_tPvRmT3_T4_T5_T6_T7_T9_mT8_P12ihipStream_tbDpT10_ENKUlT_T0_E_clISt17integral_constantIbLb1EES16_EEDaS11_S12_EUlS11_E_NS1_11comp_targetILNS1_3genE0ELNS1_11target_archE4294967295ELNS1_3gpuE0ELNS1_3repE0EEENS1_30default_config_static_selectorELNS0_4arch9wavefront6targetE0EEEvT1_: ; @_ZN7rocprim17ROCPRIM_400000_NS6detail17trampoline_kernelINS0_14default_configENS1_25partition_config_selectorILNS1_17partition_subalgoE6EjNS0_10empty_typeEbEEZZNS1_14partition_implILS5_6ELb0ES3_mN6thrust23THRUST_200600_302600_NS6detail15normal_iteratorINSA_10device_ptrIjEEEEPS6_SG_NS0_5tupleIJSF_S6_EEENSH_IJSG_SG_EEES6_PlJ5mod_3IjEEEE10hipError_tPvRmT3_T4_T5_T6_T7_T9_mT8_P12ihipStream_tbDpT10_ENKUlT_T0_E_clISt17integral_constantIbLb1EES16_EEDaS11_S12_EUlS11_E_NS1_11comp_targetILNS1_3genE0ELNS1_11target_archE4294967295ELNS1_3gpuE0ELNS1_3repE0EEENS1_30default_config_static_selectorELNS0_4arch9wavefront6targetE0EEEvT1_
; %bb.0:
	.section	.rodata,"a",@progbits
	.p2align	6, 0x0
	.amdhsa_kernel _ZN7rocprim17ROCPRIM_400000_NS6detail17trampoline_kernelINS0_14default_configENS1_25partition_config_selectorILNS1_17partition_subalgoE6EjNS0_10empty_typeEbEEZZNS1_14partition_implILS5_6ELb0ES3_mN6thrust23THRUST_200600_302600_NS6detail15normal_iteratorINSA_10device_ptrIjEEEEPS6_SG_NS0_5tupleIJSF_S6_EEENSH_IJSG_SG_EEES6_PlJ5mod_3IjEEEE10hipError_tPvRmT3_T4_T5_T6_T7_T9_mT8_P12ihipStream_tbDpT10_ENKUlT_T0_E_clISt17integral_constantIbLb1EES16_EEDaS11_S12_EUlS11_E_NS1_11comp_targetILNS1_3genE0ELNS1_11target_archE4294967295ELNS1_3gpuE0ELNS1_3repE0EEENS1_30default_config_static_selectorELNS0_4arch9wavefront6targetE0EEEvT1_
		.amdhsa_group_segment_fixed_size 0
		.amdhsa_private_segment_fixed_size 0
		.amdhsa_kernarg_size 128
		.amdhsa_user_sgpr_count 15
		.amdhsa_user_sgpr_dispatch_ptr 0
		.amdhsa_user_sgpr_queue_ptr 0
		.amdhsa_user_sgpr_kernarg_segment_ptr 1
		.amdhsa_user_sgpr_dispatch_id 0
		.amdhsa_user_sgpr_private_segment_size 0
		.amdhsa_wavefront_size32 1
		.amdhsa_uses_dynamic_stack 0
		.amdhsa_enable_private_segment 0
		.amdhsa_system_sgpr_workgroup_id_x 1
		.amdhsa_system_sgpr_workgroup_id_y 0
		.amdhsa_system_sgpr_workgroup_id_z 0
		.amdhsa_system_sgpr_workgroup_info 0
		.amdhsa_system_vgpr_workitem_id 0
		.amdhsa_next_free_vgpr 1
		.amdhsa_next_free_sgpr 1
		.amdhsa_reserve_vcc 0
		.amdhsa_float_round_mode_32 0
		.amdhsa_float_round_mode_16_64 0
		.amdhsa_float_denorm_mode_32 3
		.amdhsa_float_denorm_mode_16_64 3
		.amdhsa_dx10_clamp 1
		.amdhsa_ieee_mode 1
		.amdhsa_fp16_overflow 0
		.amdhsa_workgroup_processor_mode 1
		.amdhsa_memory_ordered 1
		.amdhsa_forward_progress 0
		.amdhsa_shared_vgpr_count 0
		.amdhsa_exception_fp_ieee_invalid_op 0
		.amdhsa_exception_fp_denorm_src 0
		.amdhsa_exception_fp_ieee_div_zero 0
		.amdhsa_exception_fp_ieee_overflow 0
		.amdhsa_exception_fp_ieee_underflow 0
		.amdhsa_exception_fp_ieee_inexact 0
		.amdhsa_exception_int_div_zero 0
	.end_amdhsa_kernel
	.section	.text._ZN7rocprim17ROCPRIM_400000_NS6detail17trampoline_kernelINS0_14default_configENS1_25partition_config_selectorILNS1_17partition_subalgoE6EjNS0_10empty_typeEbEEZZNS1_14partition_implILS5_6ELb0ES3_mN6thrust23THRUST_200600_302600_NS6detail15normal_iteratorINSA_10device_ptrIjEEEEPS6_SG_NS0_5tupleIJSF_S6_EEENSH_IJSG_SG_EEES6_PlJ5mod_3IjEEEE10hipError_tPvRmT3_T4_T5_T6_T7_T9_mT8_P12ihipStream_tbDpT10_ENKUlT_T0_E_clISt17integral_constantIbLb1EES16_EEDaS11_S12_EUlS11_E_NS1_11comp_targetILNS1_3genE0ELNS1_11target_archE4294967295ELNS1_3gpuE0ELNS1_3repE0EEENS1_30default_config_static_selectorELNS0_4arch9wavefront6targetE0EEEvT1_,"axG",@progbits,_ZN7rocprim17ROCPRIM_400000_NS6detail17trampoline_kernelINS0_14default_configENS1_25partition_config_selectorILNS1_17partition_subalgoE6EjNS0_10empty_typeEbEEZZNS1_14partition_implILS5_6ELb0ES3_mN6thrust23THRUST_200600_302600_NS6detail15normal_iteratorINSA_10device_ptrIjEEEEPS6_SG_NS0_5tupleIJSF_S6_EEENSH_IJSG_SG_EEES6_PlJ5mod_3IjEEEE10hipError_tPvRmT3_T4_T5_T6_T7_T9_mT8_P12ihipStream_tbDpT10_ENKUlT_T0_E_clISt17integral_constantIbLb1EES16_EEDaS11_S12_EUlS11_E_NS1_11comp_targetILNS1_3genE0ELNS1_11target_archE4294967295ELNS1_3gpuE0ELNS1_3repE0EEENS1_30default_config_static_selectorELNS0_4arch9wavefront6targetE0EEEvT1_,comdat
.Lfunc_end496:
	.size	_ZN7rocprim17ROCPRIM_400000_NS6detail17trampoline_kernelINS0_14default_configENS1_25partition_config_selectorILNS1_17partition_subalgoE6EjNS0_10empty_typeEbEEZZNS1_14partition_implILS5_6ELb0ES3_mN6thrust23THRUST_200600_302600_NS6detail15normal_iteratorINSA_10device_ptrIjEEEEPS6_SG_NS0_5tupleIJSF_S6_EEENSH_IJSG_SG_EEES6_PlJ5mod_3IjEEEE10hipError_tPvRmT3_T4_T5_T6_T7_T9_mT8_P12ihipStream_tbDpT10_ENKUlT_T0_E_clISt17integral_constantIbLb1EES16_EEDaS11_S12_EUlS11_E_NS1_11comp_targetILNS1_3genE0ELNS1_11target_archE4294967295ELNS1_3gpuE0ELNS1_3repE0EEENS1_30default_config_static_selectorELNS0_4arch9wavefront6targetE0EEEvT1_, .Lfunc_end496-_ZN7rocprim17ROCPRIM_400000_NS6detail17trampoline_kernelINS0_14default_configENS1_25partition_config_selectorILNS1_17partition_subalgoE6EjNS0_10empty_typeEbEEZZNS1_14partition_implILS5_6ELb0ES3_mN6thrust23THRUST_200600_302600_NS6detail15normal_iteratorINSA_10device_ptrIjEEEEPS6_SG_NS0_5tupleIJSF_S6_EEENSH_IJSG_SG_EEES6_PlJ5mod_3IjEEEE10hipError_tPvRmT3_T4_T5_T6_T7_T9_mT8_P12ihipStream_tbDpT10_ENKUlT_T0_E_clISt17integral_constantIbLb1EES16_EEDaS11_S12_EUlS11_E_NS1_11comp_targetILNS1_3genE0ELNS1_11target_archE4294967295ELNS1_3gpuE0ELNS1_3repE0EEENS1_30default_config_static_selectorELNS0_4arch9wavefront6targetE0EEEvT1_
                                        ; -- End function
	.section	.AMDGPU.csdata,"",@progbits
; Kernel info:
; codeLenInByte = 0
; NumSgprs: 0
; NumVgprs: 0
; ScratchSize: 0
; MemoryBound: 0
; FloatMode: 240
; IeeeMode: 1
; LDSByteSize: 0 bytes/workgroup (compile time only)
; SGPRBlocks: 0
; VGPRBlocks: 0
; NumSGPRsForWavesPerEU: 1
; NumVGPRsForWavesPerEU: 1
; Occupancy: 16
; WaveLimiterHint : 0
; COMPUTE_PGM_RSRC2:SCRATCH_EN: 0
; COMPUTE_PGM_RSRC2:USER_SGPR: 15
; COMPUTE_PGM_RSRC2:TRAP_HANDLER: 0
; COMPUTE_PGM_RSRC2:TGID_X_EN: 1
; COMPUTE_PGM_RSRC2:TGID_Y_EN: 0
; COMPUTE_PGM_RSRC2:TGID_Z_EN: 0
; COMPUTE_PGM_RSRC2:TIDIG_COMP_CNT: 0
	.section	.text._ZN7rocprim17ROCPRIM_400000_NS6detail17trampoline_kernelINS0_14default_configENS1_25partition_config_selectorILNS1_17partition_subalgoE6EjNS0_10empty_typeEbEEZZNS1_14partition_implILS5_6ELb0ES3_mN6thrust23THRUST_200600_302600_NS6detail15normal_iteratorINSA_10device_ptrIjEEEEPS6_SG_NS0_5tupleIJSF_S6_EEENSH_IJSG_SG_EEES6_PlJ5mod_3IjEEEE10hipError_tPvRmT3_T4_T5_T6_T7_T9_mT8_P12ihipStream_tbDpT10_ENKUlT_T0_E_clISt17integral_constantIbLb1EES16_EEDaS11_S12_EUlS11_E_NS1_11comp_targetILNS1_3genE5ELNS1_11target_archE942ELNS1_3gpuE9ELNS1_3repE0EEENS1_30default_config_static_selectorELNS0_4arch9wavefront6targetE0EEEvT1_,"axG",@progbits,_ZN7rocprim17ROCPRIM_400000_NS6detail17trampoline_kernelINS0_14default_configENS1_25partition_config_selectorILNS1_17partition_subalgoE6EjNS0_10empty_typeEbEEZZNS1_14partition_implILS5_6ELb0ES3_mN6thrust23THRUST_200600_302600_NS6detail15normal_iteratorINSA_10device_ptrIjEEEEPS6_SG_NS0_5tupleIJSF_S6_EEENSH_IJSG_SG_EEES6_PlJ5mod_3IjEEEE10hipError_tPvRmT3_T4_T5_T6_T7_T9_mT8_P12ihipStream_tbDpT10_ENKUlT_T0_E_clISt17integral_constantIbLb1EES16_EEDaS11_S12_EUlS11_E_NS1_11comp_targetILNS1_3genE5ELNS1_11target_archE942ELNS1_3gpuE9ELNS1_3repE0EEENS1_30default_config_static_selectorELNS0_4arch9wavefront6targetE0EEEvT1_,comdat
	.protected	_ZN7rocprim17ROCPRIM_400000_NS6detail17trampoline_kernelINS0_14default_configENS1_25partition_config_selectorILNS1_17partition_subalgoE6EjNS0_10empty_typeEbEEZZNS1_14partition_implILS5_6ELb0ES3_mN6thrust23THRUST_200600_302600_NS6detail15normal_iteratorINSA_10device_ptrIjEEEEPS6_SG_NS0_5tupleIJSF_S6_EEENSH_IJSG_SG_EEES6_PlJ5mod_3IjEEEE10hipError_tPvRmT3_T4_T5_T6_T7_T9_mT8_P12ihipStream_tbDpT10_ENKUlT_T0_E_clISt17integral_constantIbLb1EES16_EEDaS11_S12_EUlS11_E_NS1_11comp_targetILNS1_3genE5ELNS1_11target_archE942ELNS1_3gpuE9ELNS1_3repE0EEENS1_30default_config_static_selectorELNS0_4arch9wavefront6targetE0EEEvT1_ ; -- Begin function _ZN7rocprim17ROCPRIM_400000_NS6detail17trampoline_kernelINS0_14default_configENS1_25partition_config_selectorILNS1_17partition_subalgoE6EjNS0_10empty_typeEbEEZZNS1_14partition_implILS5_6ELb0ES3_mN6thrust23THRUST_200600_302600_NS6detail15normal_iteratorINSA_10device_ptrIjEEEEPS6_SG_NS0_5tupleIJSF_S6_EEENSH_IJSG_SG_EEES6_PlJ5mod_3IjEEEE10hipError_tPvRmT3_T4_T5_T6_T7_T9_mT8_P12ihipStream_tbDpT10_ENKUlT_T0_E_clISt17integral_constantIbLb1EES16_EEDaS11_S12_EUlS11_E_NS1_11comp_targetILNS1_3genE5ELNS1_11target_archE942ELNS1_3gpuE9ELNS1_3repE0EEENS1_30default_config_static_selectorELNS0_4arch9wavefront6targetE0EEEvT1_
	.globl	_ZN7rocprim17ROCPRIM_400000_NS6detail17trampoline_kernelINS0_14default_configENS1_25partition_config_selectorILNS1_17partition_subalgoE6EjNS0_10empty_typeEbEEZZNS1_14partition_implILS5_6ELb0ES3_mN6thrust23THRUST_200600_302600_NS6detail15normal_iteratorINSA_10device_ptrIjEEEEPS6_SG_NS0_5tupleIJSF_S6_EEENSH_IJSG_SG_EEES6_PlJ5mod_3IjEEEE10hipError_tPvRmT3_T4_T5_T6_T7_T9_mT8_P12ihipStream_tbDpT10_ENKUlT_T0_E_clISt17integral_constantIbLb1EES16_EEDaS11_S12_EUlS11_E_NS1_11comp_targetILNS1_3genE5ELNS1_11target_archE942ELNS1_3gpuE9ELNS1_3repE0EEENS1_30default_config_static_selectorELNS0_4arch9wavefront6targetE0EEEvT1_
	.p2align	8
	.type	_ZN7rocprim17ROCPRIM_400000_NS6detail17trampoline_kernelINS0_14default_configENS1_25partition_config_selectorILNS1_17partition_subalgoE6EjNS0_10empty_typeEbEEZZNS1_14partition_implILS5_6ELb0ES3_mN6thrust23THRUST_200600_302600_NS6detail15normal_iteratorINSA_10device_ptrIjEEEEPS6_SG_NS0_5tupleIJSF_S6_EEENSH_IJSG_SG_EEES6_PlJ5mod_3IjEEEE10hipError_tPvRmT3_T4_T5_T6_T7_T9_mT8_P12ihipStream_tbDpT10_ENKUlT_T0_E_clISt17integral_constantIbLb1EES16_EEDaS11_S12_EUlS11_E_NS1_11comp_targetILNS1_3genE5ELNS1_11target_archE942ELNS1_3gpuE9ELNS1_3repE0EEENS1_30default_config_static_selectorELNS0_4arch9wavefront6targetE0EEEvT1_,@function
_ZN7rocprim17ROCPRIM_400000_NS6detail17trampoline_kernelINS0_14default_configENS1_25partition_config_selectorILNS1_17partition_subalgoE6EjNS0_10empty_typeEbEEZZNS1_14partition_implILS5_6ELb0ES3_mN6thrust23THRUST_200600_302600_NS6detail15normal_iteratorINSA_10device_ptrIjEEEEPS6_SG_NS0_5tupleIJSF_S6_EEENSH_IJSG_SG_EEES6_PlJ5mod_3IjEEEE10hipError_tPvRmT3_T4_T5_T6_T7_T9_mT8_P12ihipStream_tbDpT10_ENKUlT_T0_E_clISt17integral_constantIbLb1EES16_EEDaS11_S12_EUlS11_E_NS1_11comp_targetILNS1_3genE5ELNS1_11target_archE942ELNS1_3gpuE9ELNS1_3repE0EEENS1_30default_config_static_selectorELNS0_4arch9wavefront6targetE0EEEvT1_: ; @_ZN7rocprim17ROCPRIM_400000_NS6detail17trampoline_kernelINS0_14default_configENS1_25partition_config_selectorILNS1_17partition_subalgoE6EjNS0_10empty_typeEbEEZZNS1_14partition_implILS5_6ELb0ES3_mN6thrust23THRUST_200600_302600_NS6detail15normal_iteratorINSA_10device_ptrIjEEEEPS6_SG_NS0_5tupleIJSF_S6_EEENSH_IJSG_SG_EEES6_PlJ5mod_3IjEEEE10hipError_tPvRmT3_T4_T5_T6_T7_T9_mT8_P12ihipStream_tbDpT10_ENKUlT_T0_E_clISt17integral_constantIbLb1EES16_EEDaS11_S12_EUlS11_E_NS1_11comp_targetILNS1_3genE5ELNS1_11target_archE942ELNS1_3gpuE9ELNS1_3repE0EEENS1_30default_config_static_selectorELNS0_4arch9wavefront6targetE0EEEvT1_
; %bb.0:
	.section	.rodata,"a",@progbits
	.p2align	6, 0x0
	.amdhsa_kernel _ZN7rocprim17ROCPRIM_400000_NS6detail17trampoline_kernelINS0_14default_configENS1_25partition_config_selectorILNS1_17partition_subalgoE6EjNS0_10empty_typeEbEEZZNS1_14partition_implILS5_6ELb0ES3_mN6thrust23THRUST_200600_302600_NS6detail15normal_iteratorINSA_10device_ptrIjEEEEPS6_SG_NS0_5tupleIJSF_S6_EEENSH_IJSG_SG_EEES6_PlJ5mod_3IjEEEE10hipError_tPvRmT3_T4_T5_T6_T7_T9_mT8_P12ihipStream_tbDpT10_ENKUlT_T0_E_clISt17integral_constantIbLb1EES16_EEDaS11_S12_EUlS11_E_NS1_11comp_targetILNS1_3genE5ELNS1_11target_archE942ELNS1_3gpuE9ELNS1_3repE0EEENS1_30default_config_static_selectorELNS0_4arch9wavefront6targetE0EEEvT1_
		.amdhsa_group_segment_fixed_size 0
		.amdhsa_private_segment_fixed_size 0
		.amdhsa_kernarg_size 128
		.amdhsa_user_sgpr_count 15
		.amdhsa_user_sgpr_dispatch_ptr 0
		.amdhsa_user_sgpr_queue_ptr 0
		.amdhsa_user_sgpr_kernarg_segment_ptr 1
		.amdhsa_user_sgpr_dispatch_id 0
		.amdhsa_user_sgpr_private_segment_size 0
		.amdhsa_wavefront_size32 1
		.amdhsa_uses_dynamic_stack 0
		.amdhsa_enable_private_segment 0
		.amdhsa_system_sgpr_workgroup_id_x 1
		.amdhsa_system_sgpr_workgroup_id_y 0
		.amdhsa_system_sgpr_workgroup_id_z 0
		.amdhsa_system_sgpr_workgroup_info 0
		.amdhsa_system_vgpr_workitem_id 0
		.amdhsa_next_free_vgpr 1
		.amdhsa_next_free_sgpr 1
		.amdhsa_reserve_vcc 0
		.amdhsa_float_round_mode_32 0
		.amdhsa_float_round_mode_16_64 0
		.amdhsa_float_denorm_mode_32 3
		.amdhsa_float_denorm_mode_16_64 3
		.amdhsa_dx10_clamp 1
		.amdhsa_ieee_mode 1
		.amdhsa_fp16_overflow 0
		.amdhsa_workgroup_processor_mode 1
		.amdhsa_memory_ordered 1
		.amdhsa_forward_progress 0
		.amdhsa_shared_vgpr_count 0
		.amdhsa_exception_fp_ieee_invalid_op 0
		.amdhsa_exception_fp_denorm_src 0
		.amdhsa_exception_fp_ieee_div_zero 0
		.amdhsa_exception_fp_ieee_overflow 0
		.amdhsa_exception_fp_ieee_underflow 0
		.amdhsa_exception_fp_ieee_inexact 0
		.amdhsa_exception_int_div_zero 0
	.end_amdhsa_kernel
	.section	.text._ZN7rocprim17ROCPRIM_400000_NS6detail17trampoline_kernelINS0_14default_configENS1_25partition_config_selectorILNS1_17partition_subalgoE6EjNS0_10empty_typeEbEEZZNS1_14partition_implILS5_6ELb0ES3_mN6thrust23THRUST_200600_302600_NS6detail15normal_iteratorINSA_10device_ptrIjEEEEPS6_SG_NS0_5tupleIJSF_S6_EEENSH_IJSG_SG_EEES6_PlJ5mod_3IjEEEE10hipError_tPvRmT3_T4_T5_T6_T7_T9_mT8_P12ihipStream_tbDpT10_ENKUlT_T0_E_clISt17integral_constantIbLb1EES16_EEDaS11_S12_EUlS11_E_NS1_11comp_targetILNS1_3genE5ELNS1_11target_archE942ELNS1_3gpuE9ELNS1_3repE0EEENS1_30default_config_static_selectorELNS0_4arch9wavefront6targetE0EEEvT1_,"axG",@progbits,_ZN7rocprim17ROCPRIM_400000_NS6detail17trampoline_kernelINS0_14default_configENS1_25partition_config_selectorILNS1_17partition_subalgoE6EjNS0_10empty_typeEbEEZZNS1_14partition_implILS5_6ELb0ES3_mN6thrust23THRUST_200600_302600_NS6detail15normal_iteratorINSA_10device_ptrIjEEEEPS6_SG_NS0_5tupleIJSF_S6_EEENSH_IJSG_SG_EEES6_PlJ5mod_3IjEEEE10hipError_tPvRmT3_T4_T5_T6_T7_T9_mT8_P12ihipStream_tbDpT10_ENKUlT_T0_E_clISt17integral_constantIbLb1EES16_EEDaS11_S12_EUlS11_E_NS1_11comp_targetILNS1_3genE5ELNS1_11target_archE942ELNS1_3gpuE9ELNS1_3repE0EEENS1_30default_config_static_selectorELNS0_4arch9wavefront6targetE0EEEvT1_,comdat
.Lfunc_end497:
	.size	_ZN7rocprim17ROCPRIM_400000_NS6detail17trampoline_kernelINS0_14default_configENS1_25partition_config_selectorILNS1_17partition_subalgoE6EjNS0_10empty_typeEbEEZZNS1_14partition_implILS5_6ELb0ES3_mN6thrust23THRUST_200600_302600_NS6detail15normal_iteratorINSA_10device_ptrIjEEEEPS6_SG_NS0_5tupleIJSF_S6_EEENSH_IJSG_SG_EEES6_PlJ5mod_3IjEEEE10hipError_tPvRmT3_T4_T5_T6_T7_T9_mT8_P12ihipStream_tbDpT10_ENKUlT_T0_E_clISt17integral_constantIbLb1EES16_EEDaS11_S12_EUlS11_E_NS1_11comp_targetILNS1_3genE5ELNS1_11target_archE942ELNS1_3gpuE9ELNS1_3repE0EEENS1_30default_config_static_selectorELNS0_4arch9wavefront6targetE0EEEvT1_, .Lfunc_end497-_ZN7rocprim17ROCPRIM_400000_NS6detail17trampoline_kernelINS0_14default_configENS1_25partition_config_selectorILNS1_17partition_subalgoE6EjNS0_10empty_typeEbEEZZNS1_14partition_implILS5_6ELb0ES3_mN6thrust23THRUST_200600_302600_NS6detail15normal_iteratorINSA_10device_ptrIjEEEEPS6_SG_NS0_5tupleIJSF_S6_EEENSH_IJSG_SG_EEES6_PlJ5mod_3IjEEEE10hipError_tPvRmT3_T4_T5_T6_T7_T9_mT8_P12ihipStream_tbDpT10_ENKUlT_T0_E_clISt17integral_constantIbLb1EES16_EEDaS11_S12_EUlS11_E_NS1_11comp_targetILNS1_3genE5ELNS1_11target_archE942ELNS1_3gpuE9ELNS1_3repE0EEENS1_30default_config_static_selectorELNS0_4arch9wavefront6targetE0EEEvT1_
                                        ; -- End function
	.section	.AMDGPU.csdata,"",@progbits
; Kernel info:
; codeLenInByte = 0
; NumSgprs: 0
; NumVgprs: 0
; ScratchSize: 0
; MemoryBound: 0
; FloatMode: 240
; IeeeMode: 1
; LDSByteSize: 0 bytes/workgroup (compile time only)
; SGPRBlocks: 0
; VGPRBlocks: 0
; NumSGPRsForWavesPerEU: 1
; NumVGPRsForWavesPerEU: 1
; Occupancy: 16
; WaveLimiterHint : 0
; COMPUTE_PGM_RSRC2:SCRATCH_EN: 0
; COMPUTE_PGM_RSRC2:USER_SGPR: 15
; COMPUTE_PGM_RSRC2:TRAP_HANDLER: 0
; COMPUTE_PGM_RSRC2:TGID_X_EN: 1
; COMPUTE_PGM_RSRC2:TGID_Y_EN: 0
; COMPUTE_PGM_RSRC2:TGID_Z_EN: 0
; COMPUTE_PGM_RSRC2:TIDIG_COMP_CNT: 0
	.section	.text._ZN7rocprim17ROCPRIM_400000_NS6detail17trampoline_kernelINS0_14default_configENS1_25partition_config_selectorILNS1_17partition_subalgoE6EjNS0_10empty_typeEbEEZZNS1_14partition_implILS5_6ELb0ES3_mN6thrust23THRUST_200600_302600_NS6detail15normal_iteratorINSA_10device_ptrIjEEEEPS6_SG_NS0_5tupleIJSF_S6_EEENSH_IJSG_SG_EEES6_PlJ5mod_3IjEEEE10hipError_tPvRmT3_T4_T5_T6_T7_T9_mT8_P12ihipStream_tbDpT10_ENKUlT_T0_E_clISt17integral_constantIbLb1EES16_EEDaS11_S12_EUlS11_E_NS1_11comp_targetILNS1_3genE4ELNS1_11target_archE910ELNS1_3gpuE8ELNS1_3repE0EEENS1_30default_config_static_selectorELNS0_4arch9wavefront6targetE0EEEvT1_,"axG",@progbits,_ZN7rocprim17ROCPRIM_400000_NS6detail17trampoline_kernelINS0_14default_configENS1_25partition_config_selectorILNS1_17partition_subalgoE6EjNS0_10empty_typeEbEEZZNS1_14partition_implILS5_6ELb0ES3_mN6thrust23THRUST_200600_302600_NS6detail15normal_iteratorINSA_10device_ptrIjEEEEPS6_SG_NS0_5tupleIJSF_S6_EEENSH_IJSG_SG_EEES6_PlJ5mod_3IjEEEE10hipError_tPvRmT3_T4_T5_T6_T7_T9_mT8_P12ihipStream_tbDpT10_ENKUlT_T0_E_clISt17integral_constantIbLb1EES16_EEDaS11_S12_EUlS11_E_NS1_11comp_targetILNS1_3genE4ELNS1_11target_archE910ELNS1_3gpuE8ELNS1_3repE0EEENS1_30default_config_static_selectorELNS0_4arch9wavefront6targetE0EEEvT1_,comdat
	.protected	_ZN7rocprim17ROCPRIM_400000_NS6detail17trampoline_kernelINS0_14default_configENS1_25partition_config_selectorILNS1_17partition_subalgoE6EjNS0_10empty_typeEbEEZZNS1_14partition_implILS5_6ELb0ES3_mN6thrust23THRUST_200600_302600_NS6detail15normal_iteratorINSA_10device_ptrIjEEEEPS6_SG_NS0_5tupleIJSF_S6_EEENSH_IJSG_SG_EEES6_PlJ5mod_3IjEEEE10hipError_tPvRmT3_T4_T5_T6_T7_T9_mT8_P12ihipStream_tbDpT10_ENKUlT_T0_E_clISt17integral_constantIbLb1EES16_EEDaS11_S12_EUlS11_E_NS1_11comp_targetILNS1_3genE4ELNS1_11target_archE910ELNS1_3gpuE8ELNS1_3repE0EEENS1_30default_config_static_selectorELNS0_4arch9wavefront6targetE0EEEvT1_ ; -- Begin function _ZN7rocprim17ROCPRIM_400000_NS6detail17trampoline_kernelINS0_14default_configENS1_25partition_config_selectorILNS1_17partition_subalgoE6EjNS0_10empty_typeEbEEZZNS1_14partition_implILS5_6ELb0ES3_mN6thrust23THRUST_200600_302600_NS6detail15normal_iteratorINSA_10device_ptrIjEEEEPS6_SG_NS0_5tupleIJSF_S6_EEENSH_IJSG_SG_EEES6_PlJ5mod_3IjEEEE10hipError_tPvRmT3_T4_T5_T6_T7_T9_mT8_P12ihipStream_tbDpT10_ENKUlT_T0_E_clISt17integral_constantIbLb1EES16_EEDaS11_S12_EUlS11_E_NS1_11comp_targetILNS1_3genE4ELNS1_11target_archE910ELNS1_3gpuE8ELNS1_3repE0EEENS1_30default_config_static_selectorELNS0_4arch9wavefront6targetE0EEEvT1_
	.globl	_ZN7rocprim17ROCPRIM_400000_NS6detail17trampoline_kernelINS0_14default_configENS1_25partition_config_selectorILNS1_17partition_subalgoE6EjNS0_10empty_typeEbEEZZNS1_14partition_implILS5_6ELb0ES3_mN6thrust23THRUST_200600_302600_NS6detail15normal_iteratorINSA_10device_ptrIjEEEEPS6_SG_NS0_5tupleIJSF_S6_EEENSH_IJSG_SG_EEES6_PlJ5mod_3IjEEEE10hipError_tPvRmT3_T4_T5_T6_T7_T9_mT8_P12ihipStream_tbDpT10_ENKUlT_T0_E_clISt17integral_constantIbLb1EES16_EEDaS11_S12_EUlS11_E_NS1_11comp_targetILNS1_3genE4ELNS1_11target_archE910ELNS1_3gpuE8ELNS1_3repE0EEENS1_30default_config_static_selectorELNS0_4arch9wavefront6targetE0EEEvT1_
	.p2align	8
	.type	_ZN7rocprim17ROCPRIM_400000_NS6detail17trampoline_kernelINS0_14default_configENS1_25partition_config_selectorILNS1_17partition_subalgoE6EjNS0_10empty_typeEbEEZZNS1_14partition_implILS5_6ELb0ES3_mN6thrust23THRUST_200600_302600_NS6detail15normal_iteratorINSA_10device_ptrIjEEEEPS6_SG_NS0_5tupleIJSF_S6_EEENSH_IJSG_SG_EEES6_PlJ5mod_3IjEEEE10hipError_tPvRmT3_T4_T5_T6_T7_T9_mT8_P12ihipStream_tbDpT10_ENKUlT_T0_E_clISt17integral_constantIbLb1EES16_EEDaS11_S12_EUlS11_E_NS1_11comp_targetILNS1_3genE4ELNS1_11target_archE910ELNS1_3gpuE8ELNS1_3repE0EEENS1_30default_config_static_selectorELNS0_4arch9wavefront6targetE0EEEvT1_,@function
_ZN7rocprim17ROCPRIM_400000_NS6detail17trampoline_kernelINS0_14default_configENS1_25partition_config_selectorILNS1_17partition_subalgoE6EjNS0_10empty_typeEbEEZZNS1_14partition_implILS5_6ELb0ES3_mN6thrust23THRUST_200600_302600_NS6detail15normal_iteratorINSA_10device_ptrIjEEEEPS6_SG_NS0_5tupleIJSF_S6_EEENSH_IJSG_SG_EEES6_PlJ5mod_3IjEEEE10hipError_tPvRmT3_T4_T5_T6_T7_T9_mT8_P12ihipStream_tbDpT10_ENKUlT_T0_E_clISt17integral_constantIbLb1EES16_EEDaS11_S12_EUlS11_E_NS1_11comp_targetILNS1_3genE4ELNS1_11target_archE910ELNS1_3gpuE8ELNS1_3repE0EEENS1_30default_config_static_selectorELNS0_4arch9wavefront6targetE0EEEvT1_: ; @_ZN7rocprim17ROCPRIM_400000_NS6detail17trampoline_kernelINS0_14default_configENS1_25partition_config_selectorILNS1_17partition_subalgoE6EjNS0_10empty_typeEbEEZZNS1_14partition_implILS5_6ELb0ES3_mN6thrust23THRUST_200600_302600_NS6detail15normal_iteratorINSA_10device_ptrIjEEEEPS6_SG_NS0_5tupleIJSF_S6_EEENSH_IJSG_SG_EEES6_PlJ5mod_3IjEEEE10hipError_tPvRmT3_T4_T5_T6_T7_T9_mT8_P12ihipStream_tbDpT10_ENKUlT_T0_E_clISt17integral_constantIbLb1EES16_EEDaS11_S12_EUlS11_E_NS1_11comp_targetILNS1_3genE4ELNS1_11target_archE910ELNS1_3gpuE8ELNS1_3repE0EEENS1_30default_config_static_selectorELNS0_4arch9wavefront6targetE0EEEvT1_
; %bb.0:
	.section	.rodata,"a",@progbits
	.p2align	6, 0x0
	.amdhsa_kernel _ZN7rocprim17ROCPRIM_400000_NS6detail17trampoline_kernelINS0_14default_configENS1_25partition_config_selectorILNS1_17partition_subalgoE6EjNS0_10empty_typeEbEEZZNS1_14partition_implILS5_6ELb0ES3_mN6thrust23THRUST_200600_302600_NS6detail15normal_iteratorINSA_10device_ptrIjEEEEPS6_SG_NS0_5tupleIJSF_S6_EEENSH_IJSG_SG_EEES6_PlJ5mod_3IjEEEE10hipError_tPvRmT3_T4_T5_T6_T7_T9_mT8_P12ihipStream_tbDpT10_ENKUlT_T0_E_clISt17integral_constantIbLb1EES16_EEDaS11_S12_EUlS11_E_NS1_11comp_targetILNS1_3genE4ELNS1_11target_archE910ELNS1_3gpuE8ELNS1_3repE0EEENS1_30default_config_static_selectorELNS0_4arch9wavefront6targetE0EEEvT1_
		.amdhsa_group_segment_fixed_size 0
		.amdhsa_private_segment_fixed_size 0
		.amdhsa_kernarg_size 128
		.amdhsa_user_sgpr_count 15
		.amdhsa_user_sgpr_dispatch_ptr 0
		.amdhsa_user_sgpr_queue_ptr 0
		.amdhsa_user_sgpr_kernarg_segment_ptr 1
		.amdhsa_user_sgpr_dispatch_id 0
		.amdhsa_user_sgpr_private_segment_size 0
		.amdhsa_wavefront_size32 1
		.amdhsa_uses_dynamic_stack 0
		.amdhsa_enable_private_segment 0
		.amdhsa_system_sgpr_workgroup_id_x 1
		.amdhsa_system_sgpr_workgroup_id_y 0
		.amdhsa_system_sgpr_workgroup_id_z 0
		.amdhsa_system_sgpr_workgroup_info 0
		.amdhsa_system_vgpr_workitem_id 0
		.amdhsa_next_free_vgpr 1
		.amdhsa_next_free_sgpr 1
		.amdhsa_reserve_vcc 0
		.amdhsa_float_round_mode_32 0
		.amdhsa_float_round_mode_16_64 0
		.amdhsa_float_denorm_mode_32 3
		.amdhsa_float_denorm_mode_16_64 3
		.amdhsa_dx10_clamp 1
		.amdhsa_ieee_mode 1
		.amdhsa_fp16_overflow 0
		.amdhsa_workgroup_processor_mode 1
		.amdhsa_memory_ordered 1
		.amdhsa_forward_progress 0
		.amdhsa_shared_vgpr_count 0
		.amdhsa_exception_fp_ieee_invalid_op 0
		.amdhsa_exception_fp_denorm_src 0
		.amdhsa_exception_fp_ieee_div_zero 0
		.amdhsa_exception_fp_ieee_overflow 0
		.amdhsa_exception_fp_ieee_underflow 0
		.amdhsa_exception_fp_ieee_inexact 0
		.amdhsa_exception_int_div_zero 0
	.end_amdhsa_kernel
	.section	.text._ZN7rocprim17ROCPRIM_400000_NS6detail17trampoline_kernelINS0_14default_configENS1_25partition_config_selectorILNS1_17partition_subalgoE6EjNS0_10empty_typeEbEEZZNS1_14partition_implILS5_6ELb0ES3_mN6thrust23THRUST_200600_302600_NS6detail15normal_iteratorINSA_10device_ptrIjEEEEPS6_SG_NS0_5tupleIJSF_S6_EEENSH_IJSG_SG_EEES6_PlJ5mod_3IjEEEE10hipError_tPvRmT3_T4_T5_T6_T7_T9_mT8_P12ihipStream_tbDpT10_ENKUlT_T0_E_clISt17integral_constantIbLb1EES16_EEDaS11_S12_EUlS11_E_NS1_11comp_targetILNS1_3genE4ELNS1_11target_archE910ELNS1_3gpuE8ELNS1_3repE0EEENS1_30default_config_static_selectorELNS0_4arch9wavefront6targetE0EEEvT1_,"axG",@progbits,_ZN7rocprim17ROCPRIM_400000_NS6detail17trampoline_kernelINS0_14default_configENS1_25partition_config_selectorILNS1_17partition_subalgoE6EjNS0_10empty_typeEbEEZZNS1_14partition_implILS5_6ELb0ES3_mN6thrust23THRUST_200600_302600_NS6detail15normal_iteratorINSA_10device_ptrIjEEEEPS6_SG_NS0_5tupleIJSF_S6_EEENSH_IJSG_SG_EEES6_PlJ5mod_3IjEEEE10hipError_tPvRmT3_T4_T5_T6_T7_T9_mT8_P12ihipStream_tbDpT10_ENKUlT_T0_E_clISt17integral_constantIbLb1EES16_EEDaS11_S12_EUlS11_E_NS1_11comp_targetILNS1_3genE4ELNS1_11target_archE910ELNS1_3gpuE8ELNS1_3repE0EEENS1_30default_config_static_selectorELNS0_4arch9wavefront6targetE0EEEvT1_,comdat
.Lfunc_end498:
	.size	_ZN7rocprim17ROCPRIM_400000_NS6detail17trampoline_kernelINS0_14default_configENS1_25partition_config_selectorILNS1_17partition_subalgoE6EjNS0_10empty_typeEbEEZZNS1_14partition_implILS5_6ELb0ES3_mN6thrust23THRUST_200600_302600_NS6detail15normal_iteratorINSA_10device_ptrIjEEEEPS6_SG_NS0_5tupleIJSF_S6_EEENSH_IJSG_SG_EEES6_PlJ5mod_3IjEEEE10hipError_tPvRmT3_T4_T5_T6_T7_T9_mT8_P12ihipStream_tbDpT10_ENKUlT_T0_E_clISt17integral_constantIbLb1EES16_EEDaS11_S12_EUlS11_E_NS1_11comp_targetILNS1_3genE4ELNS1_11target_archE910ELNS1_3gpuE8ELNS1_3repE0EEENS1_30default_config_static_selectorELNS0_4arch9wavefront6targetE0EEEvT1_, .Lfunc_end498-_ZN7rocprim17ROCPRIM_400000_NS6detail17trampoline_kernelINS0_14default_configENS1_25partition_config_selectorILNS1_17partition_subalgoE6EjNS0_10empty_typeEbEEZZNS1_14partition_implILS5_6ELb0ES3_mN6thrust23THRUST_200600_302600_NS6detail15normal_iteratorINSA_10device_ptrIjEEEEPS6_SG_NS0_5tupleIJSF_S6_EEENSH_IJSG_SG_EEES6_PlJ5mod_3IjEEEE10hipError_tPvRmT3_T4_T5_T6_T7_T9_mT8_P12ihipStream_tbDpT10_ENKUlT_T0_E_clISt17integral_constantIbLb1EES16_EEDaS11_S12_EUlS11_E_NS1_11comp_targetILNS1_3genE4ELNS1_11target_archE910ELNS1_3gpuE8ELNS1_3repE0EEENS1_30default_config_static_selectorELNS0_4arch9wavefront6targetE0EEEvT1_
                                        ; -- End function
	.section	.AMDGPU.csdata,"",@progbits
; Kernel info:
; codeLenInByte = 0
; NumSgprs: 0
; NumVgprs: 0
; ScratchSize: 0
; MemoryBound: 0
; FloatMode: 240
; IeeeMode: 1
; LDSByteSize: 0 bytes/workgroup (compile time only)
; SGPRBlocks: 0
; VGPRBlocks: 0
; NumSGPRsForWavesPerEU: 1
; NumVGPRsForWavesPerEU: 1
; Occupancy: 16
; WaveLimiterHint : 0
; COMPUTE_PGM_RSRC2:SCRATCH_EN: 0
; COMPUTE_PGM_RSRC2:USER_SGPR: 15
; COMPUTE_PGM_RSRC2:TRAP_HANDLER: 0
; COMPUTE_PGM_RSRC2:TGID_X_EN: 1
; COMPUTE_PGM_RSRC2:TGID_Y_EN: 0
; COMPUTE_PGM_RSRC2:TGID_Z_EN: 0
; COMPUTE_PGM_RSRC2:TIDIG_COMP_CNT: 0
	.section	.text._ZN7rocprim17ROCPRIM_400000_NS6detail17trampoline_kernelINS0_14default_configENS1_25partition_config_selectorILNS1_17partition_subalgoE6EjNS0_10empty_typeEbEEZZNS1_14partition_implILS5_6ELb0ES3_mN6thrust23THRUST_200600_302600_NS6detail15normal_iteratorINSA_10device_ptrIjEEEEPS6_SG_NS0_5tupleIJSF_S6_EEENSH_IJSG_SG_EEES6_PlJ5mod_3IjEEEE10hipError_tPvRmT3_T4_T5_T6_T7_T9_mT8_P12ihipStream_tbDpT10_ENKUlT_T0_E_clISt17integral_constantIbLb1EES16_EEDaS11_S12_EUlS11_E_NS1_11comp_targetILNS1_3genE3ELNS1_11target_archE908ELNS1_3gpuE7ELNS1_3repE0EEENS1_30default_config_static_selectorELNS0_4arch9wavefront6targetE0EEEvT1_,"axG",@progbits,_ZN7rocprim17ROCPRIM_400000_NS6detail17trampoline_kernelINS0_14default_configENS1_25partition_config_selectorILNS1_17partition_subalgoE6EjNS0_10empty_typeEbEEZZNS1_14partition_implILS5_6ELb0ES3_mN6thrust23THRUST_200600_302600_NS6detail15normal_iteratorINSA_10device_ptrIjEEEEPS6_SG_NS0_5tupleIJSF_S6_EEENSH_IJSG_SG_EEES6_PlJ5mod_3IjEEEE10hipError_tPvRmT3_T4_T5_T6_T7_T9_mT8_P12ihipStream_tbDpT10_ENKUlT_T0_E_clISt17integral_constantIbLb1EES16_EEDaS11_S12_EUlS11_E_NS1_11comp_targetILNS1_3genE3ELNS1_11target_archE908ELNS1_3gpuE7ELNS1_3repE0EEENS1_30default_config_static_selectorELNS0_4arch9wavefront6targetE0EEEvT1_,comdat
	.protected	_ZN7rocprim17ROCPRIM_400000_NS6detail17trampoline_kernelINS0_14default_configENS1_25partition_config_selectorILNS1_17partition_subalgoE6EjNS0_10empty_typeEbEEZZNS1_14partition_implILS5_6ELb0ES3_mN6thrust23THRUST_200600_302600_NS6detail15normal_iteratorINSA_10device_ptrIjEEEEPS6_SG_NS0_5tupleIJSF_S6_EEENSH_IJSG_SG_EEES6_PlJ5mod_3IjEEEE10hipError_tPvRmT3_T4_T5_T6_T7_T9_mT8_P12ihipStream_tbDpT10_ENKUlT_T0_E_clISt17integral_constantIbLb1EES16_EEDaS11_S12_EUlS11_E_NS1_11comp_targetILNS1_3genE3ELNS1_11target_archE908ELNS1_3gpuE7ELNS1_3repE0EEENS1_30default_config_static_selectorELNS0_4arch9wavefront6targetE0EEEvT1_ ; -- Begin function _ZN7rocprim17ROCPRIM_400000_NS6detail17trampoline_kernelINS0_14default_configENS1_25partition_config_selectorILNS1_17partition_subalgoE6EjNS0_10empty_typeEbEEZZNS1_14partition_implILS5_6ELb0ES3_mN6thrust23THRUST_200600_302600_NS6detail15normal_iteratorINSA_10device_ptrIjEEEEPS6_SG_NS0_5tupleIJSF_S6_EEENSH_IJSG_SG_EEES6_PlJ5mod_3IjEEEE10hipError_tPvRmT3_T4_T5_T6_T7_T9_mT8_P12ihipStream_tbDpT10_ENKUlT_T0_E_clISt17integral_constantIbLb1EES16_EEDaS11_S12_EUlS11_E_NS1_11comp_targetILNS1_3genE3ELNS1_11target_archE908ELNS1_3gpuE7ELNS1_3repE0EEENS1_30default_config_static_selectorELNS0_4arch9wavefront6targetE0EEEvT1_
	.globl	_ZN7rocprim17ROCPRIM_400000_NS6detail17trampoline_kernelINS0_14default_configENS1_25partition_config_selectorILNS1_17partition_subalgoE6EjNS0_10empty_typeEbEEZZNS1_14partition_implILS5_6ELb0ES3_mN6thrust23THRUST_200600_302600_NS6detail15normal_iteratorINSA_10device_ptrIjEEEEPS6_SG_NS0_5tupleIJSF_S6_EEENSH_IJSG_SG_EEES6_PlJ5mod_3IjEEEE10hipError_tPvRmT3_T4_T5_T6_T7_T9_mT8_P12ihipStream_tbDpT10_ENKUlT_T0_E_clISt17integral_constantIbLb1EES16_EEDaS11_S12_EUlS11_E_NS1_11comp_targetILNS1_3genE3ELNS1_11target_archE908ELNS1_3gpuE7ELNS1_3repE0EEENS1_30default_config_static_selectorELNS0_4arch9wavefront6targetE0EEEvT1_
	.p2align	8
	.type	_ZN7rocprim17ROCPRIM_400000_NS6detail17trampoline_kernelINS0_14default_configENS1_25partition_config_selectorILNS1_17partition_subalgoE6EjNS0_10empty_typeEbEEZZNS1_14partition_implILS5_6ELb0ES3_mN6thrust23THRUST_200600_302600_NS6detail15normal_iteratorINSA_10device_ptrIjEEEEPS6_SG_NS0_5tupleIJSF_S6_EEENSH_IJSG_SG_EEES6_PlJ5mod_3IjEEEE10hipError_tPvRmT3_T4_T5_T6_T7_T9_mT8_P12ihipStream_tbDpT10_ENKUlT_T0_E_clISt17integral_constantIbLb1EES16_EEDaS11_S12_EUlS11_E_NS1_11comp_targetILNS1_3genE3ELNS1_11target_archE908ELNS1_3gpuE7ELNS1_3repE0EEENS1_30default_config_static_selectorELNS0_4arch9wavefront6targetE0EEEvT1_,@function
_ZN7rocprim17ROCPRIM_400000_NS6detail17trampoline_kernelINS0_14default_configENS1_25partition_config_selectorILNS1_17partition_subalgoE6EjNS0_10empty_typeEbEEZZNS1_14partition_implILS5_6ELb0ES3_mN6thrust23THRUST_200600_302600_NS6detail15normal_iteratorINSA_10device_ptrIjEEEEPS6_SG_NS0_5tupleIJSF_S6_EEENSH_IJSG_SG_EEES6_PlJ5mod_3IjEEEE10hipError_tPvRmT3_T4_T5_T6_T7_T9_mT8_P12ihipStream_tbDpT10_ENKUlT_T0_E_clISt17integral_constantIbLb1EES16_EEDaS11_S12_EUlS11_E_NS1_11comp_targetILNS1_3genE3ELNS1_11target_archE908ELNS1_3gpuE7ELNS1_3repE0EEENS1_30default_config_static_selectorELNS0_4arch9wavefront6targetE0EEEvT1_: ; @_ZN7rocprim17ROCPRIM_400000_NS6detail17trampoline_kernelINS0_14default_configENS1_25partition_config_selectorILNS1_17partition_subalgoE6EjNS0_10empty_typeEbEEZZNS1_14partition_implILS5_6ELb0ES3_mN6thrust23THRUST_200600_302600_NS6detail15normal_iteratorINSA_10device_ptrIjEEEEPS6_SG_NS0_5tupleIJSF_S6_EEENSH_IJSG_SG_EEES6_PlJ5mod_3IjEEEE10hipError_tPvRmT3_T4_T5_T6_T7_T9_mT8_P12ihipStream_tbDpT10_ENKUlT_T0_E_clISt17integral_constantIbLb1EES16_EEDaS11_S12_EUlS11_E_NS1_11comp_targetILNS1_3genE3ELNS1_11target_archE908ELNS1_3gpuE7ELNS1_3repE0EEENS1_30default_config_static_selectorELNS0_4arch9wavefront6targetE0EEEvT1_
; %bb.0:
	.section	.rodata,"a",@progbits
	.p2align	6, 0x0
	.amdhsa_kernel _ZN7rocprim17ROCPRIM_400000_NS6detail17trampoline_kernelINS0_14default_configENS1_25partition_config_selectorILNS1_17partition_subalgoE6EjNS0_10empty_typeEbEEZZNS1_14partition_implILS5_6ELb0ES3_mN6thrust23THRUST_200600_302600_NS6detail15normal_iteratorINSA_10device_ptrIjEEEEPS6_SG_NS0_5tupleIJSF_S6_EEENSH_IJSG_SG_EEES6_PlJ5mod_3IjEEEE10hipError_tPvRmT3_T4_T5_T6_T7_T9_mT8_P12ihipStream_tbDpT10_ENKUlT_T0_E_clISt17integral_constantIbLb1EES16_EEDaS11_S12_EUlS11_E_NS1_11comp_targetILNS1_3genE3ELNS1_11target_archE908ELNS1_3gpuE7ELNS1_3repE0EEENS1_30default_config_static_selectorELNS0_4arch9wavefront6targetE0EEEvT1_
		.amdhsa_group_segment_fixed_size 0
		.amdhsa_private_segment_fixed_size 0
		.amdhsa_kernarg_size 128
		.amdhsa_user_sgpr_count 15
		.amdhsa_user_sgpr_dispatch_ptr 0
		.amdhsa_user_sgpr_queue_ptr 0
		.amdhsa_user_sgpr_kernarg_segment_ptr 1
		.amdhsa_user_sgpr_dispatch_id 0
		.amdhsa_user_sgpr_private_segment_size 0
		.amdhsa_wavefront_size32 1
		.amdhsa_uses_dynamic_stack 0
		.amdhsa_enable_private_segment 0
		.amdhsa_system_sgpr_workgroup_id_x 1
		.amdhsa_system_sgpr_workgroup_id_y 0
		.amdhsa_system_sgpr_workgroup_id_z 0
		.amdhsa_system_sgpr_workgroup_info 0
		.amdhsa_system_vgpr_workitem_id 0
		.amdhsa_next_free_vgpr 1
		.amdhsa_next_free_sgpr 1
		.amdhsa_reserve_vcc 0
		.amdhsa_float_round_mode_32 0
		.amdhsa_float_round_mode_16_64 0
		.amdhsa_float_denorm_mode_32 3
		.amdhsa_float_denorm_mode_16_64 3
		.amdhsa_dx10_clamp 1
		.amdhsa_ieee_mode 1
		.amdhsa_fp16_overflow 0
		.amdhsa_workgroup_processor_mode 1
		.amdhsa_memory_ordered 1
		.amdhsa_forward_progress 0
		.amdhsa_shared_vgpr_count 0
		.amdhsa_exception_fp_ieee_invalid_op 0
		.amdhsa_exception_fp_denorm_src 0
		.amdhsa_exception_fp_ieee_div_zero 0
		.amdhsa_exception_fp_ieee_overflow 0
		.amdhsa_exception_fp_ieee_underflow 0
		.amdhsa_exception_fp_ieee_inexact 0
		.amdhsa_exception_int_div_zero 0
	.end_amdhsa_kernel
	.section	.text._ZN7rocprim17ROCPRIM_400000_NS6detail17trampoline_kernelINS0_14default_configENS1_25partition_config_selectorILNS1_17partition_subalgoE6EjNS0_10empty_typeEbEEZZNS1_14partition_implILS5_6ELb0ES3_mN6thrust23THRUST_200600_302600_NS6detail15normal_iteratorINSA_10device_ptrIjEEEEPS6_SG_NS0_5tupleIJSF_S6_EEENSH_IJSG_SG_EEES6_PlJ5mod_3IjEEEE10hipError_tPvRmT3_T4_T5_T6_T7_T9_mT8_P12ihipStream_tbDpT10_ENKUlT_T0_E_clISt17integral_constantIbLb1EES16_EEDaS11_S12_EUlS11_E_NS1_11comp_targetILNS1_3genE3ELNS1_11target_archE908ELNS1_3gpuE7ELNS1_3repE0EEENS1_30default_config_static_selectorELNS0_4arch9wavefront6targetE0EEEvT1_,"axG",@progbits,_ZN7rocprim17ROCPRIM_400000_NS6detail17trampoline_kernelINS0_14default_configENS1_25partition_config_selectorILNS1_17partition_subalgoE6EjNS0_10empty_typeEbEEZZNS1_14partition_implILS5_6ELb0ES3_mN6thrust23THRUST_200600_302600_NS6detail15normal_iteratorINSA_10device_ptrIjEEEEPS6_SG_NS0_5tupleIJSF_S6_EEENSH_IJSG_SG_EEES6_PlJ5mod_3IjEEEE10hipError_tPvRmT3_T4_T5_T6_T7_T9_mT8_P12ihipStream_tbDpT10_ENKUlT_T0_E_clISt17integral_constantIbLb1EES16_EEDaS11_S12_EUlS11_E_NS1_11comp_targetILNS1_3genE3ELNS1_11target_archE908ELNS1_3gpuE7ELNS1_3repE0EEENS1_30default_config_static_selectorELNS0_4arch9wavefront6targetE0EEEvT1_,comdat
.Lfunc_end499:
	.size	_ZN7rocprim17ROCPRIM_400000_NS6detail17trampoline_kernelINS0_14default_configENS1_25partition_config_selectorILNS1_17partition_subalgoE6EjNS0_10empty_typeEbEEZZNS1_14partition_implILS5_6ELb0ES3_mN6thrust23THRUST_200600_302600_NS6detail15normal_iteratorINSA_10device_ptrIjEEEEPS6_SG_NS0_5tupleIJSF_S6_EEENSH_IJSG_SG_EEES6_PlJ5mod_3IjEEEE10hipError_tPvRmT3_T4_T5_T6_T7_T9_mT8_P12ihipStream_tbDpT10_ENKUlT_T0_E_clISt17integral_constantIbLb1EES16_EEDaS11_S12_EUlS11_E_NS1_11comp_targetILNS1_3genE3ELNS1_11target_archE908ELNS1_3gpuE7ELNS1_3repE0EEENS1_30default_config_static_selectorELNS0_4arch9wavefront6targetE0EEEvT1_, .Lfunc_end499-_ZN7rocprim17ROCPRIM_400000_NS6detail17trampoline_kernelINS0_14default_configENS1_25partition_config_selectorILNS1_17partition_subalgoE6EjNS0_10empty_typeEbEEZZNS1_14partition_implILS5_6ELb0ES3_mN6thrust23THRUST_200600_302600_NS6detail15normal_iteratorINSA_10device_ptrIjEEEEPS6_SG_NS0_5tupleIJSF_S6_EEENSH_IJSG_SG_EEES6_PlJ5mod_3IjEEEE10hipError_tPvRmT3_T4_T5_T6_T7_T9_mT8_P12ihipStream_tbDpT10_ENKUlT_T0_E_clISt17integral_constantIbLb1EES16_EEDaS11_S12_EUlS11_E_NS1_11comp_targetILNS1_3genE3ELNS1_11target_archE908ELNS1_3gpuE7ELNS1_3repE0EEENS1_30default_config_static_selectorELNS0_4arch9wavefront6targetE0EEEvT1_
                                        ; -- End function
	.section	.AMDGPU.csdata,"",@progbits
; Kernel info:
; codeLenInByte = 0
; NumSgprs: 0
; NumVgprs: 0
; ScratchSize: 0
; MemoryBound: 0
; FloatMode: 240
; IeeeMode: 1
; LDSByteSize: 0 bytes/workgroup (compile time only)
; SGPRBlocks: 0
; VGPRBlocks: 0
; NumSGPRsForWavesPerEU: 1
; NumVGPRsForWavesPerEU: 1
; Occupancy: 16
; WaveLimiterHint : 0
; COMPUTE_PGM_RSRC2:SCRATCH_EN: 0
; COMPUTE_PGM_RSRC2:USER_SGPR: 15
; COMPUTE_PGM_RSRC2:TRAP_HANDLER: 0
; COMPUTE_PGM_RSRC2:TGID_X_EN: 1
; COMPUTE_PGM_RSRC2:TGID_Y_EN: 0
; COMPUTE_PGM_RSRC2:TGID_Z_EN: 0
; COMPUTE_PGM_RSRC2:TIDIG_COMP_CNT: 0
	.section	.text._ZN7rocprim17ROCPRIM_400000_NS6detail17trampoline_kernelINS0_14default_configENS1_25partition_config_selectorILNS1_17partition_subalgoE6EjNS0_10empty_typeEbEEZZNS1_14partition_implILS5_6ELb0ES3_mN6thrust23THRUST_200600_302600_NS6detail15normal_iteratorINSA_10device_ptrIjEEEEPS6_SG_NS0_5tupleIJSF_S6_EEENSH_IJSG_SG_EEES6_PlJ5mod_3IjEEEE10hipError_tPvRmT3_T4_T5_T6_T7_T9_mT8_P12ihipStream_tbDpT10_ENKUlT_T0_E_clISt17integral_constantIbLb1EES16_EEDaS11_S12_EUlS11_E_NS1_11comp_targetILNS1_3genE2ELNS1_11target_archE906ELNS1_3gpuE6ELNS1_3repE0EEENS1_30default_config_static_selectorELNS0_4arch9wavefront6targetE0EEEvT1_,"axG",@progbits,_ZN7rocprim17ROCPRIM_400000_NS6detail17trampoline_kernelINS0_14default_configENS1_25partition_config_selectorILNS1_17partition_subalgoE6EjNS0_10empty_typeEbEEZZNS1_14partition_implILS5_6ELb0ES3_mN6thrust23THRUST_200600_302600_NS6detail15normal_iteratorINSA_10device_ptrIjEEEEPS6_SG_NS0_5tupleIJSF_S6_EEENSH_IJSG_SG_EEES6_PlJ5mod_3IjEEEE10hipError_tPvRmT3_T4_T5_T6_T7_T9_mT8_P12ihipStream_tbDpT10_ENKUlT_T0_E_clISt17integral_constantIbLb1EES16_EEDaS11_S12_EUlS11_E_NS1_11comp_targetILNS1_3genE2ELNS1_11target_archE906ELNS1_3gpuE6ELNS1_3repE0EEENS1_30default_config_static_selectorELNS0_4arch9wavefront6targetE0EEEvT1_,comdat
	.protected	_ZN7rocprim17ROCPRIM_400000_NS6detail17trampoline_kernelINS0_14default_configENS1_25partition_config_selectorILNS1_17partition_subalgoE6EjNS0_10empty_typeEbEEZZNS1_14partition_implILS5_6ELb0ES3_mN6thrust23THRUST_200600_302600_NS6detail15normal_iteratorINSA_10device_ptrIjEEEEPS6_SG_NS0_5tupleIJSF_S6_EEENSH_IJSG_SG_EEES6_PlJ5mod_3IjEEEE10hipError_tPvRmT3_T4_T5_T6_T7_T9_mT8_P12ihipStream_tbDpT10_ENKUlT_T0_E_clISt17integral_constantIbLb1EES16_EEDaS11_S12_EUlS11_E_NS1_11comp_targetILNS1_3genE2ELNS1_11target_archE906ELNS1_3gpuE6ELNS1_3repE0EEENS1_30default_config_static_selectorELNS0_4arch9wavefront6targetE0EEEvT1_ ; -- Begin function _ZN7rocprim17ROCPRIM_400000_NS6detail17trampoline_kernelINS0_14default_configENS1_25partition_config_selectorILNS1_17partition_subalgoE6EjNS0_10empty_typeEbEEZZNS1_14partition_implILS5_6ELb0ES3_mN6thrust23THRUST_200600_302600_NS6detail15normal_iteratorINSA_10device_ptrIjEEEEPS6_SG_NS0_5tupleIJSF_S6_EEENSH_IJSG_SG_EEES6_PlJ5mod_3IjEEEE10hipError_tPvRmT3_T4_T5_T6_T7_T9_mT8_P12ihipStream_tbDpT10_ENKUlT_T0_E_clISt17integral_constantIbLb1EES16_EEDaS11_S12_EUlS11_E_NS1_11comp_targetILNS1_3genE2ELNS1_11target_archE906ELNS1_3gpuE6ELNS1_3repE0EEENS1_30default_config_static_selectorELNS0_4arch9wavefront6targetE0EEEvT1_
	.globl	_ZN7rocprim17ROCPRIM_400000_NS6detail17trampoline_kernelINS0_14default_configENS1_25partition_config_selectorILNS1_17partition_subalgoE6EjNS0_10empty_typeEbEEZZNS1_14partition_implILS5_6ELb0ES3_mN6thrust23THRUST_200600_302600_NS6detail15normal_iteratorINSA_10device_ptrIjEEEEPS6_SG_NS0_5tupleIJSF_S6_EEENSH_IJSG_SG_EEES6_PlJ5mod_3IjEEEE10hipError_tPvRmT3_T4_T5_T6_T7_T9_mT8_P12ihipStream_tbDpT10_ENKUlT_T0_E_clISt17integral_constantIbLb1EES16_EEDaS11_S12_EUlS11_E_NS1_11comp_targetILNS1_3genE2ELNS1_11target_archE906ELNS1_3gpuE6ELNS1_3repE0EEENS1_30default_config_static_selectorELNS0_4arch9wavefront6targetE0EEEvT1_
	.p2align	8
	.type	_ZN7rocprim17ROCPRIM_400000_NS6detail17trampoline_kernelINS0_14default_configENS1_25partition_config_selectorILNS1_17partition_subalgoE6EjNS0_10empty_typeEbEEZZNS1_14partition_implILS5_6ELb0ES3_mN6thrust23THRUST_200600_302600_NS6detail15normal_iteratorINSA_10device_ptrIjEEEEPS6_SG_NS0_5tupleIJSF_S6_EEENSH_IJSG_SG_EEES6_PlJ5mod_3IjEEEE10hipError_tPvRmT3_T4_T5_T6_T7_T9_mT8_P12ihipStream_tbDpT10_ENKUlT_T0_E_clISt17integral_constantIbLb1EES16_EEDaS11_S12_EUlS11_E_NS1_11comp_targetILNS1_3genE2ELNS1_11target_archE906ELNS1_3gpuE6ELNS1_3repE0EEENS1_30default_config_static_selectorELNS0_4arch9wavefront6targetE0EEEvT1_,@function
_ZN7rocprim17ROCPRIM_400000_NS6detail17trampoline_kernelINS0_14default_configENS1_25partition_config_selectorILNS1_17partition_subalgoE6EjNS0_10empty_typeEbEEZZNS1_14partition_implILS5_6ELb0ES3_mN6thrust23THRUST_200600_302600_NS6detail15normal_iteratorINSA_10device_ptrIjEEEEPS6_SG_NS0_5tupleIJSF_S6_EEENSH_IJSG_SG_EEES6_PlJ5mod_3IjEEEE10hipError_tPvRmT3_T4_T5_T6_T7_T9_mT8_P12ihipStream_tbDpT10_ENKUlT_T0_E_clISt17integral_constantIbLb1EES16_EEDaS11_S12_EUlS11_E_NS1_11comp_targetILNS1_3genE2ELNS1_11target_archE906ELNS1_3gpuE6ELNS1_3repE0EEENS1_30default_config_static_selectorELNS0_4arch9wavefront6targetE0EEEvT1_: ; @_ZN7rocprim17ROCPRIM_400000_NS6detail17trampoline_kernelINS0_14default_configENS1_25partition_config_selectorILNS1_17partition_subalgoE6EjNS0_10empty_typeEbEEZZNS1_14partition_implILS5_6ELb0ES3_mN6thrust23THRUST_200600_302600_NS6detail15normal_iteratorINSA_10device_ptrIjEEEEPS6_SG_NS0_5tupleIJSF_S6_EEENSH_IJSG_SG_EEES6_PlJ5mod_3IjEEEE10hipError_tPvRmT3_T4_T5_T6_T7_T9_mT8_P12ihipStream_tbDpT10_ENKUlT_T0_E_clISt17integral_constantIbLb1EES16_EEDaS11_S12_EUlS11_E_NS1_11comp_targetILNS1_3genE2ELNS1_11target_archE906ELNS1_3gpuE6ELNS1_3repE0EEENS1_30default_config_static_selectorELNS0_4arch9wavefront6targetE0EEEvT1_
; %bb.0:
	.section	.rodata,"a",@progbits
	.p2align	6, 0x0
	.amdhsa_kernel _ZN7rocprim17ROCPRIM_400000_NS6detail17trampoline_kernelINS0_14default_configENS1_25partition_config_selectorILNS1_17partition_subalgoE6EjNS0_10empty_typeEbEEZZNS1_14partition_implILS5_6ELb0ES3_mN6thrust23THRUST_200600_302600_NS6detail15normal_iteratorINSA_10device_ptrIjEEEEPS6_SG_NS0_5tupleIJSF_S6_EEENSH_IJSG_SG_EEES6_PlJ5mod_3IjEEEE10hipError_tPvRmT3_T4_T5_T6_T7_T9_mT8_P12ihipStream_tbDpT10_ENKUlT_T0_E_clISt17integral_constantIbLb1EES16_EEDaS11_S12_EUlS11_E_NS1_11comp_targetILNS1_3genE2ELNS1_11target_archE906ELNS1_3gpuE6ELNS1_3repE0EEENS1_30default_config_static_selectorELNS0_4arch9wavefront6targetE0EEEvT1_
		.amdhsa_group_segment_fixed_size 0
		.amdhsa_private_segment_fixed_size 0
		.amdhsa_kernarg_size 128
		.amdhsa_user_sgpr_count 15
		.amdhsa_user_sgpr_dispatch_ptr 0
		.amdhsa_user_sgpr_queue_ptr 0
		.amdhsa_user_sgpr_kernarg_segment_ptr 1
		.amdhsa_user_sgpr_dispatch_id 0
		.amdhsa_user_sgpr_private_segment_size 0
		.amdhsa_wavefront_size32 1
		.amdhsa_uses_dynamic_stack 0
		.amdhsa_enable_private_segment 0
		.amdhsa_system_sgpr_workgroup_id_x 1
		.amdhsa_system_sgpr_workgroup_id_y 0
		.amdhsa_system_sgpr_workgroup_id_z 0
		.amdhsa_system_sgpr_workgroup_info 0
		.amdhsa_system_vgpr_workitem_id 0
		.amdhsa_next_free_vgpr 1
		.amdhsa_next_free_sgpr 1
		.amdhsa_reserve_vcc 0
		.amdhsa_float_round_mode_32 0
		.amdhsa_float_round_mode_16_64 0
		.amdhsa_float_denorm_mode_32 3
		.amdhsa_float_denorm_mode_16_64 3
		.amdhsa_dx10_clamp 1
		.amdhsa_ieee_mode 1
		.amdhsa_fp16_overflow 0
		.amdhsa_workgroup_processor_mode 1
		.amdhsa_memory_ordered 1
		.amdhsa_forward_progress 0
		.amdhsa_shared_vgpr_count 0
		.amdhsa_exception_fp_ieee_invalid_op 0
		.amdhsa_exception_fp_denorm_src 0
		.amdhsa_exception_fp_ieee_div_zero 0
		.amdhsa_exception_fp_ieee_overflow 0
		.amdhsa_exception_fp_ieee_underflow 0
		.amdhsa_exception_fp_ieee_inexact 0
		.amdhsa_exception_int_div_zero 0
	.end_amdhsa_kernel
	.section	.text._ZN7rocprim17ROCPRIM_400000_NS6detail17trampoline_kernelINS0_14default_configENS1_25partition_config_selectorILNS1_17partition_subalgoE6EjNS0_10empty_typeEbEEZZNS1_14partition_implILS5_6ELb0ES3_mN6thrust23THRUST_200600_302600_NS6detail15normal_iteratorINSA_10device_ptrIjEEEEPS6_SG_NS0_5tupleIJSF_S6_EEENSH_IJSG_SG_EEES6_PlJ5mod_3IjEEEE10hipError_tPvRmT3_T4_T5_T6_T7_T9_mT8_P12ihipStream_tbDpT10_ENKUlT_T0_E_clISt17integral_constantIbLb1EES16_EEDaS11_S12_EUlS11_E_NS1_11comp_targetILNS1_3genE2ELNS1_11target_archE906ELNS1_3gpuE6ELNS1_3repE0EEENS1_30default_config_static_selectorELNS0_4arch9wavefront6targetE0EEEvT1_,"axG",@progbits,_ZN7rocprim17ROCPRIM_400000_NS6detail17trampoline_kernelINS0_14default_configENS1_25partition_config_selectorILNS1_17partition_subalgoE6EjNS0_10empty_typeEbEEZZNS1_14partition_implILS5_6ELb0ES3_mN6thrust23THRUST_200600_302600_NS6detail15normal_iteratorINSA_10device_ptrIjEEEEPS6_SG_NS0_5tupleIJSF_S6_EEENSH_IJSG_SG_EEES6_PlJ5mod_3IjEEEE10hipError_tPvRmT3_T4_T5_T6_T7_T9_mT8_P12ihipStream_tbDpT10_ENKUlT_T0_E_clISt17integral_constantIbLb1EES16_EEDaS11_S12_EUlS11_E_NS1_11comp_targetILNS1_3genE2ELNS1_11target_archE906ELNS1_3gpuE6ELNS1_3repE0EEENS1_30default_config_static_selectorELNS0_4arch9wavefront6targetE0EEEvT1_,comdat
.Lfunc_end500:
	.size	_ZN7rocprim17ROCPRIM_400000_NS6detail17trampoline_kernelINS0_14default_configENS1_25partition_config_selectorILNS1_17partition_subalgoE6EjNS0_10empty_typeEbEEZZNS1_14partition_implILS5_6ELb0ES3_mN6thrust23THRUST_200600_302600_NS6detail15normal_iteratorINSA_10device_ptrIjEEEEPS6_SG_NS0_5tupleIJSF_S6_EEENSH_IJSG_SG_EEES6_PlJ5mod_3IjEEEE10hipError_tPvRmT3_T4_T5_T6_T7_T9_mT8_P12ihipStream_tbDpT10_ENKUlT_T0_E_clISt17integral_constantIbLb1EES16_EEDaS11_S12_EUlS11_E_NS1_11comp_targetILNS1_3genE2ELNS1_11target_archE906ELNS1_3gpuE6ELNS1_3repE0EEENS1_30default_config_static_selectorELNS0_4arch9wavefront6targetE0EEEvT1_, .Lfunc_end500-_ZN7rocprim17ROCPRIM_400000_NS6detail17trampoline_kernelINS0_14default_configENS1_25partition_config_selectorILNS1_17partition_subalgoE6EjNS0_10empty_typeEbEEZZNS1_14partition_implILS5_6ELb0ES3_mN6thrust23THRUST_200600_302600_NS6detail15normal_iteratorINSA_10device_ptrIjEEEEPS6_SG_NS0_5tupleIJSF_S6_EEENSH_IJSG_SG_EEES6_PlJ5mod_3IjEEEE10hipError_tPvRmT3_T4_T5_T6_T7_T9_mT8_P12ihipStream_tbDpT10_ENKUlT_T0_E_clISt17integral_constantIbLb1EES16_EEDaS11_S12_EUlS11_E_NS1_11comp_targetILNS1_3genE2ELNS1_11target_archE906ELNS1_3gpuE6ELNS1_3repE0EEENS1_30default_config_static_selectorELNS0_4arch9wavefront6targetE0EEEvT1_
                                        ; -- End function
	.section	.AMDGPU.csdata,"",@progbits
; Kernel info:
; codeLenInByte = 0
; NumSgprs: 0
; NumVgprs: 0
; ScratchSize: 0
; MemoryBound: 0
; FloatMode: 240
; IeeeMode: 1
; LDSByteSize: 0 bytes/workgroup (compile time only)
; SGPRBlocks: 0
; VGPRBlocks: 0
; NumSGPRsForWavesPerEU: 1
; NumVGPRsForWavesPerEU: 1
; Occupancy: 15
; WaveLimiterHint : 0
; COMPUTE_PGM_RSRC2:SCRATCH_EN: 0
; COMPUTE_PGM_RSRC2:USER_SGPR: 15
; COMPUTE_PGM_RSRC2:TRAP_HANDLER: 0
; COMPUTE_PGM_RSRC2:TGID_X_EN: 1
; COMPUTE_PGM_RSRC2:TGID_Y_EN: 0
; COMPUTE_PGM_RSRC2:TGID_Z_EN: 0
; COMPUTE_PGM_RSRC2:TIDIG_COMP_CNT: 0
	.section	.text._ZN7rocprim17ROCPRIM_400000_NS6detail17trampoline_kernelINS0_14default_configENS1_25partition_config_selectorILNS1_17partition_subalgoE6EjNS0_10empty_typeEbEEZZNS1_14partition_implILS5_6ELb0ES3_mN6thrust23THRUST_200600_302600_NS6detail15normal_iteratorINSA_10device_ptrIjEEEEPS6_SG_NS0_5tupleIJSF_S6_EEENSH_IJSG_SG_EEES6_PlJ5mod_3IjEEEE10hipError_tPvRmT3_T4_T5_T6_T7_T9_mT8_P12ihipStream_tbDpT10_ENKUlT_T0_E_clISt17integral_constantIbLb1EES16_EEDaS11_S12_EUlS11_E_NS1_11comp_targetILNS1_3genE10ELNS1_11target_archE1200ELNS1_3gpuE4ELNS1_3repE0EEENS1_30default_config_static_selectorELNS0_4arch9wavefront6targetE0EEEvT1_,"axG",@progbits,_ZN7rocprim17ROCPRIM_400000_NS6detail17trampoline_kernelINS0_14default_configENS1_25partition_config_selectorILNS1_17partition_subalgoE6EjNS0_10empty_typeEbEEZZNS1_14partition_implILS5_6ELb0ES3_mN6thrust23THRUST_200600_302600_NS6detail15normal_iteratorINSA_10device_ptrIjEEEEPS6_SG_NS0_5tupleIJSF_S6_EEENSH_IJSG_SG_EEES6_PlJ5mod_3IjEEEE10hipError_tPvRmT3_T4_T5_T6_T7_T9_mT8_P12ihipStream_tbDpT10_ENKUlT_T0_E_clISt17integral_constantIbLb1EES16_EEDaS11_S12_EUlS11_E_NS1_11comp_targetILNS1_3genE10ELNS1_11target_archE1200ELNS1_3gpuE4ELNS1_3repE0EEENS1_30default_config_static_selectorELNS0_4arch9wavefront6targetE0EEEvT1_,comdat
	.protected	_ZN7rocprim17ROCPRIM_400000_NS6detail17trampoline_kernelINS0_14default_configENS1_25partition_config_selectorILNS1_17partition_subalgoE6EjNS0_10empty_typeEbEEZZNS1_14partition_implILS5_6ELb0ES3_mN6thrust23THRUST_200600_302600_NS6detail15normal_iteratorINSA_10device_ptrIjEEEEPS6_SG_NS0_5tupleIJSF_S6_EEENSH_IJSG_SG_EEES6_PlJ5mod_3IjEEEE10hipError_tPvRmT3_T4_T5_T6_T7_T9_mT8_P12ihipStream_tbDpT10_ENKUlT_T0_E_clISt17integral_constantIbLb1EES16_EEDaS11_S12_EUlS11_E_NS1_11comp_targetILNS1_3genE10ELNS1_11target_archE1200ELNS1_3gpuE4ELNS1_3repE0EEENS1_30default_config_static_selectorELNS0_4arch9wavefront6targetE0EEEvT1_ ; -- Begin function _ZN7rocprim17ROCPRIM_400000_NS6detail17trampoline_kernelINS0_14default_configENS1_25partition_config_selectorILNS1_17partition_subalgoE6EjNS0_10empty_typeEbEEZZNS1_14partition_implILS5_6ELb0ES3_mN6thrust23THRUST_200600_302600_NS6detail15normal_iteratorINSA_10device_ptrIjEEEEPS6_SG_NS0_5tupleIJSF_S6_EEENSH_IJSG_SG_EEES6_PlJ5mod_3IjEEEE10hipError_tPvRmT3_T4_T5_T6_T7_T9_mT8_P12ihipStream_tbDpT10_ENKUlT_T0_E_clISt17integral_constantIbLb1EES16_EEDaS11_S12_EUlS11_E_NS1_11comp_targetILNS1_3genE10ELNS1_11target_archE1200ELNS1_3gpuE4ELNS1_3repE0EEENS1_30default_config_static_selectorELNS0_4arch9wavefront6targetE0EEEvT1_
	.globl	_ZN7rocprim17ROCPRIM_400000_NS6detail17trampoline_kernelINS0_14default_configENS1_25partition_config_selectorILNS1_17partition_subalgoE6EjNS0_10empty_typeEbEEZZNS1_14partition_implILS5_6ELb0ES3_mN6thrust23THRUST_200600_302600_NS6detail15normal_iteratorINSA_10device_ptrIjEEEEPS6_SG_NS0_5tupleIJSF_S6_EEENSH_IJSG_SG_EEES6_PlJ5mod_3IjEEEE10hipError_tPvRmT3_T4_T5_T6_T7_T9_mT8_P12ihipStream_tbDpT10_ENKUlT_T0_E_clISt17integral_constantIbLb1EES16_EEDaS11_S12_EUlS11_E_NS1_11comp_targetILNS1_3genE10ELNS1_11target_archE1200ELNS1_3gpuE4ELNS1_3repE0EEENS1_30default_config_static_selectorELNS0_4arch9wavefront6targetE0EEEvT1_
	.p2align	8
	.type	_ZN7rocprim17ROCPRIM_400000_NS6detail17trampoline_kernelINS0_14default_configENS1_25partition_config_selectorILNS1_17partition_subalgoE6EjNS0_10empty_typeEbEEZZNS1_14partition_implILS5_6ELb0ES3_mN6thrust23THRUST_200600_302600_NS6detail15normal_iteratorINSA_10device_ptrIjEEEEPS6_SG_NS0_5tupleIJSF_S6_EEENSH_IJSG_SG_EEES6_PlJ5mod_3IjEEEE10hipError_tPvRmT3_T4_T5_T6_T7_T9_mT8_P12ihipStream_tbDpT10_ENKUlT_T0_E_clISt17integral_constantIbLb1EES16_EEDaS11_S12_EUlS11_E_NS1_11comp_targetILNS1_3genE10ELNS1_11target_archE1200ELNS1_3gpuE4ELNS1_3repE0EEENS1_30default_config_static_selectorELNS0_4arch9wavefront6targetE0EEEvT1_,@function
_ZN7rocprim17ROCPRIM_400000_NS6detail17trampoline_kernelINS0_14default_configENS1_25partition_config_selectorILNS1_17partition_subalgoE6EjNS0_10empty_typeEbEEZZNS1_14partition_implILS5_6ELb0ES3_mN6thrust23THRUST_200600_302600_NS6detail15normal_iteratorINSA_10device_ptrIjEEEEPS6_SG_NS0_5tupleIJSF_S6_EEENSH_IJSG_SG_EEES6_PlJ5mod_3IjEEEE10hipError_tPvRmT3_T4_T5_T6_T7_T9_mT8_P12ihipStream_tbDpT10_ENKUlT_T0_E_clISt17integral_constantIbLb1EES16_EEDaS11_S12_EUlS11_E_NS1_11comp_targetILNS1_3genE10ELNS1_11target_archE1200ELNS1_3gpuE4ELNS1_3repE0EEENS1_30default_config_static_selectorELNS0_4arch9wavefront6targetE0EEEvT1_: ; @_ZN7rocprim17ROCPRIM_400000_NS6detail17trampoline_kernelINS0_14default_configENS1_25partition_config_selectorILNS1_17partition_subalgoE6EjNS0_10empty_typeEbEEZZNS1_14partition_implILS5_6ELb0ES3_mN6thrust23THRUST_200600_302600_NS6detail15normal_iteratorINSA_10device_ptrIjEEEEPS6_SG_NS0_5tupleIJSF_S6_EEENSH_IJSG_SG_EEES6_PlJ5mod_3IjEEEE10hipError_tPvRmT3_T4_T5_T6_T7_T9_mT8_P12ihipStream_tbDpT10_ENKUlT_T0_E_clISt17integral_constantIbLb1EES16_EEDaS11_S12_EUlS11_E_NS1_11comp_targetILNS1_3genE10ELNS1_11target_archE1200ELNS1_3gpuE4ELNS1_3repE0EEENS1_30default_config_static_selectorELNS0_4arch9wavefront6targetE0EEEvT1_
; %bb.0:
	.section	.rodata,"a",@progbits
	.p2align	6, 0x0
	.amdhsa_kernel _ZN7rocprim17ROCPRIM_400000_NS6detail17trampoline_kernelINS0_14default_configENS1_25partition_config_selectorILNS1_17partition_subalgoE6EjNS0_10empty_typeEbEEZZNS1_14partition_implILS5_6ELb0ES3_mN6thrust23THRUST_200600_302600_NS6detail15normal_iteratorINSA_10device_ptrIjEEEEPS6_SG_NS0_5tupleIJSF_S6_EEENSH_IJSG_SG_EEES6_PlJ5mod_3IjEEEE10hipError_tPvRmT3_T4_T5_T6_T7_T9_mT8_P12ihipStream_tbDpT10_ENKUlT_T0_E_clISt17integral_constantIbLb1EES16_EEDaS11_S12_EUlS11_E_NS1_11comp_targetILNS1_3genE10ELNS1_11target_archE1200ELNS1_3gpuE4ELNS1_3repE0EEENS1_30default_config_static_selectorELNS0_4arch9wavefront6targetE0EEEvT1_
		.amdhsa_group_segment_fixed_size 0
		.amdhsa_private_segment_fixed_size 0
		.amdhsa_kernarg_size 128
		.amdhsa_user_sgpr_count 15
		.amdhsa_user_sgpr_dispatch_ptr 0
		.amdhsa_user_sgpr_queue_ptr 0
		.amdhsa_user_sgpr_kernarg_segment_ptr 1
		.amdhsa_user_sgpr_dispatch_id 0
		.amdhsa_user_sgpr_private_segment_size 0
		.amdhsa_wavefront_size32 1
		.amdhsa_uses_dynamic_stack 0
		.amdhsa_enable_private_segment 0
		.amdhsa_system_sgpr_workgroup_id_x 1
		.amdhsa_system_sgpr_workgroup_id_y 0
		.amdhsa_system_sgpr_workgroup_id_z 0
		.amdhsa_system_sgpr_workgroup_info 0
		.amdhsa_system_vgpr_workitem_id 0
		.amdhsa_next_free_vgpr 1
		.amdhsa_next_free_sgpr 1
		.amdhsa_reserve_vcc 0
		.amdhsa_float_round_mode_32 0
		.amdhsa_float_round_mode_16_64 0
		.amdhsa_float_denorm_mode_32 3
		.amdhsa_float_denorm_mode_16_64 3
		.amdhsa_dx10_clamp 1
		.amdhsa_ieee_mode 1
		.amdhsa_fp16_overflow 0
		.amdhsa_workgroup_processor_mode 1
		.amdhsa_memory_ordered 1
		.amdhsa_forward_progress 0
		.amdhsa_shared_vgpr_count 0
		.amdhsa_exception_fp_ieee_invalid_op 0
		.amdhsa_exception_fp_denorm_src 0
		.amdhsa_exception_fp_ieee_div_zero 0
		.amdhsa_exception_fp_ieee_overflow 0
		.amdhsa_exception_fp_ieee_underflow 0
		.amdhsa_exception_fp_ieee_inexact 0
		.amdhsa_exception_int_div_zero 0
	.end_amdhsa_kernel
	.section	.text._ZN7rocprim17ROCPRIM_400000_NS6detail17trampoline_kernelINS0_14default_configENS1_25partition_config_selectorILNS1_17partition_subalgoE6EjNS0_10empty_typeEbEEZZNS1_14partition_implILS5_6ELb0ES3_mN6thrust23THRUST_200600_302600_NS6detail15normal_iteratorINSA_10device_ptrIjEEEEPS6_SG_NS0_5tupleIJSF_S6_EEENSH_IJSG_SG_EEES6_PlJ5mod_3IjEEEE10hipError_tPvRmT3_T4_T5_T6_T7_T9_mT8_P12ihipStream_tbDpT10_ENKUlT_T0_E_clISt17integral_constantIbLb1EES16_EEDaS11_S12_EUlS11_E_NS1_11comp_targetILNS1_3genE10ELNS1_11target_archE1200ELNS1_3gpuE4ELNS1_3repE0EEENS1_30default_config_static_selectorELNS0_4arch9wavefront6targetE0EEEvT1_,"axG",@progbits,_ZN7rocprim17ROCPRIM_400000_NS6detail17trampoline_kernelINS0_14default_configENS1_25partition_config_selectorILNS1_17partition_subalgoE6EjNS0_10empty_typeEbEEZZNS1_14partition_implILS5_6ELb0ES3_mN6thrust23THRUST_200600_302600_NS6detail15normal_iteratorINSA_10device_ptrIjEEEEPS6_SG_NS0_5tupleIJSF_S6_EEENSH_IJSG_SG_EEES6_PlJ5mod_3IjEEEE10hipError_tPvRmT3_T4_T5_T6_T7_T9_mT8_P12ihipStream_tbDpT10_ENKUlT_T0_E_clISt17integral_constantIbLb1EES16_EEDaS11_S12_EUlS11_E_NS1_11comp_targetILNS1_3genE10ELNS1_11target_archE1200ELNS1_3gpuE4ELNS1_3repE0EEENS1_30default_config_static_selectorELNS0_4arch9wavefront6targetE0EEEvT1_,comdat
.Lfunc_end501:
	.size	_ZN7rocprim17ROCPRIM_400000_NS6detail17trampoline_kernelINS0_14default_configENS1_25partition_config_selectorILNS1_17partition_subalgoE6EjNS0_10empty_typeEbEEZZNS1_14partition_implILS5_6ELb0ES3_mN6thrust23THRUST_200600_302600_NS6detail15normal_iteratorINSA_10device_ptrIjEEEEPS6_SG_NS0_5tupleIJSF_S6_EEENSH_IJSG_SG_EEES6_PlJ5mod_3IjEEEE10hipError_tPvRmT3_T4_T5_T6_T7_T9_mT8_P12ihipStream_tbDpT10_ENKUlT_T0_E_clISt17integral_constantIbLb1EES16_EEDaS11_S12_EUlS11_E_NS1_11comp_targetILNS1_3genE10ELNS1_11target_archE1200ELNS1_3gpuE4ELNS1_3repE0EEENS1_30default_config_static_selectorELNS0_4arch9wavefront6targetE0EEEvT1_, .Lfunc_end501-_ZN7rocprim17ROCPRIM_400000_NS6detail17trampoline_kernelINS0_14default_configENS1_25partition_config_selectorILNS1_17partition_subalgoE6EjNS0_10empty_typeEbEEZZNS1_14partition_implILS5_6ELb0ES3_mN6thrust23THRUST_200600_302600_NS6detail15normal_iteratorINSA_10device_ptrIjEEEEPS6_SG_NS0_5tupleIJSF_S6_EEENSH_IJSG_SG_EEES6_PlJ5mod_3IjEEEE10hipError_tPvRmT3_T4_T5_T6_T7_T9_mT8_P12ihipStream_tbDpT10_ENKUlT_T0_E_clISt17integral_constantIbLb1EES16_EEDaS11_S12_EUlS11_E_NS1_11comp_targetILNS1_3genE10ELNS1_11target_archE1200ELNS1_3gpuE4ELNS1_3repE0EEENS1_30default_config_static_selectorELNS0_4arch9wavefront6targetE0EEEvT1_
                                        ; -- End function
	.section	.AMDGPU.csdata,"",@progbits
; Kernel info:
; codeLenInByte = 0
; NumSgprs: 0
; NumVgprs: 0
; ScratchSize: 0
; MemoryBound: 0
; FloatMode: 240
; IeeeMode: 1
; LDSByteSize: 0 bytes/workgroup (compile time only)
; SGPRBlocks: 0
; VGPRBlocks: 0
; NumSGPRsForWavesPerEU: 1
; NumVGPRsForWavesPerEU: 1
; Occupancy: 15
; WaveLimiterHint : 0
; COMPUTE_PGM_RSRC2:SCRATCH_EN: 0
; COMPUTE_PGM_RSRC2:USER_SGPR: 15
; COMPUTE_PGM_RSRC2:TRAP_HANDLER: 0
; COMPUTE_PGM_RSRC2:TGID_X_EN: 1
; COMPUTE_PGM_RSRC2:TGID_Y_EN: 0
; COMPUTE_PGM_RSRC2:TGID_Z_EN: 0
; COMPUTE_PGM_RSRC2:TIDIG_COMP_CNT: 0
	.section	.text._ZN7rocprim17ROCPRIM_400000_NS6detail17trampoline_kernelINS0_14default_configENS1_25partition_config_selectorILNS1_17partition_subalgoE6EjNS0_10empty_typeEbEEZZNS1_14partition_implILS5_6ELb0ES3_mN6thrust23THRUST_200600_302600_NS6detail15normal_iteratorINSA_10device_ptrIjEEEEPS6_SG_NS0_5tupleIJSF_S6_EEENSH_IJSG_SG_EEES6_PlJ5mod_3IjEEEE10hipError_tPvRmT3_T4_T5_T6_T7_T9_mT8_P12ihipStream_tbDpT10_ENKUlT_T0_E_clISt17integral_constantIbLb1EES16_EEDaS11_S12_EUlS11_E_NS1_11comp_targetILNS1_3genE9ELNS1_11target_archE1100ELNS1_3gpuE3ELNS1_3repE0EEENS1_30default_config_static_selectorELNS0_4arch9wavefront6targetE0EEEvT1_,"axG",@progbits,_ZN7rocprim17ROCPRIM_400000_NS6detail17trampoline_kernelINS0_14default_configENS1_25partition_config_selectorILNS1_17partition_subalgoE6EjNS0_10empty_typeEbEEZZNS1_14partition_implILS5_6ELb0ES3_mN6thrust23THRUST_200600_302600_NS6detail15normal_iteratorINSA_10device_ptrIjEEEEPS6_SG_NS0_5tupleIJSF_S6_EEENSH_IJSG_SG_EEES6_PlJ5mod_3IjEEEE10hipError_tPvRmT3_T4_T5_T6_T7_T9_mT8_P12ihipStream_tbDpT10_ENKUlT_T0_E_clISt17integral_constantIbLb1EES16_EEDaS11_S12_EUlS11_E_NS1_11comp_targetILNS1_3genE9ELNS1_11target_archE1100ELNS1_3gpuE3ELNS1_3repE0EEENS1_30default_config_static_selectorELNS0_4arch9wavefront6targetE0EEEvT1_,comdat
	.protected	_ZN7rocprim17ROCPRIM_400000_NS6detail17trampoline_kernelINS0_14default_configENS1_25partition_config_selectorILNS1_17partition_subalgoE6EjNS0_10empty_typeEbEEZZNS1_14partition_implILS5_6ELb0ES3_mN6thrust23THRUST_200600_302600_NS6detail15normal_iteratorINSA_10device_ptrIjEEEEPS6_SG_NS0_5tupleIJSF_S6_EEENSH_IJSG_SG_EEES6_PlJ5mod_3IjEEEE10hipError_tPvRmT3_T4_T5_T6_T7_T9_mT8_P12ihipStream_tbDpT10_ENKUlT_T0_E_clISt17integral_constantIbLb1EES16_EEDaS11_S12_EUlS11_E_NS1_11comp_targetILNS1_3genE9ELNS1_11target_archE1100ELNS1_3gpuE3ELNS1_3repE0EEENS1_30default_config_static_selectorELNS0_4arch9wavefront6targetE0EEEvT1_ ; -- Begin function _ZN7rocprim17ROCPRIM_400000_NS6detail17trampoline_kernelINS0_14default_configENS1_25partition_config_selectorILNS1_17partition_subalgoE6EjNS0_10empty_typeEbEEZZNS1_14partition_implILS5_6ELb0ES3_mN6thrust23THRUST_200600_302600_NS6detail15normal_iteratorINSA_10device_ptrIjEEEEPS6_SG_NS0_5tupleIJSF_S6_EEENSH_IJSG_SG_EEES6_PlJ5mod_3IjEEEE10hipError_tPvRmT3_T4_T5_T6_T7_T9_mT8_P12ihipStream_tbDpT10_ENKUlT_T0_E_clISt17integral_constantIbLb1EES16_EEDaS11_S12_EUlS11_E_NS1_11comp_targetILNS1_3genE9ELNS1_11target_archE1100ELNS1_3gpuE3ELNS1_3repE0EEENS1_30default_config_static_selectorELNS0_4arch9wavefront6targetE0EEEvT1_
	.globl	_ZN7rocprim17ROCPRIM_400000_NS6detail17trampoline_kernelINS0_14default_configENS1_25partition_config_selectorILNS1_17partition_subalgoE6EjNS0_10empty_typeEbEEZZNS1_14partition_implILS5_6ELb0ES3_mN6thrust23THRUST_200600_302600_NS6detail15normal_iteratorINSA_10device_ptrIjEEEEPS6_SG_NS0_5tupleIJSF_S6_EEENSH_IJSG_SG_EEES6_PlJ5mod_3IjEEEE10hipError_tPvRmT3_T4_T5_T6_T7_T9_mT8_P12ihipStream_tbDpT10_ENKUlT_T0_E_clISt17integral_constantIbLb1EES16_EEDaS11_S12_EUlS11_E_NS1_11comp_targetILNS1_3genE9ELNS1_11target_archE1100ELNS1_3gpuE3ELNS1_3repE0EEENS1_30default_config_static_selectorELNS0_4arch9wavefront6targetE0EEEvT1_
	.p2align	8
	.type	_ZN7rocprim17ROCPRIM_400000_NS6detail17trampoline_kernelINS0_14default_configENS1_25partition_config_selectorILNS1_17partition_subalgoE6EjNS0_10empty_typeEbEEZZNS1_14partition_implILS5_6ELb0ES3_mN6thrust23THRUST_200600_302600_NS6detail15normal_iteratorINSA_10device_ptrIjEEEEPS6_SG_NS0_5tupleIJSF_S6_EEENSH_IJSG_SG_EEES6_PlJ5mod_3IjEEEE10hipError_tPvRmT3_T4_T5_T6_T7_T9_mT8_P12ihipStream_tbDpT10_ENKUlT_T0_E_clISt17integral_constantIbLb1EES16_EEDaS11_S12_EUlS11_E_NS1_11comp_targetILNS1_3genE9ELNS1_11target_archE1100ELNS1_3gpuE3ELNS1_3repE0EEENS1_30default_config_static_selectorELNS0_4arch9wavefront6targetE0EEEvT1_,@function
_ZN7rocprim17ROCPRIM_400000_NS6detail17trampoline_kernelINS0_14default_configENS1_25partition_config_selectorILNS1_17partition_subalgoE6EjNS0_10empty_typeEbEEZZNS1_14partition_implILS5_6ELb0ES3_mN6thrust23THRUST_200600_302600_NS6detail15normal_iteratorINSA_10device_ptrIjEEEEPS6_SG_NS0_5tupleIJSF_S6_EEENSH_IJSG_SG_EEES6_PlJ5mod_3IjEEEE10hipError_tPvRmT3_T4_T5_T6_T7_T9_mT8_P12ihipStream_tbDpT10_ENKUlT_T0_E_clISt17integral_constantIbLb1EES16_EEDaS11_S12_EUlS11_E_NS1_11comp_targetILNS1_3genE9ELNS1_11target_archE1100ELNS1_3gpuE3ELNS1_3repE0EEENS1_30default_config_static_selectorELNS0_4arch9wavefront6targetE0EEEvT1_: ; @_ZN7rocprim17ROCPRIM_400000_NS6detail17trampoline_kernelINS0_14default_configENS1_25partition_config_selectorILNS1_17partition_subalgoE6EjNS0_10empty_typeEbEEZZNS1_14partition_implILS5_6ELb0ES3_mN6thrust23THRUST_200600_302600_NS6detail15normal_iteratorINSA_10device_ptrIjEEEEPS6_SG_NS0_5tupleIJSF_S6_EEENSH_IJSG_SG_EEES6_PlJ5mod_3IjEEEE10hipError_tPvRmT3_T4_T5_T6_T7_T9_mT8_P12ihipStream_tbDpT10_ENKUlT_T0_E_clISt17integral_constantIbLb1EES16_EEDaS11_S12_EUlS11_E_NS1_11comp_targetILNS1_3genE9ELNS1_11target_archE1100ELNS1_3gpuE3ELNS1_3repE0EEENS1_30default_config_static_selectorELNS0_4arch9wavefront6targetE0EEEvT1_
; %bb.0:
	s_clause 0x3
	s_load_b64 s[12:13], s[0:1], 0x28
	s_load_b128 s[4:7], s[0:1], 0x40
	s_load_b64 s[16:17], s[0:1], 0x50
	s_load_b64 s[14:15], s[0:1], 0x60
	v_cmp_eq_u32_e64 s2, 0, v0
	s_delay_alu instid0(VALU_DEP_1)
	s_and_saveexec_b32 s3, s2
	s_cbranch_execz .LBB502_4
; %bb.1:
	s_mov_b32 s9, exec_lo
	s_mov_b32 s8, exec_lo
	v_mbcnt_lo_u32_b32 v1, s9, 0
                                        ; implicit-def: $vgpr2
	s_delay_alu instid0(VALU_DEP_1)
	v_cmpx_eq_u32_e32 0, v1
	s_cbranch_execz .LBB502_3
; %bb.2:
	s_load_b64 s[10:11], s[0:1], 0x70
	s_bcnt1_i32_b32 s9, s9
	s_delay_alu instid0(SALU_CYCLE_1)
	v_dual_mov_b32 v2, 0 :: v_dual_mov_b32 v3, s9
	s_waitcnt lgkmcnt(0)
	global_atomic_add_u32 v2, v2, v3, s[10:11] glc
.LBB502_3:
	s_or_b32 exec_lo, exec_lo, s8
	s_waitcnt vmcnt(0)
	v_readfirstlane_b32 s8, v2
	s_delay_alu instid0(VALU_DEP_1)
	v_dual_mov_b32 v2, 0 :: v_dual_add_nc_u32 v1, s8, v1
	ds_store_b32 v2, v1
.LBB502_4:
	s_or_b32 exec_lo, exec_lo, s3
	v_dual_mov_b32 v2, 0 :: v_dual_lshlrev_b32 v17, 2, v0
	s_clause 0x1
	s_load_b128 s[8:11], s[0:1], 0x8
	s_load_b32 s0, s[0:1], 0x68
	s_waitcnt lgkmcnt(0)
	s_barrier
	buffer_gl0_inv
	ds_load_b32 v1, v2
	s_waitcnt lgkmcnt(0)
	s_barrier
	buffer_gl0_inv
	global_load_b64 v[49:50], v2, s[6:7]
	s_lshl_b64 s[6:7], s[10:11], 2
	s_mul_i32 s3, s0, 0x700
	s_add_u32 s1, s8, s6
	s_addc_u32 s18, s9, s7
	s_add_i32 s6, s3, s10
	v_readfirstlane_b32 s7, v1
	v_mul_lo_u32 v1, 0x700, v1
	s_add_i32 s19, s0, -1
	s_sub_i32 s0, s16, s6
	s_add_u32 s8, s10, s3
	s_addc_u32 s9, s11, 0
	s_cmp_eq_u32 s7, s19
	v_cmp_ge_u64_e64 s6, s[8:9], s[16:17]
	s_cselect_b32 s3, -1, 0
	v_lshlrev_b64 v[1:2], 2, v[1:2]
	s_delay_alu instid0(VALU_DEP_2) | instskip(NEXT) | instid1(VALU_DEP_1)
	s_and_b32 s6, s6, s3
	v_add_co_u32 v18, vcc_lo, s1, v1
	s_delay_alu instid0(VALU_DEP_2)
	v_add_co_ci_u32_e32 v19, vcc_lo, s18, v2, vcc_lo
	s_xor_b32 s6, s6, -1
	s_mov_b32 s1, -1
	s_and_b32 vcc_lo, exec_lo, s6
	s_cbranch_vccz .LBB502_6
; %bb.5:
	v_add_co_u32 v1, vcc_lo, v18, v17
	v_add_co_ci_u32_e32 v2, vcc_lo, 0, v19, vcc_lo
	s_mov_b32 s1, 0
	s_delay_alu instid0(VALU_DEP_2) | instskip(NEXT) | instid1(VALU_DEP_2)
	v_add_co_u32 v3, vcc_lo, 0x1000, v1
	v_add_co_ci_u32_e32 v4, vcc_lo, 0, v2, vcc_lo
	s_clause 0xd
	flat_load_b32 v5, v[1:2]
	flat_load_b32 v6, v[1:2] offset:512
	flat_load_b32 v7, v[1:2] offset:1024
	;; [unrolled: 1-line block ×7, first 2 shown]
	flat_load_b32 v2, v[3:4]
	flat_load_b32 v12, v[3:4] offset:512
	flat_load_b32 v13, v[3:4] offset:1024
	;; [unrolled: 1-line block ×5, first 2 shown]
	s_waitcnt vmcnt(12) lgkmcnt(12)
	ds_store_2addr_stride64_b32 v17, v5, v6 offset1:2
	s_waitcnt vmcnt(10) lgkmcnt(11)
	ds_store_2addr_stride64_b32 v17, v7, v8 offset0:4 offset1:6
	s_waitcnt vmcnt(8) lgkmcnt(10)
	ds_store_2addr_stride64_b32 v17, v9, v10 offset0:8 offset1:10
	;; [unrolled: 2-line block ×6, first 2 shown]
	s_waitcnt lgkmcnt(0)
	s_barrier
.LBB502_6:
	s_and_not1_b32 vcc_lo, exec_lo, s1
	s_addk_i32 s0, 0x700
	s_cbranch_vccnz .LBB502_36
; %bb.7:
	s_mov_b32 s1, exec_lo
                                        ; implicit-def: $vgpr1_vgpr2_vgpr3_vgpr4_vgpr5_vgpr6_vgpr7_vgpr8_vgpr9_vgpr10_vgpr11_vgpr12_vgpr13_vgpr14_vgpr15_vgpr16
	v_cmpx_gt_u32_e64 s0, v0
	s_cbranch_execz .LBB502_9
; %bb.8:
	v_add_co_u32 v1, vcc_lo, v18, v17
	v_add_co_ci_u32_e32 v2, vcc_lo, 0, v19, vcc_lo
	flat_load_b32 v1, v[1:2]
.LBB502_9:
	s_or_b32 exec_lo, exec_lo, s1
	v_or_b32_e32 v15, 0x80, v0
	s_mov_b32 s1, exec_lo
	s_delay_alu instid0(VALU_DEP_1)
	v_cmpx_gt_u32_e64 s0, v15
	s_cbranch_execz .LBB502_11
; %bb.10:
	v_add_co_u32 v15, vcc_lo, v18, v17
	v_add_co_ci_u32_e32 v16, vcc_lo, 0, v19, vcc_lo
	flat_load_b32 v2, v[15:16] offset:512
.LBB502_11:
	s_or_b32 exec_lo, exec_lo, s1
	v_or_b32_e32 v15, 0x100, v0
	s_mov_b32 s1, exec_lo
	s_delay_alu instid0(VALU_DEP_1)
	v_cmpx_gt_u32_e64 s0, v15
	s_cbranch_execz .LBB502_13
; %bb.12:
	v_add_co_u32 v15, vcc_lo, v18, v17
	v_add_co_ci_u32_e32 v16, vcc_lo, 0, v19, vcc_lo
	flat_load_b32 v3, v[15:16] offset:1024
.LBB502_13:
	;; [unrolled: 11-line block ×7, first 2 shown]
	s_or_b32 exec_lo, exec_lo, s1
	v_or_b32_e32 v15, 0x400, v0
	s_mov_b32 s1, exec_lo
	s_delay_alu instid0(VALU_DEP_1)
	v_cmpx_gt_u32_e64 s0, v15
	s_cbranch_execz .LBB502_25
; %bb.24:
	v_lshlrev_b32_e32 v9, 2, v15
	s_delay_alu instid0(VALU_DEP_1)
	v_add_co_u32 v15, vcc_lo, v18, v9
	v_add_co_ci_u32_e32 v16, vcc_lo, 0, v19, vcc_lo
	flat_load_b32 v9, v[15:16]
.LBB502_25:
	s_or_b32 exec_lo, exec_lo, s1
	v_or_b32_e32 v15, 0x480, v0
	s_mov_b32 s1, exec_lo
	s_delay_alu instid0(VALU_DEP_1)
	v_cmpx_gt_u32_e64 s0, v15
	s_cbranch_execz .LBB502_27
; %bb.26:
	v_lshlrev_b32_e32 v10, 2, v15
	s_delay_alu instid0(VALU_DEP_1)
	v_add_co_u32 v15, vcc_lo, v18, v10
	v_add_co_ci_u32_e32 v16, vcc_lo, 0, v19, vcc_lo
	flat_load_b32 v10, v[15:16]
.LBB502_27:
	s_or_b32 exec_lo, exec_lo, s1
	v_or_b32_e32 v15, 0x500, v0
	s_mov_b32 s1, exec_lo
	s_delay_alu instid0(VALU_DEP_1)
	v_cmpx_gt_u32_e64 s0, v15
	s_cbranch_execz .LBB502_29
; %bb.28:
	v_lshlrev_b32_e32 v11, 2, v15
	s_delay_alu instid0(VALU_DEP_1)
	v_add_co_u32 v15, vcc_lo, v18, v11
	v_add_co_ci_u32_e32 v16, vcc_lo, 0, v19, vcc_lo
	flat_load_b32 v11, v[15:16]
.LBB502_29:
	s_or_b32 exec_lo, exec_lo, s1
	v_or_b32_e32 v15, 0x580, v0
	s_mov_b32 s1, exec_lo
	s_delay_alu instid0(VALU_DEP_1)
	v_cmpx_gt_u32_e64 s0, v15
	s_cbranch_execz .LBB502_31
; %bb.30:
	v_lshlrev_b32_e32 v12, 2, v15
	s_delay_alu instid0(VALU_DEP_1)
	v_add_co_u32 v15, vcc_lo, v18, v12
	v_add_co_ci_u32_e32 v16, vcc_lo, 0, v19, vcc_lo
	flat_load_b32 v12, v[15:16]
.LBB502_31:
	s_or_b32 exec_lo, exec_lo, s1
	v_or_b32_e32 v15, 0x600, v0
	s_mov_b32 s1, exec_lo
	s_delay_alu instid0(VALU_DEP_1)
	v_cmpx_gt_u32_e64 s0, v15
	s_cbranch_execz .LBB502_33
; %bb.32:
	v_lshlrev_b32_e32 v13, 2, v15
	s_delay_alu instid0(VALU_DEP_1)
	v_add_co_u32 v15, vcc_lo, v18, v13
	v_add_co_ci_u32_e32 v16, vcc_lo, 0, v19, vcc_lo
	flat_load_b32 v13, v[15:16]
.LBB502_33:
	s_or_b32 exec_lo, exec_lo, s1
	v_or_b32_e32 v15, 0x680, v0
	s_mov_b32 s1, exec_lo
	s_delay_alu instid0(VALU_DEP_1)
	v_cmpx_gt_u32_e64 s0, v15
	s_cbranch_execz .LBB502_35
; %bb.34:
	v_lshlrev_b32_e32 v14, 2, v15
	s_delay_alu instid0(VALU_DEP_1)
	v_add_co_u32 v14, vcc_lo, v18, v14
	v_add_co_ci_u32_e32 v15, vcc_lo, 0, v19, vcc_lo
	flat_load_b32 v14, v[14:15]
.LBB502_35:
	s_or_b32 exec_lo, exec_lo, s1
	s_waitcnt vmcnt(0) lgkmcnt(0)
	ds_store_2addr_stride64_b32 v17, v1, v2 offset1:2
	ds_store_2addr_stride64_b32 v17, v3, v4 offset0:4 offset1:6
	ds_store_2addr_stride64_b32 v17, v5, v6 offset0:8 offset1:10
	;; [unrolled: 1-line block ×6, first 2 shown]
	s_waitcnt lgkmcnt(0)
	s_barrier
.LBB502_36:
	v_mul_u32_u24_e32 v1, 14, v0
	s_waitcnt vmcnt(0)
	buffer_gl0_inv
	s_and_not1_b32 vcc_lo, exec_lo, s6
	v_lshlrev_b32_e32 v63, 2, v1
	ds_load_2addr_b64 v[41:44], v63 offset1:1
	ds_load_2addr_b64 v[37:40], v63 offset0:2 offset1:3
	ds_load_2addr_b64 v[33:36], v63 offset0:4 offset1:5
	ds_load_b64 v[51:52], v63 offset:48
	s_waitcnt lgkmcnt(0)
	s_barrier
	buffer_gl0_inv
	s_cbranch_vccnz .LBB502_38
; %bb.37:
	v_mul_lo_u32 v2, 0xaaaaaaab, v41
	v_mul_lo_u32 v3, 0xaaaaaaab, v42
	;; [unrolled: 1-line block ×8, first 2 shown]
	v_cmp_lt_u32_e32 vcc_lo, 0x55555555, v2
	v_mul_lo_u32 v10, 0xaaaaaaab, v33
	v_mul_lo_u32 v11, 0xaaaaaaab, v34
	;; [unrolled: 1-line block ×4, first 2 shown]
	v_cndmask_b32_e64 v2, 0, 1, vcc_lo
	v_cmp_lt_u32_e32 vcc_lo, 0x55555555, v3
	v_mul_lo_u32 v14, 0xaaaaaaab, v51
	v_cndmask_b32_e64 v3, 0, 1, vcc_lo
	v_cmp_lt_u32_e32 vcc_lo, 0x55555555, v4
	s_delay_alu instid0(VALU_DEP_2) | instskip(SKIP_2) | instid1(VALU_DEP_3)
	v_lshlrev_b16 v3, 8, v3
	v_cndmask_b32_e64 v4, 0, 1, vcc_lo
	v_cmp_lt_u32_e32 vcc_lo, 0x55555555, v5
	v_or_b32_e32 v2, v2, v3
	v_cndmask_b32_e64 v5, 0, 1, vcc_lo
	v_cmp_lt_u32_e32 vcc_lo, 0x55555555, v6
	s_delay_alu instid0(VALU_DEP_3) | instskip(NEXT) | instid1(VALU_DEP_3)
	v_and_b32_e32 v2, 0xffff, v2
	v_lshlrev_b16 v5, 8, v5
	v_cndmask_b32_e64 v6, 0, 1, vcc_lo
	v_cmp_lt_u32_e32 vcc_lo, 0x55555555, v7
	s_delay_alu instid0(VALU_DEP_3) | instskip(SKIP_2) | instid1(VALU_DEP_3)
	v_or_b32_e32 v4, v4, v5
	v_cndmask_b32_e64 v7, 0, 1, vcc_lo
	v_cmp_lt_u32_e32 vcc_lo, 0x55555555, v8
	v_lshlrev_b32_e32 v4, 16, v4
	s_delay_alu instid0(VALU_DEP_3) | instskip(SKIP_2) | instid1(VALU_DEP_4)
	v_lshlrev_b16 v7, 8, v7
	v_cndmask_b32_e64 v8, 0, 1, vcc_lo
	v_cmp_lt_u32_e32 vcc_lo, 0x55555555, v9
	v_or_b32_e32 v61, v2, v4
	s_delay_alu instid0(VALU_DEP_4) | instskip(SKIP_2) | instid1(VALU_DEP_3)
	v_or_b32_e32 v5, v6, v7
	v_cndmask_b32_e64 v9, 0, 1, vcc_lo
	v_cmp_lt_u32_e32 vcc_lo, 0x55555555, v10
	v_and_b32_e32 v5, 0xffff, v5
	s_delay_alu instid0(VALU_DEP_3) | instskip(SKIP_2) | instid1(VALU_DEP_3)
	v_lshlrev_b16 v9, 8, v9
	v_cndmask_b32_e64 v10, 0, 1, vcc_lo
	v_cmp_lt_u32_e32 vcc_lo, 0x55555555, v11
	v_or_b32_e32 v6, v8, v9
	v_cndmask_b32_e64 v11, 0, 1, vcc_lo
	v_cmp_lt_u32_e32 vcc_lo, 0x55555555, v12
	s_delay_alu instid0(VALU_DEP_3) | instskip(NEXT) | instid1(VALU_DEP_3)
	v_lshlrev_b32_e32 v6, 16, v6
	v_lshlrev_b16 v11, 8, v11
	v_cndmask_b32_e64 v12, 0, 1, vcc_lo
	v_cmp_lt_u32_e32 vcc_lo, 0x55555555, v13
	v_mul_lo_u32 v13, 0xaaaaaaab, v52
	v_or_b32_e32 v58, v5, v6
	v_or_b32_e32 v7, v10, v11
	v_cndmask_b32_e64 v3, 0, 1, vcc_lo
	v_cmp_lt_u32_e32 vcc_lo, 0x55555555, v14
	s_delay_alu instid0(VALU_DEP_3) | instskip(NEXT) | instid1(VALU_DEP_3)
	v_and_b32_e32 v7, 0xffff, v7
	v_lshlrev_b16 v3, 8, v3
	v_cndmask_b32_e64 v55, 0, 1, vcc_lo
	v_cmp_lt_u32_e32 vcc_lo, 0x55555555, v13
	s_delay_alu instid0(VALU_DEP_3) | instskip(SKIP_1) | instid1(VALU_DEP_2)
	v_or_b32_e32 v3, v12, v3
	v_cndmask_b32_e64 v56, 0, 1, vcc_lo
	v_lshlrev_b32_e32 v3, 16, v3
	s_delay_alu instid0(VALU_DEP_1)
	v_or_b32_e32 v57, v7, v3
	s_cbranch_execz .LBB502_39
	s_branch .LBB502_68
.LBB502_38:
                                        ; implicit-def: $vgpr56
                                        ; implicit-def: $vgpr55
                                        ; implicit-def: $vgpr57
                                        ; implicit-def: $vgpr58
                                        ; implicit-def: $vgpr61
.LBB502_39:
	v_dual_mov_b32 v3, 0 :: v_dual_mov_b32 v2, 0
	s_mov_b32 s1, exec_lo
	v_cmpx_gt_u32_e64 s0, v1
; %bb.40:
	v_mul_lo_u32 v2, 0xaaaaaaab, v41
	s_delay_alu instid0(VALU_DEP_1)
	v_cmp_lt_u32_e32 vcc_lo, 0x55555555, v2
	v_cndmask_b32_e64 v2, 0, 1, vcc_lo
; %bb.41:
	s_or_b32 exec_lo, exec_lo, s1
	v_or_b32_e32 v4, 1, v1
	s_mov_b32 s1, exec_lo
	s_delay_alu instid0(VALU_DEP_1)
	v_cmpx_gt_u32_e64 s0, v4
; %bb.42:
	v_mul_lo_u32 v3, 0xaaaaaaab, v42
	s_delay_alu instid0(VALU_DEP_1)
	v_cmp_lt_u32_e32 vcc_lo, 0x55555555, v3
	v_cndmask_b32_e64 v3, 0, 1, vcc_lo
; %bb.43:
	s_or_b32 exec_lo, exec_lo, s1
	v_dual_mov_b32 v5, 0 :: v_dual_add_nc_u32 v4, 2, v1
	s_delay_alu instid0(VALU_DEP_1)
	v_cmp_gt_u32_e32 vcc_lo, s0, v4
	v_mov_b32_e32 v4, 0
	s_and_saveexec_b32 s1, vcc_lo
; %bb.44:
	v_mul_lo_u32 v4, 0xaaaaaaab, v43
	s_delay_alu instid0(VALU_DEP_1)
	v_cmp_lt_u32_e32 vcc_lo, 0x55555555, v4
	v_cndmask_b32_e64 v4, 0, 1, vcc_lo
; %bb.45:
	s_or_b32 exec_lo, exec_lo, s1
	v_add_nc_u32_e32 v6, 3, v1
	s_mov_b32 s1, exec_lo
	s_delay_alu instid0(VALU_DEP_1)
	v_cmpx_gt_u32_e64 s0, v6
; %bb.46:
	v_mul_lo_u32 v5, 0xaaaaaaab, v44
	s_delay_alu instid0(VALU_DEP_1)
	v_cmp_lt_u32_e32 vcc_lo, 0x55555555, v5
	v_cndmask_b32_e64 v5, 0, 1, vcc_lo
; %bb.47:
	s_or_b32 exec_lo, exec_lo, s1
	v_dual_mov_b32 v7, 0 :: v_dual_add_nc_u32 v6, 4, v1
	s_delay_alu instid0(VALU_DEP_1)
	v_cmp_gt_u32_e32 vcc_lo, s0, v6
	v_mov_b32_e32 v6, 0
	s_and_saveexec_b32 s1, vcc_lo
; %bb.48:
	v_mul_lo_u32 v6, 0xaaaaaaab, v37
	s_delay_alu instid0(VALU_DEP_1)
	v_cmp_lt_u32_e32 vcc_lo, 0x55555555, v6
	v_cndmask_b32_e64 v6, 0, 1, vcc_lo
; %bb.49:
	s_or_b32 exec_lo, exec_lo, s1
	v_add_nc_u32_e32 v8, 5, v1
	;; [unrolled: 23-line block ×5, first 2 shown]
	s_mov_b32 s1, exec_lo
	s_delay_alu instid0(VALU_DEP_1)
	v_cmpx_gt_u32_e64 s0, v14
; %bb.62:
	v_mul_lo_u32 v13, 0xaaaaaaab, v36
	s_delay_alu instid0(VALU_DEP_1)
	v_cmp_lt_u32_e32 vcc_lo, 0x55555555, v13
	v_cndmask_b32_e64 v13, 0, 1, vcc_lo
; %bb.63:
	s_or_b32 exec_lo, exec_lo, s1
	v_dual_mov_b32 v55, 0 :: v_dual_add_nc_u32 v14, 12, v1
	v_mov_b32_e32 v56, 0
	s_mov_b32 s1, exec_lo
	s_delay_alu instid0(VALU_DEP_2)
	v_cmpx_gt_u32_e64 s0, v14
; %bb.64:
	v_mul_lo_u32 v14, 0xaaaaaaab, v51
	s_delay_alu instid0(VALU_DEP_1)
	v_cmp_lt_u32_e32 vcc_lo, 0x55555555, v14
	v_cndmask_b32_e64 v55, 0, 1, vcc_lo
; %bb.65:
	s_or_b32 exec_lo, exec_lo, s1
	v_add_nc_u32_e32 v1, 13, v1
	s_delay_alu instid0(VALU_DEP_1)
	v_cmp_gt_u32_e32 vcc_lo, s0, v1
	s_and_saveexec_b32 s0, vcc_lo
; %bb.66:
	v_mul_lo_u32 v1, 0xaaaaaaab, v52
	s_delay_alu instid0(VALU_DEP_1)
	v_cmp_lt_u32_e32 vcc_lo, 0x55555555, v1
	v_cndmask_b32_e64 v56, 0, 1, vcc_lo
; %bb.67:
	s_or_b32 exec_lo, exec_lo, s0
	v_lshlrev_b16 v1, 8, v3
	v_lshlrev_b16 v3, 8, v5
	;; [unrolled: 1-line block ×5, first 2 shown]
	v_or_b32_e32 v1, v2, v1
	v_lshlrev_b16 v2, 8, v13
	v_or_b32_e32 v3, v4, v3
	v_or_b32_e32 v4, v6, v5
	;; [unrolled: 1-line block ×5, first 2 shown]
	v_and_b32_e32 v1, 0xffff, v1
	v_lshlrev_b32_e32 v3, 16, v3
	v_and_b32_e32 v4, 0xffff, v4
	v_lshlrev_b32_e32 v5, 16, v5
	;; [unrolled: 2-line block ×3, first 2 shown]
	v_or_b32_e32 v61, v1, v3
	s_delay_alu instid0(VALU_DEP_4) | instskip(NEXT) | instid1(VALU_DEP_3)
	v_or_b32_e32 v58, v4, v5
	v_or_b32_e32 v57, v6, v2
.LBB502_68:
	s_delay_alu instid0(VALU_DEP_3)
	v_dual_mov_b32 v2, 0 :: v_dual_and_b32 v65, 0xff, v61
	v_bfe_u32 v66, v61, 8, 8
	v_bfe_u32 v67, v61, 16, 8
	v_lshrrev_b32_e32 v62, 24, v61
	v_and_b32_e32 v68, 0xff, v58
	v_bfe_u32 v69, v58, 8, 8
	v_add_co_u32 v1, s0, v66, v65
	s_delay_alu instid0(VALU_DEP_1) | instskip(SKIP_1) | instid1(VALU_DEP_3)
	v_add_co_ci_u32_e64 v3, null, 0, 0, s0
	v_bfe_u32 v70, v58, 16, 8
	v_add_co_u32 v1, vcc_lo, v1, v67
	s_delay_alu instid0(VALU_DEP_3) | instskip(SKIP_1) | instid1(VALU_DEP_3)
	v_add_co_ci_u32_e32 v3, vcc_lo, 0, v3, vcc_lo
	v_lshrrev_b32_e32 v60, 24, v58
	v_add_co_u32 v1, vcc_lo, v1, v62
	s_delay_alu instid0(VALU_DEP_3) | instskip(SKIP_1) | instid1(VALU_DEP_3)
	v_add_co_ci_u32_e32 v3, vcc_lo, 0, v3, vcc_lo
	v_and_b32_e32 v71, 0xff, v57
	v_add_co_u32 v1, vcc_lo, v1, v68
	s_delay_alu instid0(VALU_DEP_3) | instskip(SKIP_1) | instid1(VALU_DEP_3)
	v_add_co_ci_u32_e32 v3, vcc_lo, 0, v3, vcc_lo
	v_bfe_u32 v72, v57, 8, 8
	v_add_co_u32 v1, vcc_lo, v1, v69
	s_delay_alu instid0(VALU_DEP_3) | instskip(SKIP_1) | instid1(VALU_DEP_3)
	v_add_co_ci_u32_e32 v3, vcc_lo, 0, v3, vcc_lo
	v_bfe_u32 v73, v57, 16, 8
	v_add_co_u32 v1, vcc_lo, v1, v70
	s_delay_alu instid0(VALU_DEP_3) | instskip(SKIP_1) | instid1(VALU_DEP_3)
	v_add_co_ci_u32_e32 v3, vcc_lo, 0, v3, vcc_lo
	v_lshrrev_b32_e32 v59, 24, v57
	v_add_co_u32 v1, vcc_lo, v1, v60
	s_delay_alu instid0(VALU_DEP_3) | instskip(SKIP_1) | instid1(VALU_DEP_3)
	v_add_co_ci_u32_e32 v3, vcc_lo, 0, v3, vcc_lo
	v_and_b32_e32 v64, 0xff, v55
	v_add_co_u32 v1, vcc_lo, v1, v71
	s_delay_alu instid0(VALU_DEP_3) | instskip(SKIP_1) | instid1(VALU_DEP_3)
	v_add_co_ci_u32_e32 v3, vcc_lo, 0, v3, vcc_lo
	v_mbcnt_lo_u32_b32 v74, -1, 0
	v_add_co_u32 v1, vcc_lo, v1, v72
	s_delay_alu instid0(VALU_DEP_3) | instskip(SKIP_1) | instid1(VALU_DEP_3)
	v_add_co_ci_u32_e32 v3, vcc_lo, 0, v3, vcc_lo
	v_and_b32_e32 v4, 0xff, v56
	v_add_co_u32 v1, vcc_lo, v1, v73
	s_delay_alu instid0(VALU_DEP_3) | instskip(SKIP_1) | instid1(VALU_DEP_3)
	v_add_co_ci_u32_e32 v3, vcc_lo, 0, v3, vcc_lo
	v_and_b32_e32 v75, 15, v74
	v_add_co_u32 v1, vcc_lo, v1, v59
	s_delay_alu instid0(VALU_DEP_3) | instskip(NEXT) | instid1(VALU_DEP_3)
	v_add_co_ci_u32_e32 v3, vcc_lo, 0, v3, vcc_lo
	v_cmp_ne_u32_e64 s0, 0, v75
	s_delay_alu instid0(VALU_DEP_3) | instskip(NEXT) | instid1(VALU_DEP_3)
	v_add_co_u32 v1, vcc_lo, v1, v64
	v_add_co_ci_u32_e32 v3, vcc_lo, 0, v3, vcc_lo
	s_cmp_lg_u32 s7, 0
	s_delay_alu instid0(VALU_DEP_2) | instskip(NEXT) | instid1(VALU_DEP_2)
	v_add_co_u32 v53, vcc_lo, v1, v4
	v_add_co_ci_u32_e32 v54, vcc_lo, 0, v3, vcc_lo
	s_mov_b32 s1, -1
	s_cbranch_scc0 .LBB502_133
; %bb.69:
	s_delay_alu instid0(VALU_DEP_2)
	v_mov_b32_e32 v3, v53
	v_mov_b32_dpp v1, v53 row_shr:1 row_mask:0xf bank_mask:0xf
	v_mov_b32_dpp v6, v2 row_shr:1 row_mask:0xf bank_mask:0xf
	v_dual_mov_b32 v5, v53 :: v_dual_mov_b32 v4, v54
	s_and_saveexec_b32 s1, s0
; %bb.70:
	s_delay_alu instid0(VALU_DEP_3) | instskip(SKIP_1) | instid1(VALU_DEP_2)
	v_add_co_u32 v5, vcc_lo, v53, v1
	v_add_co_ci_u32_e32 v2, vcc_lo, 0, v54, vcc_lo
	v_add_co_u32 v1, vcc_lo, 0, v5
	s_delay_alu instid0(VALU_DEP_2) | instskip(NEXT) | instid1(VALU_DEP_1)
	v_add_co_ci_u32_e32 v2, vcc_lo, v6, v2, vcc_lo
	v_dual_mov_b32 v4, v2 :: v_dual_mov_b32 v3, v1
; %bb.71:
	s_or_b32 exec_lo, exec_lo, s1
	v_mov_b32_dpp v1, v5 row_shr:2 row_mask:0xf bank_mask:0xf
	v_mov_b32_dpp v6, v2 row_shr:2 row_mask:0xf bank_mask:0xf
	s_mov_b32 s1, exec_lo
	v_cmpx_lt_u32_e32 1, v75
; %bb.72:
	s_delay_alu instid0(VALU_DEP_3) | instskip(SKIP_1) | instid1(VALU_DEP_2)
	v_add_co_u32 v5, vcc_lo, v3, v1
	v_add_co_ci_u32_e32 v2, vcc_lo, 0, v4, vcc_lo
	v_add_co_u32 v1, vcc_lo, 0, v5
	s_delay_alu instid0(VALU_DEP_2) | instskip(NEXT) | instid1(VALU_DEP_1)
	v_add_co_ci_u32_e32 v2, vcc_lo, v6, v2, vcc_lo
	v_dual_mov_b32 v4, v2 :: v_dual_mov_b32 v3, v1
; %bb.73:
	s_or_b32 exec_lo, exec_lo, s1
	v_mov_b32_dpp v1, v5 row_shr:4 row_mask:0xf bank_mask:0xf
	v_mov_b32_dpp v6, v2 row_shr:4 row_mask:0xf bank_mask:0xf
	s_mov_b32 s1, exec_lo
	v_cmpx_lt_u32_e32 3, v75
	;; [unrolled: 14-line block ×3, first 2 shown]
; %bb.76:
	s_delay_alu instid0(VALU_DEP_3) | instskip(SKIP_1) | instid1(VALU_DEP_2)
	v_add_co_u32 v5, vcc_lo, v3, v6
	v_add_co_ci_u32_e32 v2, vcc_lo, 0, v4, vcc_lo
	v_add_co_u32 v3, vcc_lo, 0, v5
	s_delay_alu instid0(VALU_DEP_2) | instskip(NEXT) | instid1(VALU_DEP_1)
	v_add_co_ci_u32_e32 v4, vcc_lo, v1, v2, vcc_lo
	v_mov_b32_e32 v2, v4
; %bb.77:
	s_or_b32 exec_lo, exec_lo, s1
	ds_swizzle_b32 v1, v5 offset:swizzle(BROADCAST,32,15)
	ds_swizzle_b32 v6, v2 offset:swizzle(BROADCAST,32,15)
	v_and_b32_e32 v7, 16, v74
	s_mov_b32 s1, exec_lo
	s_delay_alu instid0(VALU_DEP_1)
	v_cmpx_ne_u32_e32 0, v7
	s_cbranch_execz .LBB502_79
; %bb.78:
	s_waitcnt lgkmcnt(1)
	v_add_co_u32 v5, vcc_lo, v3, v1
	v_add_co_ci_u32_e32 v2, vcc_lo, 0, v4, vcc_lo
	s_delay_alu instid0(VALU_DEP_2) | instskip(SKIP_1) | instid1(VALU_DEP_2)
	v_add_co_u32 v1, vcc_lo, 0, v5
	s_waitcnt lgkmcnt(0)
	v_add_co_ci_u32_e32 v2, vcc_lo, v6, v2, vcc_lo
	s_delay_alu instid0(VALU_DEP_1)
	v_dual_mov_b32 v4, v2 :: v_dual_mov_b32 v3, v1
.LBB502_79:
	s_or_b32 exec_lo, exec_lo, s1
	s_waitcnt lgkmcnt(0)
	v_or_b32_e32 v6, 31, v0
	v_lshrrev_b32_e32 v1, 5, v0
	s_mov_b32 s1, exec_lo
	s_delay_alu instid0(VALU_DEP_2)
	v_cmpx_eq_u32_e64 v6, v0
	s_cbranch_execz .LBB502_81
; %bb.80:
	s_delay_alu instid0(VALU_DEP_2)
	v_lshlrev_b32_e32 v6, 3, v1
	ds_store_b64 v6, v[3:4]
.LBB502_81:
	s_or_b32 exec_lo, exec_lo, s1
	s_delay_alu instid0(SALU_CYCLE_1)
	s_mov_b32 s1, exec_lo
	s_waitcnt lgkmcnt(0)
	s_barrier
	buffer_gl0_inv
	v_cmpx_gt_u32_e32 4, v0
	s_cbranch_execz .LBB502_87
; %bb.82:
	v_lshlrev_b32_e32 v6, 3, v0
	s_mov_b32 s8, exec_lo
	ds_load_b64 v[3:4], v6
	s_waitcnt lgkmcnt(0)
	v_dual_mov_b32 v8, v3 :: v_dual_and_b32 v7, 3, v74
	v_mov_b32_dpp v10, v3 row_shr:1 row_mask:0xf bank_mask:0xf
	v_mov_b32_dpp v9, v4 row_shr:1 row_mask:0xf bank_mask:0xf
	s_delay_alu instid0(VALU_DEP_3)
	v_cmpx_ne_u32_e32 0, v7
; %bb.83:
	s_delay_alu instid0(VALU_DEP_3) | instskip(SKIP_1) | instid1(VALU_DEP_2)
	v_add_co_u32 v8, vcc_lo, v3, v10
	v_add_co_ci_u32_e32 v4, vcc_lo, 0, v4, vcc_lo
	v_add_co_u32 v3, vcc_lo, 0, v8
	s_delay_alu instid0(VALU_DEP_2)
	v_add_co_ci_u32_e32 v4, vcc_lo, v9, v4, vcc_lo
; %bb.84:
	s_or_b32 exec_lo, exec_lo, s8
	v_mov_b32_dpp v9, v8 row_shr:2 row_mask:0xf bank_mask:0xf
	s_delay_alu instid0(VALU_DEP_2)
	v_mov_b32_dpp v8, v4 row_shr:2 row_mask:0xf bank_mask:0xf
	s_mov_b32 s8, exec_lo
	v_cmpx_lt_u32_e32 1, v7
; %bb.85:
	s_delay_alu instid0(VALU_DEP_3) | instskip(SKIP_1) | instid1(VALU_DEP_2)
	v_add_co_u32 v3, vcc_lo, v3, v9
	v_add_co_ci_u32_e32 v4, vcc_lo, 0, v4, vcc_lo
	v_add_co_u32 v3, vcc_lo, v3, 0
	s_delay_alu instid0(VALU_DEP_2)
	v_add_co_ci_u32_e32 v4, vcc_lo, v4, v8, vcc_lo
; %bb.86:
	s_or_b32 exec_lo, exec_lo, s8
	ds_store_b64 v6, v[3:4]
.LBB502_87:
	s_or_b32 exec_lo, exec_lo, s1
	v_cmp_gt_u32_e32 vcc_lo, 32, v0
	s_mov_b32 s8, exec_lo
	s_waitcnt lgkmcnt(0)
	s_barrier
	buffer_gl0_inv
                                        ; implicit-def: $vgpr9_vgpr10
	v_cmpx_lt_u32_e32 31, v0
	s_cbranch_execz .LBB502_89
; %bb.88:
	v_lshl_add_u32 v1, v1, 3, -8
	ds_load_b64 v[9:10], v1
	s_waitcnt lgkmcnt(0)
	v_add_co_u32 v5, s1, v5, v9
	s_delay_alu instid0(VALU_DEP_1)
	v_add_co_ci_u32_e64 v2, s1, v2, v10, s1
.LBB502_89:
	s_or_b32 exec_lo, exec_lo, s8
	v_add_nc_u32_e32 v1, -1, v74
	s_delay_alu instid0(VALU_DEP_1) | instskip(NEXT) | instid1(VALU_DEP_1)
	v_cmp_gt_i32_e64 s1, 0, v1
	v_cndmask_b32_e64 v1, v1, v74, s1
	v_cmp_eq_u32_e64 s1, 0, v74
	s_delay_alu instid0(VALU_DEP_2)
	v_lshlrev_b32_e32 v1, 2, v1
	ds_bpermute_b32 v15, v1, v5
	ds_bpermute_b32 v16, v1, v2
	s_and_saveexec_b32 s8, vcc_lo
	s_cbranch_execz .LBB502_132
; %bb.90:
	v_mov_b32_e32 v4, 0
	ds_load_b64 v[1:2], v4 offset:24
	s_and_saveexec_b32 s9, s1
	s_cbranch_execz .LBB502_92
; %bb.91:
	s_add_i32 s10, s7, 32
	s_mov_b32 s11, 0
	s_delay_alu instid0(SALU_CYCLE_1) | instskip(NEXT) | instid1(SALU_CYCLE_1)
	s_lshl_b64 s[10:11], s[10:11], 4
	s_add_u32 s10, s14, s10
	s_addc_u32 s11, s15, s11
	v_mov_b32_e32 v5, s10
	v_dual_mov_b32 v3, 1 :: v_dual_mov_b32 v6, s11
	s_waitcnt lgkmcnt(0)
	;;#ASMSTART
	global_store_dwordx4 v[5:6], v[1:4] off	
s_waitcnt vmcnt(0)
	;;#ASMEND
.LBB502_92:
	s_or_b32 exec_lo, exec_lo, s9
	v_xad_u32 v11, v74, -1, s7
	s_mov_b32 s10, 0
	s_mov_b32 s9, exec_lo
	s_delay_alu instid0(VALU_DEP_1) | instskip(NEXT) | instid1(VALU_DEP_1)
	v_add_nc_u32_e32 v3, 32, v11
	v_lshlrev_b64 v[3:4], 4, v[3:4]
	s_delay_alu instid0(VALU_DEP_1) | instskip(NEXT) | instid1(VALU_DEP_2)
	v_add_co_u32 v3, vcc_lo, s14, v3
	v_add_co_ci_u32_e32 v4, vcc_lo, s15, v4, vcc_lo
	;;#ASMSTART
	global_load_dwordx4 v[5:8], v[3:4] off glc	
s_waitcnt vmcnt(0)
	;;#ASMEND
	v_and_b32_e32 v8, 0xff, v6
	v_and_b32_e32 v12, 0xff00, v6
	v_or3_b32 v5, v5, 0, 0
	v_and_b32_e32 v13, 0xff000000, v6
	v_and_b32_e32 v6, 0xff0000, v6
	s_delay_alu instid0(VALU_DEP_4) | instskip(SKIP_2) | instid1(VALU_DEP_3)
	v_or3_b32 v8, 0, v8, v12
	v_and_b32_e32 v12, 0xff, v7
	v_or3_b32 v5, v5, 0, 0
	v_or3_b32 v6, v8, v6, v13
	s_delay_alu instid0(VALU_DEP_3)
	v_cmpx_eq_u16_e32 0, v12
	s_cbranch_execz .LBB502_98
; %bb.93:
	s_mov_b32 s11, 1
	.p2align	6
.LBB502_94:                             ; =>This Loop Header: Depth=1
                                        ;     Child Loop BB502_95 Depth 2
	s_delay_alu instid0(SALU_CYCLE_1)
	s_max_u32 s16, s11, 1
.LBB502_95:                             ;   Parent Loop BB502_94 Depth=1
                                        ; =>  This Inner Loop Header: Depth=2
	s_delay_alu instid0(SALU_CYCLE_1)
	s_add_i32 s16, s16, -1
	s_sleep 1
	s_cmp_eq_u32 s16, 0
	s_cbranch_scc0 .LBB502_95
; %bb.96:                               ;   in Loop: Header=BB502_94 Depth=1
	;;#ASMSTART
	global_load_dwordx4 v[5:8], v[3:4] off glc	
s_waitcnt vmcnt(0)
	;;#ASMEND
	v_and_b32_e32 v8, 0xff, v7
	s_cmp_lt_u32 s11, 32
	s_cselect_b32 s16, -1, 0
	s_delay_alu instid0(SALU_CYCLE_1) | instskip(NEXT) | instid1(VALU_DEP_1)
	s_cmp_lg_u32 s16, 0
	v_cmp_ne_u16_e32 vcc_lo, 0, v8
	s_addc_u32 s11, s11, 0
	s_or_b32 s10, vcc_lo, s10
	s_delay_alu instid0(SALU_CYCLE_1)
	s_and_not1_b32 exec_lo, exec_lo, s10
	s_cbranch_execnz .LBB502_94
; %bb.97:
	s_or_b32 exec_lo, exec_lo, s10
.LBB502_98:
	s_delay_alu instid0(SALU_CYCLE_1)
	s_or_b32 exec_lo, exec_lo, s9
	v_cmp_ne_u32_e32 vcc_lo, 31, v74
	v_and_b32_e32 v4, 0xff, v7
	v_lshlrev_b32_e64 v18, v74, -1
	s_mov_b32 s9, exec_lo
	v_add_co_ci_u32_e32 v3, vcc_lo, 0, v74, vcc_lo
	s_delay_alu instid0(VALU_DEP_3) | instskip(NEXT) | instid1(VALU_DEP_2)
	v_cmp_eq_u16_e32 vcc_lo, 2, v4
	v_dual_mov_b32 v4, v5 :: v_dual_lshlrev_b32 v17, 2, v3
	v_and_or_b32 v3, vcc_lo, v18, 0x80000000
	ds_bpermute_b32 v12, v17, v5
	ds_bpermute_b32 v8, v17, v6
	v_ctz_i32_b32_e32 v3, v3
	s_delay_alu instid0(VALU_DEP_1)
	v_cmpx_lt_u32_e64 v74, v3
	s_cbranch_execz .LBB502_100
; %bb.99:
	s_waitcnt lgkmcnt(1)
	v_add_co_u32 v4, vcc_lo, v5, v12
	v_add_co_ci_u32_e32 v6, vcc_lo, 0, v6, vcc_lo
	s_delay_alu instid0(VALU_DEP_2) | instskip(SKIP_1) | instid1(VALU_DEP_2)
	v_add_co_u32 v5, vcc_lo, 0, v4
	s_waitcnt lgkmcnt(0)
	v_add_co_ci_u32_e32 v6, vcc_lo, v8, v6, vcc_lo
.LBB502_100:
	s_or_b32 exec_lo, exec_lo, s9
	v_cmp_gt_u32_e32 vcc_lo, 30, v74
	v_add_nc_u32_e32 v20, 2, v74
	s_mov_b32 s9, exec_lo
	s_waitcnt lgkmcnt(0)
	v_cndmask_b32_e64 v8, 0, 1, vcc_lo
	s_delay_alu instid0(VALU_DEP_1) | instskip(NEXT) | instid1(VALU_DEP_1)
	v_lshlrev_b32_e32 v8, 1, v8
	v_add_lshl_u32 v19, v8, v74, 2
	ds_bpermute_b32 v12, v19, v4
	ds_bpermute_b32 v8, v19, v6
	v_cmpx_le_u32_e64 v20, v3
	s_cbranch_execz .LBB502_102
; %bb.101:
	s_waitcnt lgkmcnt(1)
	v_add_co_u32 v4, vcc_lo, v5, v12
	v_add_co_ci_u32_e32 v6, vcc_lo, 0, v6, vcc_lo
	s_delay_alu instid0(VALU_DEP_2) | instskip(SKIP_1) | instid1(VALU_DEP_2)
	v_add_co_u32 v5, vcc_lo, 0, v4
	s_waitcnt lgkmcnt(0)
	v_add_co_ci_u32_e32 v6, vcc_lo, v8, v6, vcc_lo
.LBB502_102:
	s_or_b32 exec_lo, exec_lo, s9
	v_cmp_gt_u32_e32 vcc_lo, 28, v74
	v_add_nc_u32_e32 v22, 4, v74
	s_mov_b32 s9, exec_lo
	s_waitcnt lgkmcnt(0)
	v_cndmask_b32_e64 v8, 0, 1, vcc_lo
	s_delay_alu instid0(VALU_DEP_1) | instskip(NEXT) | instid1(VALU_DEP_1)
	v_lshlrev_b32_e32 v8, 2, v8
	v_add_lshl_u32 v21, v8, v74, 2
	ds_bpermute_b32 v12, v21, v4
	ds_bpermute_b32 v8, v21, v6
	v_cmpx_le_u32_e64 v22, v3
	;; [unrolled: 22-line block ×4, first 2 shown]
	s_cbranch_execz .LBB502_108
; %bb.107:
	s_waitcnt lgkmcnt(1)
	v_add_co_u32 v3, vcc_lo, v5, v8
	v_add_co_ci_u32_e32 v6, vcc_lo, 0, v6, vcc_lo
	s_delay_alu instid0(VALU_DEP_2) | instskip(SKIP_1) | instid1(VALU_DEP_2)
	v_add_co_u32 v5, vcc_lo, v3, 0
	s_waitcnt lgkmcnt(0)
	v_add_co_ci_u32_e32 v6, vcc_lo, v6, v4, vcc_lo
.LBB502_108:
	s_or_b32 exec_lo, exec_lo, s9
	v_mov_b32_e32 v12, 0
	s_branch .LBB502_110
.LBB502_109:                            ;   in Loop: Header=BB502_110 Depth=1
	s_or_b32 exec_lo, exec_lo, s9
	v_add_co_u32 v5, vcc_lo, v5, v3
	v_subrev_nc_u32_e32 v11, 32, v11
	v_add_co_ci_u32_e32 v6, vcc_lo, v6, v4, vcc_lo
.LBB502_110:                            ; =>This Loop Header: Depth=1
                                        ;     Child Loop BB502_113 Depth 2
                                        ;       Child Loop BB502_114 Depth 3
	v_and_b32_e32 v3, 0xff, v7
	s_delay_alu instid0(VALU_DEP_1) | instskip(SKIP_2) | instid1(VALU_DEP_1)
	v_cmp_ne_u16_e32 vcc_lo, 2, v3
	v_cndmask_b32_e64 v3, 0, 1, vcc_lo
	;;#ASMSTART
	;;#ASMEND
	v_cmp_ne_u32_e32 vcc_lo, 0, v3
	s_waitcnt lgkmcnt(0)
	v_dual_mov_b32 v3, v5 :: v_dual_mov_b32 v4, v6
	s_cmp_lg_u32 vcc_lo, exec_lo
	s_cbranch_scc1 .LBB502_127
; %bb.111:                              ;   in Loop: Header=BB502_110 Depth=1
	v_lshlrev_b64 v[5:6], 4, v[11:12]
	s_mov_b32 s9, exec_lo
	s_delay_alu instid0(VALU_DEP_1) | instskip(NEXT) | instid1(VALU_DEP_2)
	v_add_co_u32 v13, vcc_lo, s14, v5
	v_add_co_ci_u32_e32 v14, vcc_lo, s15, v6, vcc_lo
	;;#ASMSTART
	global_load_dwordx4 v[5:8], v[13:14] off glc	
s_waitcnt vmcnt(0)
	;;#ASMEND
	v_and_b32_e32 v8, 0xff, v6
	v_and_b32_e32 v27, 0xff00, v6
	v_or3_b32 v5, v5, 0, 0
	v_and_b32_e32 v28, 0xff000000, v6
	v_and_b32_e32 v6, 0xff0000, v6
	s_delay_alu instid0(VALU_DEP_4) | instskip(SKIP_2) | instid1(VALU_DEP_3)
	v_or3_b32 v8, 0, v8, v27
	v_and_b32_e32 v27, 0xff, v7
	v_or3_b32 v5, v5, 0, 0
	v_or3_b32 v6, v8, v6, v28
	s_delay_alu instid0(VALU_DEP_3)
	v_cmpx_eq_u16_e32 0, v27
	s_cbranch_execz .LBB502_117
; %bb.112:                              ;   in Loop: Header=BB502_110 Depth=1
	s_mov_b32 s11, 1
	s_mov_b32 s10, 0
	.p2align	6
.LBB502_113:                            ;   Parent Loop BB502_110 Depth=1
                                        ; =>  This Loop Header: Depth=2
                                        ;       Child Loop BB502_114 Depth 3
	s_max_u32 s16, s11, 1
.LBB502_114:                            ;   Parent Loop BB502_110 Depth=1
                                        ;     Parent Loop BB502_113 Depth=2
                                        ; =>    This Inner Loop Header: Depth=3
	s_delay_alu instid0(SALU_CYCLE_1)
	s_add_i32 s16, s16, -1
	s_sleep 1
	s_cmp_eq_u32 s16, 0
	s_cbranch_scc0 .LBB502_114
; %bb.115:                              ;   in Loop: Header=BB502_113 Depth=2
	;;#ASMSTART
	global_load_dwordx4 v[5:8], v[13:14] off glc	
s_waitcnt vmcnt(0)
	;;#ASMEND
	v_and_b32_e32 v8, 0xff, v7
	s_cmp_lt_u32 s11, 32
	s_cselect_b32 s16, -1, 0
	s_delay_alu instid0(SALU_CYCLE_1) | instskip(NEXT) | instid1(VALU_DEP_1)
	s_cmp_lg_u32 s16, 0
	v_cmp_ne_u16_e32 vcc_lo, 0, v8
	s_addc_u32 s11, s11, 0
	s_or_b32 s10, vcc_lo, s10
	s_delay_alu instid0(SALU_CYCLE_1)
	s_and_not1_b32 exec_lo, exec_lo, s10
	s_cbranch_execnz .LBB502_113
; %bb.116:                              ;   in Loop: Header=BB502_110 Depth=1
	s_or_b32 exec_lo, exec_lo, s10
.LBB502_117:                            ;   in Loop: Header=BB502_110 Depth=1
	s_delay_alu instid0(SALU_CYCLE_1)
	s_or_b32 exec_lo, exec_lo, s9
	v_dual_mov_b32 v13, v5 :: v_dual_and_b32 v8, 0xff, v7
	ds_bpermute_b32 v27, v17, v5
	ds_bpermute_b32 v14, v17, v6
	s_mov_b32 s9, exec_lo
	v_cmp_eq_u16_e32 vcc_lo, 2, v8
	v_and_or_b32 v8, vcc_lo, v18, 0x80000000
	s_delay_alu instid0(VALU_DEP_1) | instskip(NEXT) | instid1(VALU_DEP_1)
	v_ctz_i32_b32_e32 v8, v8
	v_cmpx_lt_u32_e64 v74, v8
	s_cbranch_execz .LBB502_119
; %bb.118:                              ;   in Loop: Header=BB502_110 Depth=1
	s_waitcnt lgkmcnt(1)
	v_add_co_u32 v13, vcc_lo, v5, v27
	v_add_co_ci_u32_e32 v6, vcc_lo, 0, v6, vcc_lo
	s_delay_alu instid0(VALU_DEP_2) | instskip(SKIP_1) | instid1(VALU_DEP_2)
	v_add_co_u32 v5, vcc_lo, 0, v13
	s_waitcnt lgkmcnt(0)
	v_add_co_ci_u32_e32 v6, vcc_lo, v14, v6, vcc_lo
.LBB502_119:                            ;   in Loop: Header=BB502_110 Depth=1
	s_or_b32 exec_lo, exec_lo, s9
	s_waitcnt lgkmcnt(1)
	ds_bpermute_b32 v27, v19, v13
	s_waitcnt lgkmcnt(1)
	ds_bpermute_b32 v14, v19, v6
	s_mov_b32 s9, exec_lo
	v_cmpx_le_u32_e64 v20, v8
	s_cbranch_execz .LBB502_121
; %bb.120:                              ;   in Loop: Header=BB502_110 Depth=1
	s_waitcnt lgkmcnt(1)
	v_add_co_u32 v13, vcc_lo, v5, v27
	v_add_co_ci_u32_e32 v6, vcc_lo, 0, v6, vcc_lo
	s_delay_alu instid0(VALU_DEP_2) | instskip(SKIP_1) | instid1(VALU_DEP_2)
	v_add_co_u32 v5, vcc_lo, 0, v13
	s_waitcnt lgkmcnt(0)
	v_add_co_ci_u32_e32 v6, vcc_lo, v14, v6, vcc_lo
.LBB502_121:                            ;   in Loop: Header=BB502_110 Depth=1
	s_or_b32 exec_lo, exec_lo, s9
	s_waitcnt lgkmcnt(1)
	ds_bpermute_b32 v27, v21, v13
	s_waitcnt lgkmcnt(1)
	ds_bpermute_b32 v14, v21, v6
	s_mov_b32 s9, exec_lo
	v_cmpx_le_u32_e64 v22, v8
	;; [unrolled: 17-line block ×3, first 2 shown]
	s_cbranch_execz .LBB502_125
; %bb.124:                              ;   in Loop: Header=BB502_110 Depth=1
	s_waitcnt lgkmcnt(1)
	v_add_co_u32 v13, vcc_lo, v5, v27
	v_add_co_ci_u32_e32 v6, vcc_lo, 0, v6, vcc_lo
	s_delay_alu instid0(VALU_DEP_2) | instskip(SKIP_1) | instid1(VALU_DEP_2)
	v_add_co_u32 v5, vcc_lo, 0, v13
	s_waitcnt lgkmcnt(0)
	v_add_co_ci_u32_e32 v6, vcc_lo, v14, v6, vcc_lo
.LBB502_125:                            ;   in Loop: Header=BB502_110 Depth=1
	s_or_b32 exec_lo, exec_lo, s9
	s_waitcnt lgkmcnt(0)
	ds_bpermute_b32 v14, v25, v13
	ds_bpermute_b32 v13, v25, v6
	s_mov_b32 s9, exec_lo
	v_cmpx_le_u32_e64 v26, v8
	s_cbranch_execz .LBB502_109
; %bb.126:                              ;   in Loop: Header=BB502_110 Depth=1
	s_waitcnt lgkmcnt(1)
	v_add_co_u32 v5, vcc_lo, v5, v14
	v_add_co_ci_u32_e32 v6, vcc_lo, 0, v6, vcc_lo
	s_delay_alu instid0(VALU_DEP_2) | instskip(SKIP_1) | instid1(VALU_DEP_2)
	v_add_co_u32 v5, vcc_lo, v5, 0
	s_waitcnt lgkmcnt(0)
	v_add_co_ci_u32_e32 v6, vcc_lo, v6, v13, vcc_lo
	s_branch .LBB502_109
.LBB502_127:                            ;   in Loop: Header=BB502_110 Depth=1
                                        ; implicit-def: $vgpr5_vgpr6
	s_cbranch_execz .LBB502_110
; %bb.128:
	s_and_saveexec_b32 s9, s1
	s_cbranch_execz .LBB502_130
; %bb.129:
	s_add_i32 s10, s7, 32
	s_mov_b32 s11, 0
	v_add_co_u32 v5, vcc_lo, v3, v1
	s_lshl_b64 s[10:11], s[10:11], 4
	v_dual_mov_b32 v7, 2 :: v_dual_mov_b32 v8, 0
	s_add_u32 s10, s14, s10
	s_addc_u32 s11, s15, s11
	v_add_co_ci_u32_e32 v6, vcc_lo, v4, v2, vcc_lo
	v_dual_mov_b32 v12, s11 :: v_dual_mov_b32 v11, s10
	;;#ASMSTART
	global_store_dwordx4 v[11:12], v[5:8] off	
s_waitcnt vmcnt(0)
	;;#ASMEND
	ds_store_b128 v8, v[1:4] offset:7168
.LBB502_130:
	s_or_b32 exec_lo, exec_lo, s9
	s_delay_alu instid0(SALU_CYCLE_1)
	s_and_b32 exec_lo, exec_lo, s2
	s_cbranch_execz .LBB502_132
; %bb.131:
	v_mov_b32_e32 v1, 0
	ds_store_b64 v1, v[3:4] offset:24
.LBB502_132:
	s_or_b32 exec_lo, exec_lo, s8
	v_mov_b32_e32 v21, 0
	s_waitcnt lgkmcnt(0)
	s_barrier
	buffer_gl0_inv
	v_cndmask_b32_e64 v3, v15, v9, s1
	ds_load_b64 v[1:2], v21 offset:24
	v_cndmask_b32_e64 v4, v16, v10, s1
	s_waitcnt lgkmcnt(0)
	s_barrier
	v_cndmask_b32_e64 v3, v3, 0, s2
	buffer_gl0_inv
	v_cndmask_b32_e64 v4, v4, 0, s2
	ds_load_b128 v[45:48], v21 offset:7168
	v_add_co_u32 v1, vcc_lo, v1, v3
	v_add_co_ci_u32_e32 v2, vcc_lo, v2, v4, vcc_lo
	s_delay_alu instid0(VALU_DEP_2) | instskip(NEXT) | instid1(VALU_DEP_2)
	v_add_co_u32 v3, vcc_lo, v1, v65
	v_add_co_ci_u32_e32 v4, vcc_lo, 0, v2, vcc_lo
	s_delay_alu instid0(VALU_DEP_2) | instskip(NEXT) | instid1(VALU_DEP_2)
	;; [unrolled: 3-line block ×13, first 2 shown]
	v_add_co_u32 v27, vcc_lo, v25, v64
	v_add_co_ci_u32_e32 v28, vcc_lo, 0, v26, vcc_lo
	s_branch .LBB502_157
.LBB502_133:
                                        ; implicit-def: $vgpr47_vgpr48
                                        ; implicit-def: $vgpr1_vgpr2_vgpr3_vgpr4_vgpr5_vgpr6_vgpr7_vgpr8_vgpr9_vgpr10_vgpr11_vgpr12_vgpr13_vgpr14_vgpr15_vgpr16_vgpr17_vgpr18_vgpr19_vgpr20_vgpr21_vgpr22_vgpr23_vgpr24_vgpr25_vgpr26_vgpr27_vgpr28_vgpr29_vgpr30_vgpr31_vgpr32
	s_and_b32 vcc_lo, exec_lo, s1
	s_cbranch_vccz .LBB502_157
; %bb.134:
	v_dual_mov_b32 v2, 0 :: v_dual_mov_b32 v3, v53
	v_mov_b32_dpp v4, v53 row_shr:1 row_mask:0xf bank_mask:0xf
	s_delay_alu instid0(VALU_DEP_2)
	v_mov_b32_dpp v1, v2 row_shr:1 row_mask:0xf bank_mask:0xf
	s_and_saveexec_b32 s1, s0
; %bb.135:
	s_delay_alu instid0(VALU_DEP_2) | instskip(SKIP_1) | instid1(VALU_DEP_2)
	v_add_co_u32 v3, vcc_lo, v53, v4
	v_add_co_ci_u32_e32 v2, vcc_lo, 0, v54, vcc_lo
	v_add_co_u32 v53, vcc_lo, 0, v3
	s_delay_alu instid0(VALU_DEP_2) | instskip(NEXT) | instid1(VALU_DEP_1)
	v_add_co_ci_u32_e32 v54, vcc_lo, v1, v2, vcc_lo
	v_mov_b32_e32 v2, v54
; %bb.136:
	s_or_b32 exec_lo, exec_lo, s1
	v_mov_b32_dpp v1, v3 row_shr:2 row_mask:0xf bank_mask:0xf
	s_delay_alu instid0(VALU_DEP_2)
	v_mov_b32_dpp v4, v2 row_shr:2 row_mask:0xf bank_mask:0xf
	s_mov_b32 s0, exec_lo
	v_cmpx_lt_u32_e32 1, v75
; %bb.137:
	s_delay_alu instid0(VALU_DEP_3) | instskip(SKIP_1) | instid1(VALU_DEP_2)
	v_add_co_u32 v3, vcc_lo, v53, v1
	v_add_co_ci_u32_e32 v2, vcc_lo, 0, v54, vcc_lo
	v_add_co_u32 v1, vcc_lo, 0, v3
	s_delay_alu instid0(VALU_DEP_2) | instskip(NEXT) | instid1(VALU_DEP_1)
	v_add_co_ci_u32_e32 v2, vcc_lo, v4, v2, vcc_lo
	v_dual_mov_b32 v54, v2 :: v_dual_mov_b32 v53, v1
; %bb.138:
	s_or_b32 exec_lo, exec_lo, s0
	v_mov_b32_dpp v1, v3 row_shr:4 row_mask:0xf bank_mask:0xf
	v_mov_b32_dpp v4, v2 row_shr:4 row_mask:0xf bank_mask:0xf
	s_mov_b32 s0, exec_lo
	v_cmpx_lt_u32_e32 3, v75
; %bb.139:
	s_delay_alu instid0(VALU_DEP_3) | instskip(SKIP_1) | instid1(VALU_DEP_2)
	v_add_co_u32 v3, vcc_lo, v53, v1
	v_add_co_ci_u32_e32 v2, vcc_lo, 0, v54, vcc_lo
	v_add_co_u32 v1, vcc_lo, 0, v3
	s_delay_alu instid0(VALU_DEP_2) | instskip(NEXT) | instid1(VALU_DEP_1)
	v_add_co_ci_u32_e32 v2, vcc_lo, v4, v2, vcc_lo
	v_dual_mov_b32 v54, v2 :: v_dual_mov_b32 v53, v1
; %bb.140:
	s_or_b32 exec_lo, exec_lo, s0
	v_mov_b32_dpp v4, v3 row_shr:8 row_mask:0xf bank_mask:0xf
	v_mov_b32_dpp v1, v2 row_shr:8 row_mask:0xf bank_mask:0xf
	s_mov_b32 s0, exec_lo
	v_cmpx_lt_u32_e32 7, v75
; %bb.141:
	s_delay_alu instid0(VALU_DEP_3) | instskip(SKIP_1) | instid1(VALU_DEP_2)
	v_add_co_u32 v3, vcc_lo, v53, v4
	v_add_co_ci_u32_e32 v2, vcc_lo, 0, v54, vcc_lo
	v_add_co_u32 v53, vcc_lo, 0, v3
	s_delay_alu instid0(VALU_DEP_2) | instskip(NEXT) | instid1(VALU_DEP_1)
	v_add_co_ci_u32_e32 v54, vcc_lo, v1, v2, vcc_lo
	v_mov_b32_e32 v2, v54
; %bb.142:
	s_or_b32 exec_lo, exec_lo, s0
	ds_swizzle_b32 v3, v3 offset:swizzle(BROADCAST,32,15)
	ds_swizzle_b32 v1, v2 offset:swizzle(BROADCAST,32,15)
	v_and_b32_e32 v2, 16, v74
	s_mov_b32 s0, exec_lo
	s_delay_alu instid0(VALU_DEP_1)
	v_cmpx_ne_u32_e32 0, v2
	s_cbranch_execz .LBB502_144
; %bb.143:
	s_waitcnt lgkmcnt(1)
	v_add_co_u32 v2, vcc_lo, v53, v3
	v_add_co_ci_u32_e32 v3, vcc_lo, 0, v54, vcc_lo
	s_delay_alu instid0(VALU_DEP_2) | instskip(SKIP_1) | instid1(VALU_DEP_2)
	v_add_co_u32 v53, vcc_lo, v2, 0
	s_waitcnt lgkmcnt(0)
	v_add_co_ci_u32_e32 v54, vcc_lo, v3, v1, vcc_lo
.LBB502_144:
	s_or_b32 exec_lo, exec_lo, s0
	s_waitcnt lgkmcnt(0)
	v_or_b32_e32 v1, 31, v0
	v_lshrrev_b32_e32 v3, 5, v0
	s_mov_b32 s0, exec_lo
	s_delay_alu instid0(VALU_DEP_2)
	v_cmpx_eq_u32_e64 v1, v0
	s_cbranch_execz .LBB502_146
; %bb.145:
	s_delay_alu instid0(VALU_DEP_2)
	v_lshlrev_b32_e32 v1, 3, v3
	ds_store_b64 v1, v[53:54]
.LBB502_146:
	s_or_b32 exec_lo, exec_lo, s0
	s_delay_alu instid0(SALU_CYCLE_1)
	s_mov_b32 s0, exec_lo
	s_waitcnt lgkmcnt(0)
	s_barrier
	buffer_gl0_inv
	v_cmpx_gt_u32_e32 4, v0
	s_cbranch_execz .LBB502_152
; %bb.147:
	v_mad_i32_i24 v1, 0xffffffd0, v0, v63
	s_mov_b32 s1, exec_lo
	ds_load_b64 v[1:2], v1
	s_waitcnt lgkmcnt(0)
	v_dual_mov_b32 v5, v1 :: v_dual_and_b32 v4, 3, v74
	v_mov_b32_dpp v7, v1 row_shr:1 row_mask:0xf bank_mask:0xf
	v_mov_b32_dpp v6, v2 row_shr:1 row_mask:0xf bank_mask:0xf
	s_delay_alu instid0(VALU_DEP_3)
	v_cmpx_ne_u32_e32 0, v4
; %bb.148:
	s_delay_alu instid0(VALU_DEP_3) | instskip(SKIP_1) | instid1(VALU_DEP_2)
	v_add_co_u32 v5, vcc_lo, v1, v7
	v_add_co_ci_u32_e32 v2, vcc_lo, 0, v2, vcc_lo
	v_add_co_u32 v1, vcc_lo, 0, v5
	s_delay_alu instid0(VALU_DEP_2)
	v_add_co_ci_u32_e32 v2, vcc_lo, v6, v2, vcc_lo
; %bb.149:
	s_or_b32 exec_lo, exec_lo, s1
	v_mul_i32_i24_e32 v6, 0xffffffd0, v0
	v_mov_b32_dpp v7, v5 row_shr:2 row_mask:0xf bank_mask:0xf
	s_delay_alu instid0(VALU_DEP_3)
	v_mov_b32_dpp v5, v2 row_shr:2 row_mask:0xf bank_mask:0xf
	s_mov_b32 s1, exec_lo
	v_cmpx_lt_u32_e32 1, v4
; %bb.150:
	s_delay_alu instid0(VALU_DEP_3) | instskip(SKIP_1) | instid1(VALU_DEP_2)
	v_add_co_u32 v1, vcc_lo, v1, v7
	v_add_co_ci_u32_e32 v2, vcc_lo, 0, v2, vcc_lo
	v_add_co_u32 v1, vcc_lo, v1, 0
	s_delay_alu instid0(VALU_DEP_2)
	v_add_co_ci_u32_e32 v2, vcc_lo, v2, v5, vcc_lo
; %bb.151:
	s_or_b32 exec_lo, exec_lo, s1
	v_add_nc_u32_e32 v4, v63, v6
	ds_store_b64 v4, v[1:2]
.LBB502_152:
	s_or_b32 exec_lo, exec_lo, s0
	v_mov_b32_e32 v1, 0
	v_mov_b32_e32 v2, 0
	s_mov_b32 s0, exec_lo
	s_waitcnt lgkmcnt(0)
	s_barrier
	buffer_gl0_inv
	v_cmpx_lt_u32_e32 31, v0
	s_cbranch_execz .LBB502_154
; %bb.153:
	v_lshl_add_u32 v1, v3, 3, -8
	ds_load_b64 v[1:2], v1
.LBB502_154:
	s_or_b32 exec_lo, exec_lo, s0
	v_dual_mov_b32 v48, 0 :: v_dual_add_nc_u32 v3, -1, v74
	s_delay_alu instid0(VALU_DEP_1) | instskip(SKIP_2) | instid1(VALU_DEP_1)
	v_cmp_gt_i32_e32 vcc_lo, 0, v3
	ds_load_b64 v[45:46], v48 offset:24
	v_cndmask_b32_e32 v3, v3, v74, vcc_lo
	v_lshlrev_b32_e32 v4, 2, v3
	s_waitcnt lgkmcnt(1)
	v_add_co_u32 v3, vcc_lo, v1, v53
	v_add_co_ci_u32_e32 v5, vcc_lo, v2, v54, vcc_lo
	ds_bpermute_b32 v3, v4, v3
	ds_bpermute_b32 v4, v4, v5
	s_and_saveexec_b32 s0, s2
	s_cbranch_execz .LBB502_156
; %bb.155:
	s_add_u32 s8, s14, 0x200
	s_addc_u32 s9, s15, 0
	v_mov_b32_e32 v5, s8
	v_dual_mov_b32 v47, 2 :: v_dual_mov_b32 v6, s9
	s_waitcnt lgkmcnt(2)
	;;#ASMSTART
	global_store_dwordx4 v[5:6], v[45:48] off	
s_waitcnt vmcnt(0)
	;;#ASMEND
.LBB502_156:
	s_or_b32 exec_lo, exec_lo, s0
	v_cmp_eq_u32_e32 vcc_lo, 0, v74
	v_mov_b32_e32 v47, 0
	v_mov_b32_e32 v48, 0
	s_waitcnt lgkmcnt(0)
	s_barrier
	v_dual_cndmask_b32 v1, v3, v1 :: v_dual_cndmask_b32 v2, v4, v2
	buffer_gl0_inv
	v_cndmask_b32_e64 v1, v1, 0, s2
	v_cndmask_b32_e64 v2, v2, 0, s2
	s_delay_alu instid0(VALU_DEP_2) | instskip(NEXT) | instid1(VALU_DEP_2)
	v_add_co_u32 v3, vcc_lo, v1, v65
	v_add_co_ci_u32_e32 v4, vcc_lo, 0, v2, vcc_lo
	s_delay_alu instid0(VALU_DEP_2) | instskip(NEXT) | instid1(VALU_DEP_2)
	v_add_co_u32 v5, vcc_lo, v3, v66
	v_add_co_ci_u32_e32 v6, vcc_lo, 0, v4, vcc_lo
	;; [unrolled: 3-line block ×13, first 2 shown]
.LBB502_157:
	s_waitcnt lgkmcnt(0)
	v_cmp_gt_u64_e32 vcc_lo, 0x81, v[45:46]
	v_lshrrev_b32_e32 v53, 16, v58
	v_lshrrev_b32_e32 v54, 8, v58
	;; [unrolled: 1-line block ×6, first 2 shown]
	s_mov_b32 s0, -1
	s_cbranch_vccnz .LBB502_161
; %bb.158:
	s_and_b32 vcc_lo, exec_lo, s0
	s_cbranch_vccnz .LBB502_204
.LBB502_159:
	s_and_b32 s0, s2, s3
	s_delay_alu instid0(SALU_CYCLE_1)
	s_and_saveexec_b32 s1, s0
	s_cbranch_execnz .LBB502_236
.LBB502_160:
	s_nop 0
	s_sendmsg sendmsg(MSG_DEALLOC_VGPRS)
	s_endpgm
.LBB502_161:
	v_add_co_u32 v29, vcc_lo, v47, v45
	v_add_co_ci_u32_e32 v30, vcc_lo, v48, v46, vcc_lo
	v_lshlrev_b64 v[65:66], 2, v[49:50]
	s_delay_alu instid0(VALU_DEP_2) | instskip(NEXT) | instid1(VALU_DEP_2)
	v_cmp_lt_u64_e32 vcc_lo, v[1:2], v[29:30]
	v_add_co_u32 v65, s0, s12, v65
	s_delay_alu instid0(VALU_DEP_1) | instskip(SKIP_1) | instid1(SALU_CYCLE_1)
	v_add_co_ci_u32_e64 v66, s0, s13, v66, s0
	s_or_b32 s1, s6, vcc_lo
	s_and_saveexec_b32 s0, s1
	s_cbranch_execz .LBB502_164
; %bb.162:
	v_and_b32_e32 v67, 1, v61
	s_delay_alu instid0(VALU_DEP_1)
	v_cmp_eq_u32_e32 vcc_lo, 1, v67
	s_and_b32 exec_lo, exec_lo, vcc_lo
	s_cbranch_execz .LBB502_164
; %bb.163:
	v_lshlrev_b64 v[67:68], 2, v[1:2]
	s_delay_alu instid0(VALU_DEP_1) | instskip(NEXT) | instid1(VALU_DEP_2)
	v_add_co_u32 v67, vcc_lo, v65, v67
	v_add_co_ci_u32_e32 v68, vcc_lo, v66, v68, vcc_lo
	global_store_b32 v[67:68], v41, off
.LBB502_164:
	s_or_b32 exec_lo, exec_lo, s0
	v_cmp_lt_u64_e32 vcc_lo, v[3:4], v[29:30]
	s_or_b32 s1, s6, vcc_lo
	s_delay_alu instid0(SALU_CYCLE_1)
	s_and_saveexec_b32 s0, s1
	s_cbranch_execz .LBB502_167
; %bb.165:
	v_and_b32_e32 v2, 1, v64
	s_delay_alu instid0(VALU_DEP_1)
	v_cmp_eq_u32_e32 vcc_lo, 1, v2
	s_and_b32 exec_lo, exec_lo, vcc_lo
	s_cbranch_execz .LBB502_167
; %bb.166:
	v_lshlrev_b64 v[67:68], 2, v[3:4]
	s_delay_alu instid0(VALU_DEP_1) | instskip(NEXT) | instid1(VALU_DEP_2)
	v_add_co_u32 v67, vcc_lo, v65, v67
	v_add_co_ci_u32_e32 v68, vcc_lo, v66, v68, vcc_lo
	global_store_b32 v[67:68], v42, off
.LBB502_167:
	s_or_b32 exec_lo, exec_lo, s0
	v_cmp_lt_u64_e32 vcc_lo, v[5:6], v[29:30]
	s_or_b32 s1, s6, vcc_lo
	s_delay_alu instid0(SALU_CYCLE_1)
	;; [unrolled: 19-line block ×13, first 2 shown]
	s_and_saveexec_b32 s0, s1
	s_cbranch_execz .LBB502_203
; %bb.201:
	v_and_b32_e32 v2, 1, v56
	s_delay_alu instid0(VALU_DEP_1)
	v_cmp_eq_u32_e32 vcc_lo, 1, v2
	s_and_b32 exec_lo, exec_lo, vcc_lo
	s_cbranch_execz .LBB502_203
; %bb.202:
	v_lshlrev_b64 v[28:29], 2, v[27:28]
	s_delay_alu instid0(VALU_DEP_1) | instskip(NEXT) | instid1(VALU_DEP_2)
	v_add_co_u32 v28, vcc_lo, v65, v28
	v_add_co_ci_u32_e32 v29, vcc_lo, v66, v29, vcc_lo
	global_store_b32 v[28:29], v52, off
.LBB502_203:
	s_or_b32 exec_lo, exec_lo, s0
	s_branch .LBB502_159
.LBB502_204:
	v_and_b32_e32 v2, 1, v61
	s_mov_b32 s0, exec_lo
	s_delay_alu instid0(VALU_DEP_1)
	v_cmpx_eq_u32_e32 1, v2
	s_cbranch_execz .LBB502_206
; %bb.205:
	v_sub_nc_u32_e32 v1, v1, v47
	s_delay_alu instid0(VALU_DEP_1)
	v_lshlrev_b32_e32 v1, 2, v1
	ds_store_b32 v1, v41
.LBB502_206:
	s_or_b32 exec_lo, exec_lo, s0
	v_and_b32_e32 v1, 1, v64
	s_mov_b32 s0, exec_lo
	s_delay_alu instid0(VALU_DEP_1)
	v_cmpx_eq_u32_e32 1, v1
	s_cbranch_execz .LBB502_208
; %bb.207:
	v_sub_nc_u32_e32 v1, v3, v47
	s_delay_alu instid0(VALU_DEP_1)
	v_lshlrev_b32_e32 v1, 2, v1
	ds_store_b32 v1, v42
.LBB502_208:
	s_or_b32 exec_lo, exec_lo, s0
	;; [unrolled: 12-line block ×14, first 2 shown]
	v_mov_b32_e32 v1, 0
	s_mov_b32 s1, exec_lo
	s_waitcnt lgkmcnt(0)
	s_waitcnt_vscnt null, 0x0
	s_barrier
	buffer_gl0_inv
	v_cmpx_gt_u64_e64 v[45:46], v[0:1]
	s_cbranch_execz .LBB502_235
; %bb.233:
	v_lshlrev_b64 v[2:3], 2, v[47:48]
	v_lshlrev_b64 v[4:5], 2, v[49:50]
	s_mov_b32 s6, 0
	s_delay_alu instid0(VALU_DEP_2) | instskip(NEXT) | instid1(VALU_DEP_3)
	v_add_co_u32 v6, vcc_lo, s12, v2
	v_add_co_ci_u32_e32 v7, vcc_lo, s13, v3, vcc_lo
	v_dual_mov_b32 v3, v1 :: v_dual_mov_b32 v2, v0
	s_delay_alu instid0(VALU_DEP_3) | instskip(NEXT) | instid1(VALU_DEP_3)
	v_add_co_u32 v4, vcc_lo, v6, v4
	v_add_co_ci_u32_e32 v5, vcc_lo, v7, v5, vcc_lo
	v_or_b32_e32 v0, 0x80, v0
	.p2align	6
.LBB502_234:                            ; =>This Inner Loop Header: Depth=1
	s_delay_alu instid0(VALU_DEP_4) | instskip(NEXT) | instid1(VALU_DEP_2)
	v_lshlrev_b32_e32 v6, 2, v2
	v_cmp_le_u64_e32 vcc_lo, v[45:46], v[0:1]
	ds_load_b32 v8, v6
	v_lshlrev_b64 v[6:7], 2, v[2:3]
	v_dual_mov_b32 v3, v1 :: v_dual_mov_b32 v2, v0
	v_add_nc_u32_e32 v0, 0x80, v0
	s_or_b32 s6, vcc_lo, s6
	s_delay_alu instid0(VALU_DEP_3) | instskip(NEXT) | instid1(VALU_DEP_1)
	v_add_co_u32 v6, s0, v4, v6
	v_add_co_ci_u32_e64 v7, s0, v5, v7, s0
	s_waitcnt lgkmcnt(0)
	global_store_b32 v[6:7], v8, off
	s_and_not1_b32 exec_lo, exec_lo, s6
	s_cbranch_execnz .LBB502_234
.LBB502_235:
	s_or_b32 exec_lo, exec_lo, s1
	s_and_b32 s0, s2, s3
	s_delay_alu instid0(SALU_CYCLE_1)
	s_and_saveexec_b32 s1, s0
	s_cbranch_execz .LBB502_160
.LBB502_236:
	v_add_co_u32 v0, vcc_lo, v47, v45
	v_add_co_ci_u32_e32 v1, vcc_lo, v48, v46, vcc_lo
	v_mov_b32_e32 v2, 0
	s_delay_alu instid0(VALU_DEP_3) | instskip(NEXT) | instid1(VALU_DEP_3)
	v_add_co_u32 v0, vcc_lo, v0, v49
	v_add_co_ci_u32_e32 v1, vcc_lo, v1, v50, vcc_lo
	global_store_b64 v2, v[0:1], s[4:5]
	s_nop 0
	s_sendmsg sendmsg(MSG_DEALLOC_VGPRS)
	s_endpgm
	.section	.rodata,"a",@progbits
	.p2align	6, 0x0
	.amdhsa_kernel _ZN7rocprim17ROCPRIM_400000_NS6detail17trampoline_kernelINS0_14default_configENS1_25partition_config_selectorILNS1_17partition_subalgoE6EjNS0_10empty_typeEbEEZZNS1_14partition_implILS5_6ELb0ES3_mN6thrust23THRUST_200600_302600_NS6detail15normal_iteratorINSA_10device_ptrIjEEEEPS6_SG_NS0_5tupleIJSF_S6_EEENSH_IJSG_SG_EEES6_PlJ5mod_3IjEEEE10hipError_tPvRmT3_T4_T5_T6_T7_T9_mT8_P12ihipStream_tbDpT10_ENKUlT_T0_E_clISt17integral_constantIbLb1EES16_EEDaS11_S12_EUlS11_E_NS1_11comp_targetILNS1_3genE9ELNS1_11target_archE1100ELNS1_3gpuE3ELNS1_3repE0EEENS1_30default_config_static_selectorELNS0_4arch9wavefront6targetE0EEEvT1_
		.amdhsa_group_segment_fixed_size 7184
		.amdhsa_private_segment_fixed_size 0
		.amdhsa_kernarg_size 128
		.amdhsa_user_sgpr_count 15
		.amdhsa_user_sgpr_dispatch_ptr 0
		.amdhsa_user_sgpr_queue_ptr 0
		.amdhsa_user_sgpr_kernarg_segment_ptr 1
		.amdhsa_user_sgpr_dispatch_id 0
		.amdhsa_user_sgpr_private_segment_size 0
		.amdhsa_wavefront_size32 1
		.amdhsa_uses_dynamic_stack 0
		.amdhsa_enable_private_segment 0
		.amdhsa_system_sgpr_workgroup_id_x 1
		.amdhsa_system_sgpr_workgroup_id_y 0
		.amdhsa_system_sgpr_workgroup_id_z 0
		.amdhsa_system_sgpr_workgroup_info 0
		.amdhsa_system_vgpr_workitem_id 0
		.amdhsa_next_free_vgpr 76
		.amdhsa_next_free_sgpr 20
		.amdhsa_reserve_vcc 1
		.amdhsa_float_round_mode_32 0
		.amdhsa_float_round_mode_16_64 0
		.amdhsa_float_denorm_mode_32 3
		.amdhsa_float_denorm_mode_16_64 3
		.amdhsa_dx10_clamp 1
		.amdhsa_ieee_mode 1
		.amdhsa_fp16_overflow 0
		.amdhsa_workgroup_processor_mode 1
		.amdhsa_memory_ordered 1
		.amdhsa_forward_progress 0
		.amdhsa_shared_vgpr_count 0
		.amdhsa_exception_fp_ieee_invalid_op 0
		.amdhsa_exception_fp_denorm_src 0
		.amdhsa_exception_fp_ieee_div_zero 0
		.amdhsa_exception_fp_ieee_overflow 0
		.amdhsa_exception_fp_ieee_underflow 0
		.amdhsa_exception_fp_ieee_inexact 0
		.amdhsa_exception_int_div_zero 0
	.end_amdhsa_kernel
	.section	.text._ZN7rocprim17ROCPRIM_400000_NS6detail17trampoline_kernelINS0_14default_configENS1_25partition_config_selectorILNS1_17partition_subalgoE6EjNS0_10empty_typeEbEEZZNS1_14partition_implILS5_6ELb0ES3_mN6thrust23THRUST_200600_302600_NS6detail15normal_iteratorINSA_10device_ptrIjEEEEPS6_SG_NS0_5tupleIJSF_S6_EEENSH_IJSG_SG_EEES6_PlJ5mod_3IjEEEE10hipError_tPvRmT3_T4_T5_T6_T7_T9_mT8_P12ihipStream_tbDpT10_ENKUlT_T0_E_clISt17integral_constantIbLb1EES16_EEDaS11_S12_EUlS11_E_NS1_11comp_targetILNS1_3genE9ELNS1_11target_archE1100ELNS1_3gpuE3ELNS1_3repE0EEENS1_30default_config_static_selectorELNS0_4arch9wavefront6targetE0EEEvT1_,"axG",@progbits,_ZN7rocprim17ROCPRIM_400000_NS6detail17trampoline_kernelINS0_14default_configENS1_25partition_config_selectorILNS1_17partition_subalgoE6EjNS0_10empty_typeEbEEZZNS1_14partition_implILS5_6ELb0ES3_mN6thrust23THRUST_200600_302600_NS6detail15normal_iteratorINSA_10device_ptrIjEEEEPS6_SG_NS0_5tupleIJSF_S6_EEENSH_IJSG_SG_EEES6_PlJ5mod_3IjEEEE10hipError_tPvRmT3_T4_T5_T6_T7_T9_mT8_P12ihipStream_tbDpT10_ENKUlT_T0_E_clISt17integral_constantIbLb1EES16_EEDaS11_S12_EUlS11_E_NS1_11comp_targetILNS1_3genE9ELNS1_11target_archE1100ELNS1_3gpuE3ELNS1_3repE0EEENS1_30default_config_static_selectorELNS0_4arch9wavefront6targetE0EEEvT1_,comdat
.Lfunc_end502:
	.size	_ZN7rocprim17ROCPRIM_400000_NS6detail17trampoline_kernelINS0_14default_configENS1_25partition_config_selectorILNS1_17partition_subalgoE6EjNS0_10empty_typeEbEEZZNS1_14partition_implILS5_6ELb0ES3_mN6thrust23THRUST_200600_302600_NS6detail15normal_iteratorINSA_10device_ptrIjEEEEPS6_SG_NS0_5tupleIJSF_S6_EEENSH_IJSG_SG_EEES6_PlJ5mod_3IjEEEE10hipError_tPvRmT3_T4_T5_T6_T7_T9_mT8_P12ihipStream_tbDpT10_ENKUlT_T0_E_clISt17integral_constantIbLb1EES16_EEDaS11_S12_EUlS11_E_NS1_11comp_targetILNS1_3genE9ELNS1_11target_archE1100ELNS1_3gpuE3ELNS1_3repE0EEENS1_30default_config_static_selectorELNS0_4arch9wavefront6targetE0EEEvT1_, .Lfunc_end502-_ZN7rocprim17ROCPRIM_400000_NS6detail17trampoline_kernelINS0_14default_configENS1_25partition_config_selectorILNS1_17partition_subalgoE6EjNS0_10empty_typeEbEEZZNS1_14partition_implILS5_6ELb0ES3_mN6thrust23THRUST_200600_302600_NS6detail15normal_iteratorINSA_10device_ptrIjEEEEPS6_SG_NS0_5tupleIJSF_S6_EEENSH_IJSG_SG_EEES6_PlJ5mod_3IjEEEE10hipError_tPvRmT3_T4_T5_T6_T7_T9_mT8_P12ihipStream_tbDpT10_ENKUlT_T0_E_clISt17integral_constantIbLb1EES16_EEDaS11_S12_EUlS11_E_NS1_11comp_targetILNS1_3genE9ELNS1_11target_archE1100ELNS1_3gpuE3ELNS1_3repE0EEENS1_30default_config_static_selectorELNS0_4arch9wavefront6targetE0EEEvT1_
                                        ; -- End function
	.section	.AMDGPU.csdata,"",@progbits
; Kernel info:
; codeLenInByte = 9488
; NumSgprs: 22
; NumVgprs: 76
; ScratchSize: 0
; MemoryBound: 0
; FloatMode: 240
; IeeeMode: 1
; LDSByteSize: 7184 bytes/workgroup (compile time only)
; SGPRBlocks: 2
; VGPRBlocks: 9
; NumSGPRsForWavesPerEU: 22
; NumVGPRsForWavesPerEU: 76
; Occupancy: 16
; WaveLimiterHint : 1
; COMPUTE_PGM_RSRC2:SCRATCH_EN: 0
; COMPUTE_PGM_RSRC2:USER_SGPR: 15
; COMPUTE_PGM_RSRC2:TRAP_HANDLER: 0
; COMPUTE_PGM_RSRC2:TGID_X_EN: 1
; COMPUTE_PGM_RSRC2:TGID_Y_EN: 0
; COMPUTE_PGM_RSRC2:TGID_Z_EN: 0
; COMPUTE_PGM_RSRC2:TIDIG_COMP_CNT: 0
	.section	.text._ZN7rocprim17ROCPRIM_400000_NS6detail17trampoline_kernelINS0_14default_configENS1_25partition_config_selectorILNS1_17partition_subalgoE6EjNS0_10empty_typeEbEEZZNS1_14partition_implILS5_6ELb0ES3_mN6thrust23THRUST_200600_302600_NS6detail15normal_iteratorINSA_10device_ptrIjEEEEPS6_SG_NS0_5tupleIJSF_S6_EEENSH_IJSG_SG_EEES6_PlJ5mod_3IjEEEE10hipError_tPvRmT3_T4_T5_T6_T7_T9_mT8_P12ihipStream_tbDpT10_ENKUlT_T0_E_clISt17integral_constantIbLb1EES16_EEDaS11_S12_EUlS11_E_NS1_11comp_targetILNS1_3genE8ELNS1_11target_archE1030ELNS1_3gpuE2ELNS1_3repE0EEENS1_30default_config_static_selectorELNS0_4arch9wavefront6targetE0EEEvT1_,"axG",@progbits,_ZN7rocprim17ROCPRIM_400000_NS6detail17trampoline_kernelINS0_14default_configENS1_25partition_config_selectorILNS1_17partition_subalgoE6EjNS0_10empty_typeEbEEZZNS1_14partition_implILS5_6ELb0ES3_mN6thrust23THRUST_200600_302600_NS6detail15normal_iteratorINSA_10device_ptrIjEEEEPS6_SG_NS0_5tupleIJSF_S6_EEENSH_IJSG_SG_EEES6_PlJ5mod_3IjEEEE10hipError_tPvRmT3_T4_T5_T6_T7_T9_mT8_P12ihipStream_tbDpT10_ENKUlT_T0_E_clISt17integral_constantIbLb1EES16_EEDaS11_S12_EUlS11_E_NS1_11comp_targetILNS1_3genE8ELNS1_11target_archE1030ELNS1_3gpuE2ELNS1_3repE0EEENS1_30default_config_static_selectorELNS0_4arch9wavefront6targetE0EEEvT1_,comdat
	.protected	_ZN7rocprim17ROCPRIM_400000_NS6detail17trampoline_kernelINS0_14default_configENS1_25partition_config_selectorILNS1_17partition_subalgoE6EjNS0_10empty_typeEbEEZZNS1_14partition_implILS5_6ELb0ES3_mN6thrust23THRUST_200600_302600_NS6detail15normal_iteratorINSA_10device_ptrIjEEEEPS6_SG_NS0_5tupleIJSF_S6_EEENSH_IJSG_SG_EEES6_PlJ5mod_3IjEEEE10hipError_tPvRmT3_T4_T5_T6_T7_T9_mT8_P12ihipStream_tbDpT10_ENKUlT_T0_E_clISt17integral_constantIbLb1EES16_EEDaS11_S12_EUlS11_E_NS1_11comp_targetILNS1_3genE8ELNS1_11target_archE1030ELNS1_3gpuE2ELNS1_3repE0EEENS1_30default_config_static_selectorELNS0_4arch9wavefront6targetE0EEEvT1_ ; -- Begin function _ZN7rocprim17ROCPRIM_400000_NS6detail17trampoline_kernelINS0_14default_configENS1_25partition_config_selectorILNS1_17partition_subalgoE6EjNS0_10empty_typeEbEEZZNS1_14partition_implILS5_6ELb0ES3_mN6thrust23THRUST_200600_302600_NS6detail15normal_iteratorINSA_10device_ptrIjEEEEPS6_SG_NS0_5tupleIJSF_S6_EEENSH_IJSG_SG_EEES6_PlJ5mod_3IjEEEE10hipError_tPvRmT3_T4_T5_T6_T7_T9_mT8_P12ihipStream_tbDpT10_ENKUlT_T0_E_clISt17integral_constantIbLb1EES16_EEDaS11_S12_EUlS11_E_NS1_11comp_targetILNS1_3genE8ELNS1_11target_archE1030ELNS1_3gpuE2ELNS1_3repE0EEENS1_30default_config_static_selectorELNS0_4arch9wavefront6targetE0EEEvT1_
	.globl	_ZN7rocprim17ROCPRIM_400000_NS6detail17trampoline_kernelINS0_14default_configENS1_25partition_config_selectorILNS1_17partition_subalgoE6EjNS0_10empty_typeEbEEZZNS1_14partition_implILS5_6ELb0ES3_mN6thrust23THRUST_200600_302600_NS6detail15normal_iteratorINSA_10device_ptrIjEEEEPS6_SG_NS0_5tupleIJSF_S6_EEENSH_IJSG_SG_EEES6_PlJ5mod_3IjEEEE10hipError_tPvRmT3_T4_T5_T6_T7_T9_mT8_P12ihipStream_tbDpT10_ENKUlT_T0_E_clISt17integral_constantIbLb1EES16_EEDaS11_S12_EUlS11_E_NS1_11comp_targetILNS1_3genE8ELNS1_11target_archE1030ELNS1_3gpuE2ELNS1_3repE0EEENS1_30default_config_static_selectorELNS0_4arch9wavefront6targetE0EEEvT1_
	.p2align	8
	.type	_ZN7rocprim17ROCPRIM_400000_NS6detail17trampoline_kernelINS0_14default_configENS1_25partition_config_selectorILNS1_17partition_subalgoE6EjNS0_10empty_typeEbEEZZNS1_14partition_implILS5_6ELb0ES3_mN6thrust23THRUST_200600_302600_NS6detail15normal_iteratorINSA_10device_ptrIjEEEEPS6_SG_NS0_5tupleIJSF_S6_EEENSH_IJSG_SG_EEES6_PlJ5mod_3IjEEEE10hipError_tPvRmT3_T4_T5_T6_T7_T9_mT8_P12ihipStream_tbDpT10_ENKUlT_T0_E_clISt17integral_constantIbLb1EES16_EEDaS11_S12_EUlS11_E_NS1_11comp_targetILNS1_3genE8ELNS1_11target_archE1030ELNS1_3gpuE2ELNS1_3repE0EEENS1_30default_config_static_selectorELNS0_4arch9wavefront6targetE0EEEvT1_,@function
_ZN7rocprim17ROCPRIM_400000_NS6detail17trampoline_kernelINS0_14default_configENS1_25partition_config_selectorILNS1_17partition_subalgoE6EjNS0_10empty_typeEbEEZZNS1_14partition_implILS5_6ELb0ES3_mN6thrust23THRUST_200600_302600_NS6detail15normal_iteratorINSA_10device_ptrIjEEEEPS6_SG_NS0_5tupleIJSF_S6_EEENSH_IJSG_SG_EEES6_PlJ5mod_3IjEEEE10hipError_tPvRmT3_T4_T5_T6_T7_T9_mT8_P12ihipStream_tbDpT10_ENKUlT_T0_E_clISt17integral_constantIbLb1EES16_EEDaS11_S12_EUlS11_E_NS1_11comp_targetILNS1_3genE8ELNS1_11target_archE1030ELNS1_3gpuE2ELNS1_3repE0EEENS1_30default_config_static_selectorELNS0_4arch9wavefront6targetE0EEEvT1_: ; @_ZN7rocprim17ROCPRIM_400000_NS6detail17trampoline_kernelINS0_14default_configENS1_25partition_config_selectorILNS1_17partition_subalgoE6EjNS0_10empty_typeEbEEZZNS1_14partition_implILS5_6ELb0ES3_mN6thrust23THRUST_200600_302600_NS6detail15normal_iteratorINSA_10device_ptrIjEEEEPS6_SG_NS0_5tupleIJSF_S6_EEENSH_IJSG_SG_EEES6_PlJ5mod_3IjEEEE10hipError_tPvRmT3_T4_T5_T6_T7_T9_mT8_P12ihipStream_tbDpT10_ENKUlT_T0_E_clISt17integral_constantIbLb1EES16_EEDaS11_S12_EUlS11_E_NS1_11comp_targetILNS1_3genE8ELNS1_11target_archE1030ELNS1_3gpuE2ELNS1_3repE0EEENS1_30default_config_static_selectorELNS0_4arch9wavefront6targetE0EEEvT1_
; %bb.0:
	.section	.rodata,"a",@progbits
	.p2align	6, 0x0
	.amdhsa_kernel _ZN7rocprim17ROCPRIM_400000_NS6detail17trampoline_kernelINS0_14default_configENS1_25partition_config_selectorILNS1_17partition_subalgoE6EjNS0_10empty_typeEbEEZZNS1_14partition_implILS5_6ELb0ES3_mN6thrust23THRUST_200600_302600_NS6detail15normal_iteratorINSA_10device_ptrIjEEEEPS6_SG_NS0_5tupleIJSF_S6_EEENSH_IJSG_SG_EEES6_PlJ5mod_3IjEEEE10hipError_tPvRmT3_T4_T5_T6_T7_T9_mT8_P12ihipStream_tbDpT10_ENKUlT_T0_E_clISt17integral_constantIbLb1EES16_EEDaS11_S12_EUlS11_E_NS1_11comp_targetILNS1_3genE8ELNS1_11target_archE1030ELNS1_3gpuE2ELNS1_3repE0EEENS1_30default_config_static_selectorELNS0_4arch9wavefront6targetE0EEEvT1_
		.amdhsa_group_segment_fixed_size 0
		.amdhsa_private_segment_fixed_size 0
		.amdhsa_kernarg_size 128
		.amdhsa_user_sgpr_count 15
		.amdhsa_user_sgpr_dispatch_ptr 0
		.amdhsa_user_sgpr_queue_ptr 0
		.amdhsa_user_sgpr_kernarg_segment_ptr 1
		.amdhsa_user_sgpr_dispatch_id 0
		.amdhsa_user_sgpr_private_segment_size 0
		.amdhsa_wavefront_size32 1
		.amdhsa_uses_dynamic_stack 0
		.amdhsa_enable_private_segment 0
		.amdhsa_system_sgpr_workgroup_id_x 1
		.amdhsa_system_sgpr_workgroup_id_y 0
		.amdhsa_system_sgpr_workgroup_id_z 0
		.amdhsa_system_sgpr_workgroup_info 0
		.amdhsa_system_vgpr_workitem_id 0
		.amdhsa_next_free_vgpr 1
		.amdhsa_next_free_sgpr 1
		.amdhsa_reserve_vcc 0
		.amdhsa_float_round_mode_32 0
		.amdhsa_float_round_mode_16_64 0
		.amdhsa_float_denorm_mode_32 3
		.amdhsa_float_denorm_mode_16_64 3
		.amdhsa_dx10_clamp 1
		.amdhsa_ieee_mode 1
		.amdhsa_fp16_overflow 0
		.amdhsa_workgroup_processor_mode 1
		.amdhsa_memory_ordered 1
		.amdhsa_forward_progress 0
		.amdhsa_shared_vgpr_count 0
		.amdhsa_exception_fp_ieee_invalid_op 0
		.amdhsa_exception_fp_denorm_src 0
		.amdhsa_exception_fp_ieee_div_zero 0
		.amdhsa_exception_fp_ieee_overflow 0
		.amdhsa_exception_fp_ieee_underflow 0
		.amdhsa_exception_fp_ieee_inexact 0
		.amdhsa_exception_int_div_zero 0
	.end_amdhsa_kernel
	.section	.text._ZN7rocprim17ROCPRIM_400000_NS6detail17trampoline_kernelINS0_14default_configENS1_25partition_config_selectorILNS1_17partition_subalgoE6EjNS0_10empty_typeEbEEZZNS1_14partition_implILS5_6ELb0ES3_mN6thrust23THRUST_200600_302600_NS6detail15normal_iteratorINSA_10device_ptrIjEEEEPS6_SG_NS0_5tupleIJSF_S6_EEENSH_IJSG_SG_EEES6_PlJ5mod_3IjEEEE10hipError_tPvRmT3_T4_T5_T6_T7_T9_mT8_P12ihipStream_tbDpT10_ENKUlT_T0_E_clISt17integral_constantIbLb1EES16_EEDaS11_S12_EUlS11_E_NS1_11comp_targetILNS1_3genE8ELNS1_11target_archE1030ELNS1_3gpuE2ELNS1_3repE0EEENS1_30default_config_static_selectorELNS0_4arch9wavefront6targetE0EEEvT1_,"axG",@progbits,_ZN7rocprim17ROCPRIM_400000_NS6detail17trampoline_kernelINS0_14default_configENS1_25partition_config_selectorILNS1_17partition_subalgoE6EjNS0_10empty_typeEbEEZZNS1_14partition_implILS5_6ELb0ES3_mN6thrust23THRUST_200600_302600_NS6detail15normal_iteratorINSA_10device_ptrIjEEEEPS6_SG_NS0_5tupleIJSF_S6_EEENSH_IJSG_SG_EEES6_PlJ5mod_3IjEEEE10hipError_tPvRmT3_T4_T5_T6_T7_T9_mT8_P12ihipStream_tbDpT10_ENKUlT_T0_E_clISt17integral_constantIbLb1EES16_EEDaS11_S12_EUlS11_E_NS1_11comp_targetILNS1_3genE8ELNS1_11target_archE1030ELNS1_3gpuE2ELNS1_3repE0EEENS1_30default_config_static_selectorELNS0_4arch9wavefront6targetE0EEEvT1_,comdat
.Lfunc_end503:
	.size	_ZN7rocprim17ROCPRIM_400000_NS6detail17trampoline_kernelINS0_14default_configENS1_25partition_config_selectorILNS1_17partition_subalgoE6EjNS0_10empty_typeEbEEZZNS1_14partition_implILS5_6ELb0ES3_mN6thrust23THRUST_200600_302600_NS6detail15normal_iteratorINSA_10device_ptrIjEEEEPS6_SG_NS0_5tupleIJSF_S6_EEENSH_IJSG_SG_EEES6_PlJ5mod_3IjEEEE10hipError_tPvRmT3_T4_T5_T6_T7_T9_mT8_P12ihipStream_tbDpT10_ENKUlT_T0_E_clISt17integral_constantIbLb1EES16_EEDaS11_S12_EUlS11_E_NS1_11comp_targetILNS1_3genE8ELNS1_11target_archE1030ELNS1_3gpuE2ELNS1_3repE0EEENS1_30default_config_static_selectorELNS0_4arch9wavefront6targetE0EEEvT1_, .Lfunc_end503-_ZN7rocprim17ROCPRIM_400000_NS6detail17trampoline_kernelINS0_14default_configENS1_25partition_config_selectorILNS1_17partition_subalgoE6EjNS0_10empty_typeEbEEZZNS1_14partition_implILS5_6ELb0ES3_mN6thrust23THRUST_200600_302600_NS6detail15normal_iteratorINSA_10device_ptrIjEEEEPS6_SG_NS0_5tupleIJSF_S6_EEENSH_IJSG_SG_EEES6_PlJ5mod_3IjEEEE10hipError_tPvRmT3_T4_T5_T6_T7_T9_mT8_P12ihipStream_tbDpT10_ENKUlT_T0_E_clISt17integral_constantIbLb1EES16_EEDaS11_S12_EUlS11_E_NS1_11comp_targetILNS1_3genE8ELNS1_11target_archE1030ELNS1_3gpuE2ELNS1_3repE0EEENS1_30default_config_static_selectorELNS0_4arch9wavefront6targetE0EEEvT1_
                                        ; -- End function
	.section	.AMDGPU.csdata,"",@progbits
; Kernel info:
; codeLenInByte = 0
; NumSgprs: 0
; NumVgprs: 0
; ScratchSize: 0
; MemoryBound: 0
; FloatMode: 240
; IeeeMode: 1
; LDSByteSize: 0 bytes/workgroup (compile time only)
; SGPRBlocks: 0
; VGPRBlocks: 0
; NumSGPRsForWavesPerEU: 1
; NumVGPRsForWavesPerEU: 1
; Occupancy: 16
; WaveLimiterHint : 0
; COMPUTE_PGM_RSRC2:SCRATCH_EN: 0
; COMPUTE_PGM_RSRC2:USER_SGPR: 15
; COMPUTE_PGM_RSRC2:TRAP_HANDLER: 0
; COMPUTE_PGM_RSRC2:TGID_X_EN: 1
; COMPUTE_PGM_RSRC2:TGID_Y_EN: 0
; COMPUTE_PGM_RSRC2:TGID_Z_EN: 0
; COMPUTE_PGM_RSRC2:TIDIG_COMP_CNT: 0
	.section	.text._ZN7rocprim17ROCPRIM_400000_NS6detail17trampoline_kernelINS0_14default_configENS1_25partition_config_selectorILNS1_17partition_subalgoE6EjNS0_10empty_typeEbEEZZNS1_14partition_implILS5_6ELb0ES3_mN6thrust23THRUST_200600_302600_NS6detail15normal_iteratorINSA_10device_ptrIjEEEEPS6_SG_NS0_5tupleIJSF_S6_EEENSH_IJSG_SG_EEES6_PlJ5mod_3IjEEEE10hipError_tPvRmT3_T4_T5_T6_T7_T9_mT8_P12ihipStream_tbDpT10_ENKUlT_T0_E_clISt17integral_constantIbLb1EES15_IbLb0EEEEDaS11_S12_EUlS11_E_NS1_11comp_targetILNS1_3genE0ELNS1_11target_archE4294967295ELNS1_3gpuE0ELNS1_3repE0EEENS1_30default_config_static_selectorELNS0_4arch9wavefront6targetE0EEEvT1_,"axG",@progbits,_ZN7rocprim17ROCPRIM_400000_NS6detail17trampoline_kernelINS0_14default_configENS1_25partition_config_selectorILNS1_17partition_subalgoE6EjNS0_10empty_typeEbEEZZNS1_14partition_implILS5_6ELb0ES3_mN6thrust23THRUST_200600_302600_NS6detail15normal_iteratorINSA_10device_ptrIjEEEEPS6_SG_NS0_5tupleIJSF_S6_EEENSH_IJSG_SG_EEES6_PlJ5mod_3IjEEEE10hipError_tPvRmT3_T4_T5_T6_T7_T9_mT8_P12ihipStream_tbDpT10_ENKUlT_T0_E_clISt17integral_constantIbLb1EES15_IbLb0EEEEDaS11_S12_EUlS11_E_NS1_11comp_targetILNS1_3genE0ELNS1_11target_archE4294967295ELNS1_3gpuE0ELNS1_3repE0EEENS1_30default_config_static_selectorELNS0_4arch9wavefront6targetE0EEEvT1_,comdat
	.protected	_ZN7rocprim17ROCPRIM_400000_NS6detail17trampoline_kernelINS0_14default_configENS1_25partition_config_selectorILNS1_17partition_subalgoE6EjNS0_10empty_typeEbEEZZNS1_14partition_implILS5_6ELb0ES3_mN6thrust23THRUST_200600_302600_NS6detail15normal_iteratorINSA_10device_ptrIjEEEEPS6_SG_NS0_5tupleIJSF_S6_EEENSH_IJSG_SG_EEES6_PlJ5mod_3IjEEEE10hipError_tPvRmT3_T4_T5_T6_T7_T9_mT8_P12ihipStream_tbDpT10_ENKUlT_T0_E_clISt17integral_constantIbLb1EES15_IbLb0EEEEDaS11_S12_EUlS11_E_NS1_11comp_targetILNS1_3genE0ELNS1_11target_archE4294967295ELNS1_3gpuE0ELNS1_3repE0EEENS1_30default_config_static_selectorELNS0_4arch9wavefront6targetE0EEEvT1_ ; -- Begin function _ZN7rocprim17ROCPRIM_400000_NS6detail17trampoline_kernelINS0_14default_configENS1_25partition_config_selectorILNS1_17partition_subalgoE6EjNS0_10empty_typeEbEEZZNS1_14partition_implILS5_6ELb0ES3_mN6thrust23THRUST_200600_302600_NS6detail15normal_iteratorINSA_10device_ptrIjEEEEPS6_SG_NS0_5tupleIJSF_S6_EEENSH_IJSG_SG_EEES6_PlJ5mod_3IjEEEE10hipError_tPvRmT3_T4_T5_T6_T7_T9_mT8_P12ihipStream_tbDpT10_ENKUlT_T0_E_clISt17integral_constantIbLb1EES15_IbLb0EEEEDaS11_S12_EUlS11_E_NS1_11comp_targetILNS1_3genE0ELNS1_11target_archE4294967295ELNS1_3gpuE0ELNS1_3repE0EEENS1_30default_config_static_selectorELNS0_4arch9wavefront6targetE0EEEvT1_
	.globl	_ZN7rocprim17ROCPRIM_400000_NS6detail17trampoline_kernelINS0_14default_configENS1_25partition_config_selectorILNS1_17partition_subalgoE6EjNS0_10empty_typeEbEEZZNS1_14partition_implILS5_6ELb0ES3_mN6thrust23THRUST_200600_302600_NS6detail15normal_iteratorINSA_10device_ptrIjEEEEPS6_SG_NS0_5tupleIJSF_S6_EEENSH_IJSG_SG_EEES6_PlJ5mod_3IjEEEE10hipError_tPvRmT3_T4_T5_T6_T7_T9_mT8_P12ihipStream_tbDpT10_ENKUlT_T0_E_clISt17integral_constantIbLb1EES15_IbLb0EEEEDaS11_S12_EUlS11_E_NS1_11comp_targetILNS1_3genE0ELNS1_11target_archE4294967295ELNS1_3gpuE0ELNS1_3repE0EEENS1_30default_config_static_selectorELNS0_4arch9wavefront6targetE0EEEvT1_
	.p2align	8
	.type	_ZN7rocprim17ROCPRIM_400000_NS6detail17trampoline_kernelINS0_14default_configENS1_25partition_config_selectorILNS1_17partition_subalgoE6EjNS0_10empty_typeEbEEZZNS1_14partition_implILS5_6ELb0ES3_mN6thrust23THRUST_200600_302600_NS6detail15normal_iteratorINSA_10device_ptrIjEEEEPS6_SG_NS0_5tupleIJSF_S6_EEENSH_IJSG_SG_EEES6_PlJ5mod_3IjEEEE10hipError_tPvRmT3_T4_T5_T6_T7_T9_mT8_P12ihipStream_tbDpT10_ENKUlT_T0_E_clISt17integral_constantIbLb1EES15_IbLb0EEEEDaS11_S12_EUlS11_E_NS1_11comp_targetILNS1_3genE0ELNS1_11target_archE4294967295ELNS1_3gpuE0ELNS1_3repE0EEENS1_30default_config_static_selectorELNS0_4arch9wavefront6targetE0EEEvT1_,@function
_ZN7rocprim17ROCPRIM_400000_NS6detail17trampoline_kernelINS0_14default_configENS1_25partition_config_selectorILNS1_17partition_subalgoE6EjNS0_10empty_typeEbEEZZNS1_14partition_implILS5_6ELb0ES3_mN6thrust23THRUST_200600_302600_NS6detail15normal_iteratorINSA_10device_ptrIjEEEEPS6_SG_NS0_5tupleIJSF_S6_EEENSH_IJSG_SG_EEES6_PlJ5mod_3IjEEEE10hipError_tPvRmT3_T4_T5_T6_T7_T9_mT8_P12ihipStream_tbDpT10_ENKUlT_T0_E_clISt17integral_constantIbLb1EES15_IbLb0EEEEDaS11_S12_EUlS11_E_NS1_11comp_targetILNS1_3genE0ELNS1_11target_archE4294967295ELNS1_3gpuE0ELNS1_3repE0EEENS1_30default_config_static_selectorELNS0_4arch9wavefront6targetE0EEEvT1_: ; @_ZN7rocprim17ROCPRIM_400000_NS6detail17trampoline_kernelINS0_14default_configENS1_25partition_config_selectorILNS1_17partition_subalgoE6EjNS0_10empty_typeEbEEZZNS1_14partition_implILS5_6ELb0ES3_mN6thrust23THRUST_200600_302600_NS6detail15normal_iteratorINSA_10device_ptrIjEEEEPS6_SG_NS0_5tupleIJSF_S6_EEENSH_IJSG_SG_EEES6_PlJ5mod_3IjEEEE10hipError_tPvRmT3_T4_T5_T6_T7_T9_mT8_P12ihipStream_tbDpT10_ENKUlT_T0_E_clISt17integral_constantIbLb1EES15_IbLb0EEEEDaS11_S12_EUlS11_E_NS1_11comp_targetILNS1_3genE0ELNS1_11target_archE4294967295ELNS1_3gpuE0ELNS1_3repE0EEENS1_30default_config_static_selectorELNS0_4arch9wavefront6targetE0EEEvT1_
; %bb.0:
	.section	.rodata,"a",@progbits
	.p2align	6, 0x0
	.amdhsa_kernel _ZN7rocprim17ROCPRIM_400000_NS6detail17trampoline_kernelINS0_14default_configENS1_25partition_config_selectorILNS1_17partition_subalgoE6EjNS0_10empty_typeEbEEZZNS1_14partition_implILS5_6ELb0ES3_mN6thrust23THRUST_200600_302600_NS6detail15normal_iteratorINSA_10device_ptrIjEEEEPS6_SG_NS0_5tupleIJSF_S6_EEENSH_IJSG_SG_EEES6_PlJ5mod_3IjEEEE10hipError_tPvRmT3_T4_T5_T6_T7_T9_mT8_P12ihipStream_tbDpT10_ENKUlT_T0_E_clISt17integral_constantIbLb1EES15_IbLb0EEEEDaS11_S12_EUlS11_E_NS1_11comp_targetILNS1_3genE0ELNS1_11target_archE4294967295ELNS1_3gpuE0ELNS1_3repE0EEENS1_30default_config_static_selectorELNS0_4arch9wavefront6targetE0EEEvT1_
		.amdhsa_group_segment_fixed_size 0
		.amdhsa_private_segment_fixed_size 0
		.amdhsa_kernarg_size 112
		.amdhsa_user_sgpr_count 15
		.amdhsa_user_sgpr_dispatch_ptr 0
		.amdhsa_user_sgpr_queue_ptr 0
		.amdhsa_user_sgpr_kernarg_segment_ptr 1
		.amdhsa_user_sgpr_dispatch_id 0
		.amdhsa_user_sgpr_private_segment_size 0
		.amdhsa_wavefront_size32 1
		.amdhsa_uses_dynamic_stack 0
		.amdhsa_enable_private_segment 0
		.amdhsa_system_sgpr_workgroup_id_x 1
		.amdhsa_system_sgpr_workgroup_id_y 0
		.amdhsa_system_sgpr_workgroup_id_z 0
		.amdhsa_system_sgpr_workgroup_info 0
		.amdhsa_system_vgpr_workitem_id 0
		.amdhsa_next_free_vgpr 1
		.amdhsa_next_free_sgpr 1
		.amdhsa_reserve_vcc 0
		.amdhsa_float_round_mode_32 0
		.amdhsa_float_round_mode_16_64 0
		.amdhsa_float_denorm_mode_32 3
		.amdhsa_float_denorm_mode_16_64 3
		.amdhsa_dx10_clamp 1
		.amdhsa_ieee_mode 1
		.amdhsa_fp16_overflow 0
		.amdhsa_workgroup_processor_mode 1
		.amdhsa_memory_ordered 1
		.amdhsa_forward_progress 0
		.amdhsa_shared_vgpr_count 0
		.amdhsa_exception_fp_ieee_invalid_op 0
		.amdhsa_exception_fp_denorm_src 0
		.amdhsa_exception_fp_ieee_div_zero 0
		.amdhsa_exception_fp_ieee_overflow 0
		.amdhsa_exception_fp_ieee_underflow 0
		.amdhsa_exception_fp_ieee_inexact 0
		.amdhsa_exception_int_div_zero 0
	.end_amdhsa_kernel
	.section	.text._ZN7rocprim17ROCPRIM_400000_NS6detail17trampoline_kernelINS0_14default_configENS1_25partition_config_selectorILNS1_17partition_subalgoE6EjNS0_10empty_typeEbEEZZNS1_14partition_implILS5_6ELb0ES3_mN6thrust23THRUST_200600_302600_NS6detail15normal_iteratorINSA_10device_ptrIjEEEEPS6_SG_NS0_5tupleIJSF_S6_EEENSH_IJSG_SG_EEES6_PlJ5mod_3IjEEEE10hipError_tPvRmT3_T4_T5_T6_T7_T9_mT8_P12ihipStream_tbDpT10_ENKUlT_T0_E_clISt17integral_constantIbLb1EES15_IbLb0EEEEDaS11_S12_EUlS11_E_NS1_11comp_targetILNS1_3genE0ELNS1_11target_archE4294967295ELNS1_3gpuE0ELNS1_3repE0EEENS1_30default_config_static_selectorELNS0_4arch9wavefront6targetE0EEEvT1_,"axG",@progbits,_ZN7rocprim17ROCPRIM_400000_NS6detail17trampoline_kernelINS0_14default_configENS1_25partition_config_selectorILNS1_17partition_subalgoE6EjNS0_10empty_typeEbEEZZNS1_14partition_implILS5_6ELb0ES3_mN6thrust23THRUST_200600_302600_NS6detail15normal_iteratorINSA_10device_ptrIjEEEEPS6_SG_NS0_5tupleIJSF_S6_EEENSH_IJSG_SG_EEES6_PlJ5mod_3IjEEEE10hipError_tPvRmT3_T4_T5_T6_T7_T9_mT8_P12ihipStream_tbDpT10_ENKUlT_T0_E_clISt17integral_constantIbLb1EES15_IbLb0EEEEDaS11_S12_EUlS11_E_NS1_11comp_targetILNS1_3genE0ELNS1_11target_archE4294967295ELNS1_3gpuE0ELNS1_3repE0EEENS1_30default_config_static_selectorELNS0_4arch9wavefront6targetE0EEEvT1_,comdat
.Lfunc_end504:
	.size	_ZN7rocprim17ROCPRIM_400000_NS6detail17trampoline_kernelINS0_14default_configENS1_25partition_config_selectorILNS1_17partition_subalgoE6EjNS0_10empty_typeEbEEZZNS1_14partition_implILS5_6ELb0ES3_mN6thrust23THRUST_200600_302600_NS6detail15normal_iteratorINSA_10device_ptrIjEEEEPS6_SG_NS0_5tupleIJSF_S6_EEENSH_IJSG_SG_EEES6_PlJ5mod_3IjEEEE10hipError_tPvRmT3_T4_T5_T6_T7_T9_mT8_P12ihipStream_tbDpT10_ENKUlT_T0_E_clISt17integral_constantIbLb1EES15_IbLb0EEEEDaS11_S12_EUlS11_E_NS1_11comp_targetILNS1_3genE0ELNS1_11target_archE4294967295ELNS1_3gpuE0ELNS1_3repE0EEENS1_30default_config_static_selectorELNS0_4arch9wavefront6targetE0EEEvT1_, .Lfunc_end504-_ZN7rocprim17ROCPRIM_400000_NS6detail17trampoline_kernelINS0_14default_configENS1_25partition_config_selectorILNS1_17partition_subalgoE6EjNS0_10empty_typeEbEEZZNS1_14partition_implILS5_6ELb0ES3_mN6thrust23THRUST_200600_302600_NS6detail15normal_iteratorINSA_10device_ptrIjEEEEPS6_SG_NS0_5tupleIJSF_S6_EEENSH_IJSG_SG_EEES6_PlJ5mod_3IjEEEE10hipError_tPvRmT3_T4_T5_T6_T7_T9_mT8_P12ihipStream_tbDpT10_ENKUlT_T0_E_clISt17integral_constantIbLb1EES15_IbLb0EEEEDaS11_S12_EUlS11_E_NS1_11comp_targetILNS1_3genE0ELNS1_11target_archE4294967295ELNS1_3gpuE0ELNS1_3repE0EEENS1_30default_config_static_selectorELNS0_4arch9wavefront6targetE0EEEvT1_
                                        ; -- End function
	.section	.AMDGPU.csdata,"",@progbits
; Kernel info:
; codeLenInByte = 0
; NumSgprs: 0
; NumVgprs: 0
; ScratchSize: 0
; MemoryBound: 0
; FloatMode: 240
; IeeeMode: 1
; LDSByteSize: 0 bytes/workgroup (compile time only)
; SGPRBlocks: 0
; VGPRBlocks: 0
; NumSGPRsForWavesPerEU: 1
; NumVGPRsForWavesPerEU: 1
; Occupancy: 16
; WaveLimiterHint : 0
; COMPUTE_PGM_RSRC2:SCRATCH_EN: 0
; COMPUTE_PGM_RSRC2:USER_SGPR: 15
; COMPUTE_PGM_RSRC2:TRAP_HANDLER: 0
; COMPUTE_PGM_RSRC2:TGID_X_EN: 1
; COMPUTE_PGM_RSRC2:TGID_Y_EN: 0
; COMPUTE_PGM_RSRC2:TGID_Z_EN: 0
; COMPUTE_PGM_RSRC2:TIDIG_COMP_CNT: 0
	.section	.text._ZN7rocprim17ROCPRIM_400000_NS6detail17trampoline_kernelINS0_14default_configENS1_25partition_config_selectorILNS1_17partition_subalgoE6EjNS0_10empty_typeEbEEZZNS1_14partition_implILS5_6ELb0ES3_mN6thrust23THRUST_200600_302600_NS6detail15normal_iteratorINSA_10device_ptrIjEEEEPS6_SG_NS0_5tupleIJSF_S6_EEENSH_IJSG_SG_EEES6_PlJ5mod_3IjEEEE10hipError_tPvRmT3_T4_T5_T6_T7_T9_mT8_P12ihipStream_tbDpT10_ENKUlT_T0_E_clISt17integral_constantIbLb1EES15_IbLb0EEEEDaS11_S12_EUlS11_E_NS1_11comp_targetILNS1_3genE5ELNS1_11target_archE942ELNS1_3gpuE9ELNS1_3repE0EEENS1_30default_config_static_selectorELNS0_4arch9wavefront6targetE0EEEvT1_,"axG",@progbits,_ZN7rocprim17ROCPRIM_400000_NS6detail17trampoline_kernelINS0_14default_configENS1_25partition_config_selectorILNS1_17partition_subalgoE6EjNS0_10empty_typeEbEEZZNS1_14partition_implILS5_6ELb0ES3_mN6thrust23THRUST_200600_302600_NS6detail15normal_iteratorINSA_10device_ptrIjEEEEPS6_SG_NS0_5tupleIJSF_S6_EEENSH_IJSG_SG_EEES6_PlJ5mod_3IjEEEE10hipError_tPvRmT3_T4_T5_T6_T7_T9_mT8_P12ihipStream_tbDpT10_ENKUlT_T0_E_clISt17integral_constantIbLb1EES15_IbLb0EEEEDaS11_S12_EUlS11_E_NS1_11comp_targetILNS1_3genE5ELNS1_11target_archE942ELNS1_3gpuE9ELNS1_3repE0EEENS1_30default_config_static_selectorELNS0_4arch9wavefront6targetE0EEEvT1_,comdat
	.protected	_ZN7rocprim17ROCPRIM_400000_NS6detail17trampoline_kernelINS0_14default_configENS1_25partition_config_selectorILNS1_17partition_subalgoE6EjNS0_10empty_typeEbEEZZNS1_14partition_implILS5_6ELb0ES3_mN6thrust23THRUST_200600_302600_NS6detail15normal_iteratorINSA_10device_ptrIjEEEEPS6_SG_NS0_5tupleIJSF_S6_EEENSH_IJSG_SG_EEES6_PlJ5mod_3IjEEEE10hipError_tPvRmT3_T4_T5_T6_T7_T9_mT8_P12ihipStream_tbDpT10_ENKUlT_T0_E_clISt17integral_constantIbLb1EES15_IbLb0EEEEDaS11_S12_EUlS11_E_NS1_11comp_targetILNS1_3genE5ELNS1_11target_archE942ELNS1_3gpuE9ELNS1_3repE0EEENS1_30default_config_static_selectorELNS0_4arch9wavefront6targetE0EEEvT1_ ; -- Begin function _ZN7rocprim17ROCPRIM_400000_NS6detail17trampoline_kernelINS0_14default_configENS1_25partition_config_selectorILNS1_17partition_subalgoE6EjNS0_10empty_typeEbEEZZNS1_14partition_implILS5_6ELb0ES3_mN6thrust23THRUST_200600_302600_NS6detail15normal_iteratorINSA_10device_ptrIjEEEEPS6_SG_NS0_5tupleIJSF_S6_EEENSH_IJSG_SG_EEES6_PlJ5mod_3IjEEEE10hipError_tPvRmT3_T4_T5_T6_T7_T9_mT8_P12ihipStream_tbDpT10_ENKUlT_T0_E_clISt17integral_constantIbLb1EES15_IbLb0EEEEDaS11_S12_EUlS11_E_NS1_11comp_targetILNS1_3genE5ELNS1_11target_archE942ELNS1_3gpuE9ELNS1_3repE0EEENS1_30default_config_static_selectorELNS0_4arch9wavefront6targetE0EEEvT1_
	.globl	_ZN7rocprim17ROCPRIM_400000_NS6detail17trampoline_kernelINS0_14default_configENS1_25partition_config_selectorILNS1_17partition_subalgoE6EjNS0_10empty_typeEbEEZZNS1_14partition_implILS5_6ELb0ES3_mN6thrust23THRUST_200600_302600_NS6detail15normal_iteratorINSA_10device_ptrIjEEEEPS6_SG_NS0_5tupleIJSF_S6_EEENSH_IJSG_SG_EEES6_PlJ5mod_3IjEEEE10hipError_tPvRmT3_T4_T5_T6_T7_T9_mT8_P12ihipStream_tbDpT10_ENKUlT_T0_E_clISt17integral_constantIbLb1EES15_IbLb0EEEEDaS11_S12_EUlS11_E_NS1_11comp_targetILNS1_3genE5ELNS1_11target_archE942ELNS1_3gpuE9ELNS1_3repE0EEENS1_30default_config_static_selectorELNS0_4arch9wavefront6targetE0EEEvT1_
	.p2align	8
	.type	_ZN7rocprim17ROCPRIM_400000_NS6detail17trampoline_kernelINS0_14default_configENS1_25partition_config_selectorILNS1_17partition_subalgoE6EjNS0_10empty_typeEbEEZZNS1_14partition_implILS5_6ELb0ES3_mN6thrust23THRUST_200600_302600_NS6detail15normal_iteratorINSA_10device_ptrIjEEEEPS6_SG_NS0_5tupleIJSF_S6_EEENSH_IJSG_SG_EEES6_PlJ5mod_3IjEEEE10hipError_tPvRmT3_T4_T5_T6_T7_T9_mT8_P12ihipStream_tbDpT10_ENKUlT_T0_E_clISt17integral_constantIbLb1EES15_IbLb0EEEEDaS11_S12_EUlS11_E_NS1_11comp_targetILNS1_3genE5ELNS1_11target_archE942ELNS1_3gpuE9ELNS1_3repE0EEENS1_30default_config_static_selectorELNS0_4arch9wavefront6targetE0EEEvT1_,@function
_ZN7rocprim17ROCPRIM_400000_NS6detail17trampoline_kernelINS0_14default_configENS1_25partition_config_selectorILNS1_17partition_subalgoE6EjNS0_10empty_typeEbEEZZNS1_14partition_implILS5_6ELb0ES3_mN6thrust23THRUST_200600_302600_NS6detail15normal_iteratorINSA_10device_ptrIjEEEEPS6_SG_NS0_5tupleIJSF_S6_EEENSH_IJSG_SG_EEES6_PlJ5mod_3IjEEEE10hipError_tPvRmT3_T4_T5_T6_T7_T9_mT8_P12ihipStream_tbDpT10_ENKUlT_T0_E_clISt17integral_constantIbLb1EES15_IbLb0EEEEDaS11_S12_EUlS11_E_NS1_11comp_targetILNS1_3genE5ELNS1_11target_archE942ELNS1_3gpuE9ELNS1_3repE0EEENS1_30default_config_static_selectorELNS0_4arch9wavefront6targetE0EEEvT1_: ; @_ZN7rocprim17ROCPRIM_400000_NS6detail17trampoline_kernelINS0_14default_configENS1_25partition_config_selectorILNS1_17partition_subalgoE6EjNS0_10empty_typeEbEEZZNS1_14partition_implILS5_6ELb0ES3_mN6thrust23THRUST_200600_302600_NS6detail15normal_iteratorINSA_10device_ptrIjEEEEPS6_SG_NS0_5tupleIJSF_S6_EEENSH_IJSG_SG_EEES6_PlJ5mod_3IjEEEE10hipError_tPvRmT3_T4_T5_T6_T7_T9_mT8_P12ihipStream_tbDpT10_ENKUlT_T0_E_clISt17integral_constantIbLb1EES15_IbLb0EEEEDaS11_S12_EUlS11_E_NS1_11comp_targetILNS1_3genE5ELNS1_11target_archE942ELNS1_3gpuE9ELNS1_3repE0EEENS1_30default_config_static_selectorELNS0_4arch9wavefront6targetE0EEEvT1_
; %bb.0:
	.section	.rodata,"a",@progbits
	.p2align	6, 0x0
	.amdhsa_kernel _ZN7rocprim17ROCPRIM_400000_NS6detail17trampoline_kernelINS0_14default_configENS1_25partition_config_selectorILNS1_17partition_subalgoE6EjNS0_10empty_typeEbEEZZNS1_14partition_implILS5_6ELb0ES3_mN6thrust23THRUST_200600_302600_NS6detail15normal_iteratorINSA_10device_ptrIjEEEEPS6_SG_NS0_5tupleIJSF_S6_EEENSH_IJSG_SG_EEES6_PlJ5mod_3IjEEEE10hipError_tPvRmT3_T4_T5_T6_T7_T9_mT8_P12ihipStream_tbDpT10_ENKUlT_T0_E_clISt17integral_constantIbLb1EES15_IbLb0EEEEDaS11_S12_EUlS11_E_NS1_11comp_targetILNS1_3genE5ELNS1_11target_archE942ELNS1_3gpuE9ELNS1_3repE0EEENS1_30default_config_static_selectorELNS0_4arch9wavefront6targetE0EEEvT1_
		.amdhsa_group_segment_fixed_size 0
		.amdhsa_private_segment_fixed_size 0
		.amdhsa_kernarg_size 112
		.amdhsa_user_sgpr_count 15
		.amdhsa_user_sgpr_dispatch_ptr 0
		.amdhsa_user_sgpr_queue_ptr 0
		.amdhsa_user_sgpr_kernarg_segment_ptr 1
		.amdhsa_user_sgpr_dispatch_id 0
		.amdhsa_user_sgpr_private_segment_size 0
		.amdhsa_wavefront_size32 1
		.amdhsa_uses_dynamic_stack 0
		.amdhsa_enable_private_segment 0
		.amdhsa_system_sgpr_workgroup_id_x 1
		.amdhsa_system_sgpr_workgroup_id_y 0
		.amdhsa_system_sgpr_workgroup_id_z 0
		.amdhsa_system_sgpr_workgroup_info 0
		.amdhsa_system_vgpr_workitem_id 0
		.amdhsa_next_free_vgpr 1
		.amdhsa_next_free_sgpr 1
		.amdhsa_reserve_vcc 0
		.amdhsa_float_round_mode_32 0
		.amdhsa_float_round_mode_16_64 0
		.amdhsa_float_denorm_mode_32 3
		.amdhsa_float_denorm_mode_16_64 3
		.amdhsa_dx10_clamp 1
		.amdhsa_ieee_mode 1
		.amdhsa_fp16_overflow 0
		.amdhsa_workgroup_processor_mode 1
		.amdhsa_memory_ordered 1
		.amdhsa_forward_progress 0
		.amdhsa_shared_vgpr_count 0
		.amdhsa_exception_fp_ieee_invalid_op 0
		.amdhsa_exception_fp_denorm_src 0
		.amdhsa_exception_fp_ieee_div_zero 0
		.amdhsa_exception_fp_ieee_overflow 0
		.amdhsa_exception_fp_ieee_underflow 0
		.amdhsa_exception_fp_ieee_inexact 0
		.amdhsa_exception_int_div_zero 0
	.end_amdhsa_kernel
	.section	.text._ZN7rocprim17ROCPRIM_400000_NS6detail17trampoline_kernelINS0_14default_configENS1_25partition_config_selectorILNS1_17partition_subalgoE6EjNS0_10empty_typeEbEEZZNS1_14partition_implILS5_6ELb0ES3_mN6thrust23THRUST_200600_302600_NS6detail15normal_iteratorINSA_10device_ptrIjEEEEPS6_SG_NS0_5tupleIJSF_S6_EEENSH_IJSG_SG_EEES6_PlJ5mod_3IjEEEE10hipError_tPvRmT3_T4_T5_T6_T7_T9_mT8_P12ihipStream_tbDpT10_ENKUlT_T0_E_clISt17integral_constantIbLb1EES15_IbLb0EEEEDaS11_S12_EUlS11_E_NS1_11comp_targetILNS1_3genE5ELNS1_11target_archE942ELNS1_3gpuE9ELNS1_3repE0EEENS1_30default_config_static_selectorELNS0_4arch9wavefront6targetE0EEEvT1_,"axG",@progbits,_ZN7rocprim17ROCPRIM_400000_NS6detail17trampoline_kernelINS0_14default_configENS1_25partition_config_selectorILNS1_17partition_subalgoE6EjNS0_10empty_typeEbEEZZNS1_14partition_implILS5_6ELb0ES3_mN6thrust23THRUST_200600_302600_NS6detail15normal_iteratorINSA_10device_ptrIjEEEEPS6_SG_NS0_5tupleIJSF_S6_EEENSH_IJSG_SG_EEES6_PlJ5mod_3IjEEEE10hipError_tPvRmT3_T4_T5_T6_T7_T9_mT8_P12ihipStream_tbDpT10_ENKUlT_T0_E_clISt17integral_constantIbLb1EES15_IbLb0EEEEDaS11_S12_EUlS11_E_NS1_11comp_targetILNS1_3genE5ELNS1_11target_archE942ELNS1_3gpuE9ELNS1_3repE0EEENS1_30default_config_static_selectorELNS0_4arch9wavefront6targetE0EEEvT1_,comdat
.Lfunc_end505:
	.size	_ZN7rocprim17ROCPRIM_400000_NS6detail17trampoline_kernelINS0_14default_configENS1_25partition_config_selectorILNS1_17partition_subalgoE6EjNS0_10empty_typeEbEEZZNS1_14partition_implILS5_6ELb0ES3_mN6thrust23THRUST_200600_302600_NS6detail15normal_iteratorINSA_10device_ptrIjEEEEPS6_SG_NS0_5tupleIJSF_S6_EEENSH_IJSG_SG_EEES6_PlJ5mod_3IjEEEE10hipError_tPvRmT3_T4_T5_T6_T7_T9_mT8_P12ihipStream_tbDpT10_ENKUlT_T0_E_clISt17integral_constantIbLb1EES15_IbLb0EEEEDaS11_S12_EUlS11_E_NS1_11comp_targetILNS1_3genE5ELNS1_11target_archE942ELNS1_3gpuE9ELNS1_3repE0EEENS1_30default_config_static_selectorELNS0_4arch9wavefront6targetE0EEEvT1_, .Lfunc_end505-_ZN7rocprim17ROCPRIM_400000_NS6detail17trampoline_kernelINS0_14default_configENS1_25partition_config_selectorILNS1_17partition_subalgoE6EjNS0_10empty_typeEbEEZZNS1_14partition_implILS5_6ELb0ES3_mN6thrust23THRUST_200600_302600_NS6detail15normal_iteratorINSA_10device_ptrIjEEEEPS6_SG_NS0_5tupleIJSF_S6_EEENSH_IJSG_SG_EEES6_PlJ5mod_3IjEEEE10hipError_tPvRmT3_T4_T5_T6_T7_T9_mT8_P12ihipStream_tbDpT10_ENKUlT_T0_E_clISt17integral_constantIbLb1EES15_IbLb0EEEEDaS11_S12_EUlS11_E_NS1_11comp_targetILNS1_3genE5ELNS1_11target_archE942ELNS1_3gpuE9ELNS1_3repE0EEENS1_30default_config_static_selectorELNS0_4arch9wavefront6targetE0EEEvT1_
                                        ; -- End function
	.section	.AMDGPU.csdata,"",@progbits
; Kernel info:
; codeLenInByte = 0
; NumSgprs: 0
; NumVgprs: 0
; ScratchSize: 0
; MemoryBound: 0
; FloatMode: 240
; IeeeMode: 1
; LDSByteSize: 0 bytes/workgroup (compile time only)
; SGPRBlocks: 0
; VGPRBlocks: 0
; NumSGPRsForWavesPerEU: 1
; NumVGPRsForWavesPerEU: 1
; Occupancy: 16
; WaveLimiterHint : 0
; COMPUTE_PGM_RSRC2:SCRATCH_EN: 0
; COMPUTE_PGM_RSRC2:USER_SGPR: 15
; COMPUTE_PGM_RSRC2:TRAP_HANDLER: 0
; COMPUTE_PGM_RSRC2:TGID_X_EN: 1
; COMPUTE_PGM_RSRC2:TGID_Y_EN: 0
; COMPUTE_PGM_RSRC2:TGID_Z_EN: 0
; COMPUTE_PGM_RSRC2:TIDIG_COMP_CNT: 0
	.section	.text._ZN7rocprim17ROCPRIM_400000_NS6detail17trampoline_kernelINS0_14default_configENS1_25partition_config_selectorILNS1_17partition_subalgoE6EjNS0_10empty_typeEbEEZZNS1_14partition_implILS5_6ELb0ES3_mN6thrust23THRUST_200600_302600_NS6detail15normal_iteratorINSA_10device_ptrIjEEEEPS6_SG_NS0_5tupleIJSF_S6_EEENSH_IJSG_SG_EEES6_PlJ5mod_3IjEEEE10hipError_tPvRmT3_T4_T5_T6_T7_T9_mT8_P12ihipStream_tbDpT10_ENKUlT_T0_E_clISt17integral_constantIbLb1EES15_IbLb0EEEEDaS11_S12_EUlS11_E_NS1_11comp_targetILNS1_3genE4ELNS1_11target_archE910ELNS1_3gpuE8ELNS1_3repE0EEENS1_30default_config_static_selectorELNS0_4arch9wavefront6targetE0EEEvT1_,"axG",@progbits,_ZN7rocprim17ROCPRIM_400000_NS6detail17trampoline_kernelINS0_14default_configENS1_25partition_config_selectorILNS1_17partition_subalgoE6EjNS0_10empty_typeEbEEZZNS1_14partition_implILS5_6ELb0ES3_mN6thrust23THRUST_200600_302600_NS6detail15normal_iteratorINSA_10device_ptrIjEEEEPS6_SG_NS0_5tupleIJSF_S6_EEENSH_IJSG_SG_EEES6_PlJ5mod_3IjEEEE10hipError_tPvRmT3_T4_T5_T6_T7_T9_mT8_P12ihipStream_tbDpT10_ENKUlT_T0_E_clISt17integral_constantIbLb1EES15_IbLb0EEEEDaS11_S12_EUlS11_E_NS1_11comp_targetILNS1_3genE4ELNS1_11target_archE910ELNS1_3gpuE8ELNS1_3repE0EEENS1_30default_config_static_selectorELNS0_4arch9wavefront6targetE0EEEvT1_,comdat
	.protected	_ZN7rocprim17ROCPRIM_400000_NS6detail17trampoline_kernelINS0_14default_configENS1_25partition_config_selectorILNS1_17partition_subalgoE6EjNS0_10empty_typeEbEEZZNS1_14partition_implILS5_6ELb0ES3_mN6thrust23THRUST_200600_302600_NS6detail15normal_iteratorINSA_10device_ptrIjEEEEPS6_SG_NS0_5tupleIJSF_S6_EEENSH_IJSG_SG_EEES6_PlJ5mod_3IjEEEE10hipError_tPvRmT3_T4_T5_T6_T7_T9_mT8_P12ihipStream_tbDpT10_ENKUlT_T0_E_clISt17integral_constantIbLb1EES15_IbLb0EEEEDaS11_S12_EUlS11_E_NS1_11comp_targetILNS1_3genE4ELNS1_11target_archE910ELNS1_3gpuE8ELNS1_3repE0EEENS1_30default_config_static_selectorELNS0_4arch9wavefront6targetE0EEEvT1_ ; -- Begin function _ZN7rocprim17ROCPRIM_400000_NS6detail17trampoline_kernelINS0_14default_configENS1_25partition_config_selectorILNS1_17partition_subalgoE6EjNS0_10empty_typeEbEEZZNS1_14partition_implILS5_6ELb0ES3_mN6thrust23THRUST_200600_302600_NS6detail15normal_iteratorINSA_10device_ptrIjEEEEPS6_SG_NS0_5tupleIJSF_S6_EEENSH_IJSG_SG_EEES6_PlJ5mod_3IjEEEE10hipError_tPvRmT3_T4_T5_T6_T7_T9_mT8_P12ihipStream_tbDpT10_ENKUlT_T0_E_clISt17integral_constantIbLb1EES15_IbLb0EEEEDaS11_S12_EUlS11_E_NS1_11comp_targetILNS1_3genE4ELNS1_11target_archE910ELNS1_3gpuE8ELNS1_3repE0EEENS1_30default_config_static_selectorELNS0_4arch9wavefront6targetE0EEEvT1_
	.globl	_ZN7rocprim17ROCPRIM_400000_NS6detail17trampoline_kernelINS0_14default_configENS1_25partition_config_selectorILNS1_17partition_subalgoE6EjNS0_10empty_typeEbEEZZNS1_14partition_implILS5_6ELb0ES3_mN6thrust23THRUST_200600_302600_NS6detail15normal_iteratorINSA_10device_ptrIjEEEEPS6_SG_NS0_5tupleIJSF_S6_EEENSH_IJSG_SG_EEES6_PlJ5mod_3IjEEEE10hipError_tPvRmT3_T4_T5_T6_T7_T9_mT8_P12ihipStream_tbDpT10_ENKUlT_T0_E_clISt17integral_constantIbLb1EES15_IbLb0EEEEDaS11_S12_EUlS11_E_NS1_11comp_targetILNS1_3genE4ELNS1_11target_archE910ELNS1_3gpuE8ELNS1_3repE0EEENS1_30default_config_static_selectorELNS0_4arch9wavefront6targetE0EEEvT1_
	.p2align	8
	.type	_ZN7rocprim17ROCPRIM_400000_NS6detail17trampoline_kernelINS0_14default_configENS1_25partition_config_selectorILNS1_17partition_subalgoE6EjNS0_10empty_typeEbEEZZNS1_14partition_implILS5_6ELb0ES3_mN6thrust23THRUST_200600_302600_NS6detail15normal_iteratorINSA_10device_ptrIjEEEEPS6_SG_NS0_5tupleIJSF_S6_EEENSH_IJSG_SG_EEES6_PlJ5mod_3IjEEEE10hipError_tPvRmT3_T4_T5_T6_T7_T9_mT8_P12ihipStream_tbDpT10_ENKUlT_T0_E_clISt17integral_constantIbLb1EES15_IbLb0EEEEDaS11_S12_EUlS11_E_NS1_11comp_targetILNS1_3genE4ELNS1_11target_archE910ELNS1_3gpuE8ELNS1_3repE0EEENS1_30default_config_static_selectorELNS0_4arch9wavefront6targetE0EEEvT1_,@function
_ZN7rocprim17ROCPRIM_400000_NS6detail17trampoline_kernelINS0_14default_configENS1_25partition_config_selectorILNS1_17partition_subalgoE6EjNS0_10empty_typeEbEEZZNS1_14partition_implILS5_6ELb0ES3_mN6thrust23THRUST_200600_302600_NS6detail15normal_iteratorINSA_10device_ptrIjEEEEPS6_SG_NS0_5tupleIJSF_S6_EEENSH_IJSG_SG_EEES6_PlJ5mod_3IjEEEE10hipError_tPvRmT3_T4_T5_T6_T7_T9_mT8_P12ihipStream_tbDpT10_ENKUlT_T0_E_clISt17integral_constantIbLb1EES15_IbLb0EEEEDaS11_S12_EUlS11_E_NS1_11comp_targetILNS1_3genE4ELNS1_11target_archE910ELNS1_3gpuE8ELNS1_3repE0EEENS1_30default_config_static_selectorELNS0_4arch9wavefront6targetE0EEEvT1_: ; @_ZN7rocprim17ROCPRIM_400000_NS6detail17trampoline_kernelINS0_14default_configENS1_25partition_config_selectorILNS1_17partition_subalgoE6EjNS0_10empty_typeEbEEZZNS1_14partition_implILS5_6ELb0ES3_mN6thrust23THRUST_200600_302600_NS6detail15normal_iteratorINSA_10device_ptrIjEEEEPS6_SG_NS0_5tupleIJSF_S6_EEENSH_IJSG_SG_EEES6_PlJ5mod_3IjEEEE10hipError_tPvRmT3_T4_T5_T6_T7_T9_mT8_P12ihipStream_tbDpT10_ENKUlT_T0_E_clISt17integral_constantIbLb1EES15_IbLb0EEEEDaS11_S12_EUlS11_E_NS1_11comp_targetILNS1_3genE4ELNS1_11target_archE910ELNS1_3gpuE8ELNS1_3repE0EEENS1_30default_config_static_selectorELNS0_4arch9wavefront6targetE0EEEvT1_
; %bb.0:
	.section	.rodata,"a",@progbits
	.p2align	6, 0x0
	.amdhsa_kernel _ZN7rocprim17ROCPRIM_400000_NS6detail17trampoline_kernelINS0_14default_configENS1_25partition_config_selectorILNS1_17partition_subalgoE6EjNS0_10empty_typeEbEEZZNS1_14partition_implILS5_6ELb0ES3_mN6thrust23THRUST_200600_302600_NS6detail15normal_iteratorINSA_10device_ptrIjEEEEPS6_SG_NS0_5tupleIJSF_S6_EEENSH_IJSG_SG_EEES6_PlJ5mod_3IjEEEE10hipError_tPvRmT3_T4_T5_T6_T7_T9_mT8_P12ihipStream_tbDpT10_ENKUlT_T0_E_clISt17integral_constantIbLb1EES15_IbLb0EEEEDaS11_S12_EUlS11_E_NS1_11comp_targetILNS1_3genE4ELNS1_11target_archE910ELNS1_3gpuE8ELNS1_3repE0EEENS1_30default_config_static_selectorELNS0_4arch9wavefront6targetE0EEEvT1_
		.amdhsa_group_segment_fixed_size 0
		.amdhsa_private_segment_fixed_size 0
		.amdhsa_kernarg_size 112
		.amdhsa_user_sgpr_count 15
		.amdhsa_user_sgpr_dispatch_ptr 0
		.amdhsa_user_sgpr_queue_ptr 0
		.amdhsa_user_sgpr_kernarg_segment_ptr 1
		.amdhsa_user_sgpr_dispatch_id 0
		.amdhsa_user_sgpr_private_segment_size 0
		.amdhsa_wavefront_size32 1
		.amdhsa_uses_dynamic_stack 0
		.amdhsa_enable_private_segment 0
		.amdhsa_system_sgpr_workgroup_id_x 1
		.amdhsa_system_sgpr_workgroup_id_y 0
		.amdhsa_system_sgpr_workgroup_id_z 0
		.amdhsa_system_sgpr_workgroup_info 0
		.amdhsa_system_vgpr_workitem_id 0
		.amdhsa_next_free_vgpr 1
		.amdhsa_next_free_sgpr 1
		.amdhsa_reserve_vcc 0
		.amdhsa_float_round_mode_32 0
		.amdhsa_float_round_mode_16_64 0
		.amdhsa_float_denorm_mode_32 3
		.amdhsa_float_denorm_mode_16_64 3
		.amdhsa_dx10_clamp 1
		.amdhsa_ieee_mode 1
		.amdhsa_fp16_overflow 0
		.amdhsa_workgroup_processor_mode 1
		.amdhsa_memory_ordered 1
		.amdhsa_forward_progress 0
		.amdhsa_shared_vgpr_count 0
		.amdhsa_exception_fp_ieee_invalid_op 0
		.amdhsa_exception_fp_denorm_src 0
		.amdhsa_exception_fp_ieee_div_zero 0
		.amdhsa_exception_fp_ieee_overflow 0
		.amdhsa_exception_fp_ieee_underflow 0
		.amdhsa_exception_fp_ieee_inexact 0
		.amdhsa_exception_int_div_zero 0
	.end_amdhsa_kernel
	.section	.text._ZN7rocprim17ROCPRIM_400000_NS6detail17trampoline_kernelINS0_14default_configENS1_25partition_config_selectorILNS1_17partition_subalgoE6EjNS0_10empty_typeEbEEZZNS1_14partition_implILS5_6ELb0ES3_mN6thrust23THRUST_200600_302600_NS6detail15normal_iteratorINSA_10device_ptrIjEEEEPS6_SG_NS0_5tupleIJSF_S6_EEENSH_IJSG_SG_EEES6_PlJ5mod_3IjEEEE10hipError_tPvRmT3_T4_T5_T6_T7_T9_mT8_P12ihipStream_tbDpT10_ENKUlT_T0_E_clISt17integral_constantIbLb1EES15_IbLb0EEEEDaS11_S12_EUlS11_E_NS1_11comp_targetILNS1_3genE4ELNS1_11target_archE910ELNS1_3gpuE8ELNS1_3repE0EEENS1_30default_config_static_selectorELNS0_4arch9wavefront6targetE0EEEvT1_,"axG",@progbits,_ZN7rocprim17ROCPRIM_400000_NS6detail17trampoline_kernelINS0_14default_configENS1_25partition_config_selectorILNS1_17partition_subalgoE6EjNS0_10empty_typeEbEEZZNS1_14partition_implILS5_6ELb0ES3_mN6thrust23THRUST_200600_302600_NS6detail15normal_iteratorINSA_10device_ptrIjEEEEPS6_SG_NS0_5tupleIJSF_S6_EEENSH_IJSG_SG_EEES6_PlJ5mod_3IjEEEE10hipError_tPvRmT3_T4_T5_T6_T7_T9_mT8_P12ihipStream_tbDpT10_ENKUlT_T0_E_clISt17integral_constantIbLb1EES15_IbLb0EEEEDaS11_S12_EUlS11_E_NS1_11comp_targetILNS1_3genE4ELNS1_11target_archE910ELNS1_3gpuE8ELNS1_3repE0EEENS1_30default_config_static_selectorELNS0_4arch9wavefront6targetE0EEEvT1_,comdat
.Lfunc_end506:
	.size	_ZN7rocprim17ROCPRIM_400000_NS6detail17trampoline_kernelINS0_14default_configENS1_25partition_config_selectorILNS1_17partition_subalgoE6EjNS0_10empty_typeEbEEZZNS1_14partition_implILS5_6ELb0ES3_mN6thrust23THRUST_200600_302600_NS6detail15normal_iteratorINSA_10device_ptrIjEEEEPS6_SG_NS0_5tupleIJSF_S6_EEENSH_IJSG_SG_EEES6_PlJ5mod_3IjEEEE10hipError_tPvRmT3_T4_T5_T6_T7_T9_mT8_P12ihipStream_tbDpT10_ENKUlT_T0_E_clISt17integral_constantIbLb1EES15_IbLb0EEEEDaS11_S12_EUlS11_E_NS1_11comp_targetILNS1_3genE4ELNS1_11target_archE910ELNS1_3gpuE8ELNS1_3repE0EEENS1_30default_config_static_selectorELNS0_4arch9wavefront6targetE0EEEvT1_, .Lfunc_end506-_ZN7rocprim17ROCPRIM_400000_NS6detail17trampoline_kernelINS0_14default_configENS1_25partition_config_selectorILNS1_17partition_subalgoE6EjNS0_10empty_typeEbEEZZNS1_14partition_implILS5_6ELb0ES3_mN6thrust23THRUST_200600_302600_NS6detail15normal_iteratorINSA_10device_ptrIjEEEEPS6_SG_NS0_5tupleIJSF_S6_EEENSH_IJSG_SG_EEES6_PlJ5mod_3IjEEEE10hipError_tPvRmT3_T4_T5_T6_T7_T9_mT8_P12ihipStream_tbDpT10_ENKUlT_T0_E_clISt17integral_constantIbLb1EES15_IbLb0EEEEDaS11_S12_EUlS11_E_NS1_11comp_targetILNS1_3genE4ELNS1_11target_archE910ELNS1_3gpuE8ELNS1_3repE0EEENS1_30default_config_static_selectorELNS0_4arch9wavefront6targetE0EEEvT1_
                                        ; -- End function
	.section	.AMDGPU.csdata,"",@progbits
; Kernel info:
; codeLenInByte = 0
; NumSgprs: 0
; NumVgprs: 0
; ScratchSize: 0
; MemoryBound: 0
; FloatMode: 240
; IeeeMode: 1
; LDSByteSize: 0 bytes/workgroup (compile time only)
; SGPRBlocks: 0
; VGPRBlocks: 0
; NumSGPRsForWavesPerEU: 1
; NumVGPRsForWavesPerEU: 1
; Occupancy: 16
; WaveLimiterHint : 0
; COMPUTE_PGM_RSRC2:SCRATCH_EN: 0
; COMPUTE_PGM_RSRC2:USER_SGPR: 15
; COMPUTE_PGM_RSRC2:TRAP_HANDLER: 0
; COMPUTE_PGM_RSRC2:TGID_X_EN: 1
; COMPUTE_PGM_RSRC2:TGID_Y_EN: 0
; COMPUTE_PGM_RSRC2:TGID_Z_EN: 0
; COMPUTE_PGM_RSRC2:TIDIG_COMP_CNT: 0
	.section	.text._ZN7rocprim17ROCPRIM_400000_NS6detail17trampoline_kernelINS0_14default_configENS1_25partition_config_selectorILNS1_17partition_subalgoE6EjNS0_10empty_typeEbEEZZNS1_14partition_implILS5_6ELb0ES3_mN6thrust23THRUST_200600_302600_NS6detail15normal_iteratorINSA_10device_ptrIjEEEEPS6_SG_NS0_5tupleIJSF_S6_EEENSH_IJSG_SG_EEES6_PlJ5mod_3IjEEEE10hipError_tPvRmT3_T4_T5_T6_T7_T9_mT8_P12ihipStream_tbDpT10_ENKUlT_T0_E_clISt17integral_constantIbLb1EES15_IbLb0EEEEDaS11_S12_EUlS11_E_NS1_11comp_targetILNS1_3genE3ELNS1_11target_archE908ELNS1_3gpuE7ELNS1_3repE0EEENS1_30default_config_static_selectorELNS0_4arch9wavefront6targetE0EEEvT1_,"axG",@progbits,_ZN7rocprim17ROCPRIM_400000_NS6detail17trampoline_kernelINS0_14default_configENS1_25partition_config_selectorILNS1_17partition_subalgoE6EjNS0_10empty_typeEbEEZZNS1_14partition_implILS5_6ELb0ES3_mN6thrust23THRUST_200600_302600_NS6detail15normal_iteratorINSA_10device_ptrIjEEEEPS6_SG_NS0_5tupleIJSF_S6_EEENSH_IJSG_SG_EEES6_PlJ5mod_3IjEEEE10hipError_tPvRmT3_T4_T5_T6_T7_T9_mT8_P12ihipStream_tbDpT10_ENKUlT_T0_E_clISt17integral_constantIbLb1EES15_IbLb0EEEEDaS11_S12_EUlS11_E_NS1_11comp_targetILNS1_3genE3ELNS1_11target_archE908ELNS1_3gpuE7ELNS1_3repE0EEENS1_30default_config_static_selectorELNS0_4arch9wavefront6targetE0EEEvT1_,comdat
	.protected	_ZN7rocprim17ROCPRIM_400000_NS6detail17trampoline_kernelINS0_14default_configENS1_25partition_config_selectorILNS1_17partition_subalgoE6EjNS0_10empty_typeEbEEZZNS1_14partition_implILS5_6ELb0ES3_mN6thrust23THRUST_200600_302600_NS6detail15normal_iteratorINSA_10device_ptrIjEEEEPS6_SG_NS0_5tupleIJSF_S6_EEENSH_IJSG_SG_EEES6_PlJ5mod_3IjEEEE10hipError_tPvRmT3_T4_T5_T6_T7_T9_mT8_P12ihipStream_tbDpT10_ENKUlT_T0_E_clISt17integral_constantIbLb1EES15_IbLb0EEEEDaS11_S12_EUlS11_E_NS1_11comp_targetILNS1_3genE3ELNS1_11target_archE908ELNS1_3gpuE7ELNS1_3repE0EEENS1_30default_config_static_selectorELNS0_4arch9wavefront6targetE0EEEvT1_ ; -- Begin function _ZN7rocprim17ROCPRIM_400000_NS6detail17trampoline_kernelINS0_14default_configENS1_25partition_config_selectorILNS1_17partition_subalgoE6EjNS0_10empty_typeEbEEZZNS1_14partition_implILS5_6ELb0ES3_mN6thrust23THRUST_200600_302600_NS6detail15normal_iteratorINSA_10device_ptrIjEEEEPS6_SG_NS0_5tupleIJSF_S6_EEENSH_IJSG_SG_EEES6_PlJ5mod_3IjEEEE10hipError_tPvRmT3_T4_T5_T6_T7_T9_mT8_P12ihipStream_tbDpT10_ENKUlT_T0_E_clISt17integral_constantIbLb1EES15_IbLb0EEEEDaS11_S12_EUlS11_E_NS1_11comp_targetILNS1_3genE3ELNS1_11target_archE908ELNS1_3gpuE7ELNS1_3repE0EEENS1_30default_config_static_selectorELNS0_4arch9wavefront6targetE0EEEvT1_
	.globl	_ZN7rocprim17ROCPRIM_400000_NS6detail17trampoline_kernelINS0_14default_configENS1_25partition_config_selectorILNS1_17partition_subalgoE6EjNS0_10empty_typeEbEEZZNS1_14partition_implILS5_6ELb0ES3_mN6thrust23THRUST_200600_302600_NS6detail15normal_iteratorINSA_10device_ptrIjEEEEPS6_SG_NS0_5tupleIJSF_S6_EEENSH_IJSG_SG_EEES6_PlJ5mod_3IjEEEE10hipError_tPvRmT3_T4_T5_T6_T7_T9_mT8_P12ihipStream_tbDpT10_ENKUlT_T0_E_clISt17integral_constantIbLb1EES15_IbLb0EEEEDaS11_S12_EUlS11_E_NS1_11comp_targetILNS1_3genE3ELNS1_11target_archE908ELNS1_3gpuE7ELNS1_3repE0EEENS1_30default_config_static_selectorELNS0_4arch9wavefront6targetE0EEEvT1_
	.p2align	8
	.type	_ZN7rocprim17ROCPRIM_400000_NS6detail17trampoline_kernelINS0_14default_configENS1_25partition_config_selectorILNS1_17partition_subalgoE6EjNS0_10empty_typeEbEEZZNS1_14partition_implILS5_6ELb0ES3_mN6thrust23THRUST_200600_302600_NS6detail15normal_iteratorINSA_10device_ptrIjEEEEPS6_SG_NS0_5tupleIJSF_S6_EEENSH_IJSG_SG_EEES6_PlJ5mod_3IjEEEE10hipError_tPvRmT3_T4_T5_T6_T7_T9_mT8_P12ihipStream_tbDpT10_ENKUlT_T0_E_clISt17integral_constantIbLb1EES15_IbLb0EEEEDaS11_S12_EUlS11_E_NS1_11comp_targetILNS1_3genE3ELNS1_11target_archE908ELNS1_3gpuE7ELNS1_3repE0EEENS1_30default_config_static_selectorELNS0_4arch9wavefront6targetE0EEEvT1_,@function
_ZN7rocprim17ROCPRIM_400000_NS6detail17trampoline_kernelINS0_14default_configENS1_25partition_config_selectorILNS1_17partition_subalgoE6EjNS0_10empty_typeEbEEZZNS1_14partition_implILS5_6ELb0ES3_mN6thrust23THRUST_200600_302600_NS6detail15normal_iteratorINSA_10device_ptrIjEEEEPS6_SG_NS0_5tupleIJSF_S6_EEENSH_IJSG_SG_EEES6_PlJ5mod_3IjEEEE10hipError_tPvRmT3_T4_T5_T6_T7_T9_mT8_P12ihipStream_tbDpT10_ENKUlT_T0_E_clISt17integral_constantIbLb1EES15_IbLb0EEEEDaS11_S12_EUlS11_E_NS1_11comp_targetILNS1_3genE3ELNS1_11target_archE908ELNS1_3gpuE7ELNS1_3repE0EEENS1_30default_config_static_selectorELNS0_4arch9wavefront6targetE0EEEvT1_: ; @_ZN7rocprim17ROCPRIM_400000_NS6detail17trampoline_kernelINS0_14default_configENS1_25partition_config_selectorILNS1_17partition_subalgoE6EjNS0_10empty_typeEbEEZZNS1_14partition_implILS5_6ELb0ES3_mN6thrust23THRUST_200600_302600_NS6detail15normal_iteratorINSA_10device_ptrIjEEEEPS6_SG_NS0_5tupleIJSF_S6_EEENSH_IJSG_SG_EEES6_PlJ5mod_3IjEEEE10hipError_tPvRmT3_T4_T5_T6_T7_T9_mT8_P12ihipStream_tbDpT10_ENKUlT_T0_E_clISt17integral_constantIbLb1EES15_IbLb0EEEEDaS11_S12_EUlS11_E_NS1_11comp_targetILNS1_3genE3ELNS1_11target_archE908ELNS1_3gpuE7ELNS1_3repE0EEENS1_30default_config_static_selectorELNS0_4arch9wavefront6targetE0EEEvT1_
; %bb.0:
	.section	.rodata,"a",@progbits
	.p2align	6, 0x0
	.amdhsa_kernel _ZN7rocprim17ROCPRIM_400000_NS6detail17trampoline_kernelINS0_14default_configENS1_25partition_config_selectorILNS1_17partition_subalgoE6EjNS0_10empty_typeEbEEZZNS1_14partition_implILS5_6ELb0ES3_mN6thrust23THRUST_200600_302600_NS6detail15normal_iteratorINSA_10device_ptrIjEEEEPS6_SG_NS0_5tupleIJSF_S6_EEENSH_IJSG_SG_EEES6_PlJ5mod_3IjEEEE10hipError_tPvRmT3_T4_T5_T6_T7_T9_mT8_P12ihipStream_tbDpT10_ENKUlT_T0_E_clISt17integral_constantIbLb1EES15_IbLb0EEEEDaS11_S12_EUlS11_E_NS1_11comp_targetILNS1_3genE3ELNS1_11target_archE908ELNS1_3gpuE7ELNS1_3repE0EEENS1_30default_config_static_selectorELNS0_4arch9wavefront6targetE0EEEvT1_
		.amdhsa_group_segment_fixed_size 0
		.amdhsa_private_segment_fixed_size 0
		.amdhsa_kernarg_size 112
		.amdhsa_user_sgpr_count 15
		.amdhsa_user_sgpr_dispatch_ptr 0
		.amdhsa_user_sgpr_queue_ptr 0
		.amdhsa_user_sgpr_kernarg_segment_ptr 1
		.amdhsa_user_sgpr_dispatch_id 0
		.amdhsa_user_sgpr_private_segment_size 0
		.amdhsa_wavefront_size32 1
		.amdhsa_uses_dynamic_stack 0
		.amdhsa_enable_private_segment 0
		.amdhsa_system_sgpr_workgroup_id_x 1
		.amdhsa_system_sgpr_workgroup_id_y 0
		.amdhsa_system_sgpr_workgroup_id_z 0
		.amdhsa_system_sgpr_workgroup_info 0
		.amdhsa_system_vgpr_workitem_id 0
		.amdhsa_next_free_vgpr 1
		.amdhsa_next_free_sgpr 1
		.amdhsa_reserve_vcc 0
		.amdhsa_float_round_mode_32 0
		.amdhsa_float_round_mode_16_64 0
		.amdhsa_float_denorm_mode_32 3
		.amdhsa_float_denorm_mode_16_64 3
		.amdhsa_dx10_clamp 1
		.amdhsa_ieee_mode 1
		.amdhsa_fp16_overflow 0
		.amdhsa_workgroup_processor_mode 1
		.amdhsa_memory_ordered 1
		.amdhsa_forward_progress 0
		.amdhsa_shared_vgpr_count 0
		.amdhsa_exception_fp_ieee_invalid_op 0
		.amdhsa_exception_fp_denorm_src 0
		.amdhsa_exception_fp_ieee_div_zero 0
		.amdhsa_exception_fp_ieee_overflow 0
		.amdhsa_exception_fp_ieee_underflow 0
		.amdhsa_exception_fp_ieee_inexact 0
		.amdhsa_exception_int_div_zero 0
	.end_amdhsa_kernel
	.section	.text._ZN7rocprim17ROCPRIM_400000_NS6detail17trampoline_kernelINS0_14default_configENS1_25partition_config_selectorILNS1_17partition_subalgoE6EjNS0_10empty_typeEbEEZZNS1_14partition_implILS5_6ELb0ES3_mN6thrust23THRUST_200600_302600_NS6detail15normal_iteratorINSA_10device_ptrIjEEEEPS6_SG_NS0_5tupleIJSF_S6_EEENSH_IJSG_SG_EEES6_PlJ5mod_3IjEEEE10hipError_tPvRmT3_T4_T5_T6_T7_T9_mT8_P12ihipStream_tbDpT10_ENKUlT_T0_E_clISt17integral_constantIbLb1EES15_IbLb0EEEEDaS11_S12_EUlS11_E_NS1_11comp_targetILNS1_3genE3ELNS1_11target_archE908ELNS1_3gpuE7ELNS1_3repE0EEENS1_30default_config_static_selectorELNS0_4arch9wavefront6targetE0EEEvT1_,"axG",@progbits,_ZN7rocprim17ROCPRIM_400000_NS6detail17trampoline_kernelINS0_14default_configENS1_25partition_config_selectorILNS1_17partition_subalgoE6EjNS0_10empty_typeEbEEZZNS1_14partition_implILS5_6ELb0ES3_mN6thrust23THRUST_200600_302600_NS6detail15normal_iteratorINSA_10device_ptrIjEEEEPS6_SG_NS0_5tupleIJSF_S6_EEENSH_IJSG_SG_EEES6_PlJ5mod_3IjEEEE10hipError_tPvRmT3_T4_T5_T6_T7_T9_mT8_P12ihipStream_tbDpT10_ENKUlT_T0_E_clISt17integral_constantIbLb1EES15_IbLb0EEEEDaS11_S12_EUlS11_E_NS1_11comp_targetILNS1_3genE3ELNS1_11target_archE908ELNS1_3gpuE7ELNS1_3repE0EEENS1_30default_config_static_selectorELNS0_4arch9wavefront6targetE0EEEvT1_,comdat
.Lfunc_end507:
	.size	_ZN7rocprim17ROCPRIM_400000_NS6detail17trampoline_kernelINS0_14default_configENS1_25partition_config_selectorILNS1_17partition_subalgoE6EjNS0_10empty_typeEbEEZZNS1_14partition_implILS5_6ELb0ES3_mN6thrust23THRUST_200600_302600_NS6detail15normal_iteratorINSA_10device_ptrIjEEEEPS6_SG_NS0_5tupleIJSF_S6_EEENSH_IJSG_SG_EEES6_PlJ5mod_3IjEEEE10hipError_tPvRmT3_T4_T5_T6_T7_T9_mT8_P12ihipStream_tbDpT10_ENKUlT_T0_E_clISt17integral_constantIbLb1EES15_IbLb0EEEEDaS11_S12_EUlS11_E_NS1_11comp_targetILNS1_3genE3ELNS1_11target_archE908ELNS1_3gpuE7ELNS1_3repE0EEENS1_30default_config_static_selectorELNS0_4arch9wavefront6targetE0EEEvT1_, .Lfunc_end507-_ZN7rocprim17ROCPRIM_400000_NS6detail17trampoline_kernelINS0_14default_configENS1_25partition_config_selectorILNS1_17partition_subalgoE6EjNS0_10empty_typeEbEEZZNS1_14partition_implILS5_6ELb0ES3_mN6thrust23THRUST_200600_302600_NS6detail15normal_iteratorINSA_10device_ptrIjEEEEPS6_SG_NS0_5tupleIJSF_S6_EEENSH_IJSG_SG_EEES6_PlJ5mod_3IjEEEE10hipError_tPvRmT3_T4_T5_T6_T7_T9_mT8_P12ihipStream_tbDpT10_ENKUlT_T0_E_clISt17integral_constantIbLb1EES15_IbLb0EEEEDaS11_S12_EUlS11_E_NS1_11comp_targetILNS1_3genE3ELNS1_11target_archE908ELNS1_3gpuE7ELNS1_3repE0EEENS1_30default_config_static_selectorELNS0_4arch9wavefront6targetE0EEEvT1_
                                        ; -- End function
	.section	.AMDGPU.csdata,"",@progbits
; Kernel info:
; codeLenInByte = 0
; NumSgprs: 0
; NumVgprs: 0
; ScratchSize: 0
; MemoryBound: 0
; FloatMode: 240
; IeeeMode: 1
; LDSByteSize: 0 bytes/workgroup (compile time only)
; SGPRBlocks: 0
; VGPRBlocks: 0
; NumSGPRsForWavesPerEU: 1
; NumVGPRsForWavesPerEU: 1
; Occupancy: 16
; WaveLimiterHint : 0
; COMPUTE_PGM_RSRC2:SCRATCH_EN: 0
; COMPUTE_PGM_RSRC2:USER_SGPR: 15
; COMPUTE_PGM_RSRC2:TRAP_HANDLER: 0
; COMPUTE_PGM_RSRC2:TGID_X_EN: 1
; COMPUTE_PGM_RSRC2:TGID_Y_EN: 0
; COMPUTE_PGM_RSRC2:TGID_Z_EN: 0
; COMPUTE_PGM_RSRC2:TIDIG_COMP_CNT: 0
	.section	.text._ZN7rocprim17ROCPRIM_400000_NS6detail17trampoline_kernelINS0_14default_configENS1_25partition_config_selectorILNS1_17partition_subalgoE6EjNS0_10empty_typeEbEEZZNS1_14partition_implILS5_6ELb0ES3_mN6thrust23THRUST_200600_302600_NS6detail15normal_iteratorINSA_10device_ptrIjEEEEPS6_SG_NS0_5tupleIJSF_S6_EEENSH_IJSG_SG_EEES6_PlJ5mod_3IjEEEE10hipError_tPvRmT3_T4_T5_T6_T7_T9_mT8_P12ihipStream_tbDpT10_ENKUlT_T0_E_clISt17integral_constantIbLb1EES15_IbLb0EEEEDaS11_S12_EUlS11_E_NS1_11comp_targetILNS1_3genE2ELNS1_11target_archE906ELNS1_3gpuE6ELNS1_3repE0EEENS1_30default_config_static_selectorELNS0_4arch9wavefront6targetE0EEEvT1_,"axG",@progbits,_ZN7rocprim17ROCPRIM_400000_NS6detail17trampoline_kernelINS0_14default_configENS1_25partition_config_selectorILNS1_17partition_subalgoE6EjNS0_10empty_typeEbEEZZNS1_14partition_implILS5_6ELb0ES3_mN6thrust23THRUST_200600_302600_NS6detail15normal_iteratorINSA_10device_ptrIjEEEEPS6_SG_NS0_5tupleIJSF_S6_EEENSH_IJSG_SG_EEES6_PlJ5mod_3IjEEEE10hipError_tPvRmT3_T4_T5_T6_T7_T9_mT8_P12ihipStream_tbDpT10_ENKUlT_T0_E_clISt17integral_constantIbLb1EES15_IbLb0EEEEDaS11_S12_EUlS11_E_NS1_11comp_targetILNS1_3genE2ELNS1_11target_archE906ELNS1_3gpuE6ELNS1_3repE0EEENS1_30default_config_static_selectorELNS0_4arch9wavefront6targetE0EEEvT1_,comdat
	.protected	_ZN7rocprim17ROCPRIM_400000_NS6detail17trampoline_kernelINS0_14default_configENS1_25partition_config_selectorILNS1_17partition_subalgoE6EjNS0_10empty_typeEbEEZZNS1_14partition_implILS5_6ELb0ES3_mN6thrust23THRUST_200600_302600_NS6detail15normal_iteratorINSA_10device_ptrIjEEEEPS6_SG_NS0_5tupleIJSF_S6_EEENSH_IJSG_SG_EEES6_PlJ5mod_3IjEEEE10hipError_tPvRmT3_T4_T5_T6_T7_T9_mT8_P12ihipStream_tbDpT10_ENKUlT_T0_E_clISt17integral_constantIbLb1EES15_IbLb0EEEEDaS11_S12_EUlS11_E_NS1_11comp_targetILNS1_3genE2ELNS1_11target_archE906ELNS1_3gpuE6ELNS1_3repE0EEENS1_30default_config_static_selectorELNS0_4arch9wavefront6targetE0EEEvT1_ ; -- Begin function _ZN7rocprim17ROCPRIM_400000_NS6detail17trampoline_kernelINS0_14default_configENS1_25partition_config_selectorILNS1_17partition_subalgoE6EjNS0_10empty_typeEbEEZZNS1_14partition_implILS5_6ELb0ES3_mN6thrust23THRUST_200600_302600_NS6detail15normal_iteratorINSA_10device_ptrIjEEEEPS6_SG_NS0_5tupleIJSF_S6_EEENSH_IJSG_SG_EEES6_PlJ5mod_3IjEEEE10hipError_tPvRmT3_T4_T5_T6_T7_T9_mT8_P12ihipStream_tbDpT10_ENKUlT_T0_E_clISt17integral_constantIbLb1EES15_IbLb0EEEEDaS11_S12_EUlS11_E_NS1_11comp_targetILNS1_3genE2ELNS1_11target_archE906ELNS1_3gpuE6ELNS1_3repE0EEENS1_30default_config_static_selectorELNS0_4arch9wavefront6targetE0EEEvT1_
	.globl	_ZN7rocprim17ROCPRIM_400000_NS6detail17trampoline_kernelINS0_14default_configENS1_25partition_config_selectorILNS1_17partition_subalgoE6EjNS0_10empty_typeEbEEZZNS1_14partition_implILS5_6ELb0ES3_mN6thrust23THRUST_200600_302600_NS6detail15normal_iteratorINSA_10device_ptrIjEEEEPS6_SG_NS0_5tupleIJSF_S6_EEENSH_IJSG_SG_EEES6_PlJ5mod_3IjEEEE10hipError_tPvRmT3_T4_T5_T6_T7_T9_mT8_P12ihipStream_tbDpT10_ENKUlT_T0_E_clISt17integral_constantIbLb1EES15_IbLb0EEEEDaS11_S12_EUlS11_E_NS1_11comp_targetILNS1_3genE2ELNS1_11target_archE906ELNS1_3gpuE6ELNS1_3repE0EEENS1_30default_config_static_selectorELNS0_4arch9wavefront6targetE0EEEvT1_
	.p2align	8
	.type	_ZN7rocprim17ROCPRIM_400000_NS6detail17trampoline_kernelINS0_14default_configENS1_25partition_config_selectorILNS1_17partition_subalgoE6EjNS0_10empty_typeEbEEZZNS1_14partition_implILS5_6ELb0ES3_mN6thrust23THRUST_200600_302600_NS6detail15normal_iteratorINSA_10device_ptrIjEEEEPS6_SG_NS0_5tupleIJSF_S6_EEENSH_IJSG_SG_EEES6_PlJ5mod_3IjEEEE10hipError_tPvRmT3_T4_T5_T6_T7_T9_mT8_P12ihipStream_tbDpT10_ENKUlT_T0_E_clISt17integral_constantIbLb1EES15_IbLb0EEEEDaS11_S12_EUlS11_E_NS1_11comp_targetILNS1_3genE2ELNS1_11target_archE906ELNS1_3gpuE6ELNS1_3repE0EEENS1_30default_config_static_selectorELNS0_4arch9wavefront6targetE0EEEvT1_,@function
_ZN7rocprim17ROCPRIM_400000_NS6detail17trampoline_kernelINS0_14default_configENS1_25partition_config_selectorILNS1_17partition_subalgoE6EjNS0_10empty_typeEbEEZZNS1_14partition_implILS5_6ELb0ES3_mN6thrust23THRUST_200600_302600_NS6detail15normal_iteratorINSA_10device_ptrIjEEEEPS6_SG_NS0_5tupleIJSF_S6_EEENSH_IJSG_SG_EEES6_PlJ5mod_3IjEEEE10hipError_tPvRmT3_T4_T5_T6_T7_T9_mT8_P12ihipStream_tbDpT10_ENKUlT_T0_E_clISt17integral_constantIbLb1EES15_IbLb0EEEEDaS11_S12_EUlS11_E_NS1_11comp_targetILNS1_3genE2ELNS1_11target_archE906ELNS1_3gpuE6ELNS1_3repE0EEENS1_30default_config_static_selectorELNS0_4arch9wavefront6targetE0EEEvT1_: ; @_ZN7rocprim17ROCPRIM_400000_NS6detail17trampoline_kernelINS0_14default_configENS1_25partition_config_selectorILNS1_17partition_subalgoE6EjNS0_10empty_typeEbEEZZNS1_14partition_implILS5_6ELb0ES3_mN6thrust23THRUST_200600_302600_NS6detail15normal_iteratorINSA_10device_ptrIjEEEEPS6_SG_NS0_5tupleIJSF_S6_EEENSH_IJSG_SG_EEES6_PlJ5mod_3IjEEEE10hipError_tPvRmT3_T4_T5_T6_T7_T9_mT8_P12ihipStream_tbDpT10_ENKUlT_T0_E_clISt17integral_constantIbLb1EES15_IbLb0EEEEDaS11_S12_EUlS11_E_NS1_11comp_targetILNS1_3genE2ELNS1_11target_archE906ELNS1_3gpuE6ELNS1_3repE0EEENS1_30default_config_static_selectorELNS0_4arch9wavefront6targetE0EEEvT1_
; %bb.0:
	.section	.rodata,"a",@progbits
	.p2align	6, 0x0
	.amdhsa_kernel _ZN7rocprim17ROCPRIM_400000_NS6detail17trampoline_kernelINS0_14default_configENS1_25partition_config_selectorILNS1_17partition_subalgoE6EjNS0_10empty_typeEbEEZZNS1_14partition_implILS5_6ELb0ES3_mN6thrust23THRUST_200600_302600_NS6detail15normal_iteratorINSA_10device_ptrIjEEEEPS6_SG_NS0_5tupleIJSF_S6_EEENSH_IJSG_SG_EEES6_PlJ5mod_3IjEEEE10hipError_tPvRmT3_T4_T5_T6_T7_T9_mT8_P12ihipStream_tbDpT10_ENKUlT_T0_E_clISt17integral_constantIbLb1EES15_IbLb0EEEEDaS11_S12_EUlS11_E_NS1_11comp_targetILNS1_3genE2ELNS1_11target_archE906ELNS1_3gpuE6ELNS1_3repE0EEENS1_30default_config_static_selectorELNS0_4arch9wavefront6targetE0EEEvT1_
		.amdhsa_group_segment_fixed_size 0
		.amdhsa_private_segment_fixed_size 0
		.amdhsa_kernarg_size 112
		.amdhsa_user_sgpr_count 15
		.amdhsa_user_sgpr_dispatch_ptr 0
		.amdhsa_user_sgpr_queue_ptr 0
		.amdhsa_user_sgpr_kernarg_segment_ptr 1
		.amdhsa_user_sgpr_dispatch_id 0
		.amdhsa_user_sgpr_private_segment_size 0
		.amdhsa_wavefront_size32 1
		.amdhsa_uses_dynamic_stack 0
		.amdhsa_enable_private_segment 0
		.amdhsa_system_sgpr_workgroup_id_x 1
		.amdhsa_system_sgpr_workgroup_id_y 0
		.amdhsa_system_sgpr_workgroup_id_z 0
		.amdhsa_system_sgpr_workgroup_info 0
		.amdhsa_system_vgpr_workitem_id 0
		.amdhsa_next_free_vgpr 1
		.amdhsa_next_free_sgpr 1
		.amdhsa_reserve_vcc 0
		.amdhsa_float_round_mode_32 0
		.amdhsa_float_round_mode_16_64 0
		.amdhsa_float_denorm_mode_32 3
		.amdhsa_float_denorm_mode_16_64 3
		.amdhsa_dx10_clamp 1
		.amdhsa_ieee_mode 1
		.amdhsa_fp16_overflow 0
		.amdhsa_workgroup_processor_mode 1
		.amdhsa_memory_ordered 1
		.amdhsa_forward_progress 0
		.amdhsa_shared_vgpr_count 0
		.amdhsa_exception_fp_ieee_invalid_op 0
		.amdhsa_exception_fp_denorm_src 0
		.amdhsa_exception_fp_ieee_div_zero 0
		.amdhsa_exception_fp_ieee_overflow 0
		.amdhsa_exception_fp_ieee_underflow 0
		.amdhsa_exception_fp_ieee_inexact 0
		.amdhsa_exception_int_div_zero 0
	.end_amdhsa_kernel
	.section	.text._ZN7rocprim17ROCPRIM_400000_NS6detail17trampoline_kernelINS0_14default_configENS1_25partition_config_selectorILNS1_17partition_subalgoE6EjNS0_10empty_typeEbEEZZNS1_14partition_implILS5_6ELb0ES3_mN6thrust23THRUST_200600_302600_NS6detail15normal_iteratorINSA_10device_ptrIjEEEEPS6_SG_NS0_5tupleIJSF_S6_EEENSH_IJSG_SG_EEES6_PlJ5mod_3IjEEEE10hipError_tPvRmT3_T4_T5_T6_T7_T9_mT8_P12ihipStream_tbDpT10_ENKUlT_T0_E_clISt17integral_constantIbLb1EES15_IbLb0EEEEDaS11_S12_EUlS11_E_NS1_11comp_targetILNS1_3genE2ELNS1_11target_archE906ELNS1_3gpuE6ELNS1_3repE0EEENS1_30default_config_static_selectorELNS0_4arch9wavefront6targetE0EEEvT1_,"axG",@progbits,_ZN7rocprim17ROCPRIM_400000_NS6detail17trampoline_kernelINS0_14default_configENS1_25partition_config_selectorILNS1_17partition_subalgoE6EjNS0_10empty_typeEbEEZZNS1_14partition_implILS5_6ELb0ES3_mN6thrust23THRUST_200600_302600_NS6detail15normal_iteratorINSA_10device_ptrIjEEEEPS6_SG_NS0_5tupleIJSF_S6_EEENSH_IJSG_SG_EEES6_PlJ5mod_3IjEEEE10hipError_tPvRmT3_T4_T5_T6_T7_T9_mT8_P12ihipStream_tbDpT10_ENKUlT_T0_E_clISt17integral_constantIbLb1EES15_IbLb0EEEEDaS11_S12_EUlS11_E_NS1_11comp_targetILNS1_3genE2ELNS1_11target_archE906ELNS1_3gpuE6ELNS1_3repE0EEENS1_30default_config_static_selectorELNS0_4arch9wavefront6targetE0EEEvT1_,comdat
.Lfunc_end508:
	.size	_ZN7rocprim17ROCPRIM_400000_NS6detail17trampoline_kernelINS0_14default_configENS1_25partition_config_selectorILNS1_17partition_subalgoE6EjNS0_10empty_typeEbEEZZNS1_14partition_implILS5_6ELb0ES3_mN6thrust23THRUST_200600_302600_NS6detail15normal_iteratorINSA_10device_ptrIjEEEEPS6_SG_NS0_5tupleIJSF_S6_EEENSH_IJSG_SG_EEES6_PlJ5mod_3IjEEEE10hipError_tPvRmT3_T4_T5_T6_T7_T9_mT8_P12ihipStream_tbDpT10_ENKUlT_T0_E_clISt17integral_constantIbLb1EES15_IbLb0EEEEDaS11_S12_EUlS11_E_NS1_11comp_targetILNS1_3genE2ELNS1_11target_archE906ELNS1_3gpuE6ELNS1_3repE0EEENS1_30default_config_static_selectorELNS0_4arch9wavefront6targetE0EEEvT1_, .Lfunc_end508-_ZN7rocprim17ROCPRIM_400000_NS6detail17trampoline_kernelINS0_14default_configENS1_25partition_config_selectorILNS1_17partition_subalgoE6EjNS0_10empty_typeEbEEZZNS1_14partition_implILS5_6ELb0ES3_mN6thrust23THRUST_200600_302600_NS6detail15normal_iteratorINSA_10device_ptrIjEEEEPS6_SG_NS0_5tupleIJSF_S6_EEENSH_IJSG_SG_EEES6_PlJ5mod_3IjEEEE10hipError_tPvRmT3_T4_T5_T6_T7_T9_mT8_P12ihipStream_tbDpT10_ENKUlT_T0_E_clISt17integral_constantIbLb1EES15_IbLb0EEEEDaS11_S12_EUlS11_E_NS1_11comp_targetILNS1_3genE2ELNS1_11target_archE906ELNS1_3gpuE6ELNS1_3repE0EEENS1_30default_config_static_selectorELNS0_4arch9wavefront6targetE0EEEvT1_
                                        ; -- End function
	.section	.AMDGPU.csdata,"",@progbits
; Kernel info:
; codeLenInByte = 0
; NumSgprs: 0
; NumVgprs: 0
; ScratchSize: 0
; MemoryBound: 0
; FloatMode: 240
; IeeeMode: 1
; LDSByteSize: 0 bytes/workgroup (compile time only)
; SGPRBlocks: 0
; VGPRBlocks: 0
; NumSGPRsForWavesPerEU: 1
; NumVGPRsForWavesPerEU: 1
; Occupancy: 15
; WaveLimiterHint : 0
; COMPUTE_PGM_RSRC2:SCRATCH_EN: 0
; COMPUTE_PGM_RSRC2:USER_SGPR: 15
; COMPUTE_PGM_RSRC2:TRAP_HANDLER: 0
; COMPUTE_PGM_RSRC2:TGID_X_EN: 1
; COMPUTE_PGM_RSRC2:TGID_Y_EN: 0
; COMPUTE_PGM_RSRC2:TGID_Z_EN: 0
; COMPUTE_PGM_RSRC2:TIDIG_COMP_CNT: 0
	.section	.text._ZN7rocprim17ROCPRIM_400000_NS6detail17trampoline_kernelINS0_14default_configENS1_25partition_config_selectorILNS1_17partition_subalgoE6EjNS0_10empty_typeEbEEZZNS1_14partition_implILS5_6ELb0ES3_mN6thrust23THRUST_200600_302600_NS6detail15normal_iteratorINSA_10device_ptrIjEEEEPS6_SG_NS0_5tupleIJSF_S6_EEENSH_IJSG_SG_EEES6_PlJ5mod_3IjEEEE10hipError_tPvRmT3_T4_T5_T6_T7_T9_mT8_P12ihipStream_tbDpT10_ENKUlT_T0_E_clISt17integral_constantIbLb1EES15_IbLb0EEEEDaS11_S12_EUlS11_E_NS1_11comp_targetILNS1_3genE10ELNS1_11target_archE1200ELNS1_3gpuE4ELNS1_3repE0EEENS1_30default_config_static_selectorELNS0_4arch9wavefront6targetE0EEEvT1_,"axG",@progbits,_ZN7rocprim17ROCPRIM_400000_NS6detail17trampoline_kernelINS0_14default_configENS1_25partition_config_selectorILNS1_17partition_subalgoE6EjNS0_10empty_typeEbEEZZNS1_14partition_implILS5_6ELb0ES3_mN6thrust23THRUST_200600_302600_NS6detail15normal_iteratorINSA_10device_ptrIjEEEEPS6_SG_NS0_5tupleIJSF_S6_EEENSH_IJSG_SG_EEES6_PlJ5mod_3IjEEEE10hipError_tPvRmT3_T4_T5_T6_T7_T9_mT8_P12ihipStream_tbDpT10_ENKUlT_T0_E_clISt17integral_constantIbLb1EES15_IbLb0EEEEDaS11_S12_EUlS11_E_NS1_11comp_targetILNS1_3genE10ELNS1_11target_archE1200ELNS1_3gpuE4ELNS1_3repE0EEENS1_30default_config_static_selectorELNS0_4arch9wavefront6targetE0EEEvT1_,comdat
	.protected	_ZN7rocprim17ROCPRIM_400000_NS6detail17trampoline_kernelINS0_14default_configENS1_25partition_config_selectorILNS1_17partition_subalgoE6EjNS0_10empty_typeEbEEZZNS1_14partition_implILS5_6ELb0ES3_mN6thrust23THRUST_200600_302600_NS6detail15normal_iteratorINSA_10device_ptrIjEEEEPS6_SG_NS0_5tupleIJSF_S6_EEENSH_IJSG_SG_EEES6_PlJ5mod_3IjEEEE10hipError_tPvRmT3_T4_T5_T6_T7_T9_mT8_P12ihipStream_tbDpT10_ENKUlT_T0_E_clISt17integral_constantIbLb1EES15_IbLb0EEEEDaS11_S12_EUlS11_E_NS1_11comp_targetILNS1_3genE10ELNS1_11target_archE1200ELNS1_3gpuE4ELNS1_3repE0EEENS1_30default_config_static_selectorELNS0_4arch9wavefront6targetE0EEEvT1_ ; -- Begin function _ZN7rocprim17ROCPRIM_400000_NS6detail17trampoline_kernelINS0_14default_configENS1_25partition_config_selectorILNS1_17partition_subalgoE6EjNS0_10empty_typeEbEEZZNS1_14partition_implILS5_6ELb0ES3_mN6thrust23THRUST_200600_302600_NS6detail15normal_iteratorINSA_10device_ptrIjEEEEPS6_SG_NS0_5tupleIJSF_S6_EEENSH_IJSG_SG_EEES6_PlJ5mod_3IjEEEE10hipError_tPvRmT3_T4_T5_T6_T7_T9_mT8_P12ihipStream_tbDpT10_ENKUlT_T0_E_clISt17integral_constantIbLb1EES15_IbLb0EEEEDaS11_S12_EUlS11_E_NS1_11comp_targetILNS1_3genE10ELNS1_11target_archE1200ELNS1_3gpuE4ELNS1_3repE0EEENS1_30default_config_static_selectorELNS0_4arch9wavefront6targetE0EEEvT1_
	.globl	_ZN7rocprim17ROCPRIM_400000_NS6detail17trampoline_kernelINS0_14default_configENS1_25partition_config_selectorILNS1_17partition_subalgoE6EjNS0_10empty_typeEbEEZZNS1_14partition_implILS5_6ELb0ES3_mN6thrust23THRUST_200600_302600_NS6detail15normal_iteratorINSA_10device_ptrIjEEEEPS6_SG_NS0_5tupleIJSF_S6_EEENSH_IJSG_SG_EEES6_PlJ5mod_3IjEEEE10hipError_tPvRmT3_T4_T5_T6_T7_T9_mT8_P12ihipStream_tbDpT10_ENKUlT_T0_E_clISt17integral_constantIbLb1EES15_IbLb0EEEEDaS11_S12_EUlS11_E_NS1_11comp_targetILNS1_3genE10ELNS1_11target_archE1200ELNS1_3gpuE4ELNS1_3repE0EEENS1_30default_config_static_selectorELNS0_4arch9wavefront6targetE0EEEvT1_
	.p2align	8
	.type	_ZN7rocprim17ROCPRIM_400000_NS6detail17trampoline_kernelINS0_14default_configENS1_25partition_config_selectorILNS1_17partition_subalgoE6EjNS0_10empty_typeEbEEZZNS1_14partition_implILS5_6ELb0ES3_mN6thrust23THRUST_200600_302600_NS6detail15normal_iteratorINSA_10device_ptrIjEEEEPS6_SG_NS0_5tupleIJSF_S6_EEENSH_IJSG_SG_EEES6_PlJ5mod_3IjEEEE10hipError_tPvRmT3_T4_T5_T6_T7_T9_mT8_P12ihipStream_tbDpT10_ENKUlT_T0_E_clISt17integral_constantIbLb1EES15_IbLb0EEEEDaS11_S12_EUlS11_E_NS1_11comp_targetILNS1_3genE10ELNS1_11target_archE1200ELNS1_3gpuE4ELNS1_3repE0EEENS1_30default_config_static_selectorELNS0_4arch9wavefront6targetE0EEEvT1_,@function
_ZN7rocprim17ROCPRIM_400000_NS6detail17trampoline_kernelINS0_14default_configENS1_25partition_config_selectorILNS1_17partition_subalgoE6EjNS0_10empty_typeEbEEZZNS1_14partition_implILS5_6ELb0ES3_mN6thrust23THRUST_200600_302600_NS6detail15normal_iteratorINSA_10device_ptrIjEEEEPS6_SG_NS0_5tupleIJSF_S6_EEENSH_IJSG_SG_EEES6_PlJ5mod_3IjEEEE10hipError_tPvRmT3_T4_T5_T6_T7_T9_mT8_P12ihipStream_tbDpT10_ENKUlT_T0_E_clISt17integral_constantIbLb1EES15_IbLb0EEEEDaS11_S12_EUlS11_E_NS1_11comp_targetILNS1_3genE10ELNS1_11target_archE1200ELNS1_3gpuE4ELNS1_3repE0EEENS1_30default_config_static_selectorELNS0_4arch9wavefront6targetE0EEEvT1_: ; @_ZN7rocprim17ROCPRIM_400000_NS6detail17trampoline_kernelINS0_14default_configENS1_25partition_config_selectorILNS1_17partition_subalgoE6EjNS0_10empty_typeEbEEZZNS1_14partition_implILS5_6ELb0ES3_mN6thrust23THRUST_200600_302600_NS6detail15normal_iteratorINSA_10device_ptrIjEEEEPS6_SG_NS0_5tupleIJSF_S6_EEENSH_IJSG_SG_EEES6_PlJ5mod_3IjEEEE10hipError_tPvRmT3_T4_T5_T6_T7_T9_mT8_P12ihipStream_tbDpT10_ENKUlT_T0_E_clISt17integral_constantIbLb1EES15_IbLb0EEEEDaS11_S12_EUlS11_E_NS1_11comp_targetILNS1_3genE10ELNS1_11target_archE1200ELNS1_3gpuE4ELNS1_3repE0EEENS1_30default_config_static_selectorELNS0_4arch9wavefront6targetE0EEEvT1_
; %bb.0:
	.section	.rodata,"a",@progbits
	.p2align	6, 0x0
	.amdhsa_kernel _ZN7rocprim17ROCPRIM_400000_NS6detail17trampoline_kernelINS0_14default_configENS1_25partition_config_selectorILNS1_17partition_subalgoE6EjNS0_10empty_typeEbEEZZNS1_14partition_implILS5_6ELb0ES3_mN6thrust23THRUST_200600_302600_NS6detail15normal_iteratorINSA_10device_ptrIjEEEEPS6_SG_NS0_5tupleIJSF_S6_EEENSH_IJSG_SG_EEES6_PlJ5mod_3IjEEEE10hipError_tPvRmT3_T4_T5_T6_T7_T9_mT8_P12ihipStream_tbDpT10_ENKUlT_T0_E_clISt17integral_constantIbLb1EES15_IbLb0EEEEDaS11_S12_EUlS11_E_NS1_11comp_targetILNS1_3genE10ELNS1_11target_archE1200ELNS1_3gpuE4ELNS1_3repE0EEENS1_30default_config_static_selectorELNS0_4arch9wavefront6targetE0EEEvT1_
		.amdhsa_group_segment_fixed_size 0
		.amdhsa_private_segment_fixed_size 0
		.amdhsa_kernarg_size 112
		.amdhsa_user_sgpr_count 15
		.amdhsa_user_sgpr_dispatch_ptr 0
		.amdhsa_user_sgpr_queue_ptr 0
		.amdhsa_user_sgpr_kernarg_segment_ptr 1
		.amdhsa_user_sgpr_dispatch_id 0
		.amdhsa_user_sgpr_private_segment_size 0
		.amdhsa_wavefront_size32 1
		.amdhsa_uses_dynamic_stack 0
		.amdhsa_enable_private_segment 0
		.amdhsa_system_sgpr_workgroup_id_x 1
		.amdhsa_system_sgpr_workgroup_id_y 0
		.amdhsa_system_sgpr_workgroup_id_z 0
		.amdhsa_system_sgpr_workgroup_info 0
		.amdhsa_system_vgpr_workitem_id 0
		.amdhsa_next_free_vgpr 1
		.amdhsa_next_free_sgpr 1
		.amdhsa_reserve_vcc 0
		.amdhsa_float_round_mode_32 0
		.amdhsa_float_round_mode_16_64 0
		.amdhsa_float_denorm_mode_32 3
		.amdhsa_float_denorm_mode_16_64 3
		.amdhsa_dx10_clamp 1
		.amdhsa_ieee_mode 1
		.amdhsa_fp16_overflow 0
		.amdhsa_workgroup_processor_mode 1
		.amdhsa_memory_ordered 1
		.amdhsa_forward_progress 0
		.amdhsa_shared_vgpr_count 0
		.amdhsa_exception_fp_ieee_invalid_op 0
		.amdhsa_exception_fp_denorm_src 0
		.amdhsa_exception_fp_ieee_div_zero 0
		.amdhsa_exception_fp_ieee_overflow 0
		.amdhsa_exception_fp_ieee_underflow 0
		.amdhsa_exception_fp_ieee_inexact 0
		.amdhsa_exception_int_div_zero 0
	.end_amdhsa_kernel
	.section	.text._ZN7rocprim17ROCPRIM_400000_NS6detail17trampoline_kernelINS0_14default_configENS1_25partition_config_selectorILNS1_17partition_subalgoE6EjNS0_10empty_typeEbEEZZNS1_14partition_implILS5_6ELb0ES3_mN6thrust23THRUST_200600_302600_NS6detail15normal_iteratorINSA_10device_ptrIjEEEEPS6_SG_NS0_5tupleIJSF_S6_EEENSH_IJSG_SG_EEES6_PlJ5mod_3IjEEEE10hipError_tPvRmT3_T4_T5_T6_T7_T9_mT8_P12ihipStream_tbDpT10_ENKUlT_T0_E_clISt17integral_constantIbLb1EES15_IbLb0EEEEDaS11_S12_EUlS11_E_NS1_11comp_targetILNS1_3genE10ELNS1_11target_archE1200ELNS1_3gpuE4ELNS1_3repE0EEENS1_30default_config_static_selectorELNS0_4arch9wavefront6targetE0EEEvT1_,"axG",@progbits,_ZN7rocprim17ROCPRIM_400000_NS6detail17trampoline_kernelINS0_14default_configENS1_25partition_config_selectorILNS1_17partition_subalgoE6EjNS0_10empty_typeEbEEZZNS1_14partition_implILS5_6ELb0ES3_mN6thrust23THRUST_200600_302600_NS6detail15normal_iteratorINSA_10device_ptrIjEEEEPS6_SG_NS0_5tupleIJSF_S6_EEENSH_IJSG_SG_EEES6_PlJ5mod_3IjEEEE10hipError_tPvRmT3_T4_T5_T6_T7_T9_mT8_P12ihipStream_tbDpT10_ENKUlT_T0_E_clISt17integral_constantIbLb1EES15_IbLb0EEEEDaS11_S12_EUlS11_E_NS1_11comp_targetILNS1_3genE10ELNS1_11target_archE1200ELNS1_3gpuE4ELNS1_3repE0EEENS1_30default_config_static_selectorELNS0_4arch9wavefront6targetE0EEEvT1_,comdat
.Lfunc_end509:
	.size	_ZN7rocprim17ROCPRIM_400000_NS6detail17trampoline_kernelINS0_14default_configENS1_25partition_config_selectorILNS1_17partition_subalgoE6EjNS0_10empty_typeEbEEZZNS1_14partition_implILS5_6ELb0ES3_mN6thrust23THRUST_200600_302600_NS6detail15normal_iteratorINSA_10device_ptrIjEEEEPS6_SG_NS0_5tupleIJSF_S6_EEENSH_IJSG_SG_EEES6_PlJ5mod_3IjEEEE10hipError_tPvRmT3_T4_T5_T6_T7_T9_mT8_P12ihipStream_tbDpT10_ENKUlT_T0_E_clISt17integral_constantIbLb1EES15_IbLb0EEEEDaS11_S12_EUlS11_E_NS1_11comp_targetILNS1_3genE10ELNS1_11target_archE1200ELNS1_3gpuE4ELNS1_3repE0EEENS1_30default_config_static_selectorELNS0_4arch9wavefront6targetE0EEEvT1_, .Lfunc_end509-_ZN7rocprim17ROCPRIM_400000_NS6detail17trampoline_kernelINS0_14default_configENS1_25partition_config_selectorILNS1_17partition_subalgoE6EjNS0_10empty_typeEbEEZZNS1_14partition_implILS5_6ELb0ES3_mN6thrust23THRUST_200600_302600_NS6detail15normal_iteratorINSA_10device_ptrIjEEEEPS6_SG_NS0_5tupleIJSF_S6_EEENSH_IJSG_SG_EEES6_PlJ5mod_3IjEEEE10hipError_tPvRmT3_T4_T5_T6_T7_T9_mT8_P12ihipStream_tbDpT10_ENKUlT_T0_E_clISt17integral_constantIbLb1EES15_IbLb0EEEEDaS11_S12_EUlS11_E_NS1_11comp_targetILNS1_3genE10ELNS1_11target_archE1200ELNS1_3gpuE4ELNS1_3repE0EEENS1_30default_config_static_selectorELNS0_4arch9wavefront6targetE0EEEvT1_
                                        ; -- End function
	.section	.AMDGPU.csdata,"",@progbits
; Kernel info:
; codeLenInByte = 0
; NumSgprs: 0
; NumVgprs: 0
; ScratchSize: 0
; MemoryBound: 0
; FloatMode: 240
; IeeeMode: 1
; LDSByteSize: 0 bytes/workgroup (compile time only)
; SGPRBlocks: 0
; VGPRBlocks: 0
; NumSGPRsForWavesPerEU: 1
; NumVGPRsForWavesPerEU: 1
; Occupancy: 15
; WaveLimiterHint : 0
; COMPUTE_PGM_RSRC2:SCRATCH_EN: 0
; COMPUTE_PGM_RSRC2:USER_SGPR: 15
; COMPUTE_PGM_RSRC2:TRAP_HANDLER: 0
; COMPUTE_PGM_RSRC2:TGID_X_EN: 1
; COMPUTE_PGM_RSRC2:TGID_Y_EN: 0
; COMPUTE_PGM_RSRC2:TGID_Z_EN: 0
; COMPUTE_PGM_RSRC2:TIDIG_COMP_CNT: 0
	.section	.text._ZN7rocprim17ROCPRIM_400000_NS6detail17trampoline_kernelINS0_14default_configENS1_25partition_config_selectorILNS1_17partition_subalgoE6EjNS0_10empty_typeEbEEZZNS1_14partition_implILS5_6ELb0ES3_mN6thrust23THRUST_200600_302600_NS6detail15normal_iteratorINSA_10device_ptrIjEEEEPS6_SG_NS0_5tupleIJSF_S6_EEENSH_IJSG_SG_EEES6_PlJ5mod_3IjEEEE10hipError_tPvRmT3_T4_T5_T6_T7_T9_mT8_P12ihipStream_tbDpT10_ENKUlT_T0_E_clISt17integral_constantIbLb1EES15_IbLb0EEEEDaS11_S12_EUlS11_E_NS1_11comp_targetILNS1_3genE9ELNS1_11target_archE1100ELNS1_3gpuE3ELNS1_3repE0EEENS1_30default_config_static_selectorELNS0_4arch9wavefront6targetE0EEEvT1_,"axG",@progbits,_ZN7rocprim17ROCPRIM_400000_NS6detail17trampoline_kernelINS0_14default_configENS1_25partition_config_selectorILNS1_17partition_subalgoE6EjNS0_10empty_typeEbEEZZNS1_14partition_implILS5_6ELb0ES3_mN6thrust23THRUST_200600_302600_NS6detail15normal_iteratorINSA_10device_ptrIjEEEEPS6_SG_NS0_5tupleIJSF_S6_EEENSH_IJSG_SG_EEES6_PlJ5mod_3IjEEEE10hipError_tPvRmT3_T4_T5_T6_T7_T9_mT8_P12ihipStream_tbDpT10_ENKUlT_T0_E_clISt17integral_constantIbLb1EES15_IbLb0EEEEDaS11_S12_EUlS11_E_NS1_11comp_targetILNS1_3genE9ELNS1_11target_archE1100ELNS1_3gpuE3ELNS1_3repE0EEENS1_30default_config_static_selectorELNS0_4arch9wavefront6targetE0EEEvT1_,comdat
	.protected	_ZN7rocprim17ROCPRIM_400000_NS6detail17trampoline_kernelINS0_14default_configENS1_25partition_config_selectorILNS1_17partition_subalgoE6EjNS0_10empty_typeEbEEZZNS1_14partition_implILS5_6ELb0ES3_mN6thrust23THRUST_200600_302600_NS6detail15normal_iteratorINSA_10device_ptrIjEEEEPS6_SG_NS0_5tupleIJSF_S6_EEENSH_IJSG_SG_EEES6_PlJ5mod_3IjEEEE10hipError_tPvRmT3_T4_T5_T6_T7_T9_mT8_P12ihipStream_tbDpT10_ENKUlT_T0_E_clISt17integral_constantIbLb1EES15_IbLb0EEEEDaS11_S12_EUlS11_E_NS1_11comp_targetILNS1_3genE9ELNS1_11target_archE1100ELNS1_3gpuE3ELNS1_3repE0EEENS1_30default_config_static_selectorELNS0_4arch9wavefront6targetE0EEEvT1_ ; -- Begin function _ZN7rocprim17ROCPRIM_400000_NS6detail17trampoline_kernelINS0_14default_configENS1_25partition_config_selectorILNS1_17partition_subalgoE6EjNS0_10empty_typeEbEEZZNS1_14partition_implILS5_6ELb0ES3_mN6thrust23THRUST_200600_302600_NS6detail15normal_iteratorINSA_10device_ptrIjEEEEPS6_SG_NS0_5tupleIJSF_S6_EEENSH_IJSG_SG_EEES6_PlJ5mod_3IjEEEE10hipError_tPvRmT3_T4_T5_T6_T7_T9_mT8_P12ihipStream_tbDpT10_ENKUlT_T0_E_clISt17integral_constantIbLb1EES15_IbLb0EEEEDaS11_S12_EUlS11_E_NS1_11comp_targetILNS1_3genE9ELNS1_11target_archE1100ELNS1_3gpuE3ELNS1_3repE0EEENS1_30default_config_static_selectorELNS0_4arch9wavefront6targetE0EEEvT1_
	.globl	_ZN7rocprim17ROCPRIM_400000_NS6detail17trampoline_kernelINS0_14default_configENS1_25partition_config_selectorILNS1_17partition_subalgoE6EjNS0_10empty_typeEbEEZZNS1_14partition_implILS5_6ELb0ES3_mN6thrust23THRUST_200600_302600_NS6detail15normal_iteratorINSA_10device_ptrIjEEEEPS6_SG_NS0_5tupleIJSF_S6_EEENSH_IJSG_SG_EEES6_PlJ5mod_3IjEEEE10hipError_tPvRmT3_T4_T5_T6_T7_T9_mT8_P12ihipStream_tbDpT10_ENKUlT_T0_E_clISt17integral_constantIbLb1EES15_IbLb0EEEEDaS11_S12_EUlS11_E_NS1_11comp_targetILNS1_3genE9ELNS1_11target_archE1100ELNS1_3gpuE3ELNS1_3repE0EEENS1_30default_config_static_selectorELNS0_4arch9wavefront6targetE0EEEvT1_
	.p2align	8
	.type	_ZN7rocprim17ROCPRIM_400000_NS6detail17trampoline_kernelINS0_14default_configENS1_25partition_config_selectorILNS1_17partition_subalgoE6EjNS0_10empty_typeEbEEZZNS1_14partition_implILS5_6ELb0ES3_mN6thrust23THRUST_200600_302600_NS6detail15normal_iteratorINSA_10device_ptrIjEEEEPS6_SG_NS0_5tupleIJSF_S6_EEENSH_IJSG_SG_EEES6_PlJ5mod_3IjEEEE10hipError_tPvRmT3_T4_T5_T6_T7_T9_mT8_P12ihipStream_tbDpT10_ENKUlT_T0_E_clISt17integral_constantIbLb1EES15_IbLb0EEEEDaS11_S12_EUlS11_E_NS1_11comp_targetILNS1_3genE9ELNS1_11target_archE1100ELNS1_3gpuE3ELNS1_3repE0EEENS1_30default_config_static_selectorELNS0_4arch9wavefront6targetE0EEEvT1_,@function
_ZN7rocprim17ROCPRIM_400000_NS6detail17trampoline_kernelINS0_14default_configENS1_25partition_config_selectorILNS1_17partition_subalgoE6EjNS0_10empty_typeEbEEZZNS1_14partition_implILS5_6ELb0ES3_mN6thrust23THRUST_200600_302600_NS6detail15normal_iteratorINSA_10device_ptrIjEEEEPS6_SG_NS0_5tupleIJSF_S6_EEENSH_IJSG_SG_EEES6_PlJ5mod_3IjEEEE10hipError_tPvRmT3_T4_T5_T6_T7_T9_mT8_P12ihipStream_tbDpT10_ENKUlT_T0_E_clISt17integral_constantIbLb1EES15_IbLb0EEEEDaS11_S12_EUlS11_E_NS1_11comp_targetILNS1_3genE9ELNS1_11target_archE1100ELNS1_3gpuE3ELNS1_3repE0EEENS1_30default_config_static_selectorELNS0_4arch9wavefront6targetE0EEEvT1_: ; @_ZN7rocprim17ROCPRIM_400000_NS6detail17trampoline_kernelINS0_14default_configENS1_25partition_config_selectorILNS1_17partition_subalgoE6EjNS0_10empty_typeEbEEZZNS1_14partition_implILS5_6ELb0ES3_mN6thrust23THRUST_200600_302600_NS6detail15normal_iteratorINSA_10device_ptrIjEEEEPS6_SG_NS0_5tupleIJSF_S6_EEENSH_IJSG_SG_EEES6_PlJ5mod_3IjEEEE10hipError_tPvRmT3_T4_T5_T6_T7_T9_mT8_P12ihipStream_tbDpT10_ENKUlT_T0_E_clISt17integral_constantIbLb1EES15_IbLb0EEEEDaS11_S12_EUlS11_E_NS1_11comp_targetILNS1_3genE9ELNS1_11target_archE1100ELNS1_3gpuE3ELNS1_3repE0EEENS1_30default_config_static_selectorELNS0_4arch9wavefront6targetE0EEEvT1_
; %bb.0:
	s_clause 0x3
	s_load_b128 s[8:11], s[0:1], 0x8
	s_load_b128 s[4:7], s[0:1], 0x40
	s_load_b32 s14, s[0:1], 0x68
	s_load_b64 s[16:17], s[0:1], 0x50
	v_lshlrev_b32_e32 v17, 2, v0
	s_waitcnt lgkmcnt(0)
	s_lshl_b64 s[12:13], s[10:11], 2
	s_load_b64 s[2:3], s[6:7], 0x0
	s_mul_i32 s6, s14, 0x700
	s_add_u32 s8, s8, s12
	s_addc_u32 s9, s9, s13
	s_add_i32 s7, s6, s10
	s_add_i32 s14, s14, -1
	s_sub_i32 s12, s16, s7
	s_add_u32 s6, s10, s6
	s_addc_u32 s7, s11, 0
	s_cmp_eq_u32 s15, s14
	v_cmp_ge_u64_e64 s11, s[6:7], s[16:17]
	s_cselect_b32 s10, -1, 0
	s_mov_b32 s7, 0
	s_mul_i32 s6, s15, 0x700
	s_delay_alu instid0(SALU_CYCLE_1) | instskip(NEXT) | instid1(VALU_DEP_1)
	s_lshl_b64 s[6:7], s[6:7], 2
	s_and_b32 s11, s10, s11
	s_delay_alu instid0(SALU_CYCLE_1)
	s_xor_b32 s11, s11, -1
	s_add_u32 s6, s8, s6
	s_addc_u32 s7, s9, s7
	s_and_b32 vcc_lo, exec_lo, s11
	s_mov_b32 s8, -1
	s_cbranch_vccz .LBB510_2
; %bb.1:
	v_add_co_u32 v1, s8, s6, v17
	s_delay_alu instid0(VALU_DEP_1) | instskip(SKIP_1) | instid1(VALU_DEP_2)
	v_add_co_ci_u32_e64 v2, null, s7, 0, s8
	s_mov_b32 s8, 0
	v_add_co_u32 v3, vcc_lo, 0x1000, v1
	s_delay_alu instid0(VALU_DEP_2)
	v_add_co_ci_u32_e32 v4, vcc_lo, 0, v2, vcc_lo
	s_clause 0xd
	flat_load_b32 v5, v[1:2]
	flat_load_b32 v6, v[1:2] offset:512
	flat_load_b32 v7, v[1:2] offset:1024
	;; [unrolled: 1-line block ×7, first 2 shown]
	flat_load_b32 v2, v[3:4]
	flat_load_b32 v12, v[3:4] offset:512
	flat_load_b32 v13, v[3:4] offset:1024
	;; [unrolled: 1-line block ×5, first 2 shown]
	s_waitcnt vmcnt(12) lgkmcnt(0)
	ds_store_2addr_stride64_b32 v17, v5, v6 offset1:2
	s_waitcnt vmcnt(10)
	ds_store_2addr_stride64_b32 v17, v7, v8 offset0:4 offset1:6
	s_waitcnt vmcnt(8)
	ds_store_2addr_stride64_b32 v17, v9, v10 offset0:8 offset1:10
	;; [unrolled: 2-line block ×6, first 2 shown]
	s_waitcnt lgkmcnt(0)
	s_barrier
.LBB510_2:
	s_and_not1_b32 vcc_lo, exec_lo, s8
	s_addk_i32 s12, 0x700
	s_cbranch_vccnz .LBB510_32
; %bb.3:
	s_mov_b32 s8, exec_lo
                                        ; implicit-def: $vgpr1_vgpr2_vgpr3_vgpr4_vgpr5_vgpr6_vgpr7_vgpr8_vgpr9_vgpr10_vgpr11_vgpr12_vgpr13_vgpr14_vgpr15_vgpr16
	v_cmpx_gt_u32_e64 s12, v0
	s_cbranch_execz .LBB510_5
; %bb.4:
	v_add_co_u32 v1, s9, s6, v17
	s_delay_alu instid0(VALU_DEP_1)
	v_add_co_ci_u32_e64 v2, null, s7, 0, s9
	flat_load_b32 v1, v[1:2]
.LBB510_5:
	s_or_b32 exec_lo, exec_lo, s8
	v_or_b32_e32 v15, 0x80, v0
	s_mov_b32 s8, exec_lo
	s_delay_alu instid0(VALU_DEP_1)
	v_cmpx_gt_u32_e64 s12, v15
	s_cbranch_execz .LBB510_7
; %bb.6:
	v_add_co_u32 v15, s9, s6, v17
	s_delay_alu instid0(VALU_DEP_1)
	v_add_co_ci_u32_e64 v16, null, s7, 0, s9
	flat_load_b32 v2, v[15:16] offset:512
.LBB510_7:
	s_or_b32 exec_lo, exec_lo, s8
	v_or_b32_e32 v15, 0x100, v0
	s_mov_b32 s8, exec_lo
	s_delay_alu instid0(VALU_DEP_1)
	v_cmpx_gt_u32_e64 s12, v15
	s_cbranch_execz .LBB510_9
; %bb.8:
	v_add_co_u32 v15, s9, s6, v17
	s_delay_alu instid0(VALU_DEP_1)
	v_add_co_ci_u32_e64 v16, null, s7, 0, s9
	flat_load_b32 v3, v[15:16] offset:1024
.LBB510_9:
	;; [unrolled: 12-line block ×7, first 2 shown]
	s_or_b32 exec_lo, exec_lo, s8
	v_or_b32_e32 v15, 0x400, v0
	s_mov_b32 s8, exec_lo
	s_delay_alu instid0(VALU_DEP_1)
	v_cmpx_gt_u32_e64 s12, v15
	s_cbranch_execz .LBB510_21
; %bb.20:
	v_lshlrev_b32_e32 v9, 2, v15
	s_delay_alu instid0(VALU_DEP_1) | instskip(NEXT) | instid1(VALU_DEP_1)
	v_add_co_u32 v15, s9, s6, v9
	v_add_co_ci_u32_e64 v16, null, s7, 0, s9
	flat_load_b32 v9, v[15:16]
.LBB510_21:
	s_or_b32 exec_lo, exec_lo, s8
	v_or_b32_e32 v15, 0x480, v0
	s_mov_b32 s8, exec_lo
	s_delay_alu instid0(VALU_DEP_1)
	v_cmpx_gt_u32_e64 s12, v15
	s_cbranch_execz .LBB510_23
; %bb.22:
	v_lshlrev_b32_e32 v10, 2, v15
	s_delay_alu instid0(VALU_DEP_1) | instskip(NEXT) | instid1(VALU_DEP_1)
	v_add_co_u32 v15, s9, s6, v10
	v_add_co_ci_u32_e64 v16, null, s7, 0, s9
	flat_load_b32 v10, v[15:16]
.LBB510_23:
	;; [unrolled: 13-line block ×6, first 2 shown]
	s_or_b32 exec_lo, exec_lo, s8
	s_waitcnt vmcnt(0) lgkmcnt(0)
	ds_store_2addr_stride64_b32 v17, v1, v2 offset1:2
	ds_store_2addr_stride64_b32 v17, v3, v4 offset0:4 offset1:6
	ds_store_2addr_stride64_b32 v17, v5, v6 offset0:8 offset1:10
	;; [unrolled: 1-line block ×6, first 2 shown]
	s_waitcnt lgkmcnt(0)
	s_barrier
.LBB510_32:
	v_mul_u32_u24_e32 v1, 14, v0
	s_waitcnt lgkmcnt(0)
	buffer_gl0_inv
	s_and_not1_b32 vcc_lo, exec_lo, s11
	v_lshlrev_b32_e32 v61, 2, v1
	ds_load_2addr_b64 v[41:44], v61 offset1:1
	ds_load_2addr_b64 v[37:40], v61 offset0:2 offset1:3
	ds_load_2addr_b64 v[33:36], v61 offset0:4 offset1:5
	ds_load_b64 v[49:50], v61 offset:48
	s_waitcnt lgkmcnt(0)
	s_barrier
	buffer_gl0_inv
	s_cbranch_vccnz .LBB510_34
; %bb.33:
	v_mul_lo_u32 v2, 0xaaaaaaab, v41
	v_mul_lo_u32 v3, 0xaaaaaaab, v42
	v_mul_lo_u32 v4, 0xaaaaaaab, v43
	v_mul_lo_u32 v5, 0xaaaaaaab, v44
	v_mul_lo_u32 v6, 0xaaaaaaab, v37
	v_mul_lo_u32 v7, 0xaaaaaaab, v38
	v_mul_lo_u32 v8, 0xaaaaaaab, v39
	v_mul_lo_u32 v9, 0xaaaaaaab, v40
	v_cmp_lt_u32_e32 vcc_lo, 0x55555555, v2
	v_mul_lo_u32 v10, 0xaaaaaaab, v33
	v_mul_lo_u32 v11, 0xaaaaaaab, v34
	;; [unrolled: 1-line block ×4, first 2 shown]
	v_cndmask_b32_e64 v2, 0, 1, vcc_lo
	v_cmp_lt_u32_e32 vcc_lo, 0x55555555, v3
	v_mul_lo_u32 v14, 0xaaaaaaab, v49
	v_cndmask_b32_e64 v3, 0, 1, vcc_lo
	v_cmp_lt_u32_e32 vcc_lo, 0x55555555, v4
	s_delay_alu instid0(VALU_DEP_2) | instskip(SKIP_2) | instid1(VALU_DEP_3)
	v_lshlrev_b16 v3, 8, v3
	v_cndmask_b32_e64 v4, 0, 1, vcc_lo
	v_cmp_lt_u32_e32 vcc_lo, 0x55555555, v5
	v_or_b32_e32 v2, v2, v3
	v_cndmask_b32_e64 v5, 0, 1, vcc_lo
	v_cmp_lt_u32_e32 vcc_lo, 0x55555555, v6
	s_delay_alu instid0(VALU_DEP_3) | instskip(NEXT) | instid1(VALU_DEP_3)
	v_and_b32_e32 v2, 0xffff, v2
	v_lshlrev_b16 v5, 8, v5
	v_cndmask_b32_e64 v6, 0, 1, vcc_lo
	v_cmp_lt_u32_e32 vcc_lo, 0x55555555, v7
	s_delay_alu instid0(VALU_DEP_3) | instskip(SKIP_2) | instid1(VALU_DEP_3)
	v_or_b32_e32 v4, v4, v5
	v_cndmask_b32_e64 v7, 0, 1, vcc_lo
	v_cmp_lt_u32_e32 vcc_lo, 0x55555555, v8
	v_lshlrev_b32_e32 v4, 16, v4
	s_delay_alu instid0(VALU_DEP_3) | instskip(SKIP_2) | instid1(VALU_DEP_4)
	v_lshlrev_b16 v7, 8, v7
	v_cndmask_b32_e64 v8, 0, 1, vcc_lo
	v_cmp_lt_u32_e32 vcc_lo, 0x55555555, v9
	v_or_b32_e32 v59, v2, v4
	s_delay_alu instid0(VALU_DEP_4) | instskip(SKIP_2) | instid1(VALU_DEP_3)
	v_or_b32_e32 v5, v6, v7
	v_cndmask_b32_e64 v9, 0, 1, vcc_lo
	v_cmp_lt_u32_e32 vcc_lo, 0x55555555, v10
	v_and_b32_e32 v5, 0xffff, v5
	s_delay_alu instid0(VALU_DEP_3) | instskip(SKIP_2) | instid1(VALU_DEP_3)
	v_lshlrev_b16 v9, 8, v9
	v_cndmask_b32_e64 v10, 0, 1, vcc_lo
	v_cmp_lt_u32_e32 vcc_lo, 0x55555555, v11
	v_or_b32_e32 v6, v8, v9
	v_cndmask_b32_e64 v11, 0, 1, vcc_lo
	v_cmp_lt_u32_e32 vcc_lo, 0x55555555, v12
	s_delay_alu instid0(VALU_DEP_3) | instskip(NEXT) | instid1(VALU_DEP_3)
	v_lshlrev_b32_e32 v6, 16, v6
	v_lshlrev_b16 v11, 8, v11
	v_cndmask_b32_e64 v12, 0, 1, vcc_lo
	v_cmp_lt_u32_e32 vcc_lo, 0x55555555, v13
	v_mul_lo_u32 v13, 0xaaaaaaab, v50
	v_or_b32_e32 v56, v5, v6
	v_or_b32_e32 v7, v10, v11
	v_cndmask_b32_e64 v3, 0, 1, vcc_lo
	v_cmp_lt_u32_e32 vcc_lo, 0x55555555, v14
	s_delay_alu instid0(VALU_DEP_3) | instskip(NEXT) | instid1(VALU_DEP_3)
	v_and_b32_e32 v7, 0xffff, v7
	v_lshlrev_b16 v3, 8, v3
	v_cndmask_b32_e64 v53, 0, 1, vcc_lo
	v_cmp_lt_u32_e32 vcc_lo, 0x55555555, v13
	s_delay_alu instid0(VALU_DEP_3) | instskip(SKIP_1) | instid1(VALU_DEP_2)
	v_or_b32_e32 v3, v12, v3
	v_cndmask_b32_e64 v54, 0, 1, vcc_lo
	v_lshlrev_b32_e32 v3, 16, v3
	s_delay_alu instid0(VALU_DEP_1)
	v_or_b32_e32 v55, v7, v3
	s_clause 0x1
	s_load_b64 s[6:7], s[0:1], 0x28
	s_load_b64 s[8:9], s[0:1], 0x60
	s_cbranch_execz .LBB510_35
	s_branch .LBB510_64
.LBB510_34:
                                        ; implicit-def: $vgpr54
                                        ; implicit-def: $vgpr53
                                        ; implicit-def: $vgpr55
                                        ; implicit-def: $vgpr56
                                        ; implicit-def: $vgpr59
	s_clause 0x1
	s_load_b64 s[6:7], s[0:1], 0x28
	s_load_b64 s[8:9], s[0:1], 0x60
.LBB510_35:
	v_dual_mov_b32 v3, 0 :: v_dual_mov_b32 v2, 0
	s_mov_b32 s0, exec_lo
	v_cmpx_gt_u32_e64 s12, v1
; %bb.36:
	v_mul_lo_u32 v2, 0xaaaaaaab, v41
	s_delay_alu instid0(VALU_DEP_1)
	v_cmp_lt_u32_e32 vcc_lo, 0x55555555, v2
	v_cndmask_b32_e64 v2, 0, 1, vcc_lo
; %bb.37:
	s_or_b32 exec_lo, exec_lo, s0
	v_or_b32_e32 v4, 1, v1
	s_mov_b32 s0, exec_lo
	s_delay_alu instid0(VALU_DEP_1)
	v_cmpx_gt_u32_e64 s12, v4
; %bb.38:
	v_mul_lo_u32 v3, 0xaaaaaaab, v42
	s_delay_alu instid0(VALU_DEP_1)
	v_cmp_lt_u32_e32 vcc_lo, 0x55555555, v3
	v_cndmask_b32_e64 v3, 0, 1, vcc_lo
; %bb.39:
	s_or_b32 exec_lo, exec_lo, s0
	v_dual_mov_b32 v5, 0 :: v_dual_add_nc_u32 v4, 2, v1
	s_delay_alu instid0(VALU_DEP_1)
	v_cmp_gt_u32_e32 vcc_lo, s12, v4
	v_mov_b32_e32 v4, 0
	s_and_saveexec_b32 s0, vcc_lo
; %bb.40:
	v_mul_lo_u32 v4, 0xaaaaaaab, v43
	s_delay_alu instid0(VALU_DEP_1)
	v_cmp_lt_u32_e32 vcc_lo, 0x55555555, v4
	v_cndmask_b32_e64 v4, 0, 1, vcc_lo
; %bb.41:
	s_or_b32 exec_lo, exec_lo, s0
	v_add_nc_u32_e32 v6, 3, v1
	s_mov_b32 s0, exec_lo
	s_delay_alu instid0(VALU_DEP_1)
	v_cmpx_gt_u32_e64 s12, v6
; %bb.42:
	v_mul_lo_u32 v5, 0xaaaaaaab, v44
	s_delay_alu instid0(VALU_DEP_1)
	v_cmp_lt_u32_e32 vcc_lo, 0x55555555, v5
	v_cndmask_b32_e64 v5, 0, 1, vcc_lo
; %bb.43:
	s_or_b32 exec_lo, exec_lo, s0
	v_dual_mov_b32 v7, 0 :: v_dual_add_nc_u32 v6, 4, v1
	s_delay_alu instid0(VALU_DEP_1)
	v_cmp_gt_u32_e32 vcc_lo, s12, v6
	v_mov_b32_e32 v6, 0
	s_and_saveexec_b32 s0, vcc_lo
; %bb.44:
	v_mul_lo_u32 v6, 0xaaaaaaab, v37
	s_delay_alu instid0(VALU_DEP_1)
	v_cmp_lt_u32_e32 vcc_lo, 0x55555555, v6
	v_cndmask_b32_e64 v6, 0, 1, vcc_lo
; %bb.45:
	s_or_b32 exec_lo, exec_lo, s0
	v_add_nc_u32_e32 v8, 5, v1
	;; [unrolled: 23-line block ×5, first 2 shown]
	s_mov_b32 s0, exec_lo
	s_delay_alu instid0(VALU_DEP_1)
	v_cmpx_gt_u32_e64 s12, v14
; %bb.58:
	v_mul_lo_u32 v13, 0xaaaaaaab, v36
	s_delay_alu instid0(VALU_DEP_1)
	v_cmp_lt_u32_e32 vcc_lo, 0x55555555, v13
	v_cndmask_b32_e64 v13, 0, 1, vcc_lo
; %bb.59:
	s_or_b32 exec_lo, exec_lo, s0
	v_dual_mov_b32 v53, 0 :: v_dual_add_nc_u32 v14, 12, v1
	v_mov_b32_e32 v54, 0
	s_mov_b32 s0, exec_lo
	s_delay_alu instid0(VALU_DEP_2)
	v_cmpx_gt_u32_e64 s12, v14
; %bb.60:
	v_mul_lo_u32 v14, 0xaaaaaaab, v49
	s_delay_alu instid0(VALU_DEP_1)
	v_cmp_lt_u32_e32 vcc_lo, 0x55555555, v14
	v_cndmask_b32_e64 v53, 0, 1, vcc_lo
; %bb.61:
	s_or_b32 exec_lo, exec_lo, s0
	v_add_nc_u32_e32 v1, 13, v1
	s_mov_b32 s0, exec_lo
	s_delay_alu instid0(VALU_DEP_1)
	v_cmpx_gt_u32_e64 s12, v1
; %bb.62:
	v_mul_lo_u32 v1, 0xaaaaaaab, v50
	s_delay_alu instid0(VALU_DEP_1)
	v_cmp_lt_u32_e32 vcc_lo, 0x55555555, v1
	v_cndmask_b32_e64 v54, 0, 1, vcc_lo
; %bb.63:
	s_or_b32 exec_lo, exec_lo, s0
	v_lshlrev_b16 v1, 8, v3
	v_lshlrev_b16 v3, 8, v5
	;; [unrolled: 1-line block ×5, first 2 shown]
	v_or_b32_e32 v1, v2, v1
	v_lshlrev_b16 v2, 8, v13
	v_or_b32_e32 v3, v4, v3
	v_or_b32_e32 v4, v6, v5
	;; [unrolled: 1-line block ×5, first 2 shown]
	v_and_b32_e32 v1, 0xffff, v1
	v_lshlrev_b32_e32 v3, 16, v3
	v_and_b32_e32 v4, 0xffff, v4
	v_lshlrev_b32_e32 v5, 16, v5
	;; [unrolled: 2-line block ×3, first 2 shown]
	v_or_b32_e32 v59, v1, v3
	s_delay_alu instid0(VALU_DEP_4) | instskip(NEXT) | instid1(VALU_DEP_3)
	v_or_b32_e32 v56, v4, v5
	v_or_b32_e32 v55, v6, v2
.LBB510_64:
	s_delay_alu instid0(VALU_DEP_3)
	v_dual_mov_b32 v2, 0 :: v_dual_and_b32 v63, 0xff, v59
	v_bfe_u32 v64, v59, 8, 8
	v_bfe_u32 v65, v59, 16, 8
	v_lshrrev_b32_e32 v60, 24, v59
	v_and_b32_e32 v66, 0xff, v56
	v_bfe_u32 v67, v56, 8, 8
	v_add_co_u32 v1, s0, v64, v63
	s_delay_alu instid0(VALU_DEP_1) | instskip(SKIP_1) | instid1(VALU_DEP_3)
	v_add_co_ci_u32_e64 v3, null, 0, 0, s0
	v_bfe_u32 v68, v56, 16, 8
	v_add_co_u32 v1, vcc_lo, v1, v65
	s_delay_alu instid0(VALU_DEP_3) | instskip(SKIP_1) | instid1(VALU_DEP_3)
	v_add_co_ci_u32_e32 v3, vcc_lo, 0, v3, vcc_lo
	v_lshrrev_b32_e32 v58, 24, v56
	v_add_co_u32 v1, vcc_lo, v1, v60
	s_delay_alu instid0(VALU_DEP_3) | instskip(SKIP_1) | instid1(VALU_DEP_3)
	v_add_co_ci_u32_e32 v3, vcc_lo, 0, v3, vcc_lo
	v_and_b32_e32 v69, 0xff, v55
	v_add_co_u32 v1, vcc_lo, v1, v66
	s_delay_alu instid0(VALU_DEP_3) | instskip(SKIP_1) | instid1(VALU_DEP_3)
	v_add_co_ci_u32_e32 v3, vcc_lo, 0, v3, vcc_lo
	v_bfe_u32 v70, v55, 8, 8
	v_add_co_u32 v1, vcc_lo, v1, v67
	s_delay_alu instid0(VALU_DEP_3) | instskip(SKIP_1) | instid1(VALU_DEP_3)
	v_add_co_ci_u32_e32 v3, vcc_lo, 0, v3, vcc_lo
	v_bfe_u32 v71, v55, 16, 8
	v_add_co_u32 v1, vcc_lo, v1, v68
	s_delay_alu instid0(VALU_DEP_3) | instskip(SKIP_1) | instid1(VALU_DEP_3)
	v_add_co_ci_u32_e32 v3, vcc_lo, 0, v3, vcc_lo
	v_lshrrev_b32_e32 v57, 24, v55
	v_add_co_u32 v1, vcc_lo, v1, v58
	s_delay_alu instid0(VALU_DEP_3) | instskip(SKIP_1) | instid1(VALU_DEP_3)
	v_add_co_ci_u32_e32 v3, vcc_lo, 0, v3, vcc_lo
	v_and_b32_e32 v62, 0xff, v53
	v_add_co_u32 v1, vcc_lo, v1, v69
	s_delay_alu instid0(VALU_DEP_3) | instskip(SKIP_1) | instid1(VALU_DEP_3)
	v_add_co_ci_u32_e32 v3, vcc_lo, 0, v3, vcc_lo
	v_mbcnt_lo_u32_b32 v72, -1, 0
	v_add_co_u32 v1, vcc_lo, v1, v70
	s_delay_alu instid0(VALU_DEP_3) | instskip(SKIP_1) | instid1(VALU_DEP_3)
	v_add_co_ci_u32_e32 v3, vcc_lo, 0, v3, vcc_lo
	v_and_b32_e32 v4, 0xff, v54
	v_add_co_u32 v1, vcc_lo, v1, v71
	s_delay_alu instid0(VALU_DEP_3) | instskip(SKIP_1) | instid1(VALU_DEP_3)
	v_add_co_ci_u32_e32 v3, vcc_lo, 0, v3, vcc_lo
	v_and_b32_e32 v73, 15, v72
	v_add_co_u32 v1, vcc_lo, v1, v57
	s_delay_alu instid0(VALU_DEP_3) | instskip(NEXT) | instid1(VALU_DEP_3)
	v_add_co_ci_u32_e32 v3, vcc_lo, 0, v3, vcc_lo
	v_cmp_ne_u32_e64 s0, 0, v73
	s_delay_alu instid0(VALU_DEP_3) | instskip(NEXT) | instid1(VALU_DEP_3)
	v_add_co_u32 v1, vcc_lo, v1, v62
	v_add_co_ci_u32_e32 v3, vcc_lo, 0, v3, vcc_lo
	s_cmp_lg_u32 s15, 0
	s_delay_alu instid0(VALU_DEP_2) | instskip(NEXT) | instid1(VALU_DEP_2)
	v_add_co_u32 v51, vcc_lo, v1, v4
	v_add_co_ci_u32_e32 v52, vcc_lo, 0, v3, vcc_lo
	s_mov_b32 s1, -1
	s_cbranch_scc0 .LBB510_129
; %bb.65:
	s_delay_alu instid0(VALU_DEP_2)
	v_mov_b32_e32 v3, v51
	v_mov_b32_dpp v1, v51 row_shr:1 row_mask:0xf bank_mask:0xf
	v_mov_b32_dpp v6, v2 row_shr:1 row_mask:0xf bank_mask:0xf
	v_dual_mov_b32 v5, v51 :: v_dual_mov_b32 v4, v52
	s_and_saveexec_b32 s1, s0
; %bb.66:
	s_delay_alu instid0(VALU_DEP_3) | instskip(SKIP_1) | instid1(VALU_DEP_2)
	v_add_co_u32 v5, vcc_lo, v51, v1
	v_add_co_ci_u32_e32 v2, vcc_lo, 0, v52, vcc_lo
	v_add_co_u32 v1, vcc_lo, 0, v5
	s_delay_alu instid0(VALU_DEP_2) | instskip(NEXT) | instid1(VALU_DEP_1)
	v_add_co_ci_u32_e32 v2, vcc_lo, v6, v2, vcc_lo
	v_dual_mov_b32 v4, v2 :: v_dual_mov_b32 v3, v1
; %bb.67:
	s_or_b32 exec_lo, exec_lo, s1
	v_mov_b32_dpp v1, v5 row_shr:2 row_mask:0xf bank_mask:0xf
	v_mov_b32_dpp v6, v2 row_shr:2 row_mask:0xf bank_mask:0xf
	s_mov_b32 s1, exec_lo
	v_cmpx_lt_u32_e32 1, v73
; %bb.68:
	s_delay_alu instid0(VALU_DEP_3) | instskip(SKIP_1) | instid1(VALU_DEP_2)
	v_add_co_u32 v5, vcc_lo, v3, v1
	v_add_co_ci_u32_e32 v2, vcc_lo, 0, v4, vcc_lo
	v_add_co_u32 v1, vcc_lo, 0, v5
	s_delay_alu instid0(VALU_DEP_2) | instskip(NEXT) | instid1(VALU_DEP_1)
	v_add_co_ci_u32_e32 v2, vcc_lo, v6, v2, vcc_lo
	v_dual_mov_b32 v4, v2 :: v_dual_mov_b32 v3, v1
; %bb.69:
	s_or_b32 exec_lo, exec_lo, s1
	v_mov_b32_dpp v1, v5 row_shr:4 row_mask:0xf bank_mask:0xf
	v_mov_b32_dpp v6, v2 row_shr:4 row_mask:0xf bank_mask:0xf
	s_mov_b32 s1, exec_lo
	v_cmpx_lt_u32_e32 3, v73
	;; [unrolled: 14-line block ×3, first 2 shown]
; %bb.72:
	s_delay_alu instid0(VALU_DEP_3) | instskip(SKIP_1) | instid1(VALU_DEP_2)
	v_add_co_u32 v5, vcc_lo, v3, v6
	v_add_co_ci_u32_e32 v2, vcc_lo, 0, v4, vcc_lo
	v_add_co_u32 v3, vcc_lo, 0, v5
	s_delay_alu instid0(VALU_DEP_2) | instskip(NEXT) | instid1(VALU_DEP_1)
	v_add_co_ci_u32_e32 v4, vcc_lo, v1, v2, vcc_lo
	v_mov_b32_e32 v2, v4
; %bb.73:
	s_or_b32 exec_lo, exec_lo, s1
	ds_swizzle_b32 v1, v5 offset:swizzle(BROADCAST,32,15)
	ds_swizzle_b32 v6, v2 offset:swizzle(BROADCAST,32,15)
	v_and_b32_e32 v7, 16, v72
	s_mov_b32 s1, exec_lo
	s_delay_alu instid0(VALU_DEP_1)
	v_cmpx_ne_u32_e32 0, v7
	s_cbranch_execz .LBB510_75
; %bb.74:
	s_waitcnt lgkmcnt(0)
	v_add_co_u32 v5, vcc_lo, v3, v1
	v_add_co_ci_u32_e32 v2, vcc_lo, 0, v4, vcc_lo
	s_delay_alu instid0(VALU_DEP_2) | instskip(NEXT) | instid1(VALU_DEP_2)
	v_add_co_u32 v1, vcc_lo, 0, v5
	v_add_co_ci_u32_e32 v2, vcc_lo, v6, v2, vcc_lo
	s_delay_alu instid0(VALU_DEP_1)
	v_dual_mov_b32 v4, v2 :: v_dual_mov_b32 v3, v1
.LBB510_75:
	s_or_b32 exec_lo, exec_lo, s1
	s_waitcnt lgkmcnt(0)
	v_or_b32_e32 v6, 31, v0
	v_lshrrev_b32_e32 v1, 5, v0
	s_mov_b32 s1, exec_lo
	s_delay_alu instid0(VALU_DEP_2)
	v_cmpx_eq_u32_e64 v6, v0
	s_cbranch_execz .LBB510_77
; %bb.76:
	s_delay_alu instid0(VALU_DEP_2)
	v_lshlrev_b32_e32 v6, 3, v1
	ds_store_b64 v6, v[3:4]
.LBB510_77:
	s_or_b32 exec_lo, exec_lo, s1
	s_delay_alu instid0(SALU_CYCLE_1)
	s_mov_b32 s1, exec_lo
	s_waitcnt lgkmcnt(0)
	s_barrier
	buffer_gl0_inv
	v_cmpx_gt_u32_e32 4, v0
	s_cbranch_execz .LBB510_83
; %bb.78:
	v_lshlrev_b32_e32 v6, 3, v0
	s_mov_b32 s12, exec_lo
	ds_load_b64 v[3:4], v6
	s_waitcnt lgkmcnt(0)
	v_dual_mov_b32 v8, v3 :: v_dual_and_b32 v7, 3, v72
	v_mov_b32_dpp v10, v3 row_shr:1 row_mask:0xf bank_mask:0xf
	v_mov_b32_dpp v9, v4 row_shr:1 row_mask:0xf bank_mask:0xf
	s_delay_alu instid0(VALU_DEP_3)
	v_cmpx_ne_u32_e32 0, v7
; %bb.79:
	s_delay_alu instid0(VALU_DEP_3) | instskip(SKIP_1) | instid1(VALU_DEP_2)
	v_add_co_u32 v8, vcc_lo, v3, v10
	v_add_co_ci_u32_e32 v4, vcc_lo, 0, v4, vcc_lo
	v_add_co_u32 v3, vcc_lo, 0, v8
	s_delay_alu instid0(VALU_DEP_2)
	v_add_co_ci_u32_e32 v4, vcc_lo, v9, v4, vcc_lo
; %bb.80:
	s_or_b32 exec_lo, exec_lo, s12
	v_mov_b32_dpp v9, v8 row_shr:2 row_mask:0xf bank_mask:0xf
	s_delay_alu instid0(VALU_DEP_2)
	v_mov_b32_dpp v8, v4 row_shr:2 row_mask:0xf bank_mask:0xf
	s_mov_b32 s12, exec_lo
	v_cmpx_lt_u32_e32 1, v7
; %bb.81:
	s_delay_alu instid0(VALU_DEP_3) | instskip(SKIP_1) | instid1(VALU_DEP_2)
	v_add_co_u32 v3, vcc_lo, v3, v9
	v_add_co_ci_u32_e32 v4, vcc_lo, 0, v4, vcc_lo
	v_add_co_u32 v3, vcc_lo, v3, 0
	s_delay_alu instid0(VALU_DEP_2)
	v_add_co_ci_u32_e32 v4, vcc_lo, v4, v8, vcc_lo
; %bb.82:
	s_or_b32 exec_lo, exec_lo, s12
	ds_store_b64 v6, v[3:4]
.LBB510_83:
	s_or_b32 exec_lo, exec_lo, s1
	v_cmp_gt_u32_e32 vcc_lo, 32, v0
	s_mov_b32 s12, exec_lo
	s_waitcnt lgkmcnt(0)
	s_barrier
	buffer_gl0_inv
                                        ; implicit-def: $vgpr9_vgpr10
	v_cmpx_lt_u32_e32 31, v0
	s_cbranch_execz .LBB510_85
; %bb.84:
	v_lshl_add_u32 v1, v1, 3, -8
	ds_load_b64 v[9:10], v1
	s_waitcnt lgkmcnt(0)
	v_add_co_u32 v5, s1, v5, v9
	s_delay_alu instid0(VALU_DEP_1)
	v_add_co_ci_u32_e64 v2, s1, v2, v10, s1
.LBB510_85:
	s_or_b32 exec_lo, exec_lo, s12
	v_add_nc_u32_e32 v1, -1, v72
	s_delay_alu instid0(VALU_DEP_1) | instskip(NEXT) | instid1(VALU_DEP_1)
	v_cmp_gt_i32_e64 s1, 0, v1
	v_cndmask_b32_e64 v1, v1, v72, s1
	v_cmp_eq_u32_e64 s1, 0, v72
	s_delay_alu instid0(VALU_DEP_2)
	v_lshlrev_b32_e32 v1, 2, v1
	ds_bpermute_b32 v15, v1, v5
	ds_bpermute_b32 v16, v1, v2
	s_and_saveexec_b32 s12, vcc_lo
	s_cbranch_execz .LBB510_128
; %bb.86:
	v_mov_b32_e32 v4, 0
	ds_load_b64 v[1:2], v4 offset:24
	s_and_saveexec_b32 s13, s1
	s_cbranch_execz .LBB510_88
; %bb.87:
	s_add_i32 s16, s15, 32
	s_mov_b32 s17, 0
	s_delay_alu instid0(SALU_CYCLE_1) | instskip(NEXT) | instid1(SALU_CYCLE_1)
	s_lshl_b64 s[16:17], s[16:17], 4
	s_add_u32 s16, s8, s16
	s_addc_u32 s17, s9, s17
	v_mov_b32_e32 v5, s16
	v_dual_mov_b32 v3, 1 :: v_dual_mov_b32 v6, s17
	s_waitcnt lgkmcnt(0)
	;;#ASMSTART
	global_store_dwordx4 v[5:6], v[1:4] off	
s_waitcnt vmcnt(0)
	;;#ASMEND
.LBB510_88:
	s_or_b32 exec_lo, exec_lo, s13
	v_xad_u32 v11, v72, -1, s15
	s_mov_b32 s14, 0
	s_mov_b32 s13, exec_lo
	s_delay_alu instid0(VALU_DEP_1) | instskip(NEXT) | instid1(VALU_DEP_1)
	v_add_nc_u32_e32 v3, 32, v11
	v_lshlrev_b64 v[3:4], 4, v[3:4]
	s_delay_alu instid0(VALU_DEP_1) | instskip(NEXT) | instid1(VALU_DEP_2)
	v_add_co_u32 v3, vcc_lo, s8, v3
	v_add_co_ci_u32_e32 v4, vcc_lo, s9, v4, vcc_lo
	;;#ASMSTART
	global_load_dwordx4 v[5:8], v[3:4] off glc	
s_waitcnt vmcnt(0)
	;;#ASMEND
	v_and_b32_e32 v8, 0xff, v6
	v_and_b32_e32 v12, 0xff00, v6
	v_or3_b32 v5, v5, 0, 0
	v_and_b32_e32 v13, 0xff000000, v6
	v_and_b32_e32 v6, 0xff0000, v6
	s_delay_alu instid0(VALU_DEP_4) | instskip(SKIP_2) | instid1(VALU_DEP_3)
	v_or3_b32 v8, 0, v8, v12
	v_and_b32_e32 v12, 0xff, v7
	v_or3_b32 v5, v5, 0, 0
	v_or3_b32 v6, v8, v6, v13
	s_delay_alu instid0(VALU_DEP_3)
	v_cmpx_eq_u16_e32 0, v12
	s_cbranch_execz .LBB510_94
; %bb.89:
	s_mov_b32 s16, 1
	.p2align	6
.LBB510_90:                             ; =>This Loop Header: Depth=1
                                        ;     Child Loop BB510_91 Depth 2
	s_delay_alu instid0(SALU_CYCLE_1)
	s_max_u32 s17, s16, 1
.LBB510_91:                             ;   Parent Loop BB510_90 Depth=1
                                        ; =>  This Inner Loop Header: Depth=2
	s_delay_alu instid0(SALU_CYCLE_1)
	s_add_i32 s17, s17, -1
	s_sleep 1
	s_cmp_eq_u32 s17, 0
	s_cbranch_scc0 .LBB510_91
; %bb.92:                               ;   in Loop: Header=BB510_90 Depth=1
	;;#ASMSTART
	global_load_dwordx4 v[5:8], v[3:4] off glc	
s_waitcnt vmcnt(0)
	;;#ASMEND
	v_and_b32_e32 v8, 0xff, v7
	s_cmp_lt_u32 s16, 32
	s_cselect_b32 s17, -1, 0
	s_delay_alu instid0(SALU_CYCLE_1) | instskip(NEXT) | instid1(VALU_DEP_1)
	s_cmp_lg_u32 s17, 0
	v_cmp_ne_u16_e32 vcc_lo, 0, v8
	s_addc_u32 s16, s16, 0
	s_or_b32 s14, vcc_lo, s14
	s_delay_alu instid0(SALU_CYCLE_1)
	s_and_not1_b32 exec_lo, exec_lo, s14
	s_cbranch_execnz .LBB510_90
; %bb.93:
	s_or_b32 exec_lo, exec_lo, s14
.LBB510_94:
	s_delay_alu instid0(SALU_CYCLE_1)
	s_or_b32 exec_lo, exec_lo, s13
	v_cmp_ne_u32_e32 vcc_lo, 31, v72
	v_and_b32_e32 v4, 0xff, v7
	v_lshlrev_b32_e64 v18, v72, -1
	s_mov_b32 s13, exec_lo
	v_add_co_ci_u32_e32 v3, vcc_lo, 0, v72, vcc_lo
	s_delay_alu instid0(VALU_DEP_3) | instskip(NEXT) | instid1(VALU_DEP_2)
	v_cmp_eq_u16_e32 vcc_lo, 2, v4
	v_dual_mov_b32 v4, v5 :: v_dual_lshlrev_b32 v17, 2, v3
	v_and_or_b32 v3, vcc_lo, v18, 0x80000000
	ds_bpermute_b32 v12, v17, v5
	ds_bpermute_b32 v8, v17, v6
	v_ctz_i32_b32_e32 v3, v3
	s_delay_alu instid0(VALU_DEP_1)
	v_cmpx_lt_u32_e64 v72, v3
	s_cbranch_execz .LBB510_96
; %bb.95:
	s_waitcnt lgkmcnt(1)
	v_add_co_u32 v4, vcc_lo, v5, v12
	v_add_co_ci_u32_e32 v6, vcc_lo, 0, v6, vcc_lo
	s_delay_alu instid0(VALU_DEP_2) | instskip(SKIP_1) | instid1(VALU_DEP_2)
	v_add_co_u32 v5, vcc_lo, 0, v4
	s_waitcnt lgkmcnt(0)
	v_add_co_ci_u32_e32 v6, vcc_lo, v8, v6, vcc_lo
.LBB510_96:
	s_or_b32 exec_lo, exec_lo, s13
	v_cmp_gt_u32_e32 vcc_lo, 30, v72
	v_add_nc_u32_e32 v20, 2, v72
	s_mov_b32 s13, exec_lo
	s_waitcnt lgkmcnt(0)
	v_cndmask_b32_e64 v8, 0, 1, vcc_lo
	s_delay_alu instid0(VALU_DEP_1) | instskip(NEXT) | instid1(VALU_DEP_1)
	v_lshlrev_b32_e32 v8, 1, v8
	v_add_lshl_u32 v19, v8, v72, 2
	ds_bpermute_b32 v12, v19, v4
	ds_bpermute_b32 v8, v19, v6
	v_cmpx_le_u32_e64 v20, v3
	s_cbranch_execz .LBB510_98
; %bb.97:
	s_waitcnt lgkmcnt(1)
	v_add_co_u32 v4, vcc_lo, v5, v12
	v_add_co_ci_u32_e32 v6, vcc_lo, 0, v6, vcc_lo
	s_delay_alu instid0(VALU_DEP_2) | instskip(SKIP_1) | instid1(VALU_DEP_2)
	v_add_co_u32 v5, vcc_lo, 0, v4
	s_waitcnt lgkmcnt(0)
	v_add_co_ci_u32_e32 v6, vcc_lo, v8, v6, vcc_lo
.LBB510_98:
	s_or_b32 exec_lo, exec_lo, s13
	v_cmp_gt_u32_e32 vcc_lo, 28, v72
	v_add_nc_u32_e32 v22, 4, v72
	s_mov_b32 s13, exec_lo
	s_waitcnt lgkmcnt(0)
	v_cndmask_b32_e64 v8, 0, 1, vcc_lo
	s_delay_alu instid0(VALU_DEP_1) | instskip(NEXT) | instid1(VALU_DEP_1)
	v_lshlrev_b32_e32 v8, 2, v8
	v_add_lshl_u32 v21, v8, v72, 2
	ds_bpermute_b32 v12, v21, v4
	ds_bpermute_b32 v8, v21, v6
	v_cmpx_le_u32_e64 v22, v3
	;; [unrolled: 22-line block ×4, first 2 shown]
	s_cbranch_execz .LBB510_104
; %bb.103:
	s_waitcnt lgkmcnt(1)
	v_add_co_u32 v3, vcc_lo, v5, v8
	v_add_co_ci_u32_e32 v6, vcc_lo, 0, v6, vcc_lo
	s_delay_alu instid0(VALU_DEP_2) | instskip(SKIP_1) | instid1(VALU_DEP_2)
	v_add_co_u32 v5, vcc_lo, v3, 0
	s_waitcnt lgkmcnt(0)
	v_add_co_ci_u32_e32 v6, vcc_lo, v6, v4, vcc_lo
.LBB510_104:
	s_or_b32 exec_lo, exec_lo, s13
	v_mov_b32_e32 v12, 0
	s_branch .LBB510_106
.LBB510_105:                            ;   in Loop: Header=BB510_106 Depth=1
	s_or_b32 exec_lo, exec_lo, s13
	v_add_co_u32 v5, vcc_lo, v5, v3
	v_subrev_nc_u32_e32 v11, 32, v11
	v_add_co_ci_u32_e32 v6, vcc_lo, v6, v4, vcc_lo
.LBB510_106:                            ; =>This Loop Header: Depth=1
                                        ;     Child Loop BB510_109 Depth 2
                                        ;       Child Loop BB510_110 Depth 3
	v_and_b32_e32 v3, 0xff, v7
	s_delay_alu instid0(VALU_DEP_1) | instskip(SKIP_2) | instid1(VALU_DEP_1)
	v_cmp_ne_u16_e32 vcc_lo, 2, v3
	v_cndmask_b32_e64 v3, 0, 1, vcc_lo
	;;#ASMSTART
	;;#ASMEND
	v_cmp_ne_u32_e32 vcc_lo, 0, v3
	s_waitcnt lgkmcnt(0)
	v_dual_mov_b32 v3, v5 :: v_dual_mov_b32 v4, v6
	s_cmp_lg_u32 vcc_lo, exec_lo
	s_cbranch_scc1 .LBB510_123
; %bb.107:                              ;   in Loop: Header=BB510_106 Depth=1
	v_lshlrev_b64 v[5:6], 4, v[11:12]
	s_mov_b32 s13, exec_lo
	s_delay_alu instid0(VALU_DEP_1) | instskip(NEXT) | instid1(VALU_DEP_2)
	v_add_co_u32 v13, vcc_lo, s8, v5
	v_add_co_ci_u32_e32 v14, vcc_lo, s9, v6, vcc_lo
	;;#ASMSTART
	global_load_dwordx4 v[5:8], v[13:14] off glc	
s_waitcnt vmcnt(0)
	;;#ASMEND
	v_and_b32_e32 v8, 0xff, v6
	v_and_b32_e32 v27, 0xff00, v6
	v_or3_b32 v5, v5, 0, 0
	v_and_b32_e32 v28, 0xff000000, v6
	v_and_b32_e32 v6, 0xff0000, v6
	s_delay_alu instid0(VALU_DEP_4) | instskip(SKIP_2) | instid1(VALU_DEP_3)
	v_or3_b32 v8, 0, v8, v27
	v_and_b32_e32 v27, 0xff, v7
	v_or3_b32 v5, v5, 0, 0
	v_or3_b32 v6, v8, v6, v28
	s_delay_alu instid0(VALU_DEP_3)
	v_cmpx_eq_u16_e32 0, v27
	s_cbranch_execz .LBB510_113
; %bb.108:                              ;   in Loop: Header=BB510_106 Depth=1
	s_mov_b32 s16, 1
	s_mov_b32 s14, 0
	.p2align	6
.LBB510_109:                            ;   Parent Loop BB510_106 Depth=1
                                        ; =>  This Loop Header: Depth=2
                                        ;       Child Loop BB510_110 Depth 3
	s_max_u32 s17, s16, 1
.LBB510_110:                            ;   Parent Loop BB510_106 Depth=1
                                        ;     Parent Loop BB510_109 Depth=2
                                        ; =>    This Inner Loop Header: Depth=3
	s_delay_alu instid0(SALU_CYCLE_1)
	s_add_i32 s17, s17, -1
	s_sleep 1
	s_cmp_eq_u32 s17, 0
	s_cbranch_scc0 .LBB510_110
; %bb.111:                              ;   in Loop: Header=BB510_109 Depth=2
	;;#ASMSTART
	global_load_dwordx4 v[5:8], v[13:14] off glc	
s_waitcnt vmcnt(0)
	;;#ASMEND
	v_and_b32_e32 v8, 0xff, v7
	s_cmp_lt_u32 s16, 32
	s_cselect_b32 s17, -1, 0
	s_delay_alu instid0(SALU_CYCLE_1) | instskip(NEXT) | instid1(VALU_DEP_1)
	s_cmp_lg_u32 s17, 0
	v_cmp_ne_u16_e32 vcc_lo, 0, v8
	s_addc_u32 s16, s16, 0
	s_or_b32 s14, vcc_lo, s14
	s_delay_alu instid0(SALU_CYCLE_1)
	s_and_not1_b32 exec_lo, exec_lo, s14
	s_cbranch_execnz .LBB510_109
; %bb.112:                              ;   in Loop: Header=BB510_106 Depth=1
	s_or_b32 exec_lo, exec_lo, s14
.LBB510_113:                            ;   in Loop: Header=BB510_106 Depth=1
	s_delay_alu instid0(SALU_CYCLE_1)
	s_or_b32 exec_lo, exec_lo, s13
	v_dual_mov_b32 v13, v5 :: v_dual_and_b32 v8, 0xff, v7
	ds_bpermute_b32 v27, v17, v5
	ds_bpermute_b32 v14, v17, v6
	s_mov_b32 s13, exec_lo
	v_cmp_eq_u16_e32 vcc_lo, 2, v8
	v_and_or_b32 v8, vcc_lo, v18, 0x80000000
	s_delay_alu instid0(VALU_DEP_1) | instskip(NEXT) | instid1(VALU_DEP_1)
	v_ctz_i32_b32_e32 v8, v8
	v_cmpx_lt_u32_e64 v72, v8
	s_cbranch_execz .LBB510_115
; %bb.114:                              ;   in Loop: Header=BB510_106 Depth=1
	s_waitcnt lgkmcnt(1)
	v_add_co_u32 v13, vcc_lo, v5, v27
	v_add_co_ci_u32_e32 v6, vcc_lo, 0, v6, vcc_lo
	s_delay_alu instid0(VALU_DEP_2) | instskip(SKIP_1) | instid1(VALU_DEP_2)
	v_add_co_u32 v5, vcc_lo, 0, v13
	s_waitcnt lgkmcnt(0)
	v_add_co_ci_u32_e32 v6, vcc_lo, v14, v6, vcc_lo
.LBB510_115:                            ;   in Loop: Header=BB510_106 Depth=1
	s_or_b32 exec_lo, exec_lo, s13
	s_waitcnt lgkmcnt(1)
	ds_bpermute_b32 v27, v19, v13
	s_waitcnt lgkmcnt(1)
	ds_bpermute_b32 v14, v19, v6
	s_mov_b32 s13, exec_lo
	v_cmpx_le_u32_e64 v20, v8
	s_cbranch_execz .LBB510_117
; %bb.116:                              ;   in Loop: Header=BB510_106 Depth=1
	s_waitcnt lgkmcnt(1)
	v_add_co_u32 v13, vcc_lo, v5, v27
	v_add_co_ci_u32_e32 v6, vcc_lo, 0, v6, vcc_lo
	s_delay_alu instid0(VALU_DEP_2) | instskip(SKIP_1) | instid1(VALU_DEP_2)
	v_add_co_u32 v5, vcc_lo, 0, v13
	s_waitcnt lgkmcnt(0)
	v_add_co_ci_u32_e32 v6, vcc_lo, v14, v6, vcc_lo
.LBB510_117:                            ;   in Loop: Header=BB510_106 Depth=1
	s_or_b32 exec_lo, exec_lo, s13
	s_waitcnt lgkmcnt(1)
	ds_bpermute_b32 v27, v21, v13
	s_waitcnt lgkmcnt(1)
	ds_bpermute_b32 v14, v21, v6
	s_mov_b32 s13, exec_lo
	v_cmpx_le_u32_e64 v22, v8
	;; [unrolled: 17-line block ×3, first 2 shown]
	s_cbranch_execz .LBB510_121
; %bb.120:                              ;   in Loop: Header=BB510_106 Depth=1
	s_waitcnt lgkmcnt(1)
	v_add_co_u32 v13, vcc_lo, v5, v27
	v_add_co_ci_u32_e32 v6, vcc_lo, 0, v6, vcc_lo
	s_delay_alu instid0(VALU_DEP_2) | instskip(SKIP_1) | instid1(VALU_DEP_2)
	v_add_co_u32 v5, vcc_lo, 0, v13
	s_waitcnt lgkmcnt(0)
	v_add_co_ci_u32_e32 v6, vcc_lo, v14, v6, vcc_lo
.LBB510_121:                            ;   in Loop: Header=BB510_106 Depth=1
	s_or_b32 exec_lo, exec_lo, s13
	s_waitcnt lgkmcnt(0)
	ds_bpermute_b32 v14, v25, v13
	ds_bpermute_b32 v13, v25, v6
	s_mov_b32 s13, exec_lo
	v_cmpx_le_u32_e64 v26, v8
	s_cbranch_execz .LBB510_105
; %bb.122:                              ;   in Loop: Header=BB510_106 Depth=1
	s_waitcnt lgkmcnt(1)
	v_add_co_u32 v5, vcc_lo, v5, v14
	v_add_co_ci_u32_e32 v6, vcc_lo, 0, v6, vcc_lo
	s_delay_alu instid0(VALU_DEP_2) | instskip(SKIP_1) | instid1(VALU_DEP_2)
	v_add_co_u32 v5, vcc_lo, v5, 0
	s_waitcnt lgkmcnt(0)
	v_add_co_ci_u32_e32 v6, vcc_lo, v6, v13, vcc_lo
	s_branch .LBB510_105
.LBB510_123:                            ;   in Loop: Header=BB510_106 Depth=1
                                        ; implicit-def: $vgpr5_vgpr6
	s_cbranch_execz .LBB510_106
; %bb.124:
	s_and_saveexec_b32 s13, s1
	s_cbranch_execz .LBB510_126
; %bb.125:
	s_add_i32 s14, s15, 32
	s_mov_b32 s15, 0
	v_add_co_u32 v5, vcc_lo, v3, v1
	s_lshl_b64 s[14:15], s[14:15], 4
	v_dual_mov_b32 v7, 2 :: v_dual_mov_b32 v8, 0
	s_add_u32 s14, s8, s14
	s_addc_u32 s15, s9, s15
	v_add_co_ci_u32_e32 v6, vcc_lo, v4, v2, vcc_lo
	v_dual_mov_b32 v11, s14 :: v_dual_mov_b32 v12, s15
	;;#ASMSTART
	global_store_dwordx4 v[11:12], v[5:8] off	
s_waitcnt vmcnt(0)
	;;#ASMEND
	ds_store_b128 v8, v[1:4] offset:7168
.LBB510_126:
	s_or_b32 exec_lo, exec_lo, s13
	v_cmp_eq_u32_e32 vcc_lo, 0, v0
	s_and_b32 exec_lo, exec_lo, vcc_lo
	s_cbranch_execz .LBB510_128
; %bb.127:
	v_mov_b32_e32 v1, 0
	ds_store_b64 v1, v[3:4] offset:24
.LBB510_128:
	s_or_b32 exec_lo, exec_lo, s12
	s_waitcnt lgkmcnt(0)
	v_cndmask_b32_e64 v4, v16, v10, s1
	v_cmp_ne_u32_e32 vcc_lo, 0, v0
	v_mov_b32_e32 v21, 0
	s_barrier
	buffer_gl0_inv
	v_cndmask_b32_e32 v4, 0, v4, vcc_lo
	ds_load_b64 v[1:2], v21 offset:24
	v_cndmask_b32_e64 v3, v15, v9, s1
	s_waitcnt lgkmcnt(0)
	s_barrier
	buffer_gl0_inv
	ds_load_b128 v[45:48], v21 offset:7168
	v_cndmask_b32_e32 v3, 0, v3, vcc_lo
	s_delay_alu instid0(VALU_DEP_1) | instskip(SKIP_1) | instid1(VALU_DEP_2)
	v_add_co_u32 v1, vcc_lo, v1, v3
	v_add_co_ci_u32_e32 v2, vcc_lo, v2, v4, vcc_lo
	v_add_co_u32 v3, vcc_lo, v1, v63
	s_delay_alu instid0(VALU_DEP_2) | instskip(NEXT) | instid1(VALU_DEP_2)
	v_add_co_ci_u32_e32 v4, vcc_lo, 0, v2, vcc_lo
	v_add_co_u32 v5, vcc_lo, v3, v64
	s_delay_alu instid0(VALU_DEP_2) | instskip(NEXT) | instid1(VALU_DEP_2)
	v_add_co_ci_u32_e32 v6, vcc_lo, 0, v4, vcc_lo
	v_add_co_u32 v7, vcc_lo, v5, v65
	s_delay_alu instid0(VALU_DEP_2) | instskip(NEXT) | instid1(VALU_DEP_2)
	v_add_co_ci_u32_e32 v8, vcc_lo, 0, v6, vcc_lo
	v_add_co_u32 v9, vcc_lo, v7, v60
	s_delay_alu instid0(VALU_DEP_2) | instskip(NEXT) | instid1(VALU_DEP_2)
	v_add_co_ci_u32_e32 v10, vcc_lo, 0, v8, vcc_lo
	v_add_co_u32 v11, vcc_lo, v9, v66
	s_delay_alu instid0(VALU_DEP_2) | instskip(NEXT) | instid1(VALU_DEP_2)
	v_add_co_ci_u32_e32 v12, vcc_lo, 0, v10, vcc_lo
	v_add_co_u32 v13, vcc_lo, v11, v67
	s_delay_alu instid0(VALU_DEP_2) | instskip(NEXT) | instid1(VALU_DEP_2)
	v_add_co_ci_u32_e32 v14, vcc_lo, 0, v12, vcc_lo
	v_add_co_u32 v15, vcc_lo, v13, v68
	s_delay_alu instid0(VALU_DEP_2) | instskip(NEXT) | instid1(VALU_DEP_2)
	v_add_co_ci_u32_e32 v16, vcc_lo, 0, v14, vcc_lo
	v_add_co_u32 v17, vcc_lo, v15, v58
	s_delay_alu instid0(VALU_DEP_2) | instskip(NEXT) | instid1(VALU_DEP_2)
	v_add_co_ci_u32_e32 v18, vcc_lo, 0, v16, vcc_lo
	v_add_co_u32 v19, vcc_lo, v17, v69
	s_delay_alu instid0(VALU_DEP_2) | instskip(NEXT) | instid1(VALU_DEP_2)
	v_add_co_ci_u32_e32 v20, vcc_lo, 0, v18, vcc_lo
	v_add_co_u32 v21, vcc_lo, v19, v70
	s_delay_alu instid0(VALU_DEP_2) | instskip(NEXT) | instid1(VALU_DEP_2)
	v_add_co_ci_u32_e32 v22, vcc_lo, 0, v20, vcc_lo
	v_add_co_u32 v23, vcc_lo, v21, v71
	s_delay_alu instid0(VALU_DEP_2) | instskip(NEXT) | instid1(VALU_DEP_2)
	v_add_co_ci_u32_e32 v24, vcc_lo, 0, v22, vcc_lo
	v_add_co_u32 v25, vcc_lo, v23, v57
	s_delay_alu instid0(VALU_DEP_2) | instskip(NEXT) | instid1(VALU_DEP_2)
	v_add_co_ci_u32_e32 v26, vcc_lo, 0, v24, vcc_lo
	v_add_co_u32 v27, vcc_lo, v25, v62
	s_delay_alu instid0(VALU_DEP_2)
	v_add_co_ci_u32_e32 v28, vcc_lo, 0, v26, vcc_lo
	s_branch .LBB510_153
.LBB510_129:
                                        ; implicit-def: $vgpr47_vgpr48
                                        ; implicit-def: $vgpr1_vgpr2_vgpr3_vgpr4_vgpr5_vgpr6_vgpr7_vgpr8_vgpr9_vgpr10_vgpr11_vgpr12_vgpr13_vgpr14_vgpr15_vgpr16_vgpr17_vgpr18_vgpr19_vgpr20_vgpr21_vgpr22_vgpr23_vgpr24_vgpr25_vgpr26_vgpr27_vgpr28_vgpr29_vgpr30_vgpr31_vgpr32
	s_and_b32 vcc_lo, exec_lo, s1
	s_cbranch_vccz .LBB510_153
; %bb.130:
	v_dual_mov_b32 v2, 0 :: v_dual_mov_b32 v3, v51
	v_mov_b32_dpp v4, v51 row_shr:1 row_mask:0xf bank_mask:0xf
	s_delay_alu instid0(VALU_DEP_2)
	v_mov_b32_dpp v1, v2 row_shr:1 row_mask:0xf bank_mask:0xf
	s_and_saveexec_b32 s1, s0
; %bb.131:
	s_delay_alu instid0(VALU_DEP_2) | instskip(SKIP_1) | instid1(VALU_DEP_2)
	v_add_co_u32 v3, vcc_lo, v51, v4
	v_add_co_ci_u32_e32 v2, vcc_lo, 0, v52, vcc_lo
	v_add_co_u32 v51, vcc_lo, 0, v3
	s_delay_alu instid0(VALU_DEP_2) | instskip(NEXT) | instid1(VALU_DEP_1)
	v_add_co_ci_u32_e32 v52, vcc_lo, v1, v2, vcc_lo
	v_mov_b32_e32 v2, v52
; %bb.132:
	s_or_b32 exec_lo, exec_lo, s1
	v_mov_b32_dpp v1, v3 row_shr:2 row_mask:0xf bank_mask:0xf
	s_delay_alu instid0(VALU_DEP_2)
	v_mov_b32_dpp v4, v2 row_shr:2 row_mask:0xf bank_mask:0xf
	s_mov_b32 s0, exec_lo
	v_cmpx_lt_u32_e32 1, v73
; %bb.133:
	s_delay_alu instid0(VALU_DEP_3) | instskip(SKIP_1) | instid1(VALU_DEP_2)
	v_add_co_u32 v3, vcc_lo, v51, v1
	v_add_co_ci_u32_e32 v2, vcc_lo, 0, v52, vcc_lo
	v_add_co_u32 v1, vcc_lo, 0, v3
	s_delay_alu instid0(VALU_DEP_2) | instskip(NEXT) | instid1(VALU_DEP_1)
	v_add_co_ci_u32_e32 v2, vcc_lo, v4, v2, vcc_lo
	v_dual_mov_b32 v52, v2 :: v_dual_mov_b32 v51, v1
; %bb.134:
	s_or_b32 exec_lo, exec_lo, s0
	v_mov_b32_dpp v1, v3 row_shr:4 row_mask:0xf bank_mask:0xf
	v_mov_b32_dpp v4, v2 row_shr:4 row_mask:0xf bank_mask:0xf
	s_mov_b32 s0, exec_lo
	v_cmpx_lt_u32_e32 3, v73
; %bb.135:
	s_delay_alu instid0(VALU_DEP_3) | instskip(SKIP_1) | instid1(VALU_DEP_2)
	v_add_co_u32 v3, vcc_lo, v51, v1
	v_add_co_ci_u32_e32 v2, vcc_lo, 0, v52, vcc_lo
	v_add_co_u32 v1, vcc_lo, 0, v3
	s_delay_alu instid0(VALU_DEP_2) | instskip(NEXT) | instid1(VALU_DEP_1)
	v_add_co_ci_u32_e32 v2, vcc_lo, v4, v2, vcc_lo
	v_dual_mov_b32 v52, v2 :: v_dual_mov_b32 v51, v1
; %bb.136:
	s_or_b32 exec_lo, exec_lo, s0
	v_mov_b32_dpp v4, v3 row_shr:8 row_mask:0xf bank_mask:0xf
	v_mov_b32_dpp v1, v2 row_shr:8 row_mask:0xf bank_mask:0xf
	s_mov_b32 s0, exec_lo
	v_cmpx_lt_u32_e32 7, v73
; %bb.137:
	s_delay_alu instid0(VALU_DEP_3) | instskip(SKIP_1) | instid1(VALU_DEP_2)
	v_add_co_u32 v3, vcc_lo, v51, v4
	v_add_co_ci_u32_e32 v2, vcc_lo, 0, v52, vcc_lo
	v_add_co_u32 v51, vcc_lo, 0, v3
	s_delay_alu instid0(VALU_DEP_2) | instskip(NEXT) | instid1(VALU_DEP_1)
	v_add_co_ci_u32_e32 v52, vcc_lo, v1, v2, vcc_lo
	v_mov_b32_e32 v2, v52
; %bb.138:
	s_or_b32 exec_lo, exec_lo, s0
	ds_swizzle_b32 v3, v3 offset:swizzle(BROADCAST,32,15)
	ds_swizzle_b32 v1, v2 offset:swizzle(BROADCAST,32,15)
	v_and_b32_e32 v2, 16, v72
	s_mov_b32 s0, exec_lo
	s_delay_alu instid0(VALU_DEP_1)
	v_cmpx_ne_u32_e32 0, v2
	s_cbranch_execz .LBB510_140
; %bb.139:
	s_waitcnt lgkmcnt(0)
	v_add_co_u32 v2, vcc_lo, v51, v3
	v_add_co_ci_u32_e32 v3, vcc_lo, 0, v52, vcc_lo
	s_delay_alu instid0(VALU_DEP_2) | instskip(NEXT) | instid1(VALU_DEP_2)
	v_add_co_u32 v51, vcc_lo, v2, 0
	v_add_co_ci_u32_e32 v52, vcc_lo, v3, v1, vcc_lo
.LBB510_140:
	s_or_b32 exec_lo, exec_lo, s0
	s_waitcnt lgkmcnt(0)
	v_or_b32_e32 v1, 31, v0
	v_lshrrev_b32_e32 v3, 5, v0
	s_mov_b32 s0, exec_lo
	s_delay_alu instid0(VALU_DEP_2)
	v_cmpx_eq_u32_e64 v1, v0
	s_cbranch_execz .LBB510_142
; %bb.141:
	s_delay_alu instid0(VALU_DEP_2)
	v_lshlrev_b32_e32 v1, 3, v3
	ds_store_b64 v1, v[51:52]
.LBB510_142:
	s_or_b32 exec_lo, exec_lo, s0
	s_delay_alu instid0(SALU_CYCLE_1)
	s_mov_b32 s0, exec_lo
	s_waitcnt lgkmcnt(0)
	s_barrier
	buffer_gl0_inv
	v_cmpx_gt_u32_e32 4, v0
	s_cbranch_execz .LBB510_148
; %bb.143:
	v_mad_i32_i24 v1, 0xffffffd0, v0, v61
	s_mov_b32 s1, exec_lo
	ds_load_b64 v[1:2], v1
	s_waitcnt lgkmcnt(0)
	v_dual_mov_b32 v5, v1 :: v_dual_and_b32 v4, 3, v72
	v_mov_b32_dpp v7, v1 row_shr:1 row_mask:0xf bank_mask:0xf
	v_mov_b32_dpp v6, v2 row_shr:1 row_mask:0xf bank_mask:0xf
	s_delay_alu instid0(VALU_DEP_3)
	v_cmpx_ne_u32_e32 0, v4
; %bb.144:
	s_delay_alu instid0(VALU_DEP_3) | instskip(SKIP_1) | instid1(VALU_DEP_2)
	v_add_co_u32 v5, vcc_lo, v1, v7
	v_add_co_ci_u32_e32 v2, vcc_lo, 0, v2, vcc_lo
	v_add_co_u32 v1, vcc_lo, 0, v5
	s_delay_alu instid0(VALU_DEP_2)
	v_add_co_ci_u32_e32 v2, vcc_lo, v6, v2, vcc_lo
; %bb.145:
	s_or_b32 exec_lo, exec_lo, s1
	v_mul_i32_i24_e32 v6, 0xffffffd0, v0
	v_mov_b32_dpp v7, v5 row_shr:2 row_mask:0xf bank_mask:0xf
	s_delay_alu instid0(VALU_DEP_3)
	v_mov_b32_dpp v5, v2 row_shr:2 row_mask:0xf bank_mask:0xf
	s_mov_b32 s1, exec_lo
	v_cmpx_lt_u32_e32 1, v4
; %bb.146:
	s_delay_alu instid0(VALU_DEP_3) | instskip(SKIP_1) | instid1(VALU_DEP_2)
	v_add_co_u32 v1, vcc_lo, v1, v7
	v_add_co_ci_u32_e32 v2, vcc_lo, 0, v2, vcc_lo
	v_add_co_u32 v1, vcc_lo, v1, 0
	s_delay_alu instid0(VALU_DEP_2)
	v_add_co_ci_u32_e32 v2, vcc_lo, v2, v5, vcc_lo
; %bb.147:
	s_or_b32 exec_lo, exec_lo, s1
	v_add_nc_u32_e32 v4, v61, v6
	ds_store_b64 v4, v[1:2]
.LBB510_148:
	s_or_b32 exec_lo, exec_lo, s0
	v_mov_b32_e32 v1, 0
	v_mov_b32_e32 v2, 0
	s_mov_b32 s0, exec_lo
	s_waitcnt lgkmcnt(0)
	s_barrier
	buffer_gl0_inv
	v_cmpx_lt_u32_e32 31, v0
	s_cbranch_execz .LBB510_150
; %bb.149:
	v_lshl_add_u32 v1, v3, 3, -8
	ds_load_b64 v[1:2], v1
.LBB510_150:
	s_or_b32 exec_lo, exec_lo, s0
	v_dual_mov_b32 v48, 0 :: v_dual_add_nc_u32 v3, -1, v72
	s_delay_alu instid0(VALU_DEP_1) | instskip(SKIP_2) | instid1(VALU_DEP_1)
	v_cmp_gt_i32_e32 vcc_lo, 0, v3
	ds_load_b64 v[45:46], v48 offset:24
	v_cndmask_b32_e32 v3, v3, v72, vcc_lo
	v_lshlrev_b32_e32 v4, 2, v3
	s_waitcnt lgkmcnt(1)
	v_add_co_u32 v3, vcc_lo, v1, v51
	v_add_co_ci_u32_e32 v5, vcc_lo, v2, v52, vcc_lo
	v_cmp_eq_u32_e32 vcc_lo, 0, v0
	ds_bpermute_b32 v3, v4, v3
	ds_bpermute_b32 v4, v4, v5
	s_and_saveexec_b32 s0, vcc_lo
	s_cbranch_execz .LBB510_152
; %bb.151:
	s_add_u32 s8, s8, 0x200
	s_addc_u32 s9, s9, 0
	v_mov_b32_e32 v5, s8
	v_dual_mov_b32 v47, 2 :: v_dual_mov_b32 v6, s9
	s_waitcnt lgkmcnt(2)
	;;#ASMSTART
	global_store_dwordx4 v[5:6], v[45:48] off	
s_waitcnt vmcnt(0)
	;;#ASMEND
.LBB510_152:
	s_or_b32 exec_lo, exec_lo, s0
	v_cmp_eq_u32_e64 s0, 0, v72
	v_mov_b32_e32 v47, 0
	v_mov_b32_e32 v48, 0
	s_waitcnt lgkmcnt(0)
	s_barrier
	v_cndmask_b32_e64 v1, v3, v1, s0
	v_cndmask_b32_e64 v2, v4, v2, s0
	buffer_gl0_inv
	v_cndmask_b32_e64 v1, v1, 0, vcc_lo
	v_cndmask_b32_e64 v2, v2, 0, vcc_lo
	s_delay_alu instid0(VALU_DEP_2) | instskip(NEXT) | instid1(VALU_DEP_2)
	v_add_co_u32 v3, vcc_lo, v1, v63
	v_add_co_ci_u32_e32 v4, vcc_lo, 0, v2, vcc_lo
	s_delay_alu instid0(VALU_DEP_2) | instskip(NEXT) | instid1(VALU_DEP_2)
	v_add_co_u32 v5, vcc_lo, v3, v64
	v_add_co_ci_u32_e32 v6, vcc_lo, 0, v4, vcc_lo
	s_delay_alu instid0(VALU_DEP_2) | instskip(NEXT) | instid1(VALU_DEP_2)
	v_add_co_u32 v7, vcc_lo, v5, v65
	v_add_co_ci_u32_e32 v8, vcc_lo, 0, v6, vcc_lo
	s_delay_alu instid0(VALU_DEP_2) | instskip(NEXT) | instid1(VALU_DEP_2)
	v_add_co_u32 v9, vcc_lo, v7, v60
	v_add_co_ci_u32_e32 v10, vcc_lo, 0, v8, vcc_lo
	s_delay_alu instid0(VALU_DEP_2) | instskip(NEXT) | instid1(VALU_DEP_2)
	v_add_co_u32 v11, vcc_lo, v9, v66
	v_add_co_ci_u32_e32 v12, vcc_lo, 0, v10, vcc_lo
	s_delay_alu instid0(VALU_DEP_2) | instskip(NEXT) | instid1(VALU_DEP_2)
	v_add_co_u32 v13, vcc_lo, v11, v67
	v_add_co_ci_u32_e32 v14, vcc_lo, 0, v12, vcc_lo
	s_delay_alu instid0(VALU_DEP_2) | instskip(NEXT) | instid1(VALU_DEP_2)
	v_add_co_u32 v15, vcc_lo, v13, v68
	v_add_co_ci_u32_e32 v16, vcc_lo, 0, v14, vcc_lo
	s_delay_alu instid0(VALU_DEP_2) | instskip(NEXT) | instid1(VALU_DEP_2)
	v_add_co_u32 v17, vcc_lo, v15, v58
	v_add_co_ci_u32_e32 v18, vcc_lo, 0, v16, vcc_lo
	s_delay_alu instid0(VALU_DEP_2) | instskip(NEXT) | instid1(VALU_DEP_2)
	v_add_co_u32 v19, vcc_lo, v17, v69
	v_add_co_ci_u32_e32 v20, vcc_lo, 0, v18, vcc_lo
	s_delay_alu instid0(VALU_DEP_2) | instskip(NEXT) | instid1(VALU_DEP_2)
	v_add_co_u32 v21, vcc_lo, v19, v70
	v_add_co_ci_u32_e32 v22, vcc_lo, 0, v20, vcc_lo
	s_delay_alu instid0(VALU_DEP_2) | instskip(NEXT) | instid1(VALU_DEP_2)
	v_add_co_u32 v23, vcc_lo, v21, v71
	v_add_co_ci_u32_e32 v24, vcc_lo, 0, v22, vcc_lo
	s_delay_alu instid0(VALU_DEP_2) | instskip(NEXT) | instid1(VALU_DEP_2)
	v_add_co_u32 v25, vcc_lo, v23, v57
	v_add_co_ci_u32_e32 v26, vcc_lo, 0, v24, vcc_lo
	s_delay_alu instid0(VALU_DEP_2) | instskip(NEXT) | instid1(VALU_DEP_2)
	v_add_co_u32 v27, vcc_lo, v25, v62
	v_add_co_ci_u32_e32 v28, vcc_lo, 0, v26, vcc_lo
.LBB510_153:
	s_waitcnt lgkmcnt(0)
	v_cmp_gt_u64_e32 vcc_lo, 0x81, v[45:46]
	v_lshrrev_b32_e32 v51, 16, v56
	v_lshrrev_b32_e32 v52, 8, v56
	;; [unrolled: 1-line block ×6, first 2 shown]
	s_mov_b32 s0, -1
	s_cbranch_vccnz .LBB510_157
; %bb.154:
	s_and_b32 vcc_lo, exec_lo, s0
	s_cbranch_vccnz .LBB510_200
.LBB510_155:
	v_cmp_eq_u32_e32 vcc_lo, 0, v0
	s_and_b32 s0, vcc_lo, s10
	s_delay_alu instid0(SALU_CYCLE_1)
	s_and_saveexec_b32 s1, s0
	s_cbranch_execnz .LBB510_232
.LBB510_156:
	s_nop 0
	s_sendmsg sendmsg(MSG_DEALLOC_VGPRS)
	s_endpgm
.LBB510_157:
	v_add_co_u32 v29, vcc_lo, v47, v45
	v_add_co_ci_u32_e32 v30, vcc_lo, v48, v46, vcc_lo
	s_lshl_b64 s[0:1], s[2:3], 2
	s_delay_alu instid0(SALU_CYCLE_1) | instskip(NEXT) | instid1(VALU_DEP_1)
	s_add_u32 s0, s6, s0
	v_cmp_lt_u64_e32 vcc_lo, v[1:2], v[29:30]
	s_addc_u32 s1, s7, s1
	s_or_b32 s9, s11, vcc_lo
	s_delay_alu instid0(SALU_CYCLE_1)
	s_and_saveexec_b32 s8, s9
	s_cbranch_execz .LBB510_160
; %bb.158:
	v_and_b32_e32 v63, 1, v59
	s_delay_alu instid0(VALU_DEP_1)
	v_cmp_eq_u32_e32 vcc_lo, 1, v63
	s_and_b32 exec_lo, exec_lo, vcc_lo
	s_cbranch_execz .LBB510_160
; %bb.159:
	v_lshlrev_b64 v[63:64], 2, v[1:2]
	s_delay_alu instid0(VALU_DEP_1) | instskip(NEXT) | instid1(VALU_DEP_2)
	v_add_co_u32 v63, vcc_lo, s0, v63
	v_add_co_ci_u32_e32 v64, vcc_lo, s1, v64, vcc_lo
	global_store_b32 v[63:64], v41, off
.LBB510_160:
	s_or_b32 exec_lo, exec_lo, s8
	v_cmp_lt_u64_e32 vcc_lo, v[3:4], v[29:30]
	s_or_b32 s9, s11, vcc_lo
	s_delay_alu instid0(SALU_CYCLE_1)
	s_and_saveexec_b32 s8, s9
	s_cbranch_execz .LBB510_163
; %bb.161:
	v_and_b32_e32 v2, 1, v62
	s_delay_alu instid0(VALU_DEP_1)
	v_cmp_eq_u32_e32 vcc_lo, 1, v2
	s_and_b32 exec_lo, exec_lo, vcc_lo
	s_cbranch_execz .LBB510_163
; %bb.162:
	v_lshlrev_b64 v[63:64], 2, v[3:4]
	s_delay_alu instid0(VALU_DEP_1) | instskip(NEXT) | instid1(VALU_DEP_2)
	v_add_co_u32 v63, vcc_lo, s0, v63
	v_add_co_ci_u32_e32 v64, vcc_lo, s1, v64, vcc_lo
	global_store_b32 v[63:64], v42, off
.LBB510_163:
	s_or_b32 exec_lo, exec_lo, s8
	v_cmp_lt_u64_e32 vcc_lo, v[5:6], v[29:30]
	;; [unrolled: 19-line block ×13, first 2 shown]
	s_or_b32 s9, s11, vcc_lo
	s_delay_alu instid0(SALU_CYCLE_1)
	s_and_saveexec_b32 s8, s9
	s_cbranch_execz .LBB510_199
; %bb.197:
	v_and_b32_e32 v2, 1, v54
	s_delay_alu instid0(VALU_DEP_1)
	v_cmp_eq_u32_e32 vcc_lo, 1, v2
	s_and_b32 exec_lo, exec_lo, vcc_lo
	s_cbranch_execz .LBB510_199
; %bb.198:
	v_lshlrev_b64 v[28:29], 2, v[27:28]
	s_delay_alu instid0(VALU_DEP_1) | instskip(NEXT) | instid1(VALU_DEP_2)
	v_add_co_u32 v28, vcc_lo, s0, v28
	v_add_co_ci_u32_e32 v29, vcc_lo, s1, v29, vcc_lo
	global_store_b32 v[28:29], v50, off
.LBB510_199:
	s_or_b32 exec_lo, exec_lo, s8
	s_branch .LBB510_155
.LBB510_200:
	v_and_b32_e32 v2, 1, v59
	s_mov_b32 s0, exec_lo
	s_delay_alu instid0(VALU_DEP_1)
	v_cmpx_eq_u32_e32 1, v2
	s_cbranch_execz .LBB510_202
; %bb.201:
	v_sub_nc_u32_e32 v1, v1, v47
	s_delay_alu instid0(VALU_DEP_1)
	v_lshlrev_b32_e32 v1, 2, v1
	ds_store_b32 v1, v41
.LBB510_202:
	s_or_b32 exec_lo, exec_lo, s0
	v_and_b32_e32 v1, 1, v62
	s_mov_b32 s0, exec_lo
	s_delay_alu instid0(VALU_DEP_1)
	v_cmpx_eq_u32_e32 1, v1
	s_cbranch_execz .LBB510_204
; %bb.203:
	v_sub_nc_u32_e32 v1, v3, v47
	s_delay_alu instid0(VALU_DEP_1)
	v_lshlrev_b32_e32 v1, 2, v1
	ds_store_b32 v1, v42
.LBB510_204:
	s_or_b32 exec_lo, exec_lo, s0
	;; [unrolled: 12-line block ×14, first 2 shown]
	v_mov_b32_e32 v3, 0
	s_mov_b32 s1, exec_lo
	s_waitcnt lgkmcnt(0)
	s_waitcnt_vscnt null, 0x0
	s_barrier
	buffer_gl0_inv
	v_mov_b32_e32 v1, v3
	s_delay_alu instid0(VALU_DEP_1)
	v_cmpx_gt_u64_e64 v[45:46], v[0:1]
	s_cbranch_execz .LBB510_231
; %bb.229:
	v_lshlrev_b64 v[4:5], 2, v[47:48]
	s_lshl_b64 s[8:9], s[2:3], 2
	v_or_b32_e32 v2, 0x80, v0
	s_delay_alu instid0(VALU_DEP_2) | instskip(NEXT) | instid1(VALU_DEP_3)
	v_add_co_u32 v4, vcc_lo, s6, v4
	v_add_co_ci_u32_e32 v5, vcc_lo, s7, v5, vcc_lo
	s_mov_b32 s6, 0
	s_delay_alu instid0(VALU_DEP_2) | instskip(NEXT) | instid1(VALU_DEP_2)
	v_add_co_u32 v6, vcc_lo, v4, s8
	v_add_co_ci_u32_e32 v7, vcc_lo, s9, v5, vcc_lo
	v_dual_mov_b32 v5, v1 :: v_dual_mov_b32 v4, v0
	.p2align	6
.LBB510_230:                            ; =>This Inner Loop Header: Depth=1
	s_delay_alu instid0(VALU_DEP_1) | instskip(NEXT) | instid1(VALU_DEP_2)
	v_lshlrev_b32_e32 v1, 2, v4
	v_lshlrev_b64 v[8:9], 2, v[4:5]
	v_dual_mov_b32 v5, v3 :: v_dual_mov_b32 v4, v2
	v_cmp_le_u64_e32 vcc_lo, v[45:46], v[2:3]
	v_add_nc_u32_e32 v2, 0x80, v2
	ds_load_b32 v1, v1
	v_add_co_u32 v8, s0, v6, v8
	s_delay_alu instid0(VALU_DEP_1)
	v_add_co_ci_u32_e64 v9, s0, v7, v9, s0
	s_or_b32 s6, vcc_lo, s6
	s_waitcnt lgkmcnt(0)
	global_store_b32 v[8:9], v1, off
	s_and_not1_b32 exec_lo, exec_lo, s6
	s_cbranch_execnz .LBB510_230
.LBB510_231:
	s_or_b32 exec_lo, exec_lo, s1
	v_cmp_eq_u32_e32 vcc_lo, 0, v0
	s_and_b32 s0, vcc_lo, s10
	s_delay_alu instid0(SALU_CYCLE_1)
	s_and_saveexec_b32 s1, s0
	s_cbranch_execz .LBB510_156
.LBB510_232:
	v_add_co_u32 v0, vcc_lo, v47, v45
	v_add_co_ci_u32_e32 v1, vcc_lo, v48, v46, vcc_lo
	v_mov_b32_e32 v2, 0
	s_delay_alu instid0(VALU_DEP_3) | instskip(NEXT) | instid1(VALU_DEP_3)
	v_add_co_u32 v0, vcc_lo, v0, s2
	v_add_co_ci_u32_e32 v1, vcc_lo, s3, v1, vcc_lo
	global_store_b64 v2, v[0:1], s[4:5]
	s_nop 0
	s_sendmsg sendmsg(MSG_DEALLOC_VGPRS)
	s_endpgm
	.section	.rodata,"a",@progbits
	.p2align	6, 0x0
	.amdhsa_kernel _ZN7rocprim17ROCPRIM_400000_NS6detail17trampoline_kernelINS0_14default_configENS1_25partition_config_selectorILNS1_17partition_subalgoE6EjNS0_10empty_typeEbEEZZNS1_14partition_implILS5_6ELb0ES3_mN6thrust23THRUST_200600_302600_NS6detail15normal_iteratorINSA_10device_ptrIjEEEEPS6_SG_NS0_5tupleIJSF_S6_EEENSH_IJSG_SG_EEES6_PlJ5mod_3IjEEEE10hipError_tPvRmT3_T4_T5_T6_T7_T9_mT8_P12ihipStream_tbDpT10_ENKUlT_T0_E_clISt17integral_constantIbLb1EES15_IbLb0EEEEDaS11_S12_EUlS11_E_NS1_11comp_targetILNS1_3genE9ELNS1_11target_archE1100ELNS1_3gpuE3ELNS1_3repE0EEENS1_30default_config_static_selectorELNS0_4arch9wavefront6targetE0EEEvT1_
		.amdhsa_group_segment_fixed_size 7184
		.amdhsa_private_segment_fixed_size 0
		.amdhsa_kernarg_size 112
		.amdhsa_user_sgpr_count 15
		.amdhsa_user_sgpr_dispatch_ptr 0
		.amdhsa_user_sgpr_queue_ptr 0
		.amdhsa_user_sgpr_kernarg_segment_ptr 1
		.amdhsa_user_sgpr_dispatch_id 0
		.amdhsa_user_sgpr_private_segment_size 0
		.amdhsa_wavefront_size32 1
		.amdhsa_uses_dynamic_stack 0
		.amdhsa_enable_private_segment 0
		.amdhsa_system_sgpr_workgroup_id_x 1
		.amdhsa_system_sgpr_workgroup_id_y 0
		.amdhsa_system_sgpr_workgroup_id_z 0
		.amdhsa_system_sgpr_workgroup_info 0
		.amdhsa_system_vgpr_workitem_id 0
		.amdhsa_next_free_vgpr 74
		.amdhsa_next_free_sgpr 18
		.amdhsa_reserve_vcc 1
		.amdhsa_float_round_mode_32 0
		.amdhsa_float_round_mode_16_64 0
		.amdhsa_float_denorm_mode_32 3
		.amdhsa_float_denorm_mode_16_64 3
		.amdhsa_dx10_clamp 1
		.amdhsa_ieee_mode 1
		.amdhsa_fp16_overflow 0
		.amdhsa_workgroup_processor_mode 1
		.amdhsa_memory_ordered 1
		.amdhsa_forward_progress 0
		.amdhsa_shared_vgpr_count 0
		.amdhsa_exception_fp_ieee_invalid_op 0
		.amdhsa_exception_fp_denorm_src 0
		.amdhsa_exception_fp_ieee_div_zero 0
		.amdhsa_exception_fp_ieee_overflow 0
		.amdhsa_exception_fp_ieee_underflow 0
		.amdhsa_exception_fp_ieee_inexact 0
		.amdhsa_exception_int_div_zero 0
	.end_amdhsa_kernel
	.section	.text._ZN7rocprim17ROCPRIM_400000_NS6detail17trampoline_kernelINS0_14default_configENS1_25partition_config_selectorILNS1_17partition_subalgoE6EjNS0_10empty_typeEbEEZZNS1_14partition_implILS5_6ELb0ES3_mN6thrust23THRUST_200600_302600_NS6detail15normal_iteratorINSA_10device_ptrIjEEEEPS6_SG_NS0_5tupleIJSF_S6_EEENSH_IJSG_SG_EEES6_PlJ5mod_3IjEEEE10hipError_tPvRmT3_T4_T5_T6_T7_T9_mT8_P12ihipStream_tbDpT10_ENKUlT_T0_E_clISt17integral_constantIbLb1EES15_IbLb0EEEEDaS11_S12_EUlS11_E_NS1_11comp_targetILNS1_3genE9ELNS1_11target_archE1100ELNS1_3gpuE3ELNS1_3repE0EEENS1_30default_config_static_selectorELNS0_4arch9wavefront6targetE0EEEvT1_,"axG",@progbits,_ZN7rocprim17ROCPRIM_400000_NS6detail17trampoline_kernelINS0_14default_configENS1_25partition_config_selectorILNS1_17partition_subalgoE6EjNS0_10empty_typeEbEEZZNS1_14partition_implILS5_6ELb0ES3_mN6thrust23THRUST_200600_302600_NS6detail15normal_iteratorINSA_10device_ptrIjEEEEPS6_SG_NS0_5tupleIJSF_S6_EEENSH_IJSG_SG_EEES6_PlJ5mod_3IjEEEE10hipError_tPvRmT3_T4_T5_T6_T7_T9_mT8_P12ihipStream_tbDpT10_ENKUlT_T0_E_clISt17integral_constantIbLb1EES15_IbLb0EEEEDaS11_S12_EUlS11_E_NS1_11comp_targetILNS1_3genE9ELNS1_11target_archE1100ELNS1_3gpuE3ELNS1_3repE0EEENS1_30default_config_static_selectorELNS0_4arch9wavefront6targetE0EEEvT1_,comdat
.Lfunc_end510:
	.size	_ZN7rocprim17ROCPRIM_400000_NS6detail17trampoline_kernelINS0_14default_configENS1_25partition_config_selectorILNS1_17partition_subalgoE6EjNS0_10empty_typeEbEEZZNS1_14partition_implILS5_6ELb0ES3_mN6thrust23THRUST_200600_302600_NS6detail15normal_iteratorINSA_10device_ptrIjEEEEPS6_SG_NS0_5tupleIJSF_S6_EEENSH_IJSG_SG_EEES6_PlJ5mod_3IjEEEE10hipError_tPvRmT3_T4_T5_T6_T7_T9_mT8_P12ihipStream_tbDpT10_ENKUlT_T0_E_clISt17integral_constantIbLb1EES15_IbLb0EEEEDaS11_S12_EUlS11_E_NS1_11comp_targetILNS1_3genE9ELNS1_11target_archE1100ELNS1_3gpuE3ELNS1_3repE0EEENS1_30default_config_static_selectorELNS0_4arch9wavefront6targetE0EEEvT1_, .Lfunc_end510-_ZN7rocprim17ROCPRIM_400000_NS6detail17trampoline_kernelINS0_14default_configENS1_25partition_config_selectorILNS1_17partition_subalgoE6EjNS0_10empty_typeEbEEZZNS1_14partition_implILS5_6ELb0ES3_mN6thrust23THRUST_200600_302600_NS6detail15normal_iteratorINSA_10device_ptrIjEEEEPS6_SG_NS0_5tupleIJSF_S6_EEENSH_IJSG_SG_EEES6_PlJ5mod_3IjEEEE10hipError_tPvRmT3_T4_T5_T6_T7_T9_mT8_P12ihipStream_tbDpT10_ENKUlT_T0_E_clISt17integral_constantIbLb1EES15_IbLb0EEEEDaS11_S12_EUlS11_E_NS1_11comp_targetILNS1_3genE9ELNS1_11target_archE1100ELNS1_3gpuE3ELNS1_3repE0EEENS1_30default_config_static_selectorELNS0_4arch9wavefront6targetE0EEEvT1_
                                        ; -- End function
	.section	.AMDGPU.csdata,"",@progbits
; Kernel info:
; codeLenInByte = 9444
; NumSgprs: 20
; NumVgprs: 74
; ScratchSize: 0
; MemoryBound: 0
; FloatMode: 240
; IeeeMode: 1
; LDSByteSize: 7184 bytes/workgroup (compile time only)
; SGPRBlocks: 2
; VGPRBlocks: 9
; NumSGPRsForWavesPerEU: 20
; NumVGPRsForWavesPerEU: 74
; Occupancy: 16
; WaveLimiterHint : 1
; COMPUTE_PGM_RSRC2:SCRATCH_EN: 0
; COMPUTE_PGM_RSRC2:USER_SGPR: 15
; COMPUTE_PGM_RSRC2:TRAP_HANDLER: 0
; COMPUTE_PGM_RSRC2:TGID_X_EN: 1
; COMPUTE_PGM_RSRC2:TGID_Y_EN: 0
; COMPUTE_PGM_RSRC2:TGID_Z_EN: 0
; COMPUTE_PGM_RSRC2:TIDIG_COMP_CNT: 0
	.section	.text._ZN7rocprim17ROCPRIM_400000_NS6detail17trampoline_kernelINS0_14default_configENS1_25partition_config_selectorILNS1_17partition_subalgoE6EjNS0_10empty_typeEbEEZZNS1_14partition_implILS5_6ELb0ES3_mN6thrust23THRUST_200600_302600_NS6detail15normal_iteratorINSA_10device_ptrIjEEEEPS6_SG_NS0_5tupleIJSF_S6_EEENSH_IJSG_SG_EEES6_PlJ5mod_3IjEEEE10hipError_tPvRmT3_T4_T5_T6_T7_T9_mT8_P12ihipStream_tbDpT10_ENKUlT_T0_E_clISt17integral_constantIbLb1EES15_IbLb0EEEEDaS11_S12_EUlS11_E_NS1_11comp_targetILNS1_3genE8ELNS1_11target_archE1030ELNS1_3gpuE2ELNS1_3repE0EEENS1_30default_config_static_selectorELNS0_4arch9wavefront6targetE0EEEvT1_,"axG",@progbits,_ZN7rocprim17ROCPRIM_400000_NS6detail17trampoline_kernelINS0_14default_configENS1_25partition_config_selectorILNS1_17partition_subalgoE6EjNS0_10empty_typeEbEEZZNS1_14partition_implILS5_6ELb0ES3_mN6thrust23THRUST_200600_302600_NS6detail15normal_iteratorINSA_10device_ptrIjEEEEPS6_SG_NS0_5tupleIJSF_S6_EEENSH_IJSG_SG_EEES6_PlJ5mod_3IjEEEE10hipError_tPvRmT3_T4_T5_T6_T7_T9_mT8_P12ihipStream_tbDpT10_ENKUlT_T0_E_clISt17integral_constantIbLb1EES15_IbLb0EEEEDaS11_S12_EUlS11_E_NS1_11comp_targetILNS1_3genE8ELNS1_11target_archE1030ELNS1_3gpuE2ELNS1_3repE0EEENS1_30default_config_static_selectorELNS0_4arch9wavefront6targetE0EEEvT1_,comdat
	.protected	_ZN7rocprim17ROCPRIM_400000_NS6detail17trampoline_kernelINS0_14default_configENS1_25partition_config_selectorILNS1_17partition_subalgoE6EjNS0_10empty_typeEbEEZZNS1_14partition_implILS5_6ELb0ES3_mN6thrust23THRUST_200600_302600_NS6detail15normal_iteratorINSA_10device_ptrIjEEEEPS6_SG_NS0_5tupleIJSF_S6_EEENSH_IJSG_SG_EEES6_PlJ5mod_3IjEEEE10hipError_tPvRmT3_T4_T5_T6_T7_T9_mT8_P12ihipStream_tbDpT10_ENKUlT_T0_E_clISt17integral_constantIbLb1EES15_IbLb0EEEEDaS11_S12_EUlS11_E_NS1_11comp_targetILNS1_3genE8ELNS1_11target_archE1030ELNS1_3gpuE2ELNS1_3repE0EEENS1_30default_config_static_selectorELNS0_4arch9wavefront6targetE0EEEvT1_ ; -- Begin function _ZN7rocprim17ROCPRIM_400000_NS6detail17trampoline_kernelINS0_14default_configENS1_25partition_config_selectorILNS1_17partition_subalgoE6EjNS0_10empty_typeEbEEZZNS1_14partition_implILS5_6ELb0ES3_mN6thrust23THRUST_200600_302600_NS6detail15normal_iteratorINSA_10device_ptrIjEEEEPS6_SG_NS0_5tupleIJSF_S6_EEENSH_IJSG_SG_EEES6_PlJ5mod_3IjEEEE10hipError_tPvRmT3_T4_T5_T6_T7_T9_mT8_P12ihipStream_tbDpT10_ENKUlT_T0_E_clISt17integral_constantIbLb1EES15_IbLb0EEEEDaS11_S12_EUlS11_E_NS1_11comp_targetILNS1_3genE8ELNS1_11target_archE1030ELNS1_3gpuE2ELNS1_3repE0EEENS1_30default_config_static_selectorELNS0_4arch9wavefront6targetE0EEEvT1_
	.globl	_ZN7rocprim17ROCPRIM_400000_NS6detail17trampoline_kernelINS0_14default_configENS1_25partition_config_selectorILNS1_17partition_subalgoE6EjNS0_10empty_typeEbEEZZNS1_14partition_implILS5_6ELb0ES3_mN6thrust23THRUST_200600_302600_NS6detail15normal_iteratorINSA_10device_ptrIjEEEEPS6_SG_NS0_5tupleIJSF_S6_EEENSH_IJSG_SG_EEES6_PlJ5mod_3IjEEEE10hipError_tPvRmT3_T4_T5_T6_T7_T9_mT8_P12ihipStream_tbDpT10_ENKUlT_T0_E_clISt17integral_constantIbLb1EES15_IbLb0EEEEDaS11_S12_EUlS11_E_NS1_11comp_targetILNS1_3genE8ELNS1_11target_archE1030ELNS1_3gpuE2ELNS1_3repE0EEENS1_30default_config_static_selectorELNS0_4arch9wavefront6targetE0EEEvT1_
	.p2align	8
	.type	_ZN7rocprim17ROCPRIM_400000_NS6detail17trampoline_kernelINS0_14default_configENS1_25partition_config_selectorILNS1_17partition_subalgoE6EjNS0_10empty_typeEbEEZZNS1_14partition_implILS5_6ELb0ES3_mN6thrust23THRUST_200600_302600_NS6detail15normal_iteratorINSA_10device_ptrIjEEEEPS6_SG_NS0_5tupleIJSF_S6_EEENSH_IJSG_SG_EEES6_PlJ5mod_3IjEEEE10hipError_tPvRmT3_T4_T5_T6_T7_T9_mT8_P12ihipStream_tbDpT10_ENKUlT_T0_E_clISt17integral_constantIbLb1EES15_IbLb0EEEEDaS11_S12_EUlS11_E_NS1_11comp_targetILNS1_3genE8ELNS1_11target_archE1030ELNS1_3gpuE2ELNS1_3repE0EEENS1_30default_config_static_selectorELNS0_4arch9wavefront6targetE0EEEvT1_,@function
_ZN7rocprim17ROCPRIM_400000_NS6detail17trampoline_kernelINS0_14default_configENS1_25partition_config_selectorILNS1_17partition_subalgoE6EjNS0_10empty_typeEbEEZZNS1_14partition_implILS5_6ELb0ES3_mN6thrust23THRUST_200600_302600_NS6detail15normal_iteratorINSA_10device_ptrIjEEEEPS6_SG_NS0_5tupleIJSF_S6_EEENSH_IJSG_SG_EEES6_PlJ5mod_3IjEEEE10hipError_tPvRmT3_T4_T5_T6_T7_T9_mT8_P12ihipStream_tbDpT10_ENKUlT_T0_E_clISt17integral_constantIbLb1EES15_IbLb0EEEEDaS11_S12_EUlS11_E_NS1_11comp_targetILNS1_3genE8ELNS1_11target_archE1030ELNS1_3gpuE2ELNS1_3repE0EEENS1_30default_config_static_selectorELNS0_4arch9wavefront6targetE0EEEvT1_: ; @_ZN7rocprim17ROCPRIM_400000_NS6detail17trampoline_kernelINS0_14default_configENS1_25partition_config_selectorILNS1_17partition_subalgoE6EjNS0_10empty_typeEbEEZZNS1_14partition_implILS5_6ELb0ES3_mN6thrust23THRUST_200600_302600_NS6detail15normal_iteratorINSA_10device_ptrIjEEEEPS6_SG_NS0_5tupleIJSF_S6_EEENSH_IJSG_SG_EEES6_PlJ5mod_3IjEEEE10hipError_tPvRmT3_T4_T5_T6_T7_T9_mT8_P12ihipStream_tbDpT10_ENKUlT_T0_E_clISt17integral_constantIbLb1EES15_IbLb0EEEEDaS11_S12_EUlS11_E_NS1_11comp_targetILNS1_3genE8ELNS1_11target_archE1030ELNS1_3gpuE2ELNS1_3repE0EEENS1_30default_config_static_selectorELNS0_4arch9wavefront6targetE0EEEvT1_
; %bb.0:
	.section	.rodata,"a",@progbits
	.p2align	6, 0x0
	.amdhsa_kernel _ZN7rocprim17ROCPRIM_400000_NS6detail17trampoline_kernelINS0_14default_configENS1_25partition_config_selectorILNS1_17partition_subalgoE6EjNS0_10empty_typeEbEEZZNS1_14partition_implILS5_6ELb0ES3_mN6thrust23THRUST_200600_302600_NS6detail15normal_iteratorINSA_10device_ptrIjEEEEPS6_SG_NS0_5tupleIJSF_S6_EEENSH_IJSG_SG_EEES6_PlJ5mod_3IjEEEE10hipError_tPvRmT3_T4_T5_T6_T7_T9_mT8_P12ihipStream_tbDpT10_ENKUlT_T0_E_clISt17integral_constantIbLb1EES15_IbLb0EEEEDaS11_S12_EUlS11_E_NS1_11comp_targetILNS1_3genE8ELNS1_11target_archE1030ELNS1_3gpuE2ELNS1_3repE0EEENS1_30default_config_static_selectorELNS0_4arch9wavefront6targetE0EEEvT1_
		.amdhsa_group_segment_fixed_size 0
		.amdhsa_private_segment_fixed_size 0
		.amdhsa_kernarg_size 112
		.amdhsa_user_sgpr_count 15
		.amdhsa_user_sgpr_dispatch_ptr 0
		.amdhsa_user_sgpr_queue_ptr 0
		.amdhsa_user_sgpr_kernarg_segment_ptr 1
		.amdhsa_user_sgpr_dispatch_id 0
		.amdhsa_user_sgpr_private_segment_size 0
		.amdhsa_wavefront_size32 1
		.amdhsa_uses_dynamic_stack 0
		.amdhsa_enable_private_segment 0
		.amdhsa_system_sgpr_workgroup_id_x 1
		.amdhsa_system_sgpr_workgroup_id_y 0
		.amdhsa_system_sgpr_workgroup_id_z 0
		.amdhsa_system_sgpr_workgroup_info 0
		.amdhsa_system_vgpr_workitem_id 0
		.amdhsa_next_free_vgpr 1
		.amdhsa_next_free_sgpr 1
		.amdhsa_reserve_vcc 0
		.amdhsa_float_round_mode_32 0
		.amdhsa_float_round_mode_16_64 0
		.amdhsa_float_denorm_mode_32 3
		.amdhsa_float_denorm_mode_16_64 3
		.amdhsa_dx10_clamp 1
		.amdhsa_ieee_mode 1
		.amdhsa_fp16_overflow 0
		.amdhsa_workgroup_processor_mode 1
		.amdhsa_memory_ordered 1
		.amdhsa_forward_progress 0
		.amdhsa_shared_vgpr_count 0
		.amdhsa_exception_fp_ieee_invalid_op 0
		.amdhsa_exception_fp_denorm_src 0
		.amdhsa_exception_fp_ieee_div_zero 0
		.amdhsa_exception_fp_ieee_overflow 0
		.amdhsa_exception_fp_ieee_underflow 0
		.amdhsa_exception_fp_ieee_inexact 0
		.amdhsa_exception_int_div_zero 0
	.end_amdhsa_kernel
	.section	.text._ZN7rocprim17ROCPRIM_400000_NS6detail17trampoline_kernelINS0_14default_configENS1_25partition_config_selectorILNS1_17partition_subalgoE6EjNS0_10empty_typeEbEEZZNS1_14partition_implILS5_6ELb0ES3_mN6thrust23THRUST_200600_302600_NS6detail15normal_iteratorINSA_10device_ptrIjEEEEPS6_SG_NS0_5tupleIJSF_S6_EEENSH_IJSG_SG_EEES6_PlJ5mod_3IjEEEE10hipError_tPvRmT3_T4_T5_T6_T7_T9_mT8_P12ihipStream_tbDpT10_ENKUlT_T0_E_clISt17integral_constantIbLb1EES15_IbLb0EEEEDaS11_S12_EUlS11_E_NS1_11comp_targetILNS1_3genE8ELNS1_11target_archE1030ELNS1_3gpuE2ELNS1_3repE0EEENS1_30default_config_static_selectorELNS0_4arch9wavefront6targetE0EEEvT1_,"axG",@progbits,_ZN7rocprim17ROCPRIM_400000_NS6detail17trampoline_kernelINS0_14default_configENS1_25partition_config_selectorILNS1_17partition_subalgoE6EjNS0_10empty_typeEbEEZZNS1_14partition_implILS5_6ELb0ES3_mN6thrust23THRUST_200600_302600_NS6detail15normal_iteratorINSA_10device_ptrIjEEEEPS6_SG_NS0_5tupleIJSF_S6_EEENSH_IJSG_SG_EEES6_PlJ5mod_3IjEEEE10hipError_tPvRmT3_T4_T5_T6_T7_T9_mT8_P12ihipStream_tbDpT10_ENKUlT_T0_E_clISt17integral_constantIbLb1EES15_IbLb0EEEEDaS11_S12_EUlS11_E_NS1_11comp_targetILNS1_3genE8ELNS1_11target_archE1030ELNS1_3gpuE2ELNS1_3repE0EEENS1_30default_config_static_selectorELNS0_4arch9wavefront6targetE0EEEvT1_,comdat
.Lfunc_end511:
	.size	_ZN7rocprim17ROCPRIM_400000_NS6detail17trampoline_kernelINS0_14default_configENS1_25partition_config_selectorILNS1_17partition_subalgoE6EjNS0_10empty_typeEbEEZZNS1_14partition_implILS5_6ELb0ES3_mN6thrust23THRUST_200600_302600_NS6detail15normal_iteratorINSA_10device_ptrIjEEEEPS6_SG_NS0_5tupleIJSF_S6_EEENSH_IJSG_SG_EEES6_PlJ5mod_3IjEEEE10hipError_tPvRmT3_T4_T5_T6_T7_T9_mT8_P12ihipStream_tbDpT10_ENKUlT_T0_E_clISt17integral_constantIbLb1EES15_IbLb0EEEEDaS11_S12_EUlS11_E_NS1_11comp_targetILNS1_3genE8ELNS1_11target_archE1030ELNS1_3gpuE2ELNS1_3repE0EEENS1_30default_config_static_selectorELNS0_4arch9wavefront6targetE0EEEvT1_, .Lfunc_end511-_ZN7rocprim17ROCPRIM_400000_NS6detail17trampoline_kernelINS0_14default_configENS1_25partition_config_selectorILNS1_17partition_subalgoE6EjNS0_10empty_typeEbEEZZNS1_14partition_implILS5_6ELb0ES3_mN6thrust23THRUST_200600_302600_NS6detail15normal_iteratorINSA_10device_ptrIjEEEEPS6_SG_NS0_5tupleIJSF_S6_EEENSH_IJSG_SG_EEES6_PlJ5mod_3IjEEEE10hipError_tPvRmT3_T4_T5_T6_T7_T9_mT8_P12ihipStream_tbDpT10_ENKUlT_T0_E_clISt17integral_constantIbLb1EES15_IbLb0EEEEDaS11_S12_EUlS11_E_NS1_11comp_targetILNS1_3genE8ELNS1_11target_archE1030ELNS1_3gpuE2ELNS1_3repE0EEENS1_30default_config_static_selectorELNS0_4arch9wavefront6targetE0EEEvT1_
                                        ; -- End function
	.section	.AMDGPU.csdata,"",@progbits
; Kernel info:
; codeLenInByte = 0
; NumSgprs: 0
; NumVgprs: 0
; ScratchSize: 0
; MemoryBound: 0
; FloatMode: 240
; IeeeMode: 1
; LDSByteSize: 0 bytes/workgroup (compile time only)
; SGPRBlocks: 0
; VGPRBlocks: 0
; NumSGPRsForWavesPerEU: 1
; NumVGPRsForWavesPerEU: 1
; Occupancy: 16
; WaveLimiterHint : 0
; COMPUTE_PGM_RSRC2:SCRATCH_EN: 0
; COMPUTE_PGM_RSRC2:USER_SGPR: 15
; COMPUTE_PGM_RSRC2:TRAP_HANDLER: 0
; COMPUTE_PGM_RSRC2:TGID_X_EN: 1
; COMPUTE_PGM_RSRC2:TGID_Y_EN: 0
; COMPUTE_PGM_RSRC2:TGID_Z_EN: 0
; COMPUTE_PGM_RSRC2:TIDIG_COMP_CNT: 0
	.section	.text._ZN7rocprim17ROCPRIM_400000_NS6detail17trampoline_kernelINS0_14default_configENS1_25partition_config_selectorILNS1_17partition_subalgoE6EjNS0_10empty_typeEbEEZZNS1_14partition_implILS5_6ELb0ES3_mN6thrust23THRUST_200600_302600_NS6detail15normal_iteratorINSA_10device_ptrIjEEEEPS6_SG_NS0_5tupleIJSF_S6_EEENSH_IJSG_SG_EEES6_PlJ5mod_3IjEEEE10hipError_tPvRmT3_T4_T5_T6_T7_T9_mT8_P12ihipStream_tbDpT10_ENKUlT_T0_E_clISt17integral_constantIbLb0EES15_IbLb1EEEEDaS11_S12_EUlS11_E_NS1_11comp_targetILNS1_3genE0ELNS1_11target_archE4294967295ELNS1_3gpuE0ELNS1_3repE0EEENS1_30default_config_static_selectorELNS0_4arch9wavefront6targetE0EEEvT1_,"axG",@progbits,_ZN7rocprim17ROCPRIM_400000_NS6detail17trampoline_kernelINS0_14default_configENS1_25partition_config_selectorILNS1_17partition_subalgoE6EjNS0_10empty_typeEbEEZZNS1_14partition_implILS5_6ELb0ES3_mN6thrust23THRUST_200600_302600_NS6detail15normal_iteratorINSA_10device_ptrIjEEEEPS6_SG_NS0_5tupleIJSF_S6_EEENSH_IJSG_SG_EEES6_PlJ5mod_3IjEEEE10hipError_tPvRmT3_T4_T5_T6_T7_T9_mT8_P12ihipStream_tbDpT10_ENKUlT_T0_E_clISt17integral_constantIbLb0EES15_IbLb1EEEEDaS11_S12_EUlS11_E_NS1_11comp_targetILNS1_3genE0ELNS1_11target_archE4294967295ELNS1_3gpuE0ELNS1_3repE0EEENS1_30default_config_static_selectorELNS0_4arch9wavefront6targetE0EEEvT1_,comdat
	.protected	_ZN7rocprim17ROCPRIM_400000_NS6detail17trampoline_kernelINS0_14default_configENS1_25partition_config_selectorILNS1_17partition_subalgoE6EjNS0_10empty_typeEbEEZZNS1_14partition_implILS5_6ELb0ES3_mN6thrust23THRUST_200600_302600_NS6detail15normal_iteratorINSA_10device_ptrIjEEEEPS6_SG_NS0_5tupleIJSF_S6_EEENSH_IJSG_SG_EEES6_PlJ5mod_3IjEEEE10hipError_tPvRmT3_T4_T5_T6_T7_T9_mT8_P12ihipStream_tbDpT10_ENKUlT_T0_E_clISt17integral_constantIbLb0EES15_IbLb1EEEEDaS11_S12_EUlS11_E_NS1_11comp_targetILNS1_3genE0ELNS1_11target_archE4294967295ELNS1_3gpuE0ELNS1_3repE0EEENS1_30default_config_static_selectorELNS0_4arch9wavefront6targetE0EEEvT1_ ; -- Begin function _ZN7rocprim17ROCPRIM_400000_NS6detail17trampoline_kernelINS0_14default_configENS1_25partition_config_selectorILNS1_17partition_subalgoE6EjNS0_10empty_typeEbEEZZNS1_14partition_implILS5_6ELb0ES3_mN6thrust23THRUST_200600_302600_NS6detail15normal_iteratorINSA_10device_ptrIjEEEEPS6_SG_NS0_5tupleIJSF_S6_EEENSH_IJSG_SG_EEES6_PlJ5mod_3IjEEEE10hipError_tPvRmT3_T4_T5_T6_T7_T9_mT8_P12ihipStream_tbDpT10_ENKUlT_T0_E_clISt17integral_constantIbLb0EES15_IbLb1EEEEDaS11_S12_EUlS11_E_NS1_11comp_targetILNS1_3genE0ELNS1_11target_archE4294967295ELNS1_3gpuE0ELNS1_3repE0EEENS1_30default_config_static_selectorELNS0_4arch9wavefront6targetE0EEEvT1_
	.globl	_ZN7rocprim17ROCPRIM_400000_NS6detail17trampoline_kernelINS0_14default_configENS1_25partition_config_selectorILNS1_17partition_subalgoE6EjNS0_10empty_typeEbEEZZNS1_14partition_implILS5_6ELb0ES3_mN6thrust23THRUST_200600_302600_NS6detail15normal_iteratorINSA_10device_ptrIjEEEEPS6_SG_NS0_5tupleIJSF_S6_EEENSH_IJSG_SG_EEES6_PlJ5mod_3IjEEEE10hipError_tPvRmT3_T4_T5_T6_T7_T9_mT8_P12ihipStream_tbDpT10_ENKUlT_T0_E_clISt17integral_constantIbLb0EES15_IbLb1EEEEDaS11_S12_EUlS11_E_NS1_11comp_targetILNS1_3genE0ELNS1_11target_archE4294967295ELNS1_3gpuE0ELNS1_3repE0EEENS1_30default_config_static_selectorELNS0_4arch9wavefront6targetE0EEEvT1_
	.p2align	8
	.type	_ZN7rocprim17ROCPRIM_400000_NS6detail17trampoline_kernelINS0_14default_configENS1_25partition_config_selectorILNS1_17partition_subalgoE6EjNS0_10empty_typeEbEEZZNS1_14partition_implILS5_6ELb0ES3_mN6thrust23THRUST_200600_302600_NS6detail15normal_iteratorINSA_10device_ptrIjEEEEPS6_SG_NS0_5tupleIJSF_S6_EEENSH_IJSG_SG_EEES6_PlJ5mod_3IjEEEE10hipError_tPvRmT3_T4_T5_T6_T7_T9_mT8_P12ihipStream_tbDpT10_ENKUlT_T0_E_clISt17integral_constantIbLb0EES15_IbLb1EEEEDaS11_S12_EUlS11_E_NS1_11comp_targetILNS1_3genE0ELNS1_11target_archE4294967295ELNS1_3gpuE0ELNS1_3repE0EEENS1_30default_config_static_selectorELNS0_4arch9wavefront6targetE0EEEvT1_,@function
_ZN7rocprim17ROCPRIM_400000_NS6detail17trampoline_kernelINS0_14default_configENS1_25partition_config_selectorILNS1_17partition_subalgoE6EjNS0_10empty_typeEbEEZZNS1_14partition_implILS5_6ELb0ES3_mN6thrust23THRUST_200600_302600_NS6detail15normal_iteratorINSA_10device_ptrIjEEEEPS6_SG_NS0_5tupleIJSF_S6_EEENSH_IJSG_SG_EEES6_PlJ5mod_3IjEEEE10hipError_tPvRmT3_T4_T5_T6_T7_T9_mT8_P12ihipStream_tbDpT10_ENKUlT_T0_E_clISt17integral_constantIbLb0EES15_IbLb1EEEEDaS11_S12_EUlS11_E_NS1_11comp_targetILNS1_3genE0ELNS1_11target_archE4294967295ELNS1_3gpuE0ELNS1_3repE0EEENS1_30default_config_static_selectorELNS0_4arch9wavefront6targetE0EEEvT1_: ; @_ZN7rocprim17ROCPRIM_400000_NS6detail17trampoline_kernelINS0_14default_configENS1_25partition_config_selectorILNS1_17partition_subalgoE6EjNS0_10empty_typeEbEEZZNS1_14partition_implILS5_6ELb0ES3_mN6thrust23THRUST_200600_302600_NS6detail15normal_iteratorINSA_10device_ptrIjEEEEPS6_SG_NS0_5tupleIJSF_S6_EEENSH_IJSG_SG_EEES6_PlJ5mod_3IjEEEE10hipError_tPvRmT3_T4_T5_T6_T7_T9_mT8_P12ihipStream_tbDpT10_ENKUlT_T0_E_clISt17integral_constantIbLb0EES15_IbLb1EEEEDaS11_S12_EUlS11_E_NS1_11comp_targetILNS1_3genE0ELNS1_11target_archE4294967295ELNS1_3gpuE0ELNS1_3repE0EEENS1_30default_config_static_selectorELNS0_4arch9wavefront6targetE0EEEvT1_
; %bb.0:
	.section	.rodata,"a",@progbits
	.p2align	6, 0x0
	.amdhsa_kernel _ZN7rocprim17ROCPRIM_400000_NS6detail17trampoline_kernelINS0_14default_configENS1_25partition_config_selectorILNS1_17partition_subalgoE6EjNS0_10empty_typeEbEEZZNS1_14partition_implILS5_6ELb0ES3_mN6thrust23THRUST_200600_302600_NS6detail15normal_iteratorINSA_10device_ptrIjEEEEPS6_SG_NS0_5tupleIJSF_S6_EEENSH_IJSG_SG_EEES6_PlJ5mod_3IjEEEE10hipError_tPvRmT3_T4_T5_T6_T7_T9_mT8_P12ihipStream_tbDpT10_ENKUlT_T0_E_clISt17integral_constantIbLb0EES15_IbLb1EEEEDaS11_S12_EUlS11_E_NS1_11comp_targetILNS1_3genE0ELNS1_11target_archE4294967295ELNS1_3gpuE0ELNS1_3repE0EEENS1_30default_config_static_selectorELNS0_4arch9wavefront6targetE0EEEvT1_
		.amdhsa_group_segment_fixed_size 0
		.amdhsa_private_segment_fixed_size 0
		.amdhsa_kernarg_size 128
		.amdhsa_user_sgpr_count 15
		.amdhsa_user_sgpr_dispatch_ptr 0
		.amdhsa_user_sgpr_queue_ptr 0
		.amdhsa_user_sgpr_kernarg_segment_ptr 1
		.amdhsa_user_sgpr_dispatch_id 0
		.amdhsa_user_sgpr_private_segment_size 0
		.amdhsa_wavefront_size32 1
		.amdhsa_uses_dynamic_stack 0
		.amdhsa_enable_private_segment 0
		.amdhsa_system_sgpr_workgroup_id_x 1
		.amdhsa_system_sgpr_workgroup_id_y 0
		.amdhsa_system_sgpr_workgroup_id_z 0
		.amdhsa_system_sgpr_workgroup_info 0
		.amdhsa_system_vgpr_workitem_id 0
		.amdhsa_next_free_vgpr 1
		.amdhsa_next_free_sgpr 1
		.amdhsa_reserve_vcc 0
		.amdhsa_float_round_mode_32 0
		.amdhsa_float_round_mode_16_64 0
		.amdhsa_float_denorm_mode_32 3
		.amdhsa_float_denorm_mode_16_64 3
		.amdhsa_dx10_clamp 1
		.amdhsa_ieee_mode 1
		.amdhsa_fp16_overflow 0
		.amdhsa_workgroup_processor_mode 1
		.amdhsa_memory_ordered 1
		.amdhsa_forward_progress 0
		.amdhsa_shared_vgpr_count 0
		.amdhsa_exception_fp_ieee_invalid_op 0
		.amdhsa_exception_fp_denorm_src 0
		.amdhsa_exception_fp_ieee_div_zero 0
		.amdhsa_exception_fp_ieee_overflow 0
		.amdhsa_exception_fp_ieee_underflow 0
		.amdhsa_exception_fp_ieee_inexact 0
		.amdhsa_exception_int_div_zero 0
	.end_amdhsa_kernel
	.section	.text._ZN7rocprim17ROCPRIM_400000_NS6detail17trampoline_kernelINS0_14default_configENS1_25partition_config_selectorILNS1_17partition_subalgoE6EjNS0_10empty_typeEbEEZZNS1_14partition_implILS5_6ELb0ES3_mN6thrust23THRUST_200600_302600_NS6detail15normal_iteratorINSA_10device_ptrIjEEEEPS6_SG_NS0_5tupleIJSF_S6_EEENSH_IJSG_SG_EEES6_PlJ5mod_3IjEEEE10hipError_tPvRmT3_T4_T5_T6_T7_T9_mT8_P12ihipStream_tbDpT10_ENKUlT_T0_E_clISt17integral_constantIbLb0EES15_IbLb1EEEEDaS11_S12_EUlS11_E_NS1_11comp_targetILNS1_3genE0ELNS1_11target_archE4294967295ELNS1_3gpuE0ELNS1_3repE0EEENS1_30default_config_static_selectorELNS0_4arch9wavefront6targetE0EEEvT1_,"axG",@progbits,_ZN7rocprim17ROCPRIM_400000_NS6detail17trampoline_kernelINS0_14default_configENS1_25partition_config_selectorILNS1_17partition_subalgoE6EjNS0_10empty_typeEbEEZZNS1_14partition_implILS5_6ELb0ES3_mN6thrust23THRUST_200600_302600_NS6detail15normal_iteratorINSA_10device_ptrIjEEEEPS6_SG_NS0_5tupleIJSF_S6_EEENSH_IJSG_SG_EEES6_PlJ5mod_3IjEEEE10hipError_tPvRmT3_T4_T5_T6_T7_T9_mT8_P12ihipStream_tbDpT10_ENKUlT_T0_E_clISt17integral_constantIbLb0EES15_IbLb1EEEEDaS11_S12_EUlS11_E_NS1_11comp_targetILNS1_3genE0ELNS1_11target_archE4294967295ELNS1_3gpuE0ELNS1_3repE0EEENS1_30default_config_static_selectorELNS0_4arch9wavefront6targetE0EEEvT1_,comdat
.Lfunc_end512:
	.size	_ZN7rocprim17ROCPRIM_400000_NS6detail17trampoline_kernelINS0_14default_configENS1_25partition_config_selectorILNS1_17partition_subalgoE6EjNS0_10empty_typeEbEEZZNS1_14partition_implILS5_6ELb0ES3_mN6thrust23THRUST_200600_302600_NS6detail15normal_iteratorINSA_10device_ptrIjEEEEPS6_SG_NS0_5tupleIJSF_S6_EEENSH_IJSG_SG_EEES6_PlJ5mod_3IjEEEE10hipError_tPvRmT3_T4_T5_T6_T7_T9_mT8_P12ihipStream_tbDpT10_ENKUlT_T0_E_clISt17integral_constantIbLb0EES15_IbLb1EEEEDaS11_S12_EUlS11_E_NS1_11comp_targetILNS1_3genE0ELNS1_11target_archE4294967295ELNS1_3gpuE0ELNS1_3repE0EEENS1_30default_config_static_selectorELNS0_4arch9wavefront6targetE0EEEvT1_, .Lfunc_end512-_ZN7rocprim17ROCPRIM_400000_NS6detail17trampoline_kernelINS0_14default_configENS1_25partition_config_selectorILNS1_17partition_subalgoE6EjNS0_10empty_typeEbEEZZNS1_14partition_implILS5_6ELb0ES3_mN6thrust23THRUST_200600_302600_NS6detail15normal_iteratorINSA_10device_ptrIjEEEEPS6_SG_NS0_5tupleIJSF_S6_EEENSH_IJSG_SG_EEES6_PlJ5mod_3IjEEEE10hipError_tPvRmT3_T4_T5_T6_T7_T9_mT8_P12ihipStream_tbDpT10_ENKUlT_T0_E_clISt17integral_constantIbLb0EES15_IbLb1EEEEDaS11_S12_EUlS11_E_NS1_11comp_targetILNS1_3genE0ELNS1_11target_archE4294967295ELNS1_3gpuE0ELNS1_3repE0EEENS1_30default_config_static_selectorELNS0_4arch9wavefront6targetE0EEEvT1_
                                        ; -- End function
	.section	.AMDGPU.csdata,"",@progbits
; Kernel info:
; codeLenInByte = 0
; NumSgprs: 0
; NumVgprs: 0
; ScratchSize: 0
; MemoryBound: 0
; FloatMode: 240
; IeeeMode: 1
; LDSByteSize: 0 bytes/workgroup (compile time only)
; SGPRBlocks: 0
; VGPRBlocks: 0
; NumSGPRsForWavesPerEU: 1
; NumVGPRsForWavesPerEU: 1
; Occupancy: 16
; WaveLimiterHint : 0
; COMPUTE_PGM_RSRC2:SCRATCH_EN: 0
; COMPUTE_PGM_RSRC2:USER_SGPR: 15
; COMPUTE_PGM_RSRC2:TRAP_HANDLER: 0
; COMPUTE_PGM_RSRC2:TGID_X_EN: 1
; COMPUTE_PGM_RSRC2:TGID_Y_EN: 0
; COMPUTE_PGM_RSRC2:TGID_Z_EN: 0
; COMPUTE_PGM_RSRC2:TIDIG_COMP_CNT: 0
	.section	.text._ZN7rocprim17ROCPRIM_400000_NS6detail17trampoline_kernelINS0_14default_configENS1_25partition_config_selectorILNS1_17partition_subalgoE6EjNS0_10empty_typeEbEEZZNS1_14partition_implILS5_6ELb0ES3_mN6thrust23THRUST_200600_302600_NS6detail15normal_iteratorINSA_10device_ptrIjEEEEPS6_SG_NS0_5tupleIJSF_S6_EEENSH_IJSG_SG_EEES6_PlJ5mod_3IjEEEE10hipError_tPvRmT3_T4_T5_T6_T7_T9_mT8_P12ihipStream_tbDpT10_ENKUlT_T0_E_clISt17integral_constantIbLb0EES15_IbLb1EEEEDaS11_S12_EUlS11_E_NS1_11comp_targetILNS1_3genE5ELNS1_11target_archE942ELNS1_3gpuE9ELNS1_3repE0EEENS1_30default_config_static_selectorELNS0_4arch9wavefront6targetE0EEEvT1_,"axG",@progbits,_ZN7rocprim17ROCPRIM_400000_NS6detail17trampoline_kernelINS0_14default_configENS1_25partition_config_selectorILNS1_17partition_subalgoE6EjNS0_10empty_typeEbEEZZNS1_14partition_implILS5_6ELb0ES3_mN6thrust23THRUST_200600_302600_NS6detail15normal_iteratorINSA_10device_ptrIjEEEEPS6_SG_NS0_5tupleIJSF_S6_EEENSH_IJSG_SG_EEES6_PlJ5mod_3IjEEEE10hipError_tPvRmT3_T4_T5_T6_T7_T9_mT8_P12ihipStream_tbDpT10_ENKUlT_T0_E_clISt17integral_constantIbLb0EES15_IbLb1EEEEDaS11_S12_EUlS11_E_NS1_11comp_targetILNS1_3genE5ELNS1_11target_archE942ELNS1_3gpuE9ELNS1_3repE0EEENS1_30default_config_static_selectorELNS0_4arch9wavefront6targetE0EEEvT1_,comdat
	.protected	_ZN7rocprim17ROCPRIM_400000_NS6detail17trampoline_kernelINS0_14default_configENS1_25partition_config_selectorILNS1_17partition_subalgoE6EjNS0_10empty_typeEbEEZZNS1_14partition_implILS5_6ELb0ES3_mN6thrust23THRUST_200600_302600_NS6detail15normal_iteratorINSA_10device_ptrIjEEEEPS6_SG_NS0_5tupleIJSF_S6_EEENSH_IJSG_SG_EEES6_PlJ5mod_3IjEEEE10hipError_tPvRmT3_T4_T5_T6_T7_T9_mT8_P12ihipStream_tbDpT10_ENKUlT_T0_E_clISt17integral_constantIbLb0EES15_IbLb1EEEEDaS11_S12_EUlS11_E_NS1_11comp_targetILNS1_3genE5ELNS1_11target_archE942ELNS1_3gpuE9ELNS1_3repE0EEENS1_30default_config_static_selectorELNS0_4arch9wavefront6targetE0EEEvT1_ ; -- Begin function _ZN7rocprim17ROCPRIM_400000_NS6detail17trampoline_kernelINS0_14default_configENS1_25partition_config_selectorILNS1_17partition_subalgoE6EjNS0_10empty_typeEbEEZZNS1_14partition_implILS5_6ELb0ES3_mN6thrust23THRUST_200600_302600_NS6detail15normal_iteratorINSA_10device_ptrIjEEEEPS6_SG_NS0_5tupleIJSF_S6_EEENSH_IJSG_SG_EEES6_PlJ5mod_3IjEEEE10hipError_tPvRmT3_T4_T5_T6_T7_T9_mT8_P12ihipStream_tbDpT10_ENKUlT_T0_E_clISt17integral_constantIbLb0EES15_IbLb1EEEEDaS11_S12_EUlS11_E_NS1_11comp_targetILNS1_3genE5ELNS1_11target_archE942ELNS1_3gpuE9ELNS1_3repE0EEENS1_30default_config_static_selectorELNS0_4arch9wavefront6targetE0EEEvT1_
	.globl	_ZN7rocprim17ROCPRIM_400000_NS6detail17trampoline_kernelINS0_14default_configENS1_25partition_config_selectorILNS1_17partition_subalgoE6EjNS0_10empty_typeEbEEZZNS1_14partition_implILS5_6ELb0ES3_mN6thrust23THRUST_200600_302600_NS6detail15normal_iteratorINSA_10device_ptrIjEEEEPS6_SG_NS0_5tupleIJSF_S6_EEENSH_IJSG_SG_EEES6_PlJ5mod_3IjEEEE10hipError_tPvRmT3_T4_T5_T6_T7_T9_mT8_P12ihipStream_tbDpT10_ENKUlT_T0_E_clISt17integral_constantIbLb0EES15_IbLb1EEEEDaS11_S12_EUlS11_E_NS1_11comp_targetILNS1_3genE5ELNS1_11target_archE942ELNS1_3gpuE9ELNS1_3repE0EEENS1_30default_config_static_selectorELNS0_4arch9wavefront6targetE0EEEvT1_
	.p2align	8
	.type	_ZN7rocprim17ROCPRIM_400000_NS6detail17trampoline_kernelINS0_14default_configENS1_25partition_config_selectorILNS1_17partition_subalgoE6EjNS0_10empty_typeEbEEZZNS1_14partition_implILS5_6ELb0ES3_mN6thrust23THRUST_200600_302600_NS6detail15normal_iteratorINSA_10device_ptrIjEEEEPS6_SG_NS0_5tupleIJSF_S6_EEENSH_IJSG_SG_EEES6_PlJ5mod_3IjEEEE10hipError_tPvRmT3_T4_T5_T6_T7_T9_mT8_P12ihipStream_tbDpT10_ENKUlT_T0_E_clISt17integral_constantIbLb0EES15_IbLb1EEEEDaS11_S12_EUlS11_E_NS1_11comp_targetILNS1_3genE5ELNS1_11target_archE942ELNS1_3gpuE9ELNS1_3repE0EEENS1_30default_config_static_selectorELNS0_4arch9wavefront6targetE0EEEvT1_,@function
_ZN7rocprim17ROCPRIM_400000_NS6detail17trampoline_kernelINS0_14default_configENS1_25partition_config_selectorILNS1_17partition_subalgoE6EjNS0_10empty_typeEbEEZZNS1_14partition_implILS5_6ELb0ES3_mN6thrust23THRUST_200600_302600_NS6detail15normal_iteratorINSA_10device_ptrIjEEEEPS6_SG_NS0_5tupleIJSF_S6_EEENSH_IJSG_SG_EEES6_PlJ5mod_3IjEEEE10hipError_tPvRmT3_T4_T5_T6_T7_T9_mT8_P12ihipStream_tbDpT10_ENKUlT_T0_E_clISt17integral_constantIbLb0EES15_IbLb1EEEEDaS11_S12_EUlS11_E_NS1_11comp_targetILNS1_3genE5ELNS1_11target_archE942ELNS1_3gpuE9ELNS1_3repE0EEENS1_30default_config_static_selectorELNS0_4arch9wavefront6targetE0EEEvT1_: ; @_ZN7rocprim17ROCPRIM_400000_NS6detail17trampoline_kernelINS0_14default_configENS1_25partition_config_selectorILNS1_17partition_subalgoE6EjNS0_10empty_typeEbEEZZNS1_14partition_implILS5_6ELb0ES3_mN6thrust23THRUST_200600_302600_NS6detail15normal_iteratorINSA_10device_ptrIjEEEEPS6_SG_NS0_5tupleIJSF_S6_EEENSH_IJSG_SG_EEES6_PlJ5mod_3IjEEEE10hipError_tPvRmT3_T4_T5_T6_T7_T9_mT8_P12ihipStream_tbDpT10_ENKUlT_T0_E_clISt17integral_constantIbLb0EES15_IbLb1EEEEDaS11_S12_EUlS11_E_NS1_11comp_targetILNS1_3genE5ELNS1_11target_archE942ELNS1_3gpuE9ELNS1_3repE0EEENS1_30default_config_static_selectorELNS0_4arch9wavefront6targetE0EEEvT1_
; %bb.0:
	.section	.rodata,"a",@progbits
	.p2align	6, 0x0
	.amdhsa_kernel _ZN7rocprim17ROCPRIM_400000_NS6detail17trampoline_kernelINS0_14default_configENS1_25partition_config_selectorILNS1_17partition_subalgoE6EjNS0_10empty_typeEbEEZZNS1_14partition_implILS5_6ELb0ES3_mN6thrust23THRUST_200600_302600_NS6detail15normal_iteratorINSA_10device_ptrIjEEEEPS6_SG_NS0_5tupleIJSF_S6_EEENSH_IJSG_SG_EEES6_PlJ5mod_3IjEEEE10hipError_tPvRmT3_T4_T5_T6_T7_T9_mT8_P12ihipStream_tbDpT10_ENKUlT_T0_E_clISt17integral_constantIbLb0EES15_IbLb1EEEEDaS11_S12_EUlS11_E_NS1_11comp_targetILNS1_3genE5ELNS1_11target_archE942ELNS1_3gpuE9ELNS1_3repE0EEENS1_30default_config_static_selectorELNS0_4arch9wavefront6targetE0EEEvT1_
		.amdhsa_group_segment_fixed_size 0
		.amdhsa_private_segment_fixed_size 0
		.amdhsa_kernarg_size 128
		.amdhsa_user_sgpr_count 15
		.amdhsa_user_sgpr_dispatch_ptr 0
		.amdhsa_user_sgpr_queue_ptr 0
		.amdhsa_user_sgpr_kernarg_segment_ptr 1
		.amdhsa_user_sgpr_dispatch_id 0
		.amdhsa_user_sgpr_private_segment_size 0
		.amdhsa_wavefront_size32 1
		.amdhsa_uses_dynamic_stack 0
		.amdhsa_enable_private_segment 0
		.amdhsa_system_sgpr_workgroup_id_x 1
		.amdhsa_system_sgpr_workgroup_id_y 0
		.amdhsa_system_sgpr_workgroup_id_z 0
		.amdhsa_system_sgpr_workgroup_info 0
		.amdhsa_system_vgpr_workitem_id 0
		.amdhsa_next_free_vgpr 1
		.amdhsa_next_free_sgpr 1
		.amdhsa_reserve_vcc 0
		.amdhsa_float_round_mode_32 0
		.amdhsa_float_round_mode_16_64 0
		.amdhsa_float_denorm_mode_32 3
		.amdhsa_float_denorm_mode_16_64 3
		.amdhsa_dx10_clamp 1
		.amdhsa_ieee_mode 1
		.amdhsa_fp16_overflow 0
		.amdhsa_workgroup_processor_mode 1
		.amdhsa_memory_ordered 1
		.amdhsa_forward_progress 0
		.amdhsa_shared_vgpr_count 0
		.amdhsa_exception_fp_ieee_invalid_op 0
		.amdhsa_exception_fp_denorm_src 0
		.amdhsa_exception_fp_ieee_div_zero 0
		.amdhsa_exception_fp_ieee_overflow 0
		.amdhsa_exception_fp_ieee_underflow 0
		.amdhsa_exception_fp_ieee_inexact 0
		.amdhsa_exception_int_div_zero 0
	.end_amdhsa_kernel
	.section	.text._ZN7rocprim17ROCPRIM_400000_NS6detail17trampoline_kernelINS0_14default_configENS1_25partition_config_selectorILNS1_17partition_subalgoE6EjNS0_10empty_typeEbEEZZNS1_14partition_implILS5_6ELb0ES3_mN6thrust23THRUST_200600_302600_NS6detail15normal_iteratorINSA_10device_ptrIjEEEEPS6_SG_NS0_5tupleIJSF_S6_EEENSH_IJSG_SG_EEES6_PlJ5mod_3IjEEEE10hipError_tPvRmT3_T4_T5_T6_T7_T9_mT8_P12ihipStream_tbDpT10_ENKUlT_T0_E_clISt17integral_constantIbLb0EES15_IbLb1EEEEDaS11_S12_EUlS11_E_NS1_11comp_targetILNS1_3genE5ELNS1_11target_archE942ELNS1_3gpuE9ELNS1_3repE0EEENS1_30default_config_static_selectorELNS0_4arch9wavefront6targetE0EEEvT1_,"axG",@progbits,_ZN7rocprim17ROCPRIM_400000_NS6detail17trampoline_kernelINS0_14default_configENS1_25partition_config_selectorILNS1_17partition_subalgoE6EjNS0_10empty_typeEbEEZZNS1_14partition_implILS5_6ELb0ES3_mN6thrust23THRUST_200600_302600_NS6detail15normal_iteratorINSA_10device_ptrIjEEEEPS6_SG_NS0_5tupleIJSF_S6_EEENSH_IJSG_SG_EEES6_PlJ5mod_3IjEEEE10hipError_tPvRmT3_T4_T5_T6_T7_T9_mT8_P12ihipStream_tbDpT10_ENKUlT_T0_E_clISt17integral_constantIbLb0EES15_IbLb1EEEEDaS11_S12_EUlS11_E_NS1_11comp_targetILNS1_3genE5ELNS1_11target_archE942ELNS1_3gpuE9ELNS1_3repE0EEENS1_30default_config_static_selectorELNS0_4arch9wavefront6targetE0EEEvT1_,comdat
.Lfunc_end513:
	.size	_ZN7rocprim17ROCPRIM_400000_NS6detail17trampoline_kernelINS0_14default_configENS1_25partition_config_selectorILNS1_17partition_subalgoE6EjNS0_10empty_typeEbEEZZNS1_14partition_implILS5_6ELb0ES3_mN6thrust23THRUST_200600_302600_NS6detail15normal_iteratorINSA_10device_ptrIjEEEEPS6_SG_NS0_5tupleIJSF_S6_EEENSH_IJSG_SG_EEES6_PlJ5mod_3IjEEEE10hipError_tPvRmT3_T4_T5_T6_T7_T9_mT8_P12ihipStream_tbDpT10_ENKUlT_T0_E_clISt17integral_constantIbLb0EES15_IbLb1EEEEDaS11_S12_EUlS11_E_NS1_11comp_targetILNS1_3genE5ELNS1_11target_archE942ELNS1_3gpuE9ELNS1_3repE0EEENS1_30default_config_static_selectorELNS0_4arch9wavefront6targetE0EEEvT1_, .Lfunc_end513-_ZN7rocprim17ROCPRIM_400000_NS6detail17trampoline_kernelINS0_14default_configENS1_25partition_config_selectorILNS1_17partition_subalgoE6EjNS0_10empty_typeEbEEZZNS1_14partition_implILS5_6ELb0ES3_mN6thrust23THRUST_200600_302600_NS6detail15normal_iteratorINSA_10device_ptrIjEEEEPS6_SG_NS0_5tupleIJSF_S6_EEENSH_IJSG_SG_EEES6_PlJ5mod_3IjEEEE10hipError_tPvRmT3_T4_T5_T6_T7_T9_mT8_P12ihipStream_tbDpT10_ENKUlT_T0_E_clISt17integral_constantIbLb0EES15_IbLb1EEEEDaS11_S12_EUlS11_E_NS1_11comp_targetILNS1_3genE5ELNS1_11target_archE942ELNS1_3gpuE9ELNS1_3repE0EEENS1_30default_config_static_selectorELNS0_4arch9wavefront6targetE0EEEvT1_
                                        ; -- End function
	.section	.AMDGPU.csdata,"",@progbits
; Kernel info:
; codeLenInByte = 0
; NumSgprs: 0
; NumVgprs: 0
; ScratchSize: 0
; MemoryBound: 0
; FloatMode: 240
; IeeeMode: 1
; LDSByteSize: 0 bytes/workgroup (compile time only)
; SGPRBlocks: 0
; VGPRBlocks: 0
; NumSGPRsForWavesPerEU: 1
; NumVGPRsForWavesPerEU: 1
; Occupancy: 16
; WaveLimiterHint : 0
; COMPUTE_PGM_RSRC2:SCRATCH_EN: 0
; COMPUTE_PGM_RSRC2:USER_SGPR: 15
; COMPUTE_PGM_RSRC2:TRAP_HANDLER: 0
; COMPUTE_PGM_RSRC2:TGID_X_EN: 1
; COMPUTE_PGM_RSRC2:TGID_Y_EN: 0
; COMPUTE_PGM_RSRC2:TGID_Z_EN: 0
; COMPUTE_PGM_RSRC2:TIDIG_COMP_CNT: 0
	.section	.text._ZN7rocprim17ROCPRIM_400000_NS6detail17trampoline_kernelINS0_14default_configENS1_25partition_config_selectorILNS1_17partition_subalgoE6EjNS0_10empty_typeEbEEZZNS1_14partition_implILS5_6ELb0ES3_mN6thrust23THRUST_200600_302600_NS6detail15normal_iteratorINSA_10device_ptrIjEEEEPS6_SG_NS0_5tupleIJSF_S6_EEENSH_IJSG_SG_EEES6_PlJ5mod_3IjEEEE10hipError_tPvRmT3_T4_T5_T6_T7_T9_mT8_P12ihipStream_tbDpT10_ENKUlT_T0_E_clISt17integral_constantIbLb0EES15_IbLb1EEEEDaS11_S12_EUlS11_E_NS1_11comp_targetILNS1_3genE4ELNS1_11target_archE910ELNS1_3gpuE8ELNS1_3repE0EEENS1_30default_config_static_selectorELNS0_4arch9wavefront6targetE0EEEvT1_,"axG",@progbits,_ZN7rocprim17ROCPRIM_400000_NS6detail17trampoline_kernelINS0_14default_configENS1_25partition_config_selectorILNS1_17partition_subalgoE6EjNS0_10empty_typeEbEEZZNS1_14partition_implILS5_6ELb0ES3_mN6thrust23THRUST_200600_302600_NS6detail15normal_iteratorINSA_10device_ptrIjEEEEPS6_SG_NS0_5tupleIJSF_S6_EEENSH_IJSG_SG_EEES6_PlJ5mod_3IjEEEE10hipError_tPvRmT3_T4_T5_T6_T7_T9_mT8_P12ihipStream_tbDpT10_ENKUlT_T0_E_clISt17integral_constantIbLb0EES15_IbLb1EEEEDaS11_S12_EUlS11_E_NS1_11comp_targetILNS1_3genE4ELNS1_11target_archE910ELNS1_3gpuE8ELNS1_3repE0EEENS1_30default_config_static_selectorELNS0_4arch9wavefront6targetE0EEEvT1_,comdat
	.protected	_ZN7rocprim17ROCPRIM_400000_NS6detail17trampoline_kernelINS0_14default_configENS1_25partition_config_selectorILNS1_17partition_subalgoE6EjNS0_10empty_typeEbEEZZNS1_14partition_implILS5_6ELb0ES3_mN6thrust23THRUST_200600_302600_NS6detail15normal_iteratorINSA_10device_ptrIjEEEEPS6_SG_NS0_5tupleIJSF_S6_EEENSH_IJSG_SG_EEES6_PlJ5mod_3IjEEEE10hipError_tPvRmT3_T4_T5_T6_T7_T9_mT8_P12ihipStream_tbDpT10_ENKUlT_T0_E_clISt17integral_constantIbLb0EES15_IbLb1EEEEDaS11_S12_EUlS11_E_NS1_11comp_targetILNS1_3genE4ELNS1_11target_archE910ELNS1_3gpuE8ELNS1_3repE0EEENS1_30default_config_static_selectorELNS0_4arch9wavefront6targetE0EEEvT1_ ; -- Begin function _ZN7rocprim17ROCPRIM_400000_NS6detail17trampoline_kernelINS0_14default_configENS1_25partition_config_selectorILNS1_17partition_subalgoE6EjNS0_10empty_typeEbEEZZNS1_14partition_implILS5_6ELb0ES3_mN6thrust23THRUST_200600_302600_NS6detail15normal_iteratorINSA_10device_ptrIjEEEEPS6_SG_NS0_5tupleIJSF_S6_EEENSH_IJSG_SG_EEES6_PlJ5mod_3IjEEEE10hipError_tPvRmT3_T4_T5_T6_T7_T9_mT8_P12ihipStream_tbDpT10_ENKUlT_T0_E_clISt17integral_constantIbLb0EES15_IbLb1EEEEDaS11_S12_EUlS11_E_NS1_11comp_targetILNS1_3genE4ELNS1_11target_archE910ELNS1_3gpuE8ELNS1_3repE0EEENS1_30default_config_static_selectorELNS0_4arch9wavefront6targetE0EEEvT1_
	.globl	_ZN7rocprim17ROCPRIM_400000_NS6detail17trampoline_kernelINS0_14default_configENS1_25partition_config_selectorILNS1_17partition_subalgoE6EjNS0_10empty_typeEbEEZZNS1_14partition_implILS5_6ELb0ES3_mN6thrust23THRUST_200600_302600_NS6detail15normal_iteratorINSA_10device_ptrIjEEEEPS6_SG_NS0_5tupleIJSF_S6_EEENSH_IJSG_SG_EEES6_PlJ5mod_3IjEEEE10hipError_tPvRmT3_T4_T5_T6_T7_T9_mT8_P12ihipStream_tbDpT10_ENKUlT_T0_E_clISt17integral_constantIbLb0EES15_IbLb1EEEEDaS11_S12_EUlS11_E_NS1_11comp_targetILNS1_3genE4ELNS1_11target_archE910ELNS1_3gpuE8ELNS1_3repE0EEENS1_30default_config_static_selectorELNS0_4arch9wavefront6targetE0EEEvT1_
	.p2align	8
	.type	_ZN7rocprim17ROCPRIM_400000_NS6detail17trampoline_kernelINS0_14default_configENS1_25partition_config_selectorILNS1_17partition_subalgoE6EjNS0_10empty_typeEbEEZZNS1_14partition_implILS5_6ELb0ES3_mN6thrust23THRUST_200600_302600_NS6detail15normal_iteratorINSA_10device_ptrIjEEEEPS6_SG_NS0_5tupleIJSF_S6_EEENSH_IJSG_SG_EEES6_PlJ5mod_3IjEEEE10hipError_tPvRmT3_T4_T5_T6_T7_T9_mT8_P12ihipStream_tbDpT10_ENKUlT_T0_E_clISt17integral_constantIbLb0EES15_IbLb1EEEEDaS11_S12_EUlS11_E_NS1_11comp_targetILNS1_3genE4ELNS1_11target_archE910ELNS1_3gpuE8ELNS1_3repE0EEENS1_30default_config_static_selectorELNS0_4arch9wavefront6targetE0EEEvT1_,@function
_ZN7rocprim17ROCPRIM_400000_NS6detail17trampoline_kernelINS0_14default_configENS1_25partition_config_selectorILNS1_17partition_subalgoE6EjNS0_10empty_typeEbEEZZNS1_14partition_implILS5_6ELb0ES3_mN6thrust23THRUST_200600_302600_NS6detail15normal_iteratorINSA_10device_ptrIjEEEEPS6_SG_NS0_5tupleIJSF_S6_EEENSH_IJSG_SG_EEES6_PlJ5mod_3IjEEEE10hipError_tPvRmT3_T4_T5_T6_T7_T9_mT8_P12ihipStream_tbDpT10_ENKUlT_T0_E_clISt17integral_constantIbLb0EES15_IbLb1EEEEDaS11_S12_EUlS11_E_NS1_11comp_targetILNS1_3genE4ELNS1_11target_archE910ELNS1_3gpuE8ELNS1_3repE0EEENS1_30default_config_static_selectorELNS0_4arch9wavefront6targetE0EEEvT1_: ; @_ZN7rocprim17ROCPRIM_400000_NS6detail17trampoline_kernelINS0_14default_configENS1_25partition_config_selectorILNS1_17partition_subalgoE6EjNS0_10empty_typeEbEEZZNS1_14partition_implILS5_6ELb0ES3_mN6thrust23THRUST_200600_302600_NS6detail15normal_iteratorINSA_10device_ptrIjEEEEPS6_SG_NS0_5tupleIJSF_S6_EEENSH_IJSG_SG_EEES6_PlJ5mod_3IjEEEE10hipError_tPvRmT3_T4_T5_T6_T7_T9_mT8_P12ihipStream_tbDpT10_ENKUlT_T0_E_clISt17integral_constantIbLb0EES15_IbLb1EEEEDaS11_S12_EUlS11_E_NS1_11comp_targetILNS1_3genE4ELNS1_11target_archE910ELNS1_3gpuE8ELNS1_3repE0EEENS1_30default_config_static_selectorELNS0_4arch9wavefront6targetE0EEEvT1_
; %bb.0:
	.section	.rodata,"a",@progbits
	.p2align	6, 0x0
	.amdhsa_kernel _ZN7rocprim17ROCPRIM_400000_NS6detail17trampoline_kernelINS0_14default_configENS1_25partition_config_selectorILNS1_17partition_subalgoE6EjNS0_10empty_typeEbEEZZNS1_14partition_implILS5_6ELb0ES3_mN6thrust23THRUST_200600_302600_NS6detail15normal_iteratorINSA_10device_ptrIjEEEEPS6_SG_NS0_5tupleIJSF_S6_EEENSH_IJSG_SG_EEES6_PlJ5mod_3IjEEEE10hipError_tPvRmT3_T4_T5_T6_T7_T9_mT8_P12ihipStream_tbDpT10_ENKUlT_T0_E_clISt17integral_constantIbLb0EES15_IbLb1EEEEDaS11_S12_EUlS11_E_NS1_11comp_targetILNS1_3genE4ELNS1_11target_archE910ELNS1_3gpuE8ELNS1_3repE0EEENS1_30default_config_static_selectorELNS0_4arch9wavefront6targetE0EEEvT1_
		.amdhsa_group_segment_fixed_size 0
		.amdhsa_private_segment_fixed_size 0
		.amdhsa_kernarg_size 128
		.amdhsa_user_sgpr_count 15
		.amdhsa_user_sgpr_dispatch_ptr 0
		.amdhsa_user_sgpr_queue_ptr 0
		.amdhsa_user_sgpr_kernarg_segment_ptr 1
		.amdhsa_user_sgpr_dispatch_id 0
		.amdhsa_user_sgpr_private_segment_size 0
		.amdhsa_wavefront_size32 1
		.amdhsa_uses_dynamic_stack 0
		.amdhsa_enable_private_segment 0
		.amdhsa_system_sgpr_workgroup_id_x 1
		.amdhsa_system_sgpr_workgroup_id_y 0
		.amdhsa_system_sgpr_workgroup_id_z 0
		.amdhsa_system_sgpr_workgroup_info 0
		.amdhsa_system_vgpr_workitem_id 0
		.amdhsa_next_free_vgpr 1
		.amdhsa_next_free_sgpr 1
		.amdhsa_reserve_vcc 0
		.amdhsa_float_round_mode_32 0
		.amdhsa_float_round_mode_16_64 0
		.amdhsa_float_denorm_mode_32 3
		.amdhsa_float_denorm_mode_16_64 3
		.amdhsa_dx10_clamp 1
		.amdhsa_ieee_mode 1
		.amdhsa_fp16_overflow 0
		.amdhsa_workgroup_processor_mode 1
		.amdhsa_memory_ordered 1
		.amdhsa_forward_progress 0
		.amdhsa_shared_vgpr_count 0
		.amdhsa_exception_fp_ieee_invalid_op 0
		.amdhsa_exception_fp_denorm_src 0
		.amdhsa_exception_fp_ieee_div_zero 0
		.amdhsa_exception_fp_ieee_overflow 0
		.amdhsa_exception_fp_ieee_underflow 0
		.amdhsa_exception_fp_ieee_inexact 0
		.amdhsa_exception_int_div_zero 0
	.end_amdhsa_kernel
	.section	.text._ZN7rocprim17ROCPRIM_400000_NS6detail17trampoline_kernelINS0_14default_configENS1_25partition_config_selectorILNS1_17partition_subalgoE6EjNS0_10empty_typeEbEEZZNS1_14partition_implILS5_6ELb0ES3_mN6thrust23THRUST_200600_302600_NS6detail15normal_iteratorINSA_10device_ptrIjEEEEPS6_SG_NS0_5tupleIJSF_S6_EEENSH_IJSG_SG_EEES6_PlJ5mod_3IjEEEE10hipError_tPvRmT3_T4_T5_T6_T7_T9_mT8_P12ihipStream_tbDpT10_ENKUlT_T0_E_clISt17integral_constantIbLb0EES15_IbLb1EEEEDaS11_S12_EUlS11_E_NS1_11comp_targetILNS1_3genE4ELNS1_11target_archE910ELNS1_3gpuE8ELNS1_3repE0EEENS1_30default_config_static_selectorELNS0_4arch9wavefront6targetE0EEEvT1_,"axG",@progbits,_ZN7rocprim17ROCPRIM_400000_NS6detail17trampoline_kernelINS0_14default_configENS1_25partition_config_selectorILNS1_17partition_subalgoE6EjNS0_10empty_typeEbEEZZNS1_14partition_implILS5_6ELb0ES3_mN6thrust23THRUST_200600_302600_NS6detail15normal_iteratorINSA_10device_ptrIjEEEEPS6_SG_NS0_5tupleIJSF_S6_EEENSH_IJSG_SG_EEES6_PlJ5mod_3IjEEEE10hipError_tPvRmT3_T4_T5_T6_T7_T9_mT8_P12ihipStream_tbDpT10_ENKUlT_T0_E_clISt17integral_constantIbLb0EES15_IbLb1EEEEDaS11_S12_EUlS11_E_NS1_11comp_targetILNS1_3genE4ELNS1_11target_archE910ELNS1_3gpuE8ELNS1_3repE0EEENS1_30default_config_static_selectorELNS0_4arch9wavefront6targetE0EEEvT1_,comdat
.Lfunc_end514:
	.size	_ZN7rocprim17ROCPRIM_400000_NS6detail17trampoline_kernelINS0_14default_configENS1_25partition_config_selectorILNS1_17partition_subalgoE6EjNS0_10empty_typeEbEEZZNS1_14partition_implILS5_6ELb0ES3_mN6thrust23THRUST_200600_302600_NS6detail15normal_iteratorINSA_10device_ptrIjEEEEPS6_SG_NS0_5tupleIJSF_S6_EEENSH_IJSG_SG_EEES6_PlJ5mod_3IjEEEE10hipError_tPvRmT3_T4_T5_T6_T7_T9_mT8_P12ihipStream_tbDpT10_ENKUlT_T0_E_clISt17integral_constantIbLb0EES15_IbLb1EEEEDaS11_S12_EUlS11_E_NS1_11comp_targetILNS1_3genE4ELNS1_11target_archE910ELNS1_3gpuE8ELNS1_3repE0EEENS1_30default_config_static_selectorELNS0_4arch9wavefront6targetE0EEEvT1_, .Lfunc_end514-_ZN7rocprim17ROCPRIM_400000_NS6detail17trampoline_kernelINS0_14default_configENS1_25partition_config_selectorILNS1_17partition_subalgoE6EjNS0_10empty_typeEbEEZZNS1_14partition_implILS5_6ELb0ES3_mN6thrust23THRUST_200600_302600_NS6detail15normal_iteratorINSA_10device_ptrIjEEEEPS6_SG_NS0_5tupleIJSF_S6_EEENSH_IJSG_SG_EEES6_PlJ5mod_3IjEEEE10hipError_tPvRmT3_T4_T5_T6_T7_T9_mT8_P12ihipStream_tbDpT10_ENKUlT_T0_E_clISt17integral_constantIbLb0EES15_IbLb1EEEEDaS11_S12_EUlS11_E_NS1_11comp_targetILNS1_3genE4ELNS1_11target_archE910ELNS1_3gpuE8ELNS1_3repE0EEENS1_30default_config_static_selectorELNS0_4arch9wavefront6targetE0EEEvT1_
                                        ; -- End function
	.section	.AMDGPU.csdata,"",@progbits
; Kernel info:
; codeLenInByte = 0
; NumSgprs: 0
; NumVgprs: 0
; ScratchSize: 0
; MemoryBound: 0
; FloatMode: 240
; IeeeMode: 1
; LDSByteSize: 0 bytes/workgroup (compile time only)
; SGPRBlocks: 0
; VGPRBlocks: 0
; NumSGPRsForWavesPerEU: 1
; NumVGPRsForWavesPerEU: 1
; Occupancy: 16
; WaveLimiterHint : 0
; COMPUTE_PGM_RSRC2:SCRATCH_EN: 0
; COMPUTE_PGM_RSRC2:USER_SGPR: 15
; COMPUTE_PGM_RSRC2:TRAP_HANDLER: 0
; COMPUTE_PGM_RSRC2:TGID_X_EN: 1
; COMPUTE_PGM_RSRC2:TGID_Y_EN: 0
; COMPUTE_PGM_RSRC2:TGID_Z_EN: 0
; COMPUTE_PGM_RSRC2:TIDIG_COMP_CNT: 0
	.section	.text._ZN7rocprim17ROCPRIM_400000_NS6detail17trampoline_kernelINS0_14default_configENS1_25partition_config_selectorILNS1_17partition_subalgoE6EjNS0_10empty_typeEbEEZZNS1_14partition_implILS5_6ELb0ES3_mN6thrust23THRUST_200600_302600_NS6detail15normal_iteratorINSA_10device_ptrIjEEEEPS6_SG_NS0_5tupleIJSF_S6_EEENSH_IJSG_SG_EEES6_PlJ5mod_3IjEEEE10hipError_tPvRmT3_T4_T5_T6_T7_T9_mT8_P12ihipStream_tbDpT10_ENKUlT_T0_E_clISt17integral_constantIbLb0EES15_IbLb1EEEEDaS11_S12_EUlS11_E_NS1_11comp_targetILNS1_3genE3ELNS1_11target_archE908ELNS1_3gpuE7ELNS1_3repE0EEENS1_30default_config_static_selectorELNS0_4arch9wavefront6targetE0EEEvT1_,"axG",@progbits,_ZN7rocprim17ROCPRIM_400000_NS6detail17trampoline_kernelINS0_14default_configENS1_25partition_config_selectorILNS1_17partition_subalgoE6EjNS0_10empty_typeEbEEZZNS1_14partition_implILS5_6ELb0ES3_mN6thrust23THRUST_200600_302600_NS6detail15normal_iteratorINSA_10device_ptrIjEEEEPS6_SG_NS0_5tupleIJSF_S6_EEENSH_IJSG_SG_EEES6_PlJ5mod_3IjEEEE10hipError_tPvRmT3_T4_T5_T6_T7_T9_mT8_P12ihipStream_tbDpT10_ENKUlT_T0_E_clISt17integral_constantIbLb0EES15_IbLb1EEEEDaS11_S12_EUlS11_E_NS1_11comp_targetILNS1_3genE3ELNS1_11target_archE908ELNS1_3gpuE7ELNS1_3repE0EEENS1_30default_config_static_selectorELNS0_4arch9wavefront6targetE0EEEvT1_,comdat
	.protected	_ZN7rocprim17ROCPRIM_400000_NS6detail17trampoline_kernelINS0_14default_configENS1_25partition_config_selectorILNS1_17partition_subalgoE6EjNS0_10empty_typeEbEEZZNS1_14partition_implILS5_6ELb0ES3_mN6thrust23THRUST_200600_302600_NS6detail15normal_iteratorINSA_10device_ptrIjEEEEPS6_SG_NS0_5tupleIJSF_S6_EEENSH_IJSG_SG_EEES6_PlJ5mod_3IjEEEE10hipError_tPvRmT3_T4_T5_T6_T7_T9_mT8_P12ihipStream_tbDpT10_ENKUlT_T0_E_clISt17integral_constantIbLb0EES15_IbLb1EEEEDaS11_S12_EUlS11_E_NS1_11comp_targetILNS1_3genE3ELNS1_11target_archE908ELNS1_3gpuE7ELNS1_3repE0EEENS1_30default_config_static_selectorELNS0_4arch9wavefront6targetE0EEEvT1_ ; -- Begin function _ZN7rocprim17ROCPRIM_400000_NS6detail17trampoline_kernelINS0_14default_configENS1_25partition_config_selectorILNS1_17partition_subalgoE6EjNS0_10empty_typeEbEEZZNS1_14partition_implILS5_6ELb0ES3_mN6thrust23THRUST_200600_302600_NS6detail15normal_iteratorINSA_10device_ptrIjEEEEPS6_SG_NS0_5tupleIJSF_S6_EEENSH_IJSG_SG_EEES6_PlJ5mod_3IjEEEE10hipError_tPvRmT3_T4_T5_T6_T7_T9_mT8_P12ihipStream_tbDpT10_ENKUlT_T0_E_clISt17integral_constantIbLb0EES15_IbLb1EEEEDaS11_S12_EUlS11_E_NS1_11comp_targetILNS1_3genE3ELNS1_11target_archE908ELNS1_3gpuE7ELNS1_3repE0EEENS1_30default_config_static_selectorELNS0_4arch9wavefront6targetE0EEEvT1_
	.globl	_ZN7rocprim17ROCPRIM_400000_NS6detail17trampoline_kernelINS0_14default_configENS1_25partition_config_selectorILNS1_17partition_subalgoE6EjNS0_10empty_typeEbEEZZNS1_14partition_implILS5_6ELb0ES3_mN6thrust23THRUST_200600_302600_NS6detail15normal_iteratorINSA_10device_ptrIjEEEEPS6_SG_NS0_5tupleIJSF_S6_EEENSH_IJSG_SG_EEES6_PlJ5mod_3IjEEEE10hipError_tPvRmT3_T4_T5_T6_T7_T9_mT8_P12ihipStream_tbDpT10_ENKUlT_T0_E_clISt17integral_constantIbLb0EES15_IbLb1EEEEDaS11_S12_EUlS11_E_NS1_11comp_targetILNS1_3genE3ELNS1_11target_archE908ELNS1_3gpuE7ELNS1_3repE0EEENS1_30default_config_static_selectorELNS0_4arch9wavefront6targetE0EEEvT1_
	.p2align	8
	.type	_ZN7rocprim17ROCPRIM_400000_NS6detail17trampoline_kernelINS0_14default_configENS1_25partition_config_selectorILNS1_17partition_subalgoE6EjNS0_10empty_typeEbEEZZNS1_14partition_implILS5_6ELb0ES3_mN6thrust23THRUST_200600_302600_NS6detail15normal_iteratorINSA_10device_ptrIjEEEEPS6_SG_NS0_5tupleIJSF_S6_EEENSH_IJSG_SG_EEES6_PlJ5mod_3IjEEEE10hipError_tPvRmT3_T4_T5_T6_T7_T9_mT8_P12ihipStream_tbDpT10_ENKUlT_T0_E_clISt17integral_constantIbLb0EES15_IbLb1EEEEDaS11_S12_EUlS11_E_NS1_11comp_targetILNS1_3genE3ELNS1_11target_archE908ELNS1_3gpuE7ELNS1_3repE0EEENS1_30default_config_static_selectorELNS0_4arch9wavefront6targetE0EEEvT1_,@function
_ZN7rocprim17ROCPRIM_400000_NS6detail17trampoline_kernelINS0_14default_configENS1_25partition_config_selectorILNS1_17partition_subalgoE6EjNS0_10empty_typeEbEEZZNS1_14partition_implILS5_6ELb0ES3_mN6thrust23THRUST_200600_302600_NS6detail15normal_iteratorINSA_10device_ptrIjEEEEPS6_SG_NS0_5tupleIJSF_S6_EEENSH_IJSG_SG_EEES6_PlJ5mod_3IjEEEE10hipError_tPvRmT3_T4_T5_T6_T7_T9_mT8_P12ihipStream_tbDpT10_ENKUlT_T0_E_clISt17integral_constantIbLb0EES15_IbLb1EEEEDaS11_S12_EUlS11_E_NS1_11comp_targetILNS1_3genE3ELNS1_11target_archE908ELNS1_3gpuE7ELNS1_3repE0EEENS1_30default_config_static_selectorELNS0_4arch9wavefront6targetE0EEEvT1_: ; @_ZN7rocprim17ROCPRIM_400000_NS6detail17trampoline_kernelINS0_14default_configENS1_25partition_config_selectorILNS1_17partition_subalgoE6EjNS0_10empty_typeEbEEZZNS1_14partition_implILS5_6ELb0ES3_mN6thrust23THRUST_200600_302600_NS6detail15normal_iteratorINSA_10device_ptrIjEEEEPS6_SG_NS0_5tupleIJSF_S6_EEENSH_IJSG_SG_EEES6_PlJ5mod_3IjEEEE10hipError_tPvRmT3_T4_T5_T6_T7_T9_mT8_P12ihipStream_tbDpT10_ENKUlT_T0_E_clISt17integral_constantIbLb0EES15_IbLb1EEEEDaS11_S12_EUlS11_E_NS1_11comp_targetILNS1_3genE3ELNS1_11target_archE908ELNS1_3gpuE7ELNS1_3repE0EEENS1_30default_config_static_selectorELNS0_4arch9wavefront6targetE0EEEvT1_
; %bb.0:
	.section	.rodata,"a",@progbits
	.p2align	6, 0x0
	.amdhsa_kernel _ZN7rocprim17ROCPRIM_400000_NS6detail17trampoline_kernelINS0_14default_configENS1_25partition_config_selectorILNS1_17partition_subalgoE6EjNS0_10empty_typeEbEEZZNS1_14partition_implILS5_6ELb0ES3_mN6thrust23THRUST_200600_302600_NS6detail15normal_iteratorINSA_10device_ptrIjEEEEPS6_SG_NS0_5tupleIJSF_S6_EEENSH_IJSG_SG_EEES6_PlJ5mod_3IjEEEE10hipError_tPvRmT3_T4_T5_T6_T7_T9_mT8_P12ihipStream_tbDpT10_ENKUlT_T0_E_clISt17integral_constantIbLb0EES15_IbLb1EEEEDaS11_S12_EUlS11_E_NS1_11comp_targetILNS1_3genE3ELNS1_11target_archE908ELNS1_3gpuE7ELNS1_3repE0EEENS1_30default_config_static_selectorELNS0_4arch9wavefront6targetE0EEEvT1_
		.amdhsa_group_segment_fixed_size 0
		.amdhsa_private_segment_fixed_size 0
		.amdhsa_kernarg_size 128
		.amdhsa_user_sgpr_count 15
		.amdhsa_user_sgpr_dispatch_ptr 0
		.amdhsa_user_sgpr_queue_ptr 0
		.amdhsa_user_sgpr_kernarg_segment_ptr 1
		.amdhsa_user_sgpr_dispatch_id 0
		.amdhsa_user_sgpr_private_segment_size 0
		.amdhsa_wavefront_size32 1
		.amdhsa_uses_dynamic_stack 0
		.amdhsa_enable_private_segment 0
		.amdhsa_system_sgpr_workgroup_id_x 1
		.amdhsa_system_sgpr_workgroup_id_y 0
		.amdhsa_system_sgpr_workgroup_id_z 0
		.amdhsa_system_sgpr_workgroup_info 0
		.amdhsa_system_vgpr_workitem_id 0
		.amdhsa_next_free_vgpr 1
		.amdhsa_next_free_sgpr 1
		.amdhsa_reserve_vcc 0
		.amdhsa_float_round_mode_32 0
		.amdhsa_float_round_mode_16_64 0
		.amdhsa_float_denorm_mode_32 3
		.amdhsa_float_denorm_mode_16_64 3
		.amdhsa_dx10_clamp 1
		.amdhsa_ieee_mode 1
		.amdhsa_fp16_overflow 0
		.amdhsa_workgroup_processor_mode 1
		.amdhsa_memory_ordered 1
		.amdhsa_forward_progress 0
		.amdhsa_shared_vgpr_count 0
		.amdhsa_exception_fp_ieee_invalid_op 0
		.amdhsa_exception_fp_denorm_src 0
		.amdhsa_exception_fp_ieee_div_zero 0
		.amdhsa_exception_fp_ieee_overflow 0
		.amdhsa_exception_fp_ieee_underflow 0
		.amdhsa_exception_fp_ieee_inexact 0
		.amdhsa_exception_int_div_zero 0
	.end_amdhsa_kernel
	.section	.text._ZN7rocprim17ROCPRIM_400000_NS6detail17trampoline_kernelINS0_14default_configENS1_25partition_config_selectorILNS1_17partition_subalgoE6EjNS0_10empty_typeEbEEZZNS1_14partition_implILS5_6ELb0ES3_mN6thrust23THRUST_200600_302600_NS6detail15normal_iteratorINSA_10device_ptrIjEEEEPS6_SG_NS0_5tupleIJSF_S6_EEENSH_IJSG_SG_EEES6_PlJ5mod_3IjEEEE10hipError_tPvRmT3_T4_T5_T6_T7_T9_mT8_P12ihipStream_tbDpT10_ENKUlT_T0_E_clISt17integral_constantIbLb0EES15_IbLb1EEEEDaS11_S12_EUlS11_E_NS1_11comp_targetILNS1_3genE3ELNS1_11target_archE908ELNS1_3gpuE7ELNS1_3repE0EEENS1_30default_config_static_selectorELNS0_4arch9wavefront6targetE0EEEvT1_,"axG",@progbits,_ZN7rocprim17ROCPRIM_400000_NS6detail17trampoline_kernelINS0_14default_configENS1_25partition_config_selectorILNS1_17partition_subalgoE6EjNS0_10empty_typeEbEEZZNS1_14partition_implILS5_6ELb0ES3_mN6thrust23THRUST_200600_302600_NS6detail15normal_iteratorINSA_10device_ptrIjEEEEPS6_SG_NS0_5tupleIJSF_S6_EEENSH_IJSG_SG_EEES6_PlJ5mod_3IjEEEE10hipError_tPvRmT3_T4_T5_T6_T7_T9_mT8_P12ihipStream_tbDpT10_ENKUlT_T0_E_clISt17integral_constantIbLb0EES15_IbLb1EEEEDaS11_S12_EUlS11_E_NS1_11comp_targetILNS1_3genE3ELNS1_11target_archE908ELNS1_3gpuE7ELNS1_3repE0EEENS1_30default_config_static_selectorELNS0_4arch9wavefront6targetE0EEEvT1_,comdat
.Lfunc_end515:
	.size	_ZN7rocprim17ROCPRIM_400000_NS6detail17trampoline_kernelINS0_14default_configENS1_25partition_config_selectorILNS1_17partition_subalgoE6EjNS0_10empty_typeEbEEZZNS1_14partition_implILS5_6ELb0ES3_mN6thrust23THRUST_200600_302600_NS6detail15normal_iteratorINSA_10device_ptrIjEEEEPS6_SG_NS0_5tupleIJSF_S6_EEENSH_IJSG_SG_EEES6_PlJ5mod_3IjEEEE10hipError_tPvRmT3_T4_T5_T6_T7_T9_mT8_P12ihipStream_tbDpT10_ENKUlT_T0_E_clISt17integral_constantIbLb0EES15_IbLb1EEEEDaS11_S12_EUlS11_E_NS1_11comp_targetILNS1_3genE3ELNS1_11target_archE908ELNS1_3gpuE7ELNS1_3repE0EEENS1_30default_config_static_selectorELNS0_4arch9wavefront6targetE0EEEvT1_, .Lfunc_end515-_ZN7rocprim17ROCPRIM_400000_NS6detail17trampoline_kernelINS0_14default_configENS1_25partition_config_selectorILNS1_17partition_subalgoE6EjNS0_10empty_typeEbEEZZNS1_14partition_implILS5_6ELb0ES3_mN6thrust23THRUST_200600_302600_NS6detail15normal_iteratorINSA_10device_ptrIjEEEEPS6_SG_NS0_5tupleIJSF_S6_EEENSH_IJSG_SG_EEES6_PlJ5mod_3IjEEEE10hipError_tPvRmT3_T4_T5_T6_T7_T9_mT8_P12ihipStream_tbDpT10_ENKUlT_T0_E_clISt17integral_constantIbLb0EES15_IbLb1EEEEDaS11_S12_EUlS11_E_NS1_11comp_targetILNS1_3genE3ELNS1_11target_archE908ELNS1_3gpuE7ELNS1_3repE0EEENS1_30default_config_static_selectorELNS0_4arch9wavefront6targetE0EEEvT1_
                                        ; -- End function
	.section	.AMDGPU.csdata,"",@progbits
; Kernel info:
; codeLenInByte = 0
; NumSgprs: 0
; NumVgprs: 0
; ScratchSize: 0
; MemoryBound: 0
; FloatMode: 240
; IeeeMode: 1
; LDSByteSize: 0 bytes/workgroup (compile time only)
; SGPRBlocks: 0
; VGPRBlocks: 0
; NumSGPRsForWavesPerEU: 1
; NumVGPRsForWavesPerEU: 1
; Occupancy: 16
; WaveLimiterHint : 0
; COMPUTE_PGM_RSRC2:SCRATCH_EN: 0
; COMPUTE_PGM_RSRC2:USER_SGPR: 15
; COMPUTE_PGM_RSRC2:TRAP_HANDLER: 0
; COMPUTE_PGM_RSRC2:TGID_X_EN: 1
; COMPUTE_PGM_RSRC2:TGID_Y_EN: 0
; COMPUTE_PGM_RSRC2:TGID_Z_EN: 0
; COMPUTE_PGM_RSRC2:TIDIG_COMP_CNT: 0
	.section	.text._ZN7rocprim17ROCPRIM_400000_NS6detail17trampoline_kernelINS0_14default_configENS1_25partition_config_selectorILNS1_17partition_subalgoE6EjNS0_10empty_typeEbEEZZNS1_14partition_implILS5_6ELb0ES3_mN6thrust23THRUST_200600_302600_NS6detail15normal_iteratorINSA_10device_ptrIjEEEEPS6_SG_NS0_5tupleIJSF_S6_EEENSH_IJSG_SG_EEES6_PlJ5mod_3IjEEEE10hipError_tPvRmT3_T4_T5_T6_T7_T9_mT8_P12ihipStream_tbDpT10_ENKUlT_T0_E_clISt17integral_constantIbLb0EES15_IbLb1EEEEDaS11_S12_EUlS11_E_NS1_11comp_targetILNS1_3genE2ELNS1_11target_archE906ELNS1_3gpuE6ELNS1_3repE0EEENS1_30default_config_static_selectorELNS0_4arch9wavefront6targetE0EEEvT1_,"axG",@progbits,_ZN7rocprim17ROCPRIM_400000_NS6detail17trampoline_kernelINS0_14default_configENS1_25partition_config_selectorILNS1_17partition_subalgoE6EjNS0_10empty_typeEbEEZZNS1_14partition_implILS5_6ELb0ES3_mN6thrust23THRUST_200600_302600_NS6detail15normal_iteratorINSA_10device_ptrIjEEEEPS6_SG_NS0_5tupleIJSF_S6_EEENSH_IJSG_SG_EEES6_PlJ5mod_3IjEEEE10hipError_tPvRmT3_T4_T5_T6_T7_T9_mT8_P12ihipStream_tbDpT10_ENKUlT_T0_E_clISt17integral_constantIbLb0EES15_IbLb1EEEEDaS11_S12_EUlS11_E_NS1_11comp_targetILNS1_3genE2ELNS1_11target_archE906ELNS1_3gpuE6ELNS1_3repE0EEENS1_30default_config_static_selectorELNS0_4arch9wavefront6targetE0EEEvT1_,comdat
	.protected	_ZN7rocprim17ROCPRIM_400000_NS6detail17trampoline_kernelINS0_14default_configENS1_25partition_config_selectorILNS1_17partition_subalgoE6EjNS0_10empty_typeEbEEZZNS1_14partition_implILS5_6ELb0ES3_mN6thrust23THRUST_200600_302600_NS6detail15normal_iteratorINSA_10device_ptrIjEEEEPS6_SG_NS0_5tupleIJSF_S6_EEENSH_IJSG_SG_EEES6_PlJ5mod_3IjEEEE10hipError_tPvRmT3_T4_T5_T6_T7_T9_mT8_P12ihipStream_tbDpT10_ENKUlT_T0_E_clISt17integral_constantIbLb0EES15_IbLb1EEEEDaS11_S12_EUlS11_E_NS1_11comp_targetILNS1_3genE2ELNS1_11target_archE906ELNS1_3gpuE6ELNS1_3repE0EEENS1_30default_config_static_selectorELNS0_4arch9wavefront6targetE0EEEvT1_ ; -- Begin function _ZN7rocprim17ROCPRIM_400000_NS6detail17trampoline_kernelINS0_14default_configENS1_25partition_config_selectorILNS1_17partition_subalgoE6EjNS0_10empty_typeEbEEZZNS1_14partition_implILS5_6ELb0ES3_mN6thrust23THRUST_200600_302600_NS6detail15normal_iteratorINSA_10device_ptrIjEEEEPS6_SG_NS0_5tupleIJSF_S6_EEENSH_IJSG_SG_EEES6_PlJ5mod_3IjEEEE10hipError_tPvRmT3_T4_T5_T6_T7_T9_mT8_P12ihipStream_tbDpT10_ENKUlT_T0_E_clISt17integral_constantIbLb0EES15_IbLb1EEEEDaS11_S12_EUlS11_E_NS1_11comp_targetILNS1_3genE2ELNS1_11target_archE906ELNS1_3gpuE6ELNS1_3repE0EEENS1_30default_config_static_selectorELNS0_4arch9wavefront6targetE0EEEvT1_
	.globl	_ZN7rocprim17ROCPRIM_400000_NS6detail17trampoline_kernelINS0_14default_configENS1_25partition_config_selectorILNS1_17partition_subalgoE6EjNS0_10empty_typeEbEEZZNS1_14partition_implILS5_6ELb0ES3_mN6thrust23THRUST_200600_302600_NS6detail15normal_iteratorINSA_10device_ptrIjEEEEPS6_SG_NS0_5tupleIJSF_S6_EEENSH_IJSG_SG_EEES6_PlJ5mod_3IjEEEE10hipError_tPvRmT3_T4_T5_T6_T7_T9_mT8_P12ihipStream_tbDpT10_ENKUlT_T0_E_clISt17integral_constantIbLb0EES15_IbLb1EEEEDaS11_S12_EUlS11_E_NS1_11comp_targetILNS1_3genE2ELNS1_11target_archE906ELNS1_3gpuE6ELNS1_3repE0EEENS1_30default_config_static_selectorELNS0_4arch9wavefront6targetE0EEEvT1_
	.p2align	8
	.type	_ZN7rocprim17ROCPRIM_400000_NS6detail17trampoline_kernelINS0_14default_configENS1_25partition_config_selectorILNS1_17partition_subalgoE6EjNS0_10empty_typeEbEEZZNS1_14partition_implILS5_6ELb0ES3_mN6thrust23THRUST_200600_302600_NS6detail15normal_iteratorINSA_10device_ptrIjEEEEPS6_SG_NS0_5tupleIJSF_S6_EEENSH_IJSG_SG_EEES6_PlJ5mod_3IjEEEE10hipError_tPvRmT3_T4_T5_T6_T7_T9_mT8_P12ihipStream_tbDpT10_ENKUlT_T0_E_clISt17integral_constantIbLb0EES15_IbLb1EEEEDaS11_S12_EUlS11_E_NS1_11comp_targetILNS1_3genE2ELNS1_11target_archE906ELNS1_3gpuE6ELNS1_3repE0EEENS1_30default_config_static_selectorELNS0_4arch9wavefront6targetE0EEEvT1_,@function
_ZN7rocprim17ROCPRIM_400000_NS6detail17trampoline_kernelINS0_14default_configENS1_25partition_config_selectorILNS1_17partition_subalgoE6EjNS0_10empty_typeEbEEZZNS1_14partition_implILS5_6ELb0ES3_mN6thrust23THRUST_200600_302600_NS6detail15normal_iteratorINSA_10device_ptrIjEEEEPS6_SG_NS0_5tupleIJSF_S6_EEENSH_IJSG_SG_EEES6_PlJ5mod_3IjEEEE10hipError_tPvRmT3_T4_T5_T6_T7_T9_mT8_P12ihipStream_tbDpT10_ENKUlT_T0_E_clISt17integral_constantIbLb0EES15_IbLb1EEEEDaS11_S12_EUlS11_E_NS1_11comp_targetILNS1_3genE2ELNS1_11target_archE906ELNS1_3gpuE6ELNS1_3repE0EEENS1_30default_config_static_selectorELNS0_4arch9wavefront6targetE0EEEvT1_: ; @_ZN7rocprim17ROCPRIM_400000_NS6detail17trampoline_kernelINS0_14default_configENS1_25partition_config_selectorILNS1_17partition_subalgoE6EjNS0_10empty_typeEbEEZZNS1_14partition_implILS5_6ELb0ES3_mN6thrust23THRUST_200600_302600_NS6detail15normal_iteratorINSA_10device_ptrIjEEEEPS6_SG_NS0_5tupleIJSF_S6_EEENSH_IJSG_SG_EEES6_PlJ5mod_3IjEEEE10hipError_tPvRmT3_T4_T5_T6_T7_T9_mT8_P12ihipStream_tbDpT10_ENKUlT_T0_E_clISt17integral_constantIbLb0EES15_IbLb1EEEEDaS11_S12_EUlS11_E_NS1_11comp_targetILNS1_3genE2ELNS1_11target_archE906ELNS1_3gpuE6ELNS1_3repE0EEENS1_30default_config_static_selectorELNS0_4arch9wavefront6targetE0EEEvT1_
; %bb.0:
	.section	.rodata,"a",@progbits
	.p2align	6, 0x0
	.amdhsa_kernel _ZN7rocprim17ROCPRIM_400000_NS6detail17trampoline_kernelINS0_14default_configENS1_25partition_config_selectorILNS1_17partition_subalgoE6EjNS0_10empty_typeEbEEZZNS1_14partition_implILS5_6ELb0ES3_mN6thrust23THRUST_200600_302600_NS6detail15normal_iteratorINSA_10device_ptrIjEEEEPS6_SG_NS0_5tupleIJSF_S6_EEENSH_IJSG_SG_EEES6_PlJ5mod_3IjEEEE10hipError_tPvRmT3_T4_T5_T6_T7_T9_mT8_P12ihipStream_tbDpT10_ENKUlT_T0_E_clISt17integral_constantIbLb0EES15_IbLb1EEEEDaS11_S12_EUlS11_E_NS1_11comp_targetILNS1_3genE2ELNS1_11target_archE906ELNS1_3gpuE6ELNS1_3repE0EEENS1_30default_config_static_selectorELNS0_4arch9wavefront6targetE0EEEvT1_
		.amdhsa_group_segment_fixed_size 0
		.amdhsa_private_segment_fixed_size 0
		.amdhsa_kernarg_size 128
		.amdhsa_user_sgpr_count 15
		.amdhsa_user_sgpr_dispatch_ptr 0
		.amdhsa_user_sgpr_queue_ptr 0
		.amdhsa_user_sgpr_kernarg_segment_ptr 1
		.amdhsa_user_sgpr_dispatch_id 0
		.amdhsa_user_sgpr_private_segment_size 0
		.amdhsa_wavefront_size32 1
		.amdhsa_uses_dynamic_stack 0
		.amdhsa_enable_private_segment 0
		.amdhsa_system_sgpr_workgroup_id_x 1
		.amdhsa_system_sgpr_workgroup_id_y 0
		.amdhsa_system_sgpr_workgroup_id_z 0
		.amdhsa_system_sgpr_workgroup_info 0
		.amdhsa_system_vgpr_workitem_id 0
		.amdhsa_next_free_vgpr 1
		.amdhsa_next_free_sgpr 1
		.amdhsa_reserve_vcc 0
		.amdhsa_float_round_mode_32 0
		.amdhsa_float_round_mode_16_64 0
		.amdhsa_float_denorm_mode_32 3
		.amdhsa_float_denorm_mode_16_64 3
		.amdhsa_dx10_clamp 1
		.amdhsa_ieee_mode 1
		.amdhsa_fp16_overflow 0
		.amdhsa_workgroup_processor_mode 1
		.amdhsa_memory_ordered 1
		.amdhsa_forward_progress 0
		.amdhsa_shared_vgpr_count 0
		.amdhsa_exception_fp_ieee_invalid_op 0
		.amdhsa_exception_fp_denorm_src 0
		.amdhsa_exception_fp_ieee_div_zero 0
		.amdhsa_exception_fp_ieee_overflow 0
		.amdhsa_exception_fp_ieee_underflow 0
		.amdhsa_exception_fp_ieee_inexact 0
		.amdhsa_exception_int_div_zero 0
	.end_amdhsa_kernel
	.section	.text._ZN7rocprim17ROCPRIM_400000_NS6detail17trampoline_kernelINS0_14default_configENS1_25partition_config_selectorILNS1_17partition_subalgoE6EjNS0_10empty_typeEbEEZZNS1_14partition_implILS5_6ELb0ES3_mN6thrust23THRUST_200600_302600_NS6detail15normal_iteratorINSA_10device_ptrIjEEEEPS6_SG_NS0_5tupleIJSF_S6_EEENSH_IJSG_SG_EEES6_PlJ5mod_3IjEEEE10hipError_tPvRmT3_T4_T5_T6_T7_T9_mT8_P12ihipStream_tbDpT10_ENKUlT_T0_E_clISt17integral_constantIbLb0EES15_IbLb1EEEEDaS11_S12_EUlS11_E_NS1_11comp_targetILNS1_3genE2ELNS1_11target_archE906ELNS1_3gpuE6ELNS1_3repE0EEENS1_30default_config_static_selectorELNS0_4arch9wavefront6targetE0EEEvT1_,"axG",@progbits,_ZN7rocprim17ROCPRIM_400000_NS6detail17trampoline_kernelINS0_14default_configENS1_25partition_config_selectorILNS1_17partition_subalgoE6EjNS0_10empty_typeEbEEZZNS1_14partition_implILS5_6ELb0ES3_mN6thrust23THRUST_200600_302600_NS6detail15normal_iteratorINSA_10device_ptrIjEEEEPS6_SG_NS0_5tupleIJSF_S6_EEENSH_IJSG_SG_EEES6_PlJ5mod_3IjEEEE10hipError_tPvRmT3_T4_T5_T6_T7_T9_mT8_P12ihipStream_tbDpT10_ENKUlT_T0_E_clISt17integral_constantIbLb0EES15_IbLb1EEEEDaS11_S12_EUlS11_E_NS1_11comp_targetILNS1_3genE2ELNS1_11target_archE906ELNS1_3gpuE6ELNS1_3repE0EEENS1_30default_config_static_selectorELNS0_4arch9wavefront6targetE0EEEvT1_,comdat
.Lfunc_end516:
	.size	_ZN7rocprim17ROCPRIM_400000_NS6detail17trampoline_kernelINS0_14default_configENS1_25partition_config_selectorILNS1_17partition_subalgoE6EjNS0_10empty_typeEbEEZZNS1_14partition_implILS5_6ELb0ES3_mN6thrust23THRUST_200600_302600_NS6detail15normal_iteratorINSA_10device_ptrIjEEEEPS6_SG_NS0_5tupleIJSF_S6_EEENSH_IJSG_SG_EEES6_PlJ5mod_3IjEEEE10hipError_tPvRmT3_T4_T5_T6_T7_T9_mT8_P12ihipStream_tbDpT10_ENKUlT_T0_E_clISt17integral_constantIbLb0EES15_IbLb1EEEEDaS11_S12_EUlS11_E_NS1_11comp_targetILNS1_3genE2ELNS1_11target_archE906ELNS1_3gpuE6ELNS1_3repE0EEENS1_30default_config_static_selectorELNS0_4arch9wavefront6targetE0EEEvT1_, .Lfunc_end516-_ZN7rocprim17ROCPRIM_400000_NS6detail17trampoline_kernelINS0_14default_configENS1_25partition_config_selectorILNS1_17partition_subalgoE6EjNS0_10empty_typeEbEEZZNS1_14partition_implILS5_6ELb0ES3_mN6thrust23THRUST_200600_302600_NS6detail15normal_iteratorINSA_10device_ptrIjEEEEPS6_SG_NS0_5tupleIJSF_S6_EEENSH_IJSG_SG_EEES6_PlJ5mod_3IjEEEE10hipError_tPvRmT3_T4_T5_T6_T7_T9_mT8_P12ihipStream_tbDpT10_ENKUlT_T0_E_clISt17integral_constantIbLb0EES15_IbLb1EEEEDaS11_S12_EUlS11_E_NS1_11comp_targetILNS1_3genE2ELNS1_11target_archE906ELNS1_3gpuE6ELNS1_3repE0EEENS1_30default_config_static_selectorELNS0_4arch9wavefront6targetE0EEEvT1_
                                        ; -- End function
	.section	.AMDGPU.csdata,"",@progbits
; Kernel info:
; codeLenInByte = 0
; NumSgprs: 0
; NumVgprs: 0
; ScratchSize: 0
; MemoryBound: 0
; FloatMode: 240
; IeeeMode: 1
; LDSByteSize: 0 bytes/workgroup (compile time only)
; SGPRBlocks: 0
; VGPRBlocks: 0
; NumSGPRsForWavesPerEU: 1
; NumVGPRsForWavesPerEU: 1
; Occupancy: 15
; WaveLimiterHint : 0
; COMPUTE_PGM_RSRC2:SCRATCH_EN: 0
; COMPUTE_PGM_RSRC2:USER_SGPR: 15
; COMPUTE_PGM_RSRC2:TRAP_HANDLER: 0
; COMPUTE_PGM_RSRC2:TGID_X_EN: 1
; COMPUTE_PGM_RSRC2:TGID_Y_EN: 0
; COMPUTE_PGM_RSRC2:TGID_Z_EN: 0
; COMPUTE_PGM_RSRC2:TIDIG_COMP_CNT: 0
	.section	.text._ZN7rocprim17ROCPRIM_400000_NS6detail17trampoline_kernelINS0_14default_configENS1_25partition_config_selectorILNS1_17partition_subalgoE6EjNS0_10empty_typeEbEEZZNS1_14partition_implILS5_6ELb0ES3_mN6thrust23THRUST_200600_302600_NS6detail15normal_iteratorINSA_10device_ptrIjEEEEPS6_SG_NS0_5tupleIJSF_S6_EEENSH_IJSG_SG_EEES6_PlJ5mod_3IjEEEE10hipError_tPvRmT3_T4_T5_T6_T7_T9_mT8_P12ihipStream_tbDpT10_ENKUlT_T0_E_clISt17integral_constantIbLb0EES15_IbLb1EEEEDaS11_S12_EUlS11_E_NS1_11comp_targetILNS1_3genE10ELNS1_11target_archE1200ELNS1_3gpuE4ELNS1_3repE0EEENS1_30default_config_static_selectorELNS0_4arch9wavefront6targetE0EEEvT1_,"axG",@progbits,_ZN7rocprim17ROCPRIM_400000_NS6detail17trampoline_kernelINS0_14default_configENS1_25partition_config_selectorILNS1_17partition_subalgoE6EjNS0_10empty_typeEbEEZZNS1_14partition_implILS5_6ELb0ES3_mN6thrust23THRUST_200600_302600_NS6detail15normal_iteratorINSA_10device_ptrIjEEEEPS6_SG_NS0_5tupleIJSF_S6_EEENSH_IJSG_SG_EEES6_PlJ5mod_3IjEEEE10hipError_tPvRmT3_T4_T5_T6_T7_T9_mT8_P12ihipStream_tbDpT10_ENKUlT_T0_E_clISt17integral_constantIbLb0EES15_IbLb1EEEEDaS11_S12_EUlS11_E_NS1_11comp_targetILNS1_3genE10ELNS1_11target_archE1200ELNS1_3gpuE4ELNS1_3repE0EEENS1_30default_config_static_selectorELNS0_4arch9wavefront6targetE0EEEvT1_,comdat
	.protected	_ZN7rocprim17ROCPRIM_400000_NS6detail17trampoline_kernelINS0_14default_configENS1_25partition_config_selectorILNS1_17partition_subalgoE6EjNS0_10empty_typeEbEEZZNS1_14partition_implILS5_6ELb0ES3_mN6thrust23THRUST_200600_302600_NS6detail15normal_iteratorINSA_10device_ptrIjEEEEPS6_SG_NS0_5tupleIJSF_S6_EEENSH_IJSG_SG_EEES6_PlJ5mod_3IjEEEE10hipError_tPvRmT3_T4_T5_T6_T7_T9_mT8_P12ihipStream_tbDpT10_ENKUlT_T0_E_clISt17integral_constantIbLb0EES15_IbLb1EEEEDaS11_S12_EUlS11_E_NS1_11comp_targetILNS1_3genE10ELNS1_11target_archE1200ELNS1_3gpuE4ELNS1_3repE0EEENS1_30default_config_static_selectorELNS0_4arch9wavefront6targetE0EEEvT1_ ; -- Begin function _ZN7rocprim17ROCPRIM_400000_NS6detail17trampoline_kernelINS0_14default_configENS1_25partition_config_selectorILNS1_17partition_subalgoE6EjNS0_10empty_typeEbEEZZNS1_14partition_implILS5_6ELb0ES3_mN6thrust23THRUST_200600_302600_NS6detail15normal_iteratorINSA_10device_ptrIjEEEEPS6_SG_NS0_5tupleIJSF_S6_EEENSH_IJSG_SG_EEES6_PlJ5mod_3IjEEEE10hipError_tPvRmT3_T4_T5_T6_T7_T9_mT8_P12ihipStream_tbDpT10_ENKUlT_T0_E_clISt17integral_constantIbLb0EES15_IbLb1EEEEDaS11_S12_EUlS11_E_NS1_11comp_targetILNS1_3genE10ELNS1_11target_archE1200ELNS1_3gpuE4ELNS1_3repE0EEENS1_30default_config_static_selectorELNS0_4arch9wavefront6targetE0EEEvT1_
	.globl	_ZN7rocprim17ROCPRIM_400000_NS6detail17trampoline_kernelINS0_14default_configENS1_25partition_config_selectorILNS1_17partition_subalgoE6EjNS0_10empty_typeEbEEZZNS1_14partition_implILS5_6ELb0ES3_mN6thrust23THRUST_200600_302600_NS6detail15normal_iteratorINSA_10device_ptrIjEEEEPS6_SG_NS0_5tupleIJSF_S6_EEENSH_IJSG_SG_EEES6_PlJ5mod_3IjEEEE10hipError_tPvRmT3_T4_T5_T6_T7_T9_mT8_P12ihipStream_tbDpT10_ENKUlT_T0_E_clISt17integral_constantIbLb0EES15_IbLb1EEEEDaS11_S12_EUlS11_E_NS1_11comp_targetILNS1_3genE10ELNS1_11target_archE1200ELNS1_3gpuE4ELNS1_3repE0EEENS1_30default_config_static_selectorELNS0_4arch9wavefront6targetE0EEEvT1_
	.p2align	8
	.type	_ZN7rocprim17ROCPRIM_400000_NS6detail17trampoline_kernelINS0_14default_configENS1_25partition_config_selectorILNS1_17partition_subalgoE6EjNS0_10empty_typeEbEEZZNS1_14partition_implILS5_6ELb0ES3_mN6thrust23THRUST_200600_302600_NS6detail15normal_iteratorINSA_10device_ptrIjEEEEPS6_SG_NS0_5tupleIJSF_S6_EEENSH_IJSG_SG_EEES6_PlJ5mod_3IjEEEE10hipError_tPvRmT3_T4_T5_T6_T7_T9_mT8_P12ihipStream_tbDpT10_ENKUlT_T0_E_clISt17integral_constantIbLb0EES15_IbLb1EEEEDaS11_S12_EUlS11_E_NS1_11comp_targetILNS1_3genE10ELNS1_11target_archE1200ELNS1_3gpuE4ELNS1_3repE0EEENS1_30default_config_static_selectorELNS0_4arch9wavefront6targetE0EEEvT1_,@function
_ZN7rocprim17ROCPRIM_400000_NS6detail17trampoline_kernelINS0_14default_configENS1_25partition_config_selectorILNS1_17partition_subalgoE6EjNS0_10empty_typeEbEEZZNS1_14partition_implILS5_6ELb0ES3_mN6thrust23THRUST_200600_302600_NS6detail15normal_iteratorINSA_10device_ptrIjEEEEPS6_SG_NS0_5tupleIJSF_S6_EEENSH_IJSG_SG_EEES6_PlJ5mod_3IjEEEE10hipError_tPvRmT3_T4_T5_T6_T7_T9_mT8_P12ihipStream_tbDpT10_ENKUlT_T0_E_clISt17integral_constantIbLb0EES15_IbLb1EEEEDaS11_S12_EUlS11_E_NS1_11comp_targetILNS1_3genE10ELNS1_11target_archE1200ELNS1_3gpuE4ELNS1_3repE0EEENS1_30default_config_static_selectorELNS0_4arch9wavefront6targetE0EEEvT1_: ; @_ZN7rocprim17ROCPRIM_400000_NS6detail17trampoline_kernelINS0_14default_configENS1_25partition_config_selectorILNS1_17partition_subalgoE6EjNS0_10empty_typeEbEEZZNS1_14partition_implILS5_6ELb0ES3_mN6thrust23THRUST_200600_302600_NS6detail15normal_iteratorINSA_10device_ptrIjEEEEPS6_SG_NS0_5tupleIJSF_S6_EEENSH_IJSG_SG_EEES6_PlJ5mod_3IjEEEE10hipError_tPvRmT3_T4_T5_T6_T7_T9_mT8_P12ihipStream_tbDpT10_ENKUlT_T0_E_clISt17integral_constantIbLb0EES15_IbLb1EEEEDaS11_S12_EUlS11_E_NS1_11comp_targetILNS1_3genE10ELNS1_11target_archE1200ELNS1_3gpuE4ELNS1_3repE0EEENS1_30default_config_static_selectorELNS0_4arch9wavefront6targetE0EEEvT1_
; %bb.0:
	.section	.rodata,"a",@progbits
	.p2align	6, 0x0
	.amdhsa_kernel _ZN7rocprim17ROCPRIM_400000_NS6detail17trampoline_kernelINS0_14default_configENS1_25partition_config_selectorILNS1_17partition_subalgoE6EjNS0_10empty_typeEbEEZZNS1_14partition_implILS5_6ELb0ES3_mN6thrust23THRUST_200600_302600_NS6detail15normal_iteratorINSA_10device_ptrIjEEEEPS6_SG_NS0_5tupleIJSF_S6_EEENSH_IJSG_SG_EEES6_PlJ5mod_3IjEEEE10hipError_tPvRmT3_T4_T5_T6_T7_T9_mT8_P12ihipStream_tbDpT10_ENKUlT_T0_E_clISt17integral_constantIbLb0EES15_IbLb1EEEEDaS11_S12_EUlS11_E_NS1_11comp_targetILNS1_3genE10ELNS1_11target_archE1200ELNS1_3gpuE4ELNS1_3repE0EEENS1_30default_config_static_selectorELNS0_4arch9wavefront6targetE0EEEvT1_
		.amdhsa_group_segment_fixed_size 0
		.amdhsa_private_segment_fixed_size 0
		.amdhsa_kernarg_size 128
		.amdhsa_user_sgpr_count 15
		.amdhsa_user_sgpr_dispatch_ptr 0
		.amdhsa_user_sgpr_queue_ptr 0
		.amdhsa_user_sgpr_kernarg_segment_ptr 1
		.amdhsa_user_sgpr_dispatch_id 0
		.amdhsa_user_sgpr_private_segment_size 0
		.amdhsa_wavefront_size32 1
		.amdhsa_uses_dynamic_stack 0
		.amdhsa_enable_private_segment 0
		.amdhsa_system_sgpr_workgroup_id_x 1
		.amdhsa_system_sgpr_workgroup_id_y 0
		.amdhsa_system_sgpr_workgroup_id_z 0
		.amdhsa_system_sgpr_workgroup_info 0
		.amdhsa_system_vgpr_workitem_id 0
		.amdhsa_next_free_vgpr 1
		.amdhsa_next_free_sgpr 1
		.amdhsa_reserve_vcc 0
		.amdhsa_float_round_mode_32 0
		.amdhsa_float_round_mode_16_64 0
		.amdhsa_float_denorm_mode_32 3
		.amdhsa_float_denorm_mode_16_64 3
		.amdhsa_dx10_clamp 1
		.amdhsa_ieee_mode 1
		.amdhsa_fp16_overflow 0
		.amdhsa_workgroup_processor_mode 1
		.amdhsa_memory_ordered 1
		.amdhsa_forward_progress 0
		.amdhsa_shared_vgpr_count 0
		.amdhsa_exception_fp_ieee_invalid_op 0
		.amdhsa_exception_fp_denorm_src 0
		.amdhsa_exception_fp_ieee_div_zero 0
		.amdhsa_exception_fp_ieee_overflow 0
		.amdhsa_exception_fp_ieee_underflow 0
		.amdhsa_exception_fp_ieee_inexact 0
		.amdhsa_exception_int_div_zero 0
	.end_amdhsa_kernel
	.section	.text._ZN7rocprim17ROCPRIM_400000_NS6detail17trampoline_kernelINS0_14default_configENS1_25partition_config_selectorILNS1_17partition_subalgoE6EjNS0_10empty_typeEbEEZZNS1_14partition_implILS5_6ELb0ES3_mN6thrust23THRUST_200600_302600_NS6detail15normal_iteratorINSA_10device_ptrIjEEEEPS6_SG_NS0_5tupleIJSF_S6_EEENSH_IJSG_SG_EEES6_PlJ5mod_3IjEEEE10hipError_tPvRmT3_T4_T5_T6_T7_T9_mT8_P12ihipStream_tbDpT10_ENKUlT_T0_E_clISt17integral_constantIbLb0EES15_IbLb1EEEEDaS11_S12_EUlS11_E_NS1_11comp_targetILNS1_3genE10ELNS1_11target_archE1200ELNS1_3gpuE4ELNS1_3repE0EEENS1_30default_config_static_selectorELNS0_4arch9wavefront6targetE0EEEvT1_,"axG",@progbits,_ZN7rocprim17ROCPRIM_400000_NS6detail17trampoline_kernelINS0_14default_configENS1_25partition_config_selectorILNS1_17partition_subalgoE6EjNS0_10empty_typeEbEEZZNS1_14partition_implILS5_6ELb0ES3_mN6thrust23THRUST_200600_302600_NS6detail15normal_iteratorINSA_10device_ptrIjEEEEPS6_SG_NS0_5tupleIJSF_S6_EEENSH_IJSG_SG_EEES6_PlJ5mod_3IjEEEE10hipError_tPvRmT3_T4_T5_T6_T7_T9_mT8_P12ihipStream_tbDpT10_ENKUlT_T0_E_clISt17integral_constantIbLb0EES15_IbLb1EEEEDaS11_S12_EUlS11_E_NS1_11comp_targetILNS1_3genE10ELNS1_11target_archE1200ELNS1_3gpuE4ELNS1_3repE0EEENS1_30default_config_static_selectorELNS0_4arch9wavefront6targetE0EEEvT1_,comdat
.Lfunc_end517:
	.size	_ZN7rocprim17ROCPRIM_400000_NS6detail17trampoline_kernelINS0_14default_configENS1_25partition_config_selectorILNS1_17partition_subalgoE6EjNS0_10empty_typeEbEEZZNS1_14partition_implILS5_6ELb0ES3_mN6thrust23THRUST_200600_302600_NS6detail15normal_iteratorINSA_10device_ptrIjEEEEPS6_SG_NS0_5tupleIJSF_S6_EEENSH_IJSG_SG_EEES6_PlJ5mod_3IjEEEE10hipError_tPvRmT3_T4_T5_T6_T7_T9_mT8_P12ihipStream_tbDpT10_ENKUlT_T0_E_clISt17integral_constantIbLb0EES15_IbLb1EEEEDaS11_S12_EUlS11_E_NS1_11comp_targetILNS1_3genE10ELNS1_11target_archE1200ELNS1_3gpuE4ELNS1_3repE0EEENS1_30default_config_static_selectorELNS0_4arch9wavefront6targetE0EEEvT1_, .Lfunc_end517-_ZN7rocprim17ROCPRIM_400000_NS6detail17trampoline_kernelINS0_14default_configENS1_25partition_config_selectorILNS1_17partition_subalgoE6EjNS0_10empty_typeEbEEZZNS1_14partition_implILS5_6ELb0ES3_mN6thrust23THRUST_200600_302600_NS6detail15normal_iteratorINSA_10device_ptrIjEEEEPS6_SG_NS0_5tupleIJSF_S6_EEENSH_IJSG_SG_EEES6_PlJ5mod_3IjEEEE10hipError_tPvRmT3_T4_T5_T6_T7_T9_mT8_P12ihipStream_tbDpT10_ENKUlT_T0_E_clISt17integral_constantIbLb0EES15_IbLb1EEEEDaS11_S12_EUlS11_E_NS1_11comp_targetILNS1_3genE10ELNS1_11target_archE1200ELNS1_3gpuE4ELNS1_3repE0EEENS1_30default_config_static_selectorELNS0_4arch9wavefront6targetE0EEEvT1_
                                        ; -- End function
	.section	.AMDGPU.csdata,"",@progbits
; Kernel info:
; codeLenInByte = 0
; NumSgprs: 0
; NumVgprs: 0
; ScratchSize: 0
; MemoryBound: 0
; FloatMode: 240
; IeeeMode: 1
; LDSByteSize: 0 bytes/workgroup (compile time only)
; SGPRBlocks: 0
; VGPRBlocks: 0
; NumSGPRsForWavesPerEU: 1
; NumVGPRsForWavesPerEU: 1
; Occupancy: 15
; WaveLimiterHint : 0
; COMPUTE_PGM_RSRC2:SCRATCH_EN: 0
; COMPUTE_PGM_RSRC2:USER_SGPR: 15
; COMPUTE_PGM_RSRC2:TRAP_HANDLER: 0
; COMPUTE_PGM_RSRC2:TGID_X_EN: 1
; COMPUTE_PGM_RSRC2:TGID_Y_EN: 0
; COMPUTE_PGM_RSRC2:TGID_Z_EN: 0
; COMPUTE_PGM_RSRC2:TIDIG_COMP_CNT: 0
	.section	.text._ZN7rocprim17ROCPRIM_400000_NS6detail17trampoline_kernelINS0_14default_configENS1_25partition_config_selectorILNS1_17partition_subalgoE6EjNS0_10empty_typeEbEEZZNS1_14partition_implILS5_6ELb0ES3_mN6thrust23THRUST_200600_302600_NS6detail15normal_iteratorINSA_10device_ptrIjEEEEPS6_SG_NS0_5tupleIJSF_S6_EEENSH_IJSG_SG_EEES6_PlJ5mod_3IjEEEE10hipError_tPvRmT3_T4_T5_T6_T7_T9_mT8_P12ihipStream_tbDpT10_ENKUlT_T0_E_clISt17integral_constantIbLb0EES15_IbLb1EEEEDaS11_S12_EUlS11_E_NS1_11comp_targetILNS1_3genE9ELNS1_11target_archE1100ELNS1_3gpuE3ELNS1_3repE0EEENS1_30default_config_static_selectorELNS0_4arch9wavefront6targetE0EEEvT1_,"axG",@progbits,_ZN7rocprim17ROCPRIM_400000_NS6detail17trampoline_kernelINS0_14default_configENS1_25partition_config_selectorILNS1_17partition_subalgoE6EjNS0_10empty_typeEbEEZZNS1_14partition_implILS5_6ELb0ES3_mN6thrust23THRUST_200600_302600_NS6detail15normal_iteratorINSA_10device_ptrIjEEEEPS6_SG_NS0_5tupleIJSF_S6_EEENSH_IJSG_SG_EEES6_PlJ5mod_3IjEEEE10hipError_tPvRmT3_T4_T5_T6_T7_T9_mT8_P12ihipStream_tbDpT10_ENKUlT_T0_E_clISt17integral_constantIbLb0EES15_IbLb1EEEEDaS11_S12_EUlS11_E_NS1_11comp_targetILNS1_3genE9ELNS1_11target_archE1100ELNS1_3gpuE3ELNS1_3repE0EEENS1_30default_config_static_selectorELNS0_4arch9wavefront6targetE0EEEvT1_,comdat
	.protected	_ZN7rocprim17ROCPRIM_400000_NS6detail17trampoline_kernelINS0_14default_configENS1_25partition_config_selectorILNS1_17partition_subalgoE6EjNS0_10empty_typeEbEEZZNS1_14partition_implILS5_6ELb0ES3_mN6thrust23THRUST_200600_302600_NS6detail15normal_iteratorINSA_10device_ptrIjEEEEPS6_SG_NS0_5tupleIJSF_S6_EEENSH_IJSG_SG_EEES6_PlJ5mod_3IjEEEE10hipError_tPvRmT3_T4_T5_T6_T7_T9_mT8_P12ihipStream_tbDpT10_ENKUlT_T0_E_clISt17integral_constantIbLb0EES15_IbLb1EEEEDaS11_S12_EUlS11_E_NS1_11comp_targetILNS1_3genE9ELNS1_11target_archE1100ELNS1_3gpuE3ELNS1_3repE0EEENS1_30default_config_static_selectorELNS0_4arch9wavefront6targetE0EEEvT1_ ; -- Begin function _ZN7rocprim17ROCPRIM_400000_NS6detail17trampoline_kernelINS0_14default_configENS1_25partition_config_selectorILNS1_17partition_subalgoE6EjNS0_10empty_typeEbEEZZNS1_14partition_implILS5_6ELb0ES3_mN6thrust23THRUST_200600_302600_NS6detail15normal_iteratorINSA_10device_ptrIjEEEEPS6_SG_NS0_5tupleIJSF_S6_EEENSH_IJSG_SG_EEES6_PlJ5mod_3IjEEEE10hipError_tPvRmT3_T4_T5_T6_T7_T9_mT8_P12ihipStream_tbDpT10_ENKUlT_T0_E_clISt17integral_constantIbLb0EES15_IbLb1EEEEDaS11_S12_EUlS11_E_NS1_11comp_targetILNS1_3genE9ELNS1_11target_archE1100ELNS1_3gpuE3ELNS1_3repE0EEENS1_30default_config_static_selectorELNS0_4arch9wavefront6targetE0EEEvT1_
	.globl	_ZN7rocprim17ROCPRIM_400000_NS6detail17trampoline_kernelINS0_14default_configENS1_25partition_config_selectorILNS1_17partition_subalgoE6EjNS0_10empty_typeEbEEZZNS1_14partition_implILS5_6ELb0ES3_mN6thrust23THRUST_200600_302600_NS6detail15normal_iteratorINSA_10device_ptrIjEEEEPS6_SG_NS0_5tupleIJSF_S6_EEENSH_IJSG_SG_EEES6_PlJ5mod_3IjEEEE10hipError_tPvRmT3_T4_T5_T6_T7_T9_mT8_P12ihipStream_tbDpT10_ENKUlT_T0_E_clISt17integral_constantIbLb0EES15_IbLb1EEEEDaS11_S12_EUlS11_E_NS1_11comp_targetILNS1_3genE9ELNS1_11target_archE1100ELNS1_3gpuE3ELNS1_3repE0EEENS1_30default_config_static_selectorELNS0_4arch9wavefront6targetE0EEEvT1_
	.p2align	8
	.type	_ZN7rocprim17ROCPRIM_400000_NS6detail17trampoline_kernelINS0_14default_configENS1_25partition_config_selectorILNS1_17partition_subalgoE6EjNS0_10empty_typeEbEEZZNS1_14partition_implILS5_6ELb0ES3_mN6thrust23THRUST_200600_302600_NS6detail15normal_iteratorINSA_10device_ptrIjEEEEPS6_SG_NS0_5tupleIJSF_S6_EEENSH_IJSG_SG_EEES6_PlJ5mod_3IjEEEE10hipError_tPvRmT3_T4_T5_T6_T7_T9_mT8_P12ihipStream_tbDpT10_ENKUlT_T0_E_clISt17integral_constantIbLb0EES15_IbLb1EEEEDaS11_S12_EUlS11_E_NS1_11comp_targetILNS1_3genE9ELNS1_11target_archE1100ELNS1_3gpuE3ELNS1_3repE0EEENS1_30default_config_static_selectorELNS0_4arch9wavefront6targetE0EEEvT1_,@function
_ZN7rocprim17ROCPRIM_400000_NS6detail17trampoline_kernelINS0_14default_configENS1_25partition_config_selectorILNS1_17partition_subalgoE6EjNS0_10empty_typeEbEEZZNS1_14partition_implILS5_6ELb0ES3_mN6thrust23THRUST_200600_302600_NS6detail15normal_iteratorINSA_10device_ptrIjEEEEPS6_SG_NS0_5tupleIJSF_S6_EEENSH_IJSG_SG_EEES6_PlJ5mod_3IjEEEE10hipError_tPvRmT3_T4_T5_T6_T7_T9_mT8_P12ihipStream_tbDpT10_ENKUlT_T0_E_clISt17integral_constantIbLb0EES15_IbLb1EEEEDaS11_S12_EUlS11_E_NS1_11comp_targetILNS1_3genE9ELNS1_11target_archE1100ELNS1_3gpuE3ELNS1_3repE0EEENS1_30default_config_static_selectorELNS0_4arch9wavefront6targetE0EEEvT1_: ; @_ZN7rocprim17ROCPRIM_400000_NS6detail17trampoline_kernelINS0_14default_configENS1_25partition_config_selectorILNS1_17partition_subalgoE6EjNS0_10empty_typeEbEEZZNS1_14partition_implILS5_6ELb0ES3_mN6thrust23THRUST_200600_302600_NS6detail15normal_iteratorINSA_10device_ptrIjEEEEPS6_SG_NS0_5tupleIJSF_S6_EEENSH_IJSG_SG_EEES6_PlJ5mod_3IjEEEE10hipError_tPvRmT3_T4_T5_T6_T7_T9_mT8_P12ihipStream_tbDpT10_ENKUlT_T0_E_clISt17integral_constantIbLb0EES15_IbLb1EEEEDaS11_S12_EUlS11_E_NS1_11comp_targetILNS1_3genE9ELNS1_11target_archE1100ELNS1_3gpuE3ELNS1_3repE0EEENS1_30default_config_static_selectorELNS0_4arch9wavefront6targetE0EEEvT1_
; %bb.0:
	s_clause 0x3
	s_load_b64 s[12:13], s[0:1], 0x28
	s_load_b128 s[4:7], s[0:1], 0x40
	s_load_b64 s[16:17], s[0:1], 0x50
	s_load_b64 s[14:15], s[0:1], 0x60
	v_cmp_eq_u32_e64 s2, 0, v0
	s_delay_alu instid0(VALU_DEP_1)
	s_and_saveexec_b32 s3, s2
	s_cbranch_execz .LBB518_4
; %bb.1:
	s_mov_b32 s9, exec_lo
	s_mov_b32 s8, exec_lo
	v_mbcnt_lo_u32_b32 v1, s9, 0
                                        ; implicit-def: $vgpr2
	s_delay_alu instid0(VALU_DEP_1)
	v_cmpx_eq_u32_e32 0, v1
	s_cbranch_execz .LBB518_3
; %bb.2:
	s_load_b64 s[10:11], s[0:1], 0x70
	s_bcnt1_i32_b32 s9, s9
	s_delay_alu instid0(SALU_CYCLE_1)
	v_dual_mov_b32 v2, 0 :: v_dual_mov_b32 v3, s9
	s_waitcnt lgkmcnt(0)
	global_atomic_add_u32 v2, v2, v3, s[10:11] glc
.LBB518_3:
	s_or_b32 exec_lo, exec_lo, s8
	s_waitcnt vmcnt(0)
	v_readfirstlane_b32 s8, v2
	s_delay_alu instid0(VALU_DEP_1)
	v_dual_mov_b32 v2, 0 :: v_dual_add_nc_u32 v1, s8, v1
	ds_store_b32 v2, v1
.LBB518_4:
	s_or_b32 exec_lo, exec_lo, s3
	v_dual_mov_b32 v2, 0 :: v_dual_lshlrev_b32 v17, 2, v0
	s_clause 0x1
	s_load_b128 s[8:11], s[0:1], 0x8
	s_load_b32 s0, s[0:1], 0x68
	s_waitcnt lgkmcnt(0)
	s_barrier
	buffer_gl0_inv
	ds_load_b32 v1, v2
	s_waitcnt lgkmcnt(0)
	s_barrier
	buffer_gl0_inv
	global_load_b64 v[49:50], v2, s[6:7]
	s_lshl_b64 s[6:7], s[10:11], 2
	s_mul_i32 s3, s0, 0x700
	s_add_u32 s1, s8, s6
	s_addc_u32 s18, s9, s7
	s_add_i32 s6, s3, s10
	v_readfirstlane_b32 s7, v1
	v_mul_lo_u32 v1, 0x700, v1
	s_add_i32 s19, s0, -1
	s_sub_i32 s0, s16, s6
	s_add_u32 s8, s10, s3
	s_addc_u32 s9, s11, 0
	s_cmp_eq_u32 s7, s19
	v_cmp_ge_u64_e64 s6, s[8:9], s[16:17]
	s_cselect_b32 s3, -1, 0
	v_lshlrev_b64 v[1:2], 2, v[1:2]
	s_delay_alu instid0(VALU_DEP_2) | instskip(NEXT) | instid1(VALU_DEP_1)
	s_and_b32 s6, s6, s3
	v_add_co_u32 v18, vcc_lo, s1, v1
	s_delay_alu instid0(VALU_DEP_2)
	v_add_co_ci_u32_e32 v19, vcc_lo, s18, v2, vcc_lo
	s_xor_b32 s6, s6, -1
	s_mov_b32 s1, -1
	s_and_b32 vcc_lo, exec_lo, s6
	s_cbranch_vccz .LBB518_6
; %bb.5:
	v_add_co_u32 v1, vcc_lo, v18, v17
	v_add_co_ci_u32_e32 v2, vcc_lo, 0, v19, vcc_lo
	s_mov_b32 s1, 0
	s_delay_alu instid0(VALU_DEP_2) | instskip(NEXT) | instid1(VALU_DEP_2)
	v_add_co_u32 v3, vcc_lo, 0x1000, v1
	v_add_co_ci_u32_e32 v4, vcc_lo, 0, v2, vcc_lo
	s_clause 0xd
	flat_load_b32 v5, v[1:2]
	flat_load_b32 v6, v[1:2] offset:512
	flat_load_b32 v7, v[1:2] offset:1024
	;; [unrolled: 1-line block ×7, first 2 shown]
	flat_load_b32 v2, v[3:4]
	flat_load_b32 v12, v[3:4] offset:512
	flat_load_b32 v13, v[3:4] offset:1024
	;; [unrolled: 1-line block ×5, first 2 shown]
	s_waitcnt vmcnt(12) lgkmcnt(12)
	ds_store_2addr_stride64_b32 v17, v5, v6 offset1:2
	s_waitcnt vmcnt(10) lgkmcnt(11)
	ds_store_2addr_stride64_b32 v17, v7, v8 offset0:4 offset1:6
	s_waitcnt vmcnt(8) lgkmcnt(10)
	ds_store_2addr_stride64_b32 v17, v9, v10 offset0:8 offset1:10
	;; [unrolled: 2-line block ×6, first 2 shown]
	s_waitcnt lgkmcnt(0)
	s_barrier
.LBB518_6:
	s_and_not1_b32 vcc_lo, exec_lo, s1
	s_addk_i32 s0, 0x700
	s_cbranch_vccnz .LBB518_36
; %bb.7:
	s_mov_b32 s1, exec_lo
                                        ; implicit-def: $vgpr1_vgpr2_vgpr3_vgpr4_vgpr5_vgpr6_vgpr7_vgpr8_vgpr9_vgpr10_vgpr11_vgpr12_vgpr13_vgpr14_vgpr15_vgpr16
	v_cmpx_gt_u32_e64 s0, v0
	s_cbranch_execz .LBB518_9
; %bb.8:
	v_add_co_u32 v1, vcc_lo, v18, v17
	v_add_co_ci_u32_e32 v2, vcc_lo, 0, v19, vcc_lo
	flat_load_b32 v1, v[1:2]
.LBB518_9:
	s_or_b32 exec_lo, exec_lo, s1
	v_or_b32_e32 v15, 0x80, v0
	s_mov_b32 s1, exec_lo
	s_delay_alu instid0(VALU_DEP_1)
	v_cmpx_gt_u32_e64 s0, v15
	s_cbranch_execz .LBB518_11
; %bb.10:
	v_add_co_u32 v15, vcc_lo, v18, v17
	v_add_co_ci_u32_e32 v16, vcc_lo, 0, v19, vcc_lo
	flat_load_b32 v2, v[15:16] offset:512
.LBB518_11:
	s_or_b32 exec_lo, exec_lo, s1
	v_or_b32_e32 v15, 0x100, v0
	s_mov_b32 s1, exec_lo
	s_delay_alu instid0(VALU_DEP_1)
	v_cmpx_gt_u32_e64 s0, v15
	s_cbranch_execz .LBB518_13
; %bb.12:
	v_add_co_u32 v15, vcc_lo, v18, v17
	v_add_co_ci_u32_e32 v16, vcc_lo, 0, v19, vcc_lo
	flat_load_b32 v3, v[15:16] offset:1024
.LBB518_13:
	;; [unrolled: 11-line block ×7, first 2 shown]
	s_or_b32 exec_lo, exec_lo, s1
	v_or_b32_e32 v15, 0x400, v0
	s_mov_b32 s1, exec_lo
	s_delay_alu instid0(VALU_DEP_1)
	v_cmpx_gt_u32_e64 s0, v15
	s_cbranch_execz .LBB518_25
; %bb.24:
	v_lshlrev_b32_e32 v9, 2, v15
	s_delay_alu instid0(VALU_DEP_1)
	v_add_co_u32 v15, vcc_lo, v18, v9
	v_add_co_ci_u32_e32 v16, vcc_lo, 0, v19, vcc_lo
	flat_load_b32 v9, v[15:16]
.LBB518_25:
	s_or_b32 exec_lo, exec_lo, s1
	v_or_b32_e32 v15, 0x480, v0
	s_mov_b32 s1, exec_lo
	s_delay_alu instid0(VALU_DEP_1)
	v_cmpx_gt_u32_e64 s0, v15
	s_cbranch_execz .LBB518_27
; %bb.26:
	v_lshlrev_b32_e32 v10, 2, v15
	s_delay_alu instid0(VALU_DEP_1)
	v_add_co_u32 v15, vcc_lo, v18, v10
	v_add_co_ci_u32_e32 v16, vcc_lo, 0, v19, vcc_lo
	flat_load_b32 v10, v[15:16]
.LBB518_27:
	;; [unrolled: 13-line block ×6, first 2 shown]
	s_or_b32 exec_lo, exec_lo, s1
	s_waitcnt vmcnt(0) lgkmcnt(0)
	ds_store_2addr_stride64_b32 v17, v1, v2 offset1:2
	ds_store_2addr_stride64_b32 v17, v3, v4 offset0:4 offset1:6
	ds_store_2addr_stride64_b32 v17, v5, v6 offset0:8 offset1:10
	;; [unrolled: 1-line block ×6, first 2 shown]
	s_waitcnt lgkmcnt(0)
	s_barrier
.LBB518_36:
	v_mul_u32_u24_e32 v1, 14, v0
	s_waitcnt vmcnt(0)
	buffer_gl0_inv
	s_and_not1_b32 vcc_lo, exec_lo, s6
	v_lshlrev_b32_e32 v63, 2, v1
	ds_load_2addr_b64 v[41:44], v63 offset1:1
	ds_load_2addr_b64 v[37:40], v63 offset0:2 offset1:3
	ds_load_2addr_b64 v[33:36], v63 offset0:4 offset1:5
	ds_load_b64 v[51:52], v63 offset:48
	s_waitcnt lgkmcnt(0)
	s_barrier
	buffer_gl0_inv
	s_cbranch_vccnz .LBB518_38
; %bb.37:
	v_mul_lo_u32 v2, 0xaaaaaaab, v41
	v_mul_lo_u32 v3, 0xaaaaaaab, v42
	;; [unrolled: 1-line block ×8, first 2 shown]
	v_cmp_lt_u32_e32 vcc_lo, 0x55555555, v2
	v_mul_lo_u32 v10, 0xaaaaaaab, v33
	v_mul_lo_u32 v11, 0xaaaaaaab, v34
	;; [unrolled: 1-line block ×4, first 2 shown]
	v_cndmask_b32_e64 v2, 0, 1, vcc_lo
	v_cmp_lt_u32_e32 vcc_lo, 0x55555555, v3
	v_mul_lo_u32 v14, 0xaaaaaaab, v51
	v_cndmask_b32_e64 v3, 0, 1, vcc_lo
	v_cmp_lt_u32_e32 vcc_lo, 0x55555555, v4
	s_delay_alu instid0(VALU_DEP_2) | instskip(SKIP_2) | instid1(VALU_DEP_3)
	v_lshlrev_b16 v3, 8, v3
	v_cndmask_b32_e64 v4, 0, 1, vcc_lo
	v_cmp_lt_u32_e32 vcc_lo, 0x55555555, v5
	v_or_b32_e32 v2, v2, v3
	v_cndmask_b32_e64 v5, 0, 1, vcc_lo
	v_cmp_lt_u32_e32 vcc_lo, 0x55555555, v6
	s_delay_alu instid0(VALU_DEP_3) | instskip(NEXT) | instid1(VALU_DEP_3)
	v_and_b32_e32 v2, 0xffff, v2
	v_lshlrev_b16 v5, 8, v5
	v_cndmask_b32_e64 v6, 0, 1, vcc_lo
	v_cmp_lt_u32_e32 vcc_lo, 0x55555555, v7
	s_delay_alu instid0(VALU_DEP_3) | instskip(SKIP_2) | instid1(VALU_DEP_3)
	v_or_b32_e32 v4, v4, v5
	v_cndmask_b32_e64 v7, 0, 1, vcc_lo
	v_cmp_lt_u32_e32 vcc_lo, 0x55555555, v8
	v_lshlrev_b32_e32 v4, 16, v4
	s_delay_alu instid0(VALU_DEP_3) | instskip(SKIP_2) | instid1(VALU_DEP_4)
	v_lshlrev_b16 v7, 8, v7
	v_cndmask_b32_e64 v8, 0, 1, vcc_lo
	v_cmp_lt_u32_e32 vcc_lo, 0x55555555, v9
	v_or_b32_e32 v61, v2, v4
	s_delay_alu instid0(VALU_DEP_4) | instskip(SKIP_2) | instid1(VALU_DEP_3)
	v_or_b32_e32 v5, v6, v7
	v_cndmask_b32_e64 v9, 0, 1, vcc_lo
	v_cmp_lt_u32_e32 vcc_lo, 0x55555555, v10
	v_and_b32_e32 v5, 0xffff, v5
	s_delay_alu instid0(VALU_DEP_3) | instskip(SKIP_2) | instid1(VALU_DEP_3)
	v_lshlrev_b16 v9, 8, v9
	v_cndmask_b32_e64 v10, 0, 1, vcc_lo
	v_cmp_lt_u32_e32 vcc_lo, 0x55555555, v11
	v_or_b32_e32 v6, v8, v9
	v_cndmask_b32_e64 v11, 0, 1, vcc_lo
	v_cmp_lt_u32_e32 vcc_lo, 0x55555555, v12
	s_delay_alu instid0(VALU_DEP_3) | instskip(NEXT) | instid1(VALU_DEP_3)
	v_lshlrev_b32_e32 v6, 16, v6
	v_lshlrev_b16 v11, 8, v11
	v_cndmask_b32_e64 v12, 0, 1, vcc_lo
	v_cmp_lt_u32_e32 vcc_lo, 0x55555555, v13
	v_mul_lo_u32 v13, 0xaaaaaaab, v52
	v_or_b32_e32 v58, v5, v6
	v_or_b32_e32 v7, v10, v11
	v_cndmask_b32_e64 v3, 0, 1, vcc_lo
	v_cmp_lt_u32_e32 vcc_lo, 0x55555555, v14
	s_delay_alu instid0(VALU_DEP_3) | instskip(NEXT) | instid1(VALU_DEP_3)
	v_and_b32_e32 v7, 0xffff, v7
	v_lshlrev_b16 v3, 8, v3
	v_cndmask_b32_e64 v55, 0, 1, vcc_lo
	v_cmp_lt_u32_e32 vcc_lo, 0x55555555, v13
	s_delay_alu instid0(VALU_DEP_3) | instskip(SKIP_1) | instid1(VALU_DEP_2)
	v_or_b32_e32 v3, v12, v3
	v_cndmask_b32_e64 v56, 0, 1, vcc_lo
	v_lshlrev_b32_e32 v3, 16, v3
	s_delay_alu instid0(VALU_DEP_1)
	v_or_b32_e32 v57, v7, v3
	s_cbranch_execz .LBB518_39
	s_branch .LBB518_68
.LBB518_38:
                                        ; implicit-def: $vgpr56
                                        ; implicit-def: $vgpr55
                                        ; implicit-def: $vgpr57
                                        ; implicit-def: $vgpr58
                                        ; implicit-def: $vgpr61
.LBB518_39:
	v_dual_mov_b32 v3, 0 :: v_dual_mov_b32 v2, 0
	s_mov_b32 s1, exec_lo
	v_cmpx_gt_u32_e64 s0, v1
; %bb.40:
	v_mul_lo_u32 v2, 0xaaaaaaab, v41
	s_delay_alu instid0(VALU_DEP_1)
	v_cmp_lt_u32_e32 vcc_lo, 0x55555555, v2
	v_cndmask_b32_e64 v2, 0, 1, vcc_lo
; %bb.41:
	s_or_b32 exec_lo, exec_lo, s1
	v_or_b32_e32 v4, 1, v1
	s_mov_b32 s1, exec_lo
	s_delay_alu instid0(VALU_DEP_1)
	v_cmpx_gt_u32_e64 s0, v4
; %bb.42:
	v_mul_lo_u32 v3, 0xaaaaaaab, v42
	s_delay_alu instid0(VALU_DEP_1)
	v_cmp_lt_u32_e32 vcc_lo, 0x55555555, v3
	v_cndmask_b32_e64 v3, 0, 1, vcc_lo
; %bb.43:
	s_or_b32 exec_lo, exec_lo, s1
	v_dual_mov_b32 v5, 0 :: v_dual_add_nc_u32 v4, 2, v1
	s_delay_alu instid0(VALU_DEP_1)
	v_cmp_gt_u32_e32 vcc_lo, s0, v4
	v_mov_b32_e32 v4, 0
	s_and_saveexec_b32 s1, vcc_lo
; %bb.44:
	v_mul_lo_u32 v4, 0xaaaaaaab, v43
	s_delay_alu instid0(VALU_DEP_1)
	v_cmp_lt_u32_e32 vcc_lo, 0x55555555, v4
	v_cndmask_b32_e64 v4, 0, 1, vcc_lo
; %bb.45:
	s_or_b32 exec_lo, exec_lo, s1
	v_add_nc_u32_e32 v6, 3, v1
	s_mov_b32 s1, exec_lo
	s_delay_alu instid0(VALU_DEP_1)
	v_cmpx_gt_u32_e64 s0, v6
; %bb.46:
	v_mul_lo_u32 v5, 0xaaaaaaab, v44
	s_delay_alu instid0(VALU_DEP_1)
	v_cmp_lt_u32_e32 vcc_lo, 0x55555555, v5
	v_cndmask_b32_e64 v5, 0, 1, vcc_lo
; %bb.47:
	s_or_b32 exec_lo, exec_lo, s1
	v_dual_mov_b32 v7, 0 :: v_dual_add_nc_u32 v6, 4, v1
	s_delay_alu instid0(VALU_DEP_1)
	v_cmp_gt_u32_e32 vcc_lo, s0, v6
	v_mov_b32_e32 v6, 0
	s_and_saveexec_b32 s1, vcc_lo
; %bb.48:
	v_mul_lo_u32 v6, 0xaaaaaaab, v37
	s_delay_alu instid0(VALU_DEP_1)
	v_cmp_lt_u32_e32 vcc_lo, 0x55555555, v6
	v_cndmask_b32_e64 v6, 0, 1, vcc_lo
; %bb.49:
	s_or_b32 exec_lo, exec_lo, s1
	v_add_nc_u32_e32 v8, 5, v1
	;; [unrolled: 23-line block ×5, first 2 shown]
	s_mov_b32 s1, exec_lo
	s_delay_alu instid0(VALU_DEP_1)
	v_cmpx_gt_u32_e64 s0, v14
; %bb.62:
	v_mul_lo_u32 v13, 0xaaaaaaab, v36
	s_delay_alu instid0(VALU_DEP_1)
	v_cmp_lt_u32_e32 vcc_lo, 0x55555555, v13
	v_cndmask_b32_e64 v13, 0, 1, vcc_lo
; %bb.63:
	s_or_b32 exec_lo, exec_lo, s1
	v_dual_mov_b32 v55, 0 :: v_dual_add_nc_u32 v14, 12, v1
	v_mov_b32_e32 v56, 0
	s_mov_b32 s1, exec_lo
	s_delay_alu instid0(VALU_DEP_2)
	v_cmpx_gt_u32_e64 s0, v14
; %bb.64:
	v_mul_lo_u32 v14, 0xaaaaaaab, v51
	s_delay_alu instid0(VALU_DEP_1)
	v_cmp_lt_u32_e32 vcc_lo, 0x55555555, v14
	v_cndmask_b32_e64 v55, 0, 1, vcc_lo
; %bb.65:
	s_or_b32 exec_lo, exec_lo, s1
	v_add_nc_u32_e32 v1, 13, v1
	s_delay_alu instid0(VALU_DEP_1)
	v_cmp_gt_u32_e32 vcc_lo, s0, v1
	s_and_saveexec_b32 s0, vcc_lo
; %bb.66:
	v_mul_lo_u32 v1, 0xaaaaaaab, v52
	s_delay_alu instid0(VALU_DEP_1)
	v_cmp_lt_u32_e32 vcc_lo, 0x55555555, v1
	v_cndmask_b32_e64 v56, 0, 1, vcc_lo
; %bb.67:
	s_or_b32 exec_lo, exec_lo, s0
	v_lshlrev_b16 v1, 8, v3
	v_lshlrev_b16 v3, 8, v5
	;; [unrolled: 1-line block ×5, first 2 shown]
	v_or_b32_e32 v1, v2, v1
	v_lshlrev_b16 v2, 8, v13
	v_or_b32_e32 v3, v4, v3
	v_or_b32_e32 v4, v6, v5
	;; [unrolled: 1-line block ×5, first 2 shown]
	v_and_b32_e32 v1, 0xffff, v1
	v_lshlrev_b32_e32 v3, 16, v3
	v_and_b32_e32 v4, 0xffff, v4
	v_lshlrev_b32_e32 v5, 16, v5
	;; [unrolled: 2-line block ×3, first 2 shown]
	v_or_b32_e32 v61, v1, v3
	s_delay_alu instid0(VALU_DEP_4) | instskip(NEXT) | instid1(VALU_DEP_3)
	v_or_b32_e32 v58, v4, v5
	v_or_b32_e32 v57, v6, v2
.LBB518_68:
	s_delay_alu instid0(VALU_DEP_3)
	v_dual_mov_b32 v2, 0 :: v_dual_and_b32 v65, 0xff, v61
	v_bfe_u32 v66, v61, 8, 8
	v_bfe_u32 v67, v61, 16, 8
	v_lshrrev_b32_e32 v62, 24, v61
	v_and_b32_e32 v68, 0xff, v58
	v_bfe_u32 v69, v58, 8, 8
	v_add_co_u32 v1, s0, v66, v65
	s_delay_alu instid0(VALU_DEP_1) | instskip(SKIP_1) | instid1(VALU_DEP_3)
	v_add_co_ci_u32_e64 v3, null, 0, 0, s0
	v_bfe_u32 v70, v58, 16, 8
	v_add_co_u32 v1, vcc_lo, v1, v67
	s_delay_alu instid0(VALU_DEP_3) | instskip(SKIP_1) | instid1(VALU_DEP_3)
	v_add_co_ci_u32_e32 v3, vcc_lo, 0, v3, vcc_lo
	v_lshrrev_b32_e32 v60, 24, v58
	v_add_co_u32 v1, vcc_lo, v1, v62
	s_delay_alu instid0(VALU_DEP_3) | instskip(SKIP_1) | instid1(VALU_DEP_3)
	v_add_co_ci_u32_e32 v3, vcc_lo, 0, v3, vcc_lo
	v_and_b32_e32 v71, 0xff, v57
	v_add_co_u32 v1, vcc_lo, v1, v68
	s_delay_alu instid0(VALU_DEP_3) | instskip(SKIP_1) | instid1(VALU_DEP_3)
	v_add_co_ci_u32_e32 v3, vcc_lo, 0, v3, vcc_lo
	v_bfe_u32 v72, v57, 8, 8
	v_add_co_u32 v1, vcc_lo, v1, v69
	s_delay_alu instid0(VALU_DEP_3) | instskip(SKIP_1) | instid1(VALU_DEP_3)
	v_add_co_ci_u32_e32 v3, vcc_lo, 0, v3, vcc_lo
	v_bfe_u32 v73, v57, 16, 8
	v_add_co_u32 v1, vcc_lo, v1, v70
	s_delay_alu instid0(VALU_DEP_3) | instskip(SKIP_1) | instid1(VALU_DEP_3)
	v_add_co_ci_u32_e32 v3, vcc_lo, 0, v3, vcc_lo
	v_lshrrev_b32_e32 v59, 24, v57
	v_add_co_u32 v1, vcc_lo, v1, v60
	s_delay_alu instid0(VALU_DEP_3) | instskip(SKIP_1) | instid1(VALU_DEP_3)
	v_add_co_ci_u32_e32 v3, vcc_lo, 0, v3, vcc_lo
	v_and_b32_e32 v64, 0xff, v55
	v_add_co_u32 v1, vcc_lo, v1, v71
	s_delay_alu instid0(VALU_DEP_3) | instskip(SKIP_1) | instid1(VALU_DEP_3)
	v_add_co_ci_u32_e32 v3, vcc_lo, 0, v3, vcc_lo
	v_mbcnt_lo_u32_b32 v74, -1, 0
	v_add_co_u32 v1, vcc_lo, v1, v72
	s_delay_alu instid0(VALU_DEP_3) | instskip(SKIP_1) | instid1(VALU_DEP_3)
	v_add_co_ci_u32_e32 v3, vcc_lo, 0, v3, vcc_lo
	v_and_b32_e32 v4, 0xff, v56
	v_add_co_u32 v1, vcc_lo, v1, v73
	s_delay_alu instid0(VALU_DEP_3) | instskip(SKIP_1) | instid1(VALU_DEP_3)
	v_add_co_ci_u32_e32 v3, vcc_lo, 0, v3, vcc_lo
	v_and_b32_e32 v75, 15, v74
	v_add_co_u32 v1, vcc_lo, v1, v59
	s_delay_alu instid0(VALU_DEP_3) | instskip(NEXT) | instid1(VALU_DEP_3)
	v_add_co_ci_u32_e32 v3, vcc_lo, 0, v3, vcc_lo
	v_cmp_ne_u32_e64 s0, 0, v75
	s_delay_alu instid0(VALU_DEP_3) | instskip(NEXT) | instid1(VALU_DEP_3)
	v_add_co_u32 v1, vcc_lo, v1, v64
	v_add_co_ci_u32_e32 v3, vcc_lo, 0, v3, vcc_lo
	s_cmp_lg_u32 s7, 0
	s_delay_alu instid0(VALU_DEP_2) | instskip(NEXT) | instid1(VALU_DEP_2)
	v_add_co_u32 v53, vcc_lo, v1, v4
	v_add_co_ci_u32_e32 v54, vcc_lo, 0, v3, vcc_lo
	s_mov_b32 s1, -1
	s_cbranch_scc0 .LBB518_128
; %bb.69:
	s_delay_alu instid0(VALU_DEP_2)
	v_mov_b32_e32 v3, v53
	v_mov_b32_dpp v1, v53 row_shr:1 row_mask:0xf bank_mask:0xf
	v_mov_b32_dpp v6, v2 row_shr:1 row_mask:0xf bank_mask:0xf
	v_dual_mov_b32 v5, v53 :: v_dual_mov_b32 v4, v54
	s_and_saveexec_b32 s1, s0
; %bb.70:
	s_delay_alu instid0(VALU_DEP_3) | instskip(SKIP_1) | instid1(VALU_DEP_2)
	v_add_co_u32 v5, vcc_lo, v53, v1
	v_add_co_ci_u32_e32 v2, vcc_lo, 0, v54, vcc_lo
	v_add_co_u32 v1, vcc_lo, 0, v5
	s_delay_alu instid0(VALU_DEP_2) | instskip(NEXT) | instid1(VALU_DEP_1)
	v_add_co_ci_u32_e32 v2, vcc_lo, v6, v2, vcc_lo
	v_dual_mov_b32 v4, v2 :: v_dual_mov_b32 v3, v1
; %bb.71:
	s_or_b32 exec_lo, exec_lo, s1
	v_mov_b32_dpp v1, v5 row_shr:2 row_mask:0xf bank_mask:0xf
	v_mov_b32_dpp v6, v2 row_shr:2 row_mask:0xf bank_mask:0xf
	s_mov_b32 s1, exec_lo
	v_cmpx_lt_u32_e32 1, v75
; %bb.72:
	s_delay_alu instid0(VALU_DEP_3) | instskip(SKIP_1) | instid1(VALU_DEP_2)
	v_add_co_u32 v5, vcc_lo, v3, v1
	v_add_co_ci_u32_e32 v2, vcc_lo, 0, v4, vcc_lo
	v_add_co_u32 v1, vcc_lo, 0, v5
	s_delay_alu instid0(VALU_DEP_2) | instskip(NEXT) | instid1(VALU_DEP_1)
	v_add_co_ci_u32_e32 v2, vcc_lo, v6, v2, vcc_lo
	v_dual_mov_b32 v4, v2 :: v_dual_mov_b32 v3, v1
; %bb.73:
	s_or_b32 exec_lo, exec_lo, s1
	v_mov_b32_dpp v1, v5 row_shr:4 row_mask:0xf bank_mask:0xf
	v_mov_b32_dpp v6, v2 row_shr:4 row_mask:0xf bank_mask:0xf
	s_mov_b32 s1, exec_lo
	v_cmpx_lt_u32_e32 3, v75
	;; [unrolled: 14-line block ×3, first 2 shown]
; %bb.76:
	s_delay_alu instid0(VALU_DEP_3) | instskip(SKIP_1) | instid1(VALU_DEP_2)
	v_add_co_u32 v5, vcc_lo, v3, v6
	v_add_co_ci_u32_e32 v2, vcc_lo, 0, v4, vcc_lo
	v_add_co_u32 v3, vcc_lo, 0, v5
	s_delay_alu instid0(VALU_DEP_2) | instskip(NEXT) | instid1(VALU_DEP_1)
	v_add_co_ci_u32_e32 v4, vcc_lo, v1, v2, vcc_lo
	v_mov_b32_e32 v2, v4
; %bb.77:
	s_or_b32 exec_lo, exec_lo, s1
	ds_swizzle_b32 v1, v5 offset:swizzle(BROADCAST,32,15)
	ds_swizzle_b32 v6, v2 offset:swizzle(BROADCAST,32,15)
	v_and_b32_e32 v7, 16, v74
	s_mov_b32 s1, exec_lo
	s_delay_alu instid0(VALU_DEP_1)
	v_cmpx_ne_u32_e32 0, v7
	s_cbranch_execz .LBB518_79
; %bb.78:
	s_waitcnt lgkmcnt(1)
	v_add_co_u32 v5, vcc_lo, v3, v1
	v_add_co_ci_u32_e32 v2, vcc_lo, 0, v4, vcc_lo
	s_delay_alu instid0(VALU_DEP_2) | instskip(SKIP_1) | instid1(VALU_DEP_2)
	v_add_co_u32 v1, vcc_lo, 0, v5
	s_waitcnt lgkmcnt(0)
	v_add_co_ci_u32_e32 v2, vcc_lo, v6, v2, vcc_lo
	s_delay_alu instid0(VALU_DEP_1)
	v_dual_mov_b32 v4, v2 :: v_dual_mov_b32 v3, v1
.LBB518_79:
	s_or_b32 exec_lo, exec_lo, s1
	s_waitcnt lgkmcnt(0)
	v_or_b32_e32 v6, 31, v0
	v_lshrrev_b32_e32 v1, 5, v0
	s_mov_b32 s1, exec_lo
	s_delay_alu instid0(VALU_DEP_2)
	v_cmpx_eq_u32_e64 v6, v0
	s_cbranch_execz .LBB518_81
; %bb.80:
	s_delay_alu instid0(VALU_DEP_2)
	v_lshlrev_b32_e32 v6, 3, v1
	ds_store_b64 v6, v[3:4]
.LBB518_81:
	s_or_b32 exec_lo, exec_lo, s1
	s_delay_alu instid0(SALU_CYCLE_1)
	s_mov_b32 s1, exec_lo
	s_waitcnt lgkmcnt(0)
	s_barrier
	buffer_gl0_inv
	v_cmpx_gt_u32_e32 4, v0
	s_cbranch_execz .LBB518_87
; %bb.82:
	v_lshlrev_b32_e32 v6, 3, v0
	s_mov_b32 s8, exec_lo
	ds_load_b64 v[3:4], v6
	s_waitcnt lgkmcnt(0)
	v_dual_mov_b32 v8, v3 :: v_dual_and_b32 v7, 3, v74
	v_mov_b32_dpp v10, v3 row_shr:1 row_mask:0xf bank_mask:0xf
	v_mov_b32_dpp v9, v4 row_shr:1 row_mask:0xf bank_mask:0xf
	s_delay_alu instid0(VALU_DEP_3)
	v_cmpx_ne_u32_e32 0, v7
; %bb.83:
	s_delay_alu instid0(VALU_DEP_3) | instskip(SKIP_1) | instid1(VALU_DEP_2)
	v_add_co_u32 v8, vcc_lo, v3, v10
	v_add_co_ci_u32_e32 v4, vcc_lo, 0, v4, vcc_lo
	v_add_co_u32 v3, vcc_lo, 0, v8
	s_delay_alu instid0(VALU_DEP_2)
	v_add_co_ci_u32_e32 v4, vcc_lo, v9, v4, vcc_lo
; %bb.84:
	s_or_b32 exec_lo, exec_lo, s8
	v_mov_b32_dpp v9, v8 row_shr:2 row_mask:0xf bank_mask:0xf
	s_delay_alu instid0(VALU_DEP_2)
	v_mov_b32_dpp v8, v4 row_shr:2 row_mask:0xf bank_mask:0xf
	s_mov_b32 s8, exec_lo
	v_cmpx_lt_u32_e32 1, v7
; %bb.85:
	s_delay_alu instid0(VALU_DEP_3) | instskip(SKIP_1) | instid1(VALU_DEP_2)
	v_add_co_u32 v3, vcc_lo, v3, v9
	v_add_co_ci_u32_e32 v4, vcc_lo, 0, v4, vcc_lo
	v_add_co_u32 v3, vcc_lo, v3, 0
	s_delay_alu instid0(VALU_DEP_2)
	v_add_co_ci_u32_e32 v4, vcc_lo, v4, v8, vcc_lo
; %bb.86:
	s_or_b32 exec_lo, exec_lo, s8
	ds_store_b64 v6, v[3:4]
.LBB518_87:
	s_or_b32 exec_lo, exec_lo, s1
	v_cmp_gt_u32_e32 vcc_lo, 32, v0
	s_mov_b32 s8, exec_lo
	s_waitcnt lgkmcnt(0)
	s_barrier
	buffer_gl0_inv
                                        ; implicit-def: $vgpr9_vgpr10
	v_cmpx_lt_u32_e32 31, v0
	s_cbranch_execz .LBB518_89
; %bb.88:
	v_lshl_add_u32 v1, v1, 3, -8
	ds_load_b64 v[9:10], v1
	s_waitcnt lgkmcnt(0)
	v_add_co_u32 v5, s1, v5, v9
	s_delay_alu instid0(VALU_DEP_1)
	v_add_co_ci_u32_e64 v2, s1, v2, v10, s1
.LBB518_89:
	s_or_b32 exec_lo, exec_lo, s8
	v_add_nc_u32_e32 v1, -1, v74
	s_delay_alu instid0(VALU_DEP_1) | instskip(NEXT) | instid1(VALU_DEP_1)
	v_cmp_gt_i32_e64 s1, 0, v1
	v_cndmask_b32_e64 v1, v1, v74, s1
	v_cmp_eq_u32_e64 s1, 0, v74
	s_delay_alu instid0(VALU_DEP_2)
	v_lshlrev_b32_e32 v1, 2, v1
	ds_bpermute_b32 v15, v1, v5
	ds_bpermute_b32 v16, v1, v2
	s_and_saveexec_b32 s8, vcc_lo
	s_cbranch_execz .LBB518_127
; %bb.90:
	v_mov_b32_e32 v4, 0
	ds_load_b64 v[1:2], v4 offset:24
	s_and_saveexec_b32 s9, s1
	s_cbranch_execz .LBB518_92
; %bb.91:
	s_add_i32 s10, s7, 32
	s_mov_b32 s11, 0
	s_delay_alu instid0(SALU_CYCLE_1) | instskip(NEXT) | instid1(SALU_CYCLE_1)
	s_lshl_b64 s[10:11], s[10:11], 4
	s_add_u32 s10, s14, s10
	s_addc_u32 s11, s15, s11
	v_mov_b32_e32 v5, s10
	v_dual_mov_b32 v3, 1 :: v_dual_mov_b32 v6, s11
	s_waitcnt lgkmcnt(0)
	;;#ASMSTART
	global_store_dwordx4 v[5:6], v[1:4] off	
s_waitcnt vmcnt(0)
	;;#ASMEND
.LBB518_92:
	s_or_b32 exec_lo, exec_lo, s9
	v_xad_u32 v11, v74, -1, s7
	s_mov_b32 s10, 0
	s_mov_b32 s9, exec_lo
	s_delay_alu instid0(VALU_DEP_1) | instskip(NEXT) | instid1(VALU_DEP_1)
	v_add_nc_u32_e32 v3, 32, v11
	v_lshlrev_b64 v[3:4], 4, v[3:4]
	s_delay_alu instid0(VALU_DEP_1) | instskip(NEXT) | instid1(VALU_DEP_2)
	v_add_co_u32 v3, vcc_lo, s14, v3
	v_add_co_ci_u32_e32 v4, vcc_lo, s15, v4, vcc_lo
	;;#ASMSTART
	global_load_dwordx4 v[5:8], v[3:4] off glc	
s_waitcnt vmcnt(0)
	;;#ASMEND
	v_and_b32_e32 v8, 0xff, v6
	v_and_b32_e32 v12, 0xff00, v6
	v_or3_b32 v5, v5, 0, 0
	v_and_b32_e32 v13, 0xff000000, v6
	v_and_b32_e32 v6, 0xff0000, v6
	s_delay_alu instid0(VALU_DEP_4) | instskip(SKIP_2) | instid1(VALU_DEP_3)
	v_or3_b32 v8, 0, v8, v12
	v_and_b32_e32 v12, 0xff, v7
	v_or3_b32 v5, v5, 0, 0
	v_or3_b32 v6, v8, v6, v13
	s_delay_alu instid0(VALU_DEP_3)
	v_cmpx_eq_u16_e32 0, v12
	s_cbranch_execz .LBB518_95
.LBB518_93:                             ; =>This Inner Loop Header: Depth=1
	;;#ASMSTART
	global_load_dwordx4 v[5:8], v[3:4] off glc	
s_waitcnt vmcnt(0)
	;;#ASMEND
	v_and_b32_e32 v8, 0xff, v7
	s_delay_alu instid0(VALU_DEP_1) | instskip(SKIP_1) | instid1(SALU_CYCLE_1)
	v_cmp_ne_u16_e32 vcc_lo, 0, v8
	s_or_b32 s10, vcc_lo, s10
	s_and_not1_b32 exec_lo, exec_lo, s10
	s_cbranch_execnz .LBB518_93
; %bb.94:
	s_or_b32 exec_lo, exec_lo, s10
.LBB518_95:
	s_delay_alu instid0(SALU_CYCLE_1)
	s_or_b32 exec_lo, exec_lo, s9
	v_cmp_ne_u32_e32 vcc_lo, 31, v74
	v_and_b32_e32 v4, 0xff, v7
	v_lshlrev_b32_e64 v18, v74, -1
	s_mov_b32 s9, exec_lo
	v_add_co_ci_u32_e32 v3, vcc_lo, 0, v74, vcc_lo
	s_delay_alu instid0(VALU_DEP_3) | instskip(NEXT) | instid1(VALU_DEP_2)
	v_cmp_eq_u16_e32 vcc_lo, 2, v4
	v_dual_mov_b32 v4, v5 :: v_dual_lshlrev_b32 v17, 2, v3
	v_and_or_b32 v3, vcc_lo, v18, 0x80000000
	ds_bpermute_b32 v12, v17, v5
	ds_bpermute_b32 v8, v17, v6
	v_ctz_i32_b32_e32 v3, v3
	s_delay_alu instid0(VALU_DEP_1)
	v_cmpx_lt_u32_e64 v74, v3
	s_cbranch_execz .LBB518_97
; %bb.96:
	s_waitcnt lgkmcnt(1)
	v_add_co_u32 v4, vcc_lo, v5, v12
	v_add_co_ci_u32_e32 v6, vcc_lo, 0, v6, vcc_lo
	s_delay_alu instid0(VALU_DEP_2) | instskip(SKIP_1) | instid1(VALU_DEP_2)
	v_add_co_u32 v5, vcc_lo, 0, v4
	s_waitcnt lgkmcnt(0)
	v_add_co_ci_u32_e32 v6, vcc_lo, v8, v6, vcc_lo
.LBB518_97:
	s_or_b32 exec_lo, exec_lo, s9
	v_cmp_gt_u32_e32 vcc_lo, 30, v74
	v_add_nc_u32_e32 v20, 2, v74
	s_mov_b32 s9, exec_lo
	s_waitcnt lgkmcnt(0)
	v_cndmask_b32_e64 v8, 0, 1, vcc_lo
	s_delay_alu instid0(VALU_DEP_1) | instskip(NEXT) | instid1(VALU_DEP_1)
	v_lshlrev_b32_e32 v8, 1, v8
	v_add_lshl_u32 v19, v8, v74, 2
	ds_bpermute_b32 v12, v19, v4
	ds_bpermute_b32 v8, v19, v6
	v_cmpx_le_u32_e64 v20, v3
	s_cbranch_execz .LBB518_99
; %bb.98:
	s_waitcnt lgkmcnt(1)
	v_add_co_u32 v4, vcc_lo, v5, v12
	v_add_co_ci_u32_e32 v6, vcc_lo, 0, v6, vcc_lo
	s_delay_alu instid0(VALU_DEP_2) | instskip(SKIP_1) | instid1(VALU_DEP_2)
	v_add_co_u32 v5, vcc_lo, 0, v4
	s_waitcnt lgkmcnt(0)
	v_add_co_ci_u32_e32 v6, vcc_lo, v8, v6, vcc_lo
.LBB518_99:
	s_or_b32 exec_lo, exec_lo, s9
	v_cmp_gt_u32_e32 vcc_lo, 28, v74
	v_add_nc_u32_e32 v22, 4, v74
	s_mov_b32 s9, exec_lo
	s_waitcnt lgkmcnt(0)
	v_cndmask_b32_e64 v8, 0, 1, vcc_lo
	s_delay_alu instid0(VALU_DEP_1) | instskip(NEXT) | instid1(VALU_DEP_1)
	v_lshlrev_b32_e32 v8, 2, v8
	v_add_lshl_u32 v21, v8, v74, 2
	ds_bpermute_b32 v12, v21, v4
	ds_bpermute_b32 v8, v21, v6
	v_cmpx_le_u32_e64 v22, v3
	;; [unrolled: 22-line block ×4, first 2 shown]
	s_cbranch_execz .LBB518_105
; %bb.104:
	s_waitcnt lgkmcnt(1)
	v_add_co_u32 v3, vcc_lo, v5, v8
	v_add_co_ci_u32_e32 v6, vcc_lo, 0, v6, vcc_lo
	s_delay_alu instid0(VALU_DEP_2) | instskip(SKIP_1) | instid1(VALU_DEP_2)
	v_add_co_u32 v5, vcc_lo, v3, 0
	s_waitcnt lgkmcnt(0)
	v_add_co_ci_u32_e32 v6, vcc_lo, v6, v4, vcc_lo
.LBB518_105:
	s_or_b32 exec_lo, exec_lo, s9
	v_mov_b32_e32 v12, 0
	s_branch .LBB518_107
.LBB518_106:                            ;   in Loop: Header=BB518_107 Depth=1
	s_or_b32 exec_lo, exec_lo, s9
	v_add_co_u32 v5, vcc_lo, v5, v3
	v_subrev_nc_u32_e32 v11, 32, v11
	v_add_co_ci_u32_e32 v6, vcc_lo, v6, v4, vcc_lo
.LBB518_107:                            ; =>This Loop Header: Depth=1
                                        ;     Child Loop BB518_110 Depth 2
	v_and_b32_e32 v3, 0xff, v7
	s_delay_alu instid0(VALU_DEP_1) | instskip(SKIP_2) | instid1(VALU_DEP_1)
	v_cmp_ne_u16_e32 vcc_lo, 2, v3
	v_cndmask_b32_e64 v3, 0, 1, vcc_lo
	;;#ASMSTART
	;;#ASMEND
	v_cmp_ne_u32_e32 vcc_lo, 0, v3
	s_waitcnt lgkmcnt(0)
	v_dual_mov_b32 v3, v5 :: v_dual_mov_b32 v4, v6
	s_cmp_lg_u32 vcc_lo, exec_lo
	s_cbranch_scc1 .LBB518_122
; %bb.108:                              ;   in Loop: Header=BB518_107 Depth=1
	v_lshlrev_b64 v[5:6], 4, v[11:12]
	s_mov_b32 s9, exec_lo
	s_delay_alu instid0(VALU_DEP_1) | instskip(NEXT) | instid1(VALU_DEP_2)
	v_add_co_u32 v13, vcc_lo, s14, v5
	v_add_co_ci_u32_e32 v14, vcc_lo, s15, v6, vcc_lo
	;;#ASMSTART
	global_load_dwordx4 v[5:8], v[13:14] off glc	
s_waitcnt vmcnt(0)
	;;#ASMEND
	v_and_b32_e32 v8, 0xff, v6
	v_and_b32_e32 v27, 0xff00, v6
	v_or3_b32 v5, v5, 0, 0
	v_and_b32_e32 v28, 0xff000000, v6
	v_and_b32_e32 v6, 0xff0000, v6
	s_delay_alu instid0(VALU_DEP_4) | instskip(SKIP_2) | instid1(VALU_DEP_3)
	v_or3_b32 v8, 0, v8, v27
	v_and_b32_e32 v27, 0xff, v7
	v_or3_b32 v5, v5, 0, 0
	v_or3_b32 v6, v8, v6, v28
	s_delay_alu instid0(VALU_DEP_3)
	v_cmpx_eq_u16_e32 0, v27
	s_cbranch_execz .LBB518_112
; %bb.109:                              ;   in Loop: Header=BB518_107 Depth=1
	s_mov_b32 s10, 0
.LBB518_110:                            ;   Parent Loop BB518_107 Depth=1
                                        ; =>  This Inner Loop Header: Depth=2
	;;#ASMSTART
	global_load_dwordx4 v[5:8], v[13:14] off glc	
s_waitcnt vmcnt(0)
	;;#ASMEND
	v_and_b32_e32 v8, 0xff, v7
	s_delay_alu instid0(VALU_DEP_1) | instskip(SKIP_1) | instid1(SALU_CYCLE_1)
	v_cmp_ne_u16_e32 vcc_lo, 0, v8
	s_or_b32 s10, vcc_lo, s10
	s_and_not1_b32 exec_lo, exec_lo, s10
	s_cbranch_execnz .LBB518_110
; %bb.111:                              ;   in Loop: Header=BB518_107 Depth=1
	s_or_b32 exec_lo, exec_lo, s10
.LBB518_112:                            ;   in Loop: Header=BB518_107 Depth=1
	s_delay_alu instid0(SALU_CYCLE_1)
	s_or_b32 exec_lo, exec_lo, s9
	v_dual_mov_b32 v13, v5 :: v_dual_and_b32 v8, 0xff, v7
	ds_bpermute_b32 v27, v17, v5
	ds_bpermute_b32 v14, v17, v6
	s_mov_b32 s9, exec_lo
	v_cmp_eq_u16_e32 vcc_lo, 2, v8
	v_and_or_b32 v8, vcc_lo, v18, 0x80000000
	s_delay_alu instid0(VALU_DEP_1) | instskip(NEXT) | instid1(VALU_DEP_1)
	v_ctz_i32_b32_e32 v8, v8
	v_cmpx_lt_u32_e64 v74, v8
	s_cbranch_execz .LBB518_114
; %bb.113:                              ;   in Loop: Header=BB518_107 Depth=1
	s_waitcnt lgkmcnt(1)
	v_add_co_u32 v13, vcc_lo, v5, v27
	v_add_co_ci_u32_e32 v6, vcc_lo, 0, v6, vcc_lo
	s_delay_alu instid0(VALU_DEP_2) | instskip(SKIP_1) | instid1(VALU_DEP_2)
	v_add_co_u32 v5, vcc_lo, 0, v13
	s_waitcnt lgkmcnt(0)
	v_add_co_ci_u32_e32 v6, vcc_lo, v14, v6, vcc_lo
.LBB518_114:                            ;   in Loop: Header=BB518_107 Depth=1
	s_or_b32 exec_lo, exec_lo, s9
	s_waitcnt lgkmcnt(1)
	ds_bpermute_b32 v27, v19, v13
	s_waitcnt lgkmcnt(1)
	ds_bpermute_b32 v14, v19, v6
	s_mov_b32 s9, exec_lo
	v_cmpx_le_u32_e64 v20, v8
	s_cbranch_execz .LBB518_116
; %bb.115:                              ;   in Loop: Header=BB518_107 Depth=1
	s_waitcnt lgkmcnt(1)
	v_add_co_u32 v13, vcc_lo, v5, v27
	v_add_co_ci_u32_e32 v6, vcc_lo, 0, v6, vcc_lo
	s_delay_alu instid0(VALU_DEP_2) | instskip(SKIP_1) | instid1(VALU_DEP_2)
	v_add_co_u32 v5, vcc_lo, 0, v13
	s_waitcnt lgkmcnt(0)
	v_add_co_ci_u32_e32 v6, vcc_lo, v14, v6, vcc_lo
.LBB518_116:                            ;   in Loop: Header=BB518_107 Depth=1
	s_or_b32 exec_lo, exec_lo, s9
	s_waitcnt lgkmcnt(1)
	ds_bpermute_b32 v27, v21, v13
	s_waitcnt lgkmcnt(1)
	ds_bpermute_b32 v14, v21, v6
	s_mov_b32 s9, exec_lo
	v_cmpx_le_u32_e64 v22, v8
	;; [unrolled: 17-line block ×3, first 2 shown]
	s_cbranch_execz .LBB518_120
; %bb.119:                              ;   in Loop: Header=BB518_107 Depth=1
	s_waitcnt lgkmcnt(1)
	v_add_co_u32 v13, vcc_lo, v5, v27
	v_add_co_ci_u32_e32 v6, vcc_lo, 0, v6, vcc_lo
	s_delay_alu instid0(VALU_DEP_2) | instskip(SKIP_1) | instid1(VALU_DEP_2)
	v_add_co_u32 v5, vcc_lo, 0, v13
	s_waitcnt lgkmcnt(0)
	v_add_co_ci_u32_e32 v6, vcc_lo, v14, v6, vcc_lo
.LBB518_120:                            ;   in Loop: Header=BB518_107 Depth=1
	s_or_b32 exec_lo, exec_lo, s9
	s_waitcnt lgkmcnt(0)
	ds_bpermute_b32 v14, v25, v13
	ds_bpermute_b32 v13, v25, v6
	s_mov_b32 s9, exec_lo
	v_cmpx_le_u32_e64 v26, v8
	s_cbranch_execz .LBB518_106
; %bb.121:                              ;   in Loop: Header=BB518_107 Depth=1
	s_waitcnt lgkmcnt(1)
	v_add_co_u32 v5, vcc_lo, v5, v14
	v_add_co_ci_u32_e32 v6, vcc_lo, 0, v6, vcc_lo
	s_delay_alu instid0(VALU_DEP_2) | instskip(SKIP_1) | instid1(VALU_DEP_2)
	v_add_co_u32 v5, vcc_lo, v5, 0
	s_waitcnt lgkmcnt(0)
	v_add_co_ci_u32_e32 v6, vcc_lo, v6, v13, vcc_lo
	s_branch .LBB518_106
.LBB518_122:                            ;   in Loop: Header=BB518_107 Depth=1
                                        ; implicit-def: $vgpr5_vgpr6
	s_cbranch_execz .LBB518_107
; %bb.123:
	s_and_saveexec_b32 s9, s1
	s_cbranch_execz .LBB518_125
; %bb.124:
	s_add_i32 s10, s7, 32
	s_mov_b32 s11, 0
	v_add_co_u32 v5, vcc_lo, v3, v1
	s_lshl_b64 s[10:11], s[10:11], 4
	v_dual_mov_b32 v7, 2 :: v_dual_mov_b32 v8, 0
	s_add_u32 s10, s14, s10
	s_addc_u32 s11, s15, s11
	v_add_co_ci_u32_e32 v6, vcc_lo, v4, v2, vcc_lo
	v_dual_mov_b32 v12, s11 :: v_dual_mov_b32 v11, s10
	;;#ASMSTART
	global_store_dwordx4 v[11:12], v[5:8] off	
s_waitcnt vmcnt(0)
	;;#ASMEND
	ds_store_b128 v8, v[1:4] offset:7168
.LBB518_125:
	s_or_b32 exec_lo, exec_lo, s9
	s_delay_alu instid0(SALU_CYCLE_1)
	s_and_b32 exec_lo, exec_lo, s2
	s_cbranch_execz .LBB518_127
; %bb.126:
	v_mov_b32_e32 v1, 0
	ds_store_b64 v1, v[3:4] offset:24
.LBB518_127:
	s_or_b32 exec_lo, exec_lo, s8
	v_mov_b32_e32 v21, 0
	s_waitcnt lgkmcnt(0)
	s_barrier
	buffer_gl0_inv
	v_cndmask_b32_e64 v3, v15, v9, s1
	ds_load_b64 v[1:2], v21 offset:24
	v_cndmask_b32_e64 v4, v16, v10, s1
	s_waitcnt lgkmcnt(0)
	s_barrier
	v_cndmask_b32_e64 v3, v3, 0, s2
	buffer_gl0_inv
	v_cndmask_b32_e64 v4, v4, 0, s2
	ds_load_b128 v[45:48], v21 offset:7168
	v_add_co_u32 v1, vcc_lo, v1, v3
	v_add_co_ci_u32_e32 v2, vcc_lo, v2, v4, vcc_lo
	s_delay_alu instid0(VALU_DEP_2) | instskip(NEXT) | instid1(VALU_DEP_2)
	v_add_co_u32 v3, vcc_lo, v1, v65
	v_add_co_ci_u32_e32 v4, vcc_lo, 0, v2, vcc_lo
	s_delay_alu instid0(VALU_DEP_2) | instskip(NEXT) | instid1(VALU_DEP_2)
	;; [unrolled: 3-line block ×13, first 2 shown]
	v_add_co_u32 v27, vcc_lo, v25, v64
	v_add_co_ci_u32_e32 v28, vcc_lo, 0, v26, vcc_lo
	s_branch .LBB518_152
.LBB518_128:
                                        ; implicit-def: $vgpr47_vgpr48
                                        ; implicit-def: $vgpr1_vgpr2_vgpr3_vgpr4_vgpr5_vgpr6_vgpr7_vgpr8_vgpr9_vgpr10_vgpr11_vgpr12_vgpr13_vgpr14_vgpr15_vgpr16_vgpr17_vgpr18_vgpr19_vgpr20_vgpr21_vgpr22_vgpr23_vgpr24_vgpr25_vgpr26_vgpr27_vgpr28_vgpr29_vgpr30_vgpr31_vgpr32
	s_and_b32 vcc_lo, exec_lo, s1
	s_cbranch_vccz .LBB518_152
; %bb.129:
	v_dual_mov_b32 v2, 0 :: v_dual_mov_b32 v3, v53
	v_mov_b32_dpp v4, v53 row_shr:1 row_mask:0xf bank_mask:0xf
	s_delay_alu instid0(VALU_DEP_2)
	v_mov_b32_dpp v1, v2 row_shr:1 row_mask:0xf bank_mask:0xf
	s_and_saveexec_b32 s1, s0
; %bb.130:
	s_delay_alu instid0(VALU_DEP_2) | instskip(SKIP_1) | instid1(VALU_DEP_2)
	v_add_co_u32 v3, vcc_lo, v53, v4
	v_add_co_ci_u32_e32 v2, vcc_lo, 0, v54, vcc_lo
	v_add_co_u32 v53, vcc_lo, 0, v3
	s_delay_alu instid0(VALU_DEP_2) | instskip(NEXT) | instid1(VALU_DEP_1)
	v_add_co_ci_u32_e32 v54, vcc_lo, v1, v2, vcc_lo
	v_mov_b32_e32 v2, v54
; %bb.131:
	s_or_b32 exec_lo, exec_lo, s1
	v_mov_b32_dpp v1, v3 row_shr:2 row_mask:0xf bank_mask:0xf
	s_delay_alu instid0(VALU_DEP_2)
	v_mov_b32_dpp v4, v2 row_shr:2 row_mask:0xf bank_mask:0xf
	s_mov_b32 s0, exec_lo
	v_cmpx_lt_u32_e32 1, v75
; %bb.132:
	s_delay_alu instid0(VALU_DEP_3) | instskip(SKIP_1) | instid1(VALU_DEP_2)
	v_add_co_u32 v3, vcc_lo, v53, v1
	v_add_co_ci_u32_e32 v2, vcc_lo, 0, v54, vcc_lo
	v_add_co_u32 v1, vcc_lo, 0, v3
	s_delay_alu instid0(VALU_DEP_2) | instskip(NEXT) | instid1(VALU_DEP_1)
	v_add_co_ci_u32_e32 v2, vcc_lo, v4, v2, vcc_lo
	v_dual_mov_b32 v54, v2 :: v_dual_mov_b32 v53, v1
; %bb.133:
	s_or_b32 exec_lo, exec_lo, s0
	v_mov_b32_dpp v1, v3 row_shr:4 row_mask:0xf bank_mask:0xf
	v_mov_b32_dpp v4, v2 row_shr:4 row_mask:0xf bank_mask:0xf
	s_mov_b32 s0, exec_lo
	v_cmpx_lt_u32_e32 3, v75
; %bb.134:
	s_delay_alu instid0(VALU_DEP_3) | instskip(SKIP_1) | instid1(VALU_DEP_2)
	v_add_co_u32 v3, vcc_lo, v53, v1
	v_add_co_ci_u32_e32 v2, vcc_lo, 0, v54, vcc_lo
	v_add_co_u32 v1, vcc_lo, 0, v3
	s_delay_alu instid0(VALU_DEP_2) | instskip(NEXT) | instid1(VALU_DEP_1)
	v_add_co_ci_u32_e32 v2, vcc_lo, v4, v2, vcc_lo
	v_dual_mov_b32 v54, v2 :: v_dual_mov_b32 v53, v1
; %bb.135:
	s_or_b32 exec_lo, exec_lo, s0
	v_mov_b32_dpp v4, v3 row_shr:8 row_mask:0xf bank_mask:0xf
	v_mov_b32_dpp v1, v2 row_shr:8 row_mask:0xf bank_mask:0xf
	s_mov_b32 s0, exec_lo
	v_cmpx_lt_u32_e32 7, v75
; %bb.136:
	s_delay_alu instid0(VALU_DEP_3) | instskip(SKIP_1) | instid1(VALU_DEP_2)
	v_add_co_u32 v3, vcc_lo, v53, v4
	v_add_co_ci_u32_e32 v2, vcc_lo, 0, v54, vcc_lo
	v_add_co_u32 v53, vcc_lo, 0, v3
	s_delay_alu instid0(VALU_DEP_2) | instskip(NEXT) | instid1(VALU_DEP_1)
	v_add_co_ci_u32_e32 v54, vcc_lo, v1, v2, vcc_lo
	v_mov_b32_e32 v2, v54
; %bb.137:
	s_or_b32 exec_lo, exec_lo, s0
	ds_swizzle_b32 v3, v3 offset:swizzle(BROADCAST,32,15)
	ds_swizzle_b32 v1, v2 offset:swizzle(BROADCAST,32,15)
	v_and_b32_e32 v2, 16, v74
	s_mov_b32 s0, exec_lo
	s_delay_alu instid0(VALU_DEP_1)
	v_cmpx_ne_u32_e32 0, v2
	s_cbranch_execz .LBB518_139
; %bb.138:
	s_waitcnt lgkmcnt(1)
	v_add_co_u32 v2, vcc_lo, v53, v3
	v_add_co_ci_u32_e32 v3, vcc_lo, 0, v54, vcc_lo
	s_delay_alu instid0(VALU_DEP_2) | instskip(SKIP_1) | instid1(VALU_DEP_2)
	v_add_co_u32 v53, vcc_lo, v2, 0
	s_waitcnt lgkmcnt(0)
	v_add_co_ci_u32_e32 v54, vcc_lo, v3, v1, vcc_lo
.LBB518_139:
	s_or_b32 exec_lo, exec_lo, s0
	s_waitcnt lgkmcnt(0)
	v_or_b32_e32 v1, 31, v0
	v_lshrrev_b32_e32 v3, 5, v0
	s_mov_b32 s0, exec_lo
	s_delay_alu instid0(VALU_DEP_2)
	v_cmpx_eq_u32_e64 v1, v0
	s_cbranch_execz .LBB518_141
; %bb.140:
	s_delay_alu instid0(VALU_DEP_2)
	v_lshlrev_b32_e32 v1, 3, v3
	ds_store_b64 v1, v[53:54]
.LBB518_141:
	s_or_b32 exec_lo, exec_lo, s0
	s_delay_alu instid0(SALU_CYCLE_1)
	s_mov_b32 s0, exec_lo
	s_waitcnt lgkmcnt(0)
	s_barrier
	buffer_gl0_inv
	v_cmpx_gt_u32_e32 4, v0
	s_cbranch_execz .LBB518_147
; %bb.142:
	v_mad_i32_i24 v1, 0xffffffd0, v0, v63
	s_mov_b32 s1, exec_lo
	ds_load_b64 v[1:2], v1
	s_waitcnt lgkmcnt(0)
	v_dual_mov_b32 v5, v1 :: v_dual_and_b32 v4, 3, v74
	v_mov_b32_dpp v7, v1 row_shr:1 row_mask:0xf bank_mask:0xf
	v_mov_b32_dpp v6, v2 row_shr:1 row_mask:0xf bank_mask:0xf
	s_delay_alu instid0(VALU_DEP_3)
	v_cmpx_ne_u32_e32 0, v4
; %bb.143:
	s_delay_alu instid0(VALU_DEP_3) | instskip(SKIP_1) | instid1(VALU_DEP_2)
	v_add_co_u32 v5, vcc_lo, v1, v7
	v_add_co_ci_u32_e32 v2, vcc_lo, 0, v2, vcc_lo
	v_add_co_u32 v1, vcc_lo, 0, v5
	s_delay_alu instid0(VALU_DEP_2)
	v_add_co_ci_u32_e32 v2, vcc_lo, v6, v2, vcc_lo
; %bb.144:
	s_or_b32 exec_lo, exec_lo, s1
	v_mul_i32_i24_e32 v6, 0xffffffd0, v0
	v_mov_b32_dpp v7, v5 row_shr:2 row_mask:0xf bank_mask:0xf
	s_delay_alu instid0(VALU_DEP_3)
	v_mov_b32_dpp v5, v2 row_shr:2 row_mask:0xf bank_mask:0xf
	s_mov_b32 s1, exec_lo
	v_cmpx_lt_u32_e32 1, v4
; %bb.145:
	s_delay_alu instid0(VALU_DEP_3) | instskip(SKIP_1) | instid1(VALU_DEP_2)
	v_add_co_u32 v1, vcc_lo, v1, v7
	v_add_co_ci_u32_e32 v2, vcc_lo, 0, v2, vcc_lo
	v_add_co_u32 v1, vcc_lo, v1, 0
	s_delay_alu instid0(VALU_DEP_2)
	v_add_co_ci_u32_e32 v2, vcc_lo, v2, v5, vcc_lo
; %bb.146:
	s_or_b32 exec_lo, exec_lo, s1
	v_add_nc_u32_e32 v4, v63, v6
	ds_store_b64 v4, v[1:2]
.LBB518_147:
	s_or_b32 exec_lo, exec_lo, s0
	v_mov_b32_e32 v1, 0
	v_mov_b32_e32 v2, 0
	s_mov_b32 s0, exec_lo
	s_waitcnt lgkmcnt(0)
	s_barrier
	buffer_gl0_inv
	v_cmpx_lt_u32_e32 31, v0
	s_cbranch_execz .LBB518_149
; %bb.148:
	v_lshl_add_u32 v1, v3, 3, -8
	ds_load_b64 v[1:2], v1
.LBB518_149:
	s_or_b32 exec_lo, exec_lo, s0
	v_dual_mov_b32 v48, 0 :: v_dual_add_nc_u32 v3, -1, v74
	s_delay_alu instid0(VALU_DEP_1) | instskip(SKIP_2) | instid1(VALU_DEP_1)
	v_cmp_gt_i32_e32 vcc_lo, 0, v3
	ds_load_b64 v[45:46], v48 offset:24
	v_cndmask_b32_e32 v3, v3, v74, vcc_lo
	v_lshlrev_b32_e32 v4, 2, v3
	s_waitcnt lgkmcnt(1)
	v_add_co_u32 v3, vcc_lo, v1, v53
	v_add_co_ci_u32_e32 v5, vcc_lo, v2, v54, vcc_lo
	ds_bpermute_b32 v3, v4, v3
	ds_bpermute_b32 v4, v4, v5
	s_and_saveexec_b32 s0, s2
	s_cbranch_execz .LBB518_151
; %bb.150:
	s_add_u32 s8, s14, 0x200
	s_addc_u32 s9, s15, 0
	v_mov_b32_e32 v5, s8
	v_dual_mov_b32 v47, 2 :: v_dual_mov_b32 v6, s9
	s_waitcnt lgkmcnt(2)
	;;#ASMSTART
	global_store_dwordx4 v[5:6], v[45:48] off	
s_waitcnt vmcnt(0)
	;;#ASMEND
.LBB518_151:
	s_or_b32 exec_lo, exec_lo, s0
	v_cmp_eq_u32_e32 vcc_lo, 0, v74
	v_mov_b32_e32 v47, 0
	v_mov_b32_e32 v48, 0
	s_waitcnt lgkmcnt(0)
	s_barrier
	v_dual_cndmask_b32 v1, v3, v1 :: v_dual_cndmask_b32 v2, v4, v2
	buffer_gl0_inv
	v_cndmask_b32_e64 v1, v1, 0, s2
	v_cndmask_b32_e64 v2, v2, 0, s2
	s_delay_alu instid0(VALU_DEP_2) | instskip(NEXT) | instid1(VALU_DEP_2)
	v_add_co_u32 v3, vcc_lo, v1, v65
	v_add_co_ci_u32_e32 v4, vcc_lo, 0, v2, vcc_lo
	s_delay_alu instid0(VALU_DEP_2) | instskip(NEXT) | instid1(VALU_DEP_2)
	v_add_co_u32 v5, vcc_lo, v3, v66
	v_add_co_ci_u32_e32 v6, vcc_lo, 0, v4, vcc_lo
	;; [unrolled: 3-line block ×13, first 2 shown]
.LBB518_152:
	s_waitcnt lgkmcnt(0)
	v_cmp_gt_u64_e32 vcc_lo, 0x81, v[45:46]
	v_lshrrev_b32_e32 v53, 16, v58
	v_lshrrev_b32_e32 v54, 8, v58
	;; [unrolled: 1-line block ×6, first 2 shown]
	s_mov_b32 s0, -1
	s_cbranch_vccnz .LBB518_156
; %bb.153:
	s_and_b32 vcc_lo, exec_lo, s0
	s_cbranch_vccnz .LBB518_199
.LBB518_154:
	s_and_b32 s0, s2, s3
	s_delay_alu instid0(SALU_CYCLE_1)
	s_and_saveexec_b32 s1, s0
	s_cbranch_execnz .LBB518_231
.LBB518_155:
	s_nop 0
	s_sendmsg sendmsg(MSG_DEALLOC_VGPRS)
	s_endpgm
.LBB518_156:
	v_add_co_u32 v29, vcc_lo, v47, v45
	v_add_co_ci_u32_e32 v30, vcc_lo, v48, v46, vcc_lo
	v_lshlrev_b64 v[65:66], 2, v[49:50]
	s_delay_alu instid0(VALU_DEP_2) | instskip(NEXT) | instid1(VALU_DEP_2)
	v_cmp_lt_u64_e32 vcc_lo, v[1:2], v[29:30]
	v_add_co_u32 v65, s0, s12, v65
	s_delay_alu instid0(VALU_DEP_1) | instskip(SKIP_1) | instid1(SALU_CYCLE_1)
	v_add_co_ci_u32_e64 v66, s0, s13, v66, s0
	s_or_b32 s1, s6, vcc_lo
	s_and_saveexec_b32 s0, s1
	s_cbranch_execz .LBB518_159
; %bb.157:
	v_and_b32_e32 v67, 1, v61
	s_delay_alu instid0(VALU_DEP_1)
	v_cmp_eq_u32_e32 vcc_lo, 1, v67
	s_and_b32 exec_lo, exec_lo, vcc_lo
	s_cbranch_execz .LBB518_159
; %bb.158:
	v_lshlrev_b64 v[67:68], 2, v[1:2]
	s_delay_alu instid0(VALU_DEP_1) | instskip(NEXT) | instid1(VALU_DEP_2)
	v_add_co_u32 v67, vcc_lo, v65, v67
	v_add_co_ci_u32_e32 v68, vcc_lo, v66, v68, vcc_lo
	global_store_b32 v[67:68], v41, off
.LBB518_159:
	s_or_b32 exec_lo, exec_lo, s0
	v_cmp_lt_u64_e32 vcc_lo, v[3:4], v[29:30]
	s_or_b32 s1, s6, vcc_lo
	s_delay_alu instid0(SALU_CYCLE_1)
	s_and_saveexec_b32 s0, s1
	s_cbranch_execz .LBB518_162
; %bb.160:
	v_and_b32_e32 v2, 1, v64
	s_delay_alu instid0(VALU_DEP_1)
	v_cmp_eq_u32_e32 vcc_lo, 1, v2
	s_and_b32 exec_lo, exec_lo, vcc_lo
	s_cbranch_execz .LBB518_162
; %bb.161:
	v_lshlrev_b64 v[67:68], 2, v[3:4]
	s_delay_alu instid0(VALU_DEP_1) | instskip(NEXT) | instid1(VALU_DEP_2)
	v_add_co_u32 v67, vcc_lo, v65, v67
	v_add_co_ci_u32_e32 v68, vcc_lo, v66, v68, vcc_lo
	global_store_b32 v[67:68], v42, off
.LBB518_162:
	s_or_b32 exec_lo, exec_lo, s0
	v_cmp_lt_u64_e32 vcc_lo, v[5:6], v[29:30]
	s_or_b32 s1, s6, vcc_lo
	s_delay_alu instid0(SALU_CYCLE_1)
	;; [unrolled: 19-line block ×13, first 2 shown]
	s_and_saveexec_b32 s0, s1
	s_cbranch_execz .LBB518_198
; %bb.196:
	v_and_b32_e32 v2, 1, v56
	s_delay_alu instid0(VALU_DEP_1)
	v_cmp_eq_u32_e32 vcc_lo, 1, v2
	s_and_b32 exec_lo, exec_lo, vcc_lo
	s_cbranch_execz .LBB518_198
; %bb.197:
	v_lshlrev_b64 v[28:29], 2, v[27:28]
	s_delay_alu instid0(VALU_DEP_1) | instskip(NEXT) | instid1(VALU_DEP_2)
	v_add_co_u32 v28, vcc_lo, v65, v28
	v_add_co_ci_u32_e32 v29, vcc_lo, v66, v29, vcc_lo
	global_store_b32 v[28:29], v52, off
.LBB518_198:
	s_or_b32 exec_lo, exec_lo, s0
	s_branch .LBB518_154
.LBB518_199:
	v_and_b32_e32 v2, 1, v61
	s_mov_b32 s0, exec_lo
	s_delay_alu instid0(VALU_DEP_1)
	v_cmpx_eq_u32_e32 1, v2
	s_cbranch_execz .LBB518_201
; %bb.200:
	v_sub_nc_u32_e32 v1, v1, v47
	s_delay_alu instid0(VALU_DEP_1)
	v_lshlrev_b32_e32 v1, 2, v1
	ds_store_b32 v1, v41
.LBB518_201:
	s_or_b32 exec_lo, exec_lo, s0
	v_and_b32_e32 v1, 1, v64
	s_mov_b32 s0, exec_lo
	s_delay_alu instid0(VALU_DEP_1)
	v_cmpx_eq_u32_e32 1, v1
	s_cbranch_execz .LBB518_203
; %bb.202:
	v_sub_nc_u32_e32 v1, v3, v47
	s_delay_alu instid0(VALU_DEP_1)
	v_lshlrev_b32_e32 v1, 2, v1
	ds_store_b32 v1, v42
.LBB518_203:
	s_or_b32 exec_lo, exec_lo, s0
	;; [unrolled: 12-line block ×14, first 2 shown]
	v_mov_b32_e32 v1, 0
	s_mov_b32 s1, exec_lo
	s_waitcnt lgkmcnt(0)
	s_waitcnt_vscnt null, 0x0
	s_barrier
	buffer_gl0_inv
	v_cmpx_gt_u64_e64 v[45:46], v[0:1]
	s_cbranch_execz .LBB518_230
; %bb.228:
	v_lshlrev_b64 v[2:3], 2, v[47:48]
	v_lshlrev_b64 v[4:5], 2, v[49:50]
	s_mov_b32 s6, 0
	s_delay_alu instid0(VALU_DEP_2) | instskip(NEXT) | instid1(VALU_DEP_3)
	v_add_co_u32 v6, vcc_lo, s12, v2
	v_add_co_ci_u32_e32 v7, vcc_lo, s13, v3, vcc_lo
	v_dual_mov_b32 v3, v1 :: v_dual_mov_b32 v2, v0
	s_delay_alu instid0(VALU_DEP_3) | instskip(NEXT) | instid1(VALU_DEP_3)
	v_add_co_u32 v4, vcc_lo, v6, v4
	v_add_co_ci_u32_e32 v5, vcc_lo, v7, v5, vcc_lo
	v_or_b32_e32 v0, 0x80, v0
	.p2align	6
.LBB518_229:                            ; =>This Inner Loop Header: Depth=1
	s_delay_alu instid0(VALU_DEP_4) | instskip(NEXT) | instid1(VALU_DEP_2)
	v_lshlrev_b32_e32 v6, 2, v2
	v_cmp_le_u64_e32 vcc_lo, v[45:46], v[0:1]
	ds_load_b32 v8, v6
	v_lshlrev_b64 v[6:7], 2, v[2:3]
	v_dual_mov_b32 v3, v1 :: v_dual_mov_b32 v2, v0
	v_add_nc_u32_e32 v0, 0x80, v0
	s_or_b32 s6, vcc_lo, s6
	s_delay_alu instid0(VALU_DEP_3) | instskip(NEXT) | instid1(VALU_DEP_1)
	v_add_co_u32 v6, s0, v4, v6
	v_add_co_ci_u32_e64 v7, s0, v5, v7, s0
	s_waitcnt lgkmcnt(0)
	global_store_b32 v[6:7], v8, off
	s_and_not1_b32 exec_lo, exec_lo, s6
	s_cbranch_execnz .LBB518_229
.LBB518_230:
	s_or_b32 exec_lo, exec_lo, s1
	s_and_b32 s0, s2, s3
	s_delay_alu instid0(SALU_CYCLE_1)
	s_and_saveexec_b32 s1, s0
	s_cbranch_execz .LBB518_155
.LBB518_231:
	v_add_co_u32 v0, vcc_lo, v47, v45
	v_add_co_ci_u32_e32 v1, vcc_lo, v48, v46, vcc_lo
	v_mov_b32_e32 v2, 0
	s_delay_alu instid0(VALU_DEP_3) | instskip(NEXT) | instid1(VALU_DEP_3)
	v_add_co_u32 v0, vcc_lo, v0, v49
	v_add_co_ci_u32_e32 v1, vcc_lo, v1, v50, vcc_lo
	global_store_b64 v2, v[0:1], s[4:5]
	s_nop 0
	s_sendmsg sendmsg(MSG_DEALLOC_VGPRS)
	s_endpgm
	.section	.rodata,"a",@progbits
	.p2align	6, 0x0
	.amdhsa_kernel _ZN7rocprim17ROCPRIM_400000_NS6detail17trampoline_kernelINS0_14default_configENS1_25partition_config_selectorILNS1_17partition_subalgoE6EjNS0_10empty_typeEbEEZZNS1_14partition_implILS5_6ELb0ES3_mN6thrust23THRUST_200600_302600_NS6detail15normal_iteratorINSA_10device_ptrIjEEEEPS6_SG_NS0_5tupleIJSF_S6_EEENSH_IJSG_SG_EEES6_PlJ5mod_3IjEEEE10hipError_tPvRmT3_T4_T5_T6_T7_T9_mT8_P12ihipStream_tbDpT10_ENKUlT_T0_E_clISt17integral_constantIbLb0EES15_IbLb1EEEEDaS11_S12_EUlS11_E_NS1_11comp_targetILNS1_3genE9ELNS1_11target_archE1100ELNS1_3gpuE3ELNS1_3repE0EEENS1_30default_config_static_selectorELNS0_4arch9wavefront6targetE0EEEvT1_
		.amdhsa_group_segment_fixed_size 7184
		.amdhsa_private_segment_fixed_size 0
		.amdhsa_kernarg_size 128
		.amdhsa_user_sgpr_count 15
		.amdhsa_user_sgpr_dispatch_ptr 0
		.amdhsa_user_sgpr_queue_ptr 0
		.amdhsa_user_sgpr_kernarg_segment_ptr 1
		.amdhsa_user_sgpr_dispatch_id 0
		.amdhsa_user_sgpr_private_segment_size 0
		.amdhsa_wavefront_size32 1
		.amdhsa_uses_dynamic_stack 0
		.amdhsa_enable_private_segment 0
		.amdhsa_system_sgpr_workgroup_id_x 1
		.amdhsa_system_sgpr_workgroup_id_y 0
		.amdhsa_system_sgpr_workgroup_id_z 0
		.amdhsa_system_sgpr_workgroup_info 0
		.amdhsa_system_vgpr_workitem_id 0
		.amdhsa_next_free_vgpr 76
		.amdhsa_next_free_sgpr 20
		.amdhsa_reserve_vcc 1
		.amdhsa_float_round_mode_32 0
		.amdhsa_float_round_mode_16_64 0
		.amdhsa_float_denorm_mode_32 3
		.amdhsa_float_denorm_mode_16_64 3
		.amdhsa_dx10_clamp 1
		.amdhsa_ieee_mode 1
		.amdhsa_fp16_overflow 0
		.amdhsa_workgroup_processor_mode 1
		.amdhsa_memory_ordered 1
		.amdhsa_forward_progress 0
		.amdhsa_shared_vgpr_count 0
		.amdhsa_exception_fp_ieee_invalid_op 0
		.amdhsa_exception_fp_denorm_src 0
		.amdhsa_exception_fp_ieee_div_zero 0
		.amdhsa_exception_fp_ieee_overflow 0
		.amdhsa_exception_fp_ieee_underflow 0
		.amdhsa_exception_fp_ieee_inexact 0
		.amdhsa_exception_int_div_zero 0
	.end_amdhsa_kernel
	.section	.text._ZN7rocprim17ROCPRIM_400000_NS6detail17trampoline_kernelINS0_14default_configENS1_25partition_config_selectorILNS1_17partition_subalgoE6EjNS0_10empty_typeEbEEZZNS1_14partition_implILS5_6ELb0ES3_mN6thrust23THRUST_200600_302600_NS6detail15normal_iteratorINSA_10device_ptrIjEEEEPS6_SG_NS0_5tupleIJSF_S6_EEENSH_IJSG_SG_EEES6_PlJ5mod_3IjEEEE10hipError_tPvRmT3_T4_T5_T6_T7_T9_mT8_P12ihipStream_tbDpT10_ENKUlT_T0_E_clISt17integral_constantIbLb0EES15_IbLb1EEEEDaS11_S12_EUlS11_E_NS1_11comp_targetILNS1_3genE9ELNS1_11target_archE1100ELNS1_3gpuE3ELNS1_3repE0EEENS1_30default_config_static_selectorELNS0_4arch9wavefront6targetE0EEEvT1_,"axG",@progbits,_ZN7rocprim17ROCPRIM_400000_NS6detail17trampoline_kernelINS0_14default_configENS1_25partition_config_selectorILNS1_17partition_subalgoE6EjNS0_10empty_typeEbEEZZNS1_14partition_implILS5_6ELb0ES3_mN6thrust23THRUST_200600_302600_NS6detail15normal_iteratorINSA_10device_ptrIjEEEEPS6_SG_NS0_5tupleIJSF_S6_EEENSH_IJSG_SG_EEES6_PlJ5mod_3IjEEEE10hipError_tPvRmT3_T4_T5_T6_T7_T9_mT8_P12ihipStream_tbDpT10_ENKUlT_T0_E_clISt17integral_constantIbLb0EES15_IbLb1EEEEDaS11_S12_EUlS11_E_NS1_11comp_targetILNS1_3genE9ELNS1_11target_archE1100ELNS1_3gpuE3ELNS1_3repE0EEENS1_30default_config_static_selectorELNS0_4arch9wavefront6targetE0EEEvT1_,comdat
.Lfunc_end518:
	.size	_ZN7rocprim17ROCPRIM_400000_NS6detail17trampoline_kernelINS0_14default_configENS1_25partition_config_selectorILNS1_17partition_subalgoE6EjNS0_10empty_typeEbEEZZNS1_14partition_implILS5_6ELb0ES3_mN6thrust23THRUST_200600_302600_NS6detail15normal_iteratorINSA_10device_ptrIjEEEEPS6_SG_NS0_5tupleIJSF_S6_EEENSH_IJSG_SG_EEES6_PlJ5mod_3IjEEEE10hipError_tPvRmT3_T4_T5_T6_T7_T9_mT8_P12ihipStream_tbDpT10_ENKUlT_T0_E_clISt17integral_constantIbLb0EES15_IbLb1EEEEDaS11_S12_EUlS11_E_NS1_11comp_targetILNS1_3genE9ELNS1_11target_archE1100ELNS1_3gpuE3ELNS1_3repE0EEENS1_30default_config_static_selectorELNS0_4arch9wavefront6targetE0EEEvT1_, .Lfunc_end518-_ZN7rocprim17ROCPRIM_400000_NS6detail17trampoline_kernelINS0_14default_configENS1_25partition_config_selectorILNS1_17partition_subalgoE6EjNS0_10empty_typeEbEEZZNS1_14partition_implILS5_6ELb0ES3_mN6thrust23THRUST_200600_302600_NS6detail15normal_iteratorINSA_10device_ptrIjEEEEPS6_SG_NS0_5tupleIJSF_S6_EEENSH_IJSG_SG_EEES6_PlJ5mod_3IjEEEE10hipError_tPvRmT3_T4_T5_T6_T7_T9_mT8_P12ihipStream_tbDpT10_ENKUlT_T0_E_clISt17integral_constantIbLb0EES15_IbLb1EEEEDaS11_S12_EUlS11_E_NS1_11comp_targetILNS1_3genE9ELNS1_11target_archE1100ELNS1_3gpuE3ELNS1_3repE0EEENS1_30default_config_static_selectorELNS0_4arch9wavefront6targetE0EEEvT1_
                                        ; -- End function
	.section	.AMDGPU.csdata,"",@progbits
; Kernel info:
; codeLenInByte = 9388
; NumSgprs: 22
; NumVgprs: 76
; ScratchSize: 0
; MemoryBound: 0
; FloatMode: 240
; IeeeMode: 1
; LDSByteSize: 7184 bytes/workgroup (compile time only)
; SGPRBlocks: 2
; VGPRBlocks: 9
; NumSGPRsForWavesPerEU: 22
; NumVGPRsForWavesPerEU: 76
; Occupancy: 16
; WaveLimiterHint : 1
; COMPUTE_PGM_RSRC2:SCRATCH_EN: 0
; COMPUTE_PGM_RSRC2:USER_SGPR: 15
; COMPUTE_PGM_RSRC2:TRAP_HANDLER: 0
; COMPUTE_PGM_RSRC2:TGID_X_EN: 1
; COMPUTE_PGM_RSRC2:TGID_Y_EN: 0
; COMPUTE_PGM_RSRC2:TGID_Z_EN: 0
; COMPUTE_PGM_RSRC2:TIDIG_COMP_CNT: 0
	.section	.text._ZN7rocprim17ROCPRIM_400000_NS6detail17trampoline_kernelINS0_14default_configENS1_25partition_config_selectorILNS1_17partition_subalgoE6EjNS0_10empty_typeEbEEZZNS1_14partition_implILS5_6ELb0ES3_mN6thrust23THRUST_200600_302600_NS6detail15normal_iteratorINSA_10device_ptrIjEEEEPS6_SG_NS0_5tupleIJSF_S6_EEENSH_IJSG_SG_EEES6_PlJ5mod_3IjEEEE10hipError_tPvRmT3_T4_T5_T6_T7_T9_mT8_P12ihipStream_tbDpT10_ENKUlT_T0_E_clISt17integral_constantIbLb0EES15_IbLb1EEEEDaS11_S12_EUlS11_E_NS1_11comp_targetILNS1_3genE8ELNS1_11target_archE1030ELNS1_3gpuE2ELNS1_3repE0EEENS1_30default_config_static_selectorELNS0_4arch9wavefront6targetE0EEEvT1_,"axG",@progbits,_ZN7rocprim17ROCPRIM_400000_NS6detail17trampoline_kernelINS0_14default_configENS1_25partition_config_selectorILNS1_17partition_subalgoE6EjNS0_10empty_typeEbEEZZNS1_14partition_implILS5_6ELb0ES3_mN6thrust23THRUST_200600_302600_NS6detail15normal_iteratorINSA_10device_ptrIjEEEEPS6_SG_NS0_5tupleIJSF_S6_EEENSH_IJSG_SG_EEES6_PlJ5mod_3IjEEEE10hipError_tPvRmT3_T4_T5_T6_T7_T9_mT8_P12ihipStream_tbDpT10_ENKUlT_T0_E_clISt17integral_constantIbLb0EES15_IbLb1EEEEDaS11_S12_EUlS11_E_NS1_11comp_targetILNS1_3genE8ELNS1_11target_archE1030ELNS1_3gpuE2ELNS1_3repE0EEENS1_30default_config_static_selectorELNS0_4arch9wavefront6targetE0EEEvT1_,comdat
	.protected	_ZN7rocprim17ROCPRIM_400000_NS6detail17trampoline_kernelINS0_14default_configENS1_25partition_config_selectorILNS1_17partition_subalgoE6EjNS0_10empty_typeEbEEZZNS1_14partition_implILS5_6ELb0ES3_mN6thrust23THRUST_200600_302600_NS6detail15normal_iteratorINSA_10device_ptrIjEEEEPS6_SG_NS0_5tupleIJSF_S6_EEENSH_IJSG_SG_EEES6_PlJ5mod_3IjEEEE10hipError_tPvRmT3_T4_T5_T6_T7_T9_mT8_P12ihipStream_tbDpT10_ENKUlT_T0_E_clISt17integral_constantIbLb0EES15_IbLb1EEEEDaS11_S12_EUlS11_E_NS1_11comp_targetILNS1_3genE8ELNS1_11target_archE1030ELNS1_3gpuE2ELNS1_3repE0EEENS1_30default_config_static_selectorELNS0_4arch9wavefront6targetE0EEEvT1_ ; -- Begin function _ZN7rocprim17ROCPRIM_400000_NS6detail17trampoline_kernelINS0_14default_configENS1_25partition_config_selectorILNS1_17partition_subalgoE6EjNS0_10empty_typeEbEEZZNS1_14partition_implILS5_6ELb0ES3_mN6thrust23THRUST_200600_302600_NS6detail15normal_iteratorINSA_10device_ptrIjEEEEPS6_SG_NS0_5tupleIJSF_S6_EEENSH_IJSG_SG_EEES6_PlJ5mod_3IjEEEE10hipError_tPvRmT3_T4_T5_T6_T7_T9_mT8_P12ihipStream_tbDpT10_ENKUlT_T0_E_clISt17integral_constantIbLb0EES15_IbLb1EEEEDaS11_S12_EUlS11_E_NS1_11comp_targetILNS1_3genE8ELNS1_11target_archE1030ELNS1_3gpuE2ELNS1_3repE0EEENS1_30default_config_static_selectorELNS0_4arch9wavefront6targetE0EEEvT1_
	.globl	_ZN7rocprim17ROCPRIM_400000_NS6detail17trampoline_kernelINS0_14default_configENS1_25partition_config_selectorILNS1_17partition_subalgoE6EjNS0_10empty_typeEbEEZZNS1_14partition_implILS5_6ELb0ES3_mN6thrust23THRUST_200600_302600_NS6detail15normal_iteratorINSA_10device_ptrIjEEEEPS6_SG_NS0_5tupleIJSF_S6_EEENSH_IJSG_SG_EEES6_PlJ5mod_3IjEEEE10hipError_tPvRmT3_T4_T5_T6_T7_T9_mT8_P12ihipStream_tbDpT10_ENKUlT_T0_E_clISt17integral_constantIbLb0EES15_IbLb1EEEEDaS11_S12_EUlS11_E_NS1_11comp_targetILNS1_3genE8ELNS1_11target_archE1030ELNS1_3gpuE2ELNS1_3repE0EEENS1_30default_config_static_selectorELNS0_4arch9wavefront6targetE0EEEvT1_
	.p2align	8
	.type	_ZN7rocprim17ROCPRIM_400000_NS6detail17trampoline_kernelINS0_14default_configENS1_25partition_config_selectorILNS1_17partition_subalgoE6EjNS0_10empty_typeEbEEZZNS1_14partition_implILS5_6ELb0ES3_mN6thrust23THRUST_200600_302600_NS6detail15normal_iteratorINSA_10device_ptrIjEEEEPS6_SG_NS0_5tupleIJSF_S6_EEENSH_IJSG_SG_EEES6_PlJ5mod_3IjEEEE10hipError_tPvRmT3_T4_T5_T6_T7_T9_mT8_P12ihipStream_tbDpT10_ENKUlT_T0_E_clISt17integral_constantIbLb0EES15_IbLb1EEEEDaS11_S12_EUlS11_E_NS1_11comp_targetILNS1_3genE8ELNS1_11target_archE1030ELNS1_3gpuE2ELNS1_3repE0EEENS1_30default_config_static_selectorELNS0_4arch9wavefront6targetE0EEEvT1_,@function
_ZN7rocprim17ROCPRIM_400000_NS6detail17trampoline_kernelINS0_14default_configENS1_25partition_config_selectorILNS1_17partition_subalgoE6EjNS0_10empty_typeEbEEZZNS1_14partition_implILS5_6ELb0ES3_mN6thrust23THRUST_200600_302600_NS6detail15normal_iteratorINSA_10device_ptrIjEEEEPS6_SG_NS0_5tupleIJSF_S6_EEENSH_IJSG_SG_EEES6_PlJ5mod_3IjEEEE10hipError_tPvRmT3_T4_T5_T6_T7_T9_mT8_P12ihipStream_tbDpT10_ENKUlT_T0_E_clISt17integral_constantIbLb0EES15_IbLb1EEEEDaS11_S12_EUlS11_E_NS1_11comp_targetILNS1_3genE8ELNS1_11target_archE1030ELNS1_3gpuE2ELNS1_3repE0EEENS1_30default_config_static_selectorELNS0_4arch9wavefront6targetE0EEEvT1_: ; @_ZN7rocprim17ROCPRIM_400000_NS6detail17trampoline_kernelINS0_14default_configENS1_25partition_config_selectorILNS1_17partition_subalgoE6EjNS0_10empty_typeEbEEZZNS1_14partition_implILS5_6ELb0ES3_mN6thrust23THRUST_200600_302600_NS6detail15normal_iteratorINSA_10device_ptrIjEEEEPS6_SG_NS0_5tupleIJSF_S6_EEENSH_IJSG_SG_EEES6_PlJ5mod_3IjEEEE10hipError_tPvRmT3_T4_T5_T6_T7_T9_mT8_P12ihipStream_tbDpT10_ENKUlT_T0_E_clISt17integral_constantIbLb0EES15_IbLb1EEEEDaS11_S12_EUlS11_E_NS1_11comp_targetILNS1_3genE8ELNS1_11target_archE1030ELNS1_3gpuE2ELNS1_3repE0EEENS1_30default_config_static_selectorELNS0_4arch9wavefront6targetE0EEEvT1_
; %bb.0:
	.section	.rodata,"a",@progbits
	.p2align	6, 0x0
	.amdhsa_kernel _ZN7rocprim17ROCPRIM_400000_NS6detail17trampoline_kernelINS0_14default_configENS1_25partition_config_selectorILNS1_17partition_subalgoE6EjNS0_10empty_typeEbEEZZNS1_14partition_implILS5_6ELb0ES3_mN6thrust23THRUST_200600_302600_NS6detail15normal_iteratorINSA_10device_ptrIjEEEEPS6_SG_NS0_5tupleIJSF_S6_EEENSH_IJSG_SG_EEES6_PlJ5mod_3IjEEEE10hipError_tPvRmT3_T4_T5_T6_T7_T9_mT8_P12ihipStream_tbDpT10_ENKUlT_T0_E_clISt17integral_constantIbLb0EES15_IbLb1EEEEDaS11_S12_EUlS11_E_NS1_11comp_targetILNS1_3genE8ELNS1_11target_archE1030ELNS1_3gpuE2ELNS1_3repE0EEENS1_30default_config_static_selectorELNS0_4arch9wavefront6targetE0EEEvT1_
		.amdhsa_group_segment_fixed_size 0
		.amdhsa_private_segment_fixed_size 0
		.amdhsa_kernarg_size 128
		.amdhsa_user_sgpr_count 15
		.amdhsa_user_sgpr_dispatch_ptr 0
		.amdhsa_user_sgpr_queue_ptr 0
		.amdhsa_user_sgpr_kernarg_segment_ptr 1
		.amdhsa_user_sgpr_dispatch_id 0
		.amdhsa_user_sgpr_private_segment_size 0
		.amdhsa_wavefront_size32 1
		.amdhsa_uses_dynamic_stack 0
		.amdhsa_enable_private_segment 0
		.amdhsa_system_sgpr_workgroup_id_x 1
		.amdhsa_system_sgpr_workgroup_id_y 0
		.amdhsa_system_sgpr_workgroup_id_z 0
		.amdhsa_system_sgpr_workgroup_info 0
		.amdhsa_system_vgpr_workitem_id 0
		.amdhsa_next_free_vgpr 1
		.amdhsa_next_free_sgpr 1
		.amdhsa_reserve_vcc 0
		.amdhsa_float_round_mode_32 0
		.amdhsa_float_round_mode_16_64 0
		.amdhsa_float_denorm_mode_32 3
		.amdhsa_float_denorm_mode_16_64 3
		.amdhsa_dx10_clamp 1
		.amdhsa_ieee_mode 1
		.amdhsa_fp16_overflow 0
		.amdhsa_workgroup_processor_mode 1
		.amdhsa_memory_ordered 1
		.amdhsa_forward_progress 0
		.amdhsa_shared_vgpr_count 0
		.amdhsa_exception_fp_ieee_invalid_op 0
		.amdhsa_exception_fp_denorm_src 0
		.amdhsa_exception_fp_ieee_div_zero 0
		.amdhsa_exception_fp_ieee_overflow 0
		.amdhsa_exception_fp_ieee_underflow 0
		.amdhsa_exception_fp_ieee_inexact 0
		.amdhsa_exception_int_div_zero 0
	.end_amdhsa_kernel
	.section	.text._ZN7rocprim17ROCPRIM_400000_NS6detail17trampoline_kernelINS0_14default_configENS1_25partition_config_selectorILNS1_17partition_subalgoE6EjNS0_10empty_typeEbEEZZNS1_14partition_implILS5_6ELb0ES3_mN6thrust23THRUST_200600_302600_NS6detail15normal_iteratorINSA_10device_ptrIjEEEEPS6_SG_NS0_5tupleIJSF_S6_EEENSH_IJSG_SG_EEES6_PlJ5mod_3IjEEEE10hipError_tPvRmT3_T4_T5_T6_T7_T9_mT8_P12ihipStream_tbDpT10_ENKUlT_T0_E_clISt17integral_constantIbLb0EES15_IbLb1EEEEDaS11_S12_EUlS11_E_NS1_11comp_targetILNS1_3genE8ELNS1_11target_archE1030ELNS1_3gpuE2ELNS1_3repE0EEENS1_30default_config_static_selectorELNS0_4arch9wavefront6targetE0EEEvT1_,"axG",@progbits,_ZN7rocprim17ROCPRIM_400000_NS6detail17trampoline_kernelINS0_14default_configENS1_25partition_config_selectorILNS1_17partition_subalgoE6EjNS0_10empty_typeEbEEZZNS1_14partition_implILS5_6ELb0ES3_mN6thrust23THRUST_200600_302600_NS6detail15normal_iteratorINSA_10device_ptrIjEEEEPS6_SG_NS0_5tupleIJSF_S6_EEENSH_IJSG_SG_EEES6_PlJ5mod_3IjEEEE10hipError_tPvRmT3_T4_T5_T6_T7_T9_mT8_P12ihipStream_tbDpT10_ENKUlT_T0_E_clISt17integral_constantIbLb0EES15_IbLb1EEEEDaS11_S12_EUlS11_E_NS1_11comp_targetILNS1_3genE8ELNS1_11target_archE1030ELNS1_3gpuE2ELNS1_3repE0EEENS1_30default_config_static_selectorELNS0_4arch9wavefront6targetE0EEEvT1_,comdat
.Lfunc_end519:
	.size	_ZN7rocprim17ROCPRIM_400000_NS6detail17trampoline_kernelINS0_14default_configENS1_25partition_config_selectorILNS1_17partition_subalgoE6EjNS0_10empty_typeEbEEZZNS1_14partition_implILS5_6ELb0ES3_mN6thrust23THRUST_200600_302600_NS6detail15normal_iteratorINSA_10device_ptrIjEEEEPS6_SG_NS0_5tupleIJSF_S6_EEENSH_IJSG_SG_EEES6_PlJ5mod_3IjEEEE10hipError_tPvRmT3_T4_T5_T6_T7_T9_mT8_P12ihipStream_tbDpT10_ENKUlT_T0_E_clISt17integral_constantIbLb0EES15_IbLb1EEEEDaS11_S12_EUlS11_E_NS1_11comp_targetILNS1_3genE8ELNS1_11target_archE1030ELNS1_3gpuE2ELNS1_3repE0EEENS1_30default_config_static_selectorELNS0_4arch9wavefront6targetE0EEEvT1_, .Lfunc_end519-_ZN7rocprim17ROCPRIM_400000_NS6detail17trampoline_kernelINS0_14default_configENS1_25partition_config_selectorILNS1_17partition_subalgoE6EjNS0_10empty_typeEbEEZZNS1_14partition_implILS5_6ELb0ES3_mN6thrust23THRUST_200600_302600_NS6detail15normal_iteratorINSA_10device_ptrIjEEEEPS6_SG_NS0_5tupleIJSF_S6_EEENSH_IJSG_SG_EEES6_PlJ5mod_3IjEEEE10hipError_tPvRmT3_T4_T5_T6_T7_T9_mT8_P12ihipStream_tbDpT10_ENKUlT_T0_E_clISt17integral_constantIbLb0EES15_IbLb1EEEEDaS11_S12_EUlS11_E_NS1_11comp_targetILNS1_3genE8ELNS1_11target_archE1030ELNS1_3gpuE2ELNS1_3repE0EEENS1_30default_config_static_selectorELNS0_4arch9wavefront6targetE0EEEvT1_
                                        ; -- End function
	.section	.AMDGPU.csdata,"",@progbits
; Kernel info:
; codeLenInByte = 0
; NumSgprs: 0
; NumVgprs: 0
; ScratchSize: 0
; MemoryBound: 0
; FloatMode: 240
; IeeeMode: 1
; LDSByteSize: 0 bytes/workgroup (compile time only)
; SGPRBlocks: 0
; VGPRBlocks: 0
; NumSGPRsForWavesPerEU: 1
; NumVGPRsForWavesPerEU: 1
; Occupancy: 16
; WaveLimiterHint : 0
; COMPUTE_PGM_RSRC2:SCRATCH_EN: 0
; COMPUTE_PGM_RSRC2:USER_SGPR: 15
; COMPUTE_PGM_RSRC2:TRAP_HANDLER: 0
; COMPUTE_PGM_RSRC2:TGID_X_EN: 1
; COMPUTE_PGM_RSRC2:TGID_Y_EN: 0
; COMPUTE_PGM_RSRC2:TGID_Z_EN: 0
; COMPUTE_PGM_RSRC2:TIDIG_COMP_CNT: 0
	.section	.text._ZN7rocprim17ROCPRIM_400000_NS6detail17trampoline_kernelINS0_14default_configENS1_25partition_config_selectorILNS1_17partition_subalgoE6EtNS0_10empty_typeEbEEZZNS1_14partition_implILS5_6ELb0ES3_mN6thrust23THRUST_200600_302600_NS6detail15normal_iteratorINSA_10device_ptrItEEEEPS6_SG_NS0_5tupleIJSF_S6_EEENSH_IJSG_SG_EEES6_PlJ5mod_3ItEEEE10hipError_tPvRmT3_T4_T5_T6_T7_T9_mT8_P12ihipStream_tbDpT10_ENKUlT_T0_E_clISt17integral_constantIbLb0EES16_EEDaS11_S12_EUlS11_E_NS1_11comp_targetILNS1_3genE0ELNS1_11target_archE4294967295ELNS1_3gpuE0ELNS1_3repE0EEENS1_30default_config_static_selectorELNS0_4arch9wavefront6targetE0EEEvT1_,"axG",@progbits,_ZN7rocprim17ROCPRIM_400000_NS6detail17trampoline_kernelINS0_14default_configENS1_25partition_config_selectorILNS1_17partition_subalgoE6EtNS0_10empty_typeEbEEZZNS1_14partition_implILS5_6ELb0ES3_mN6thrust23THRUST_200600_302600_NS6detail15normal_iteratorINSA_10device_ptrItEEEEPS6_SG_NS0_5tupleIJSF_S6_EEENSH_IJSG_SG_EEES6_PlJ5mod_3ItEEEE10hipError_tPvRmT3_T4_T5_T6_T7_T9_mT8_P12ihipStream_tbDpT10_ENKUlT_T0_E_clISt17integral_constantIbLb0EES16_EEDaS11_S12_EUlS11_E_NS1_11comp_targetILNS1_3genE0ELNS1_11target_archE4294967295ELNS1_3gpuE0ELNS1_3repE0EEENS1_30default_config_static_selectorELNS0_4arch9wavefront6targetE0EEEvT1_,comdat
	.protected	_ZN7rocprim17ROCPRIM_400000_NS6detail17trampoline_kernelINS0_14default_configENS1_25partition_config_selectorILNS1_17partition_subalgoE6EtNS0_10empty_typeEbEEZZNS1_14partition_implILS5_6ELb0ES3_mN6thrust23THRUST_200600_302600_NS6detail15normal_iteratorINSA_10device_ptrItEEEEPS6_SG_NS0_5tupleIJSF_S6_EEENSH_IJSG_SG_EEES6_PlJ5mod_3ItEEEE10hipError_tPvRmT3_T4_T5_T6_T7_T9_mT8_P12ihipStream_tbDpT10_ENKUlT_T0_E_clISt17integral_constantIbLb0EES16_EEDaS11_S12_EUlS11_E_NS1_11comp_targetILNS1_3genE0ELNS1_11target_archE4294967295ELNS1_3gpuE0ELNS1_3repE0EEENS1_30default_config_static_selectorELNS0_4arch9wavefront6targetE0EEEvT1_ ; -- Begin function _ZN7rocprim17ROCPRIM_400000_NS6detail17trampoline_kernelINS0_14default_configENS1_25partition_config_selectorILNS1_17partition_subalgoE6EtNS0_10empty_typeEbEEZZNS1_14partition_implILS5_6ELb0ES3_mN6thrust23THRUST_200600_302600_NS6detail15normal_iteratorINSA_10device_ptrItEEEEPS6_SG_NS0_5tupleIJSF_S6_EEENSH_IJSG_SG_EEES6_PlJ5mod_3ItEEEE10hipError_tPvRmT3_T4_T5_T6_T7_T9_mT8_P12ihipStream_tbDpT10_ENKUlT_T0_E_clISt17integral_constantIbLb0EES16_EEDaS11_S12_EUlS11_E_NS1_11comp_targetILNS1_3genE0ELNS1_11target_archE4294967295ELNS1_3gpuE0ELNS1_3repE0EEENS1_30default_config_static_selectorELNS0_4arch9wavefront6targetE0EEEvT1_
	.globl	_ZN7rocprim17ROCPRIM_400000_NS6detail17trampoline_kernelINS0_14default_configENS1_25partition_config_selectorILNS1_17partition_subalgoE6EtNS0_10empty_typeEbEEZZNS1_14partition_implILS5_6ELb0ES3_mN6thrust23THRUST_200600_302600_NS6detail15normal_iteratorINSA_10device_ptrItEEEEPS6_SG_NS0_5tupleIJSF_S6_EEENSH_IJSG_SG_EEES6_PlJ5mod_3ItEEEE10hipError_tPvRmT3_T4_T5_T6_T7_T9_mT8_P12ihipStream_tbDpT10_ENKUlT_T0_E_clISt17integral_constantIbLb0EES16_EEDaS11_S12_EUlS11_E_NS1_11comp_targetILNS1_3genE0ELNS1_11target_archE4294967295ELNS1_3gpuE0ELNS1_3repE0EEENS1_30default_config_static_selectorELNS0_4arch9wavefront6targetE0EEEvT1_
	.p2align	8
	.type	_ZN7rocprim17ROCPRIM_400000_NS6detail17trampoline_kernelINS0_14default_configENS1_25partition_config_selectorILNS1_17partition_subalgoE6EtNS0_10empty_typeEbEEZZNS1_14partition_implILS5_6ELb0ES3_mN6thrust23THRUST_200600_302600_NS6detail15normal_iteratorINSA_10device_ptrItEEEEPS6_SG_NS0_5tupleIJSF_S6_EEENSH_IJSG_SG_EEES6_PlJ5mod_3ItEEEE10hipError_tPvRmT3_T4_T5_T6_T7_T9_mT8_P12ihipStream_tbDpT10_ENKUlT_T0_E_clISt17integral_constantIbLb0EES16_EEDaS11_S12_EUlS11_E_NS1_11comp_targetILNS1_3genE0ELNS1_11target_archE4294967295ELNS1_3gpuE0ELNS1_3repE0EEENS1_30default_config_static_selectorELNS0_4arch9wavefront6targetE0EEEvT1_,@function
_ZN7rocprim17ROCPRIM_400000_NS6detail17trampoline_kernelINS0_14default_configENS1_25partition_config_selectorILNS1_17partition_subalgoE6EtNS0_10empty_typeEbEEZZNS1_14partition_implILS5_6ELb0ES3_mN6thrust23THRUST_200600_302600_NS6detail15normal_iteratorINSA_10device_ptrItEEEEPS6_SG_NS0_5tupleIJSF_S6_EEENSH_IJSG_SG_EEES6_PlJ5mod_3ItEEEE10hipError_tPvRmT3_T4_T5_T6_T7_T9_mT8_P12ihipStream_tbDpT10_ENKUlT_T0_E_clISt17integral_constantIbLb0EES16_EEDaS11_S12_EUlS11_E_NS1_11comp_targetILNS1_3genE0ELNS1_11target_archE4294967295ELNS1_3gpuE0ELNS1_3repE0EEENS1_30default_config_static_selectorELNS0_4arch9wavefront6targetE0EEEvT1_: ; @_ZN7rocprim17ROCPRIM_400000_NS6detail17trampoline_kernelINS0_14default_configENS1_25partition_config_selectorILNS1_17partition_subalgoE6EtNS0_10empty_typeEbEEZZNS1_14partition_implILS5_6ELb0ES3_mN6thrust23THRUST_200600_302600_NS6detail15normal_iteratorINSA_10device_ptrItEEEEPS6_SG_NS0_5tupleIJSF_S6_EEENSH_IJSG_SG_EEES6_PlJ5mod_3ItEEEE10hipError_tPvRmT3_T4_T5_T6_T7_T9_mT8_P12ihipStream_tbDpT10_ENKUlT_T0_E_clISt17integral_constantIbLb0EES16_EEDaS11_S12_EUlS11_E_NS1_11comp_targetILNS1_3genE0ELNS1_11target_archE4294967295ELNS1_3gpuE0ELNS1_3repE0EEENS1_30default_config_static_selectorELNS0_4arch9wavefront6targetE0EEEvT1_
; %bb.0:
	.section	.rodata,"a",@progbits
	.p2align	6, 0x0
	.amdhsa_kernel _ZN7rocprim17ROCPRIM_400000_NS6detail17trampoline_kernelINS0_14default_configENS1_25partition_config_selectorILNS1_17partition_subalgoE6EtNS0_10empty_typeEbEEZZNS1_14partition_implILS5_6ELb0ES3_mN6thrust23THRUST_200600_302600_NS6detail15normal_iteratorINSA_10device_ptrItEEEEPS6_SG_NS0_5tupleIJSF_S6_EEENSH_IJSG_SG_EEES6_PlJ5mod_3ItEEEE10hipError_tPvRmT3_T4_T5_T6_T7_T9_mT8_P12ihipStream_tbDpT10_ENKUlT_T0_E_clISt17integral_constantIbLb0EES16_EEDaS11_S12_EUlS11_E_NS1_11comp_targetILNS1_3genE0ELNS1_11target_archE4294967295ELNS1_3gpuE0ELNS1_3repE0EEENS1_30default_config_static_selectorELNS0_4arch9wavefront6targetE0EEEvT1_
		.amdhsa_group_segment_fixed_size 0
		.amdhsa_private_segment_fixed_size 0
		.amdhsa_kernarg_size 112
		.amdhsa_user_sgpr_count 15
		.amdhsa_user_sgpr_dispatch_ptr 0
		.amdhsa_user_sgpr_queue_ptr 0
		.amdhsa_user_sgpr_kernarg_segment_ptr 1
		.amdhsa_user_sgpr_dispatch_id 0
		.amdhsa_user_sgpr_private_segment_size 0
		.amdhsa_wavefront_size32 1
		.amdhsa_uses_dynamic_stack 0
		.amdhsa_enable_private_segment 0
		.amdhsa_system_sgpr_workgroup_id_x 1
		.amdhsa_system_sgpr_workgroup_id_y 0
		.amdhsa_system_sgpr_workgroup_id_z 0
		.amdhsa_system_sgpr_workgroup_info 0
		.amdhsa_system_vgpr_workitem_id 0
		.amdhsa_next_free_vgpr 1
		.amdhsa_next_free_sgpr 1
		.amdhsa_reserve_vcc 0
		.amdhsa_float_round_mode_32 0
		.amdhsa_float_round_mode_16_64 0
		.amdhsa_float_denorm_mode_32 3
		.amdhsa_float_denorm_mode_16_64 3
		.amdhsa_dx10_clamp 1
		.amdhsa_ieee_mode 1
		.amdhsa_fp16_overflow 0
		.amdhsa_workgroup_processor_mode 1
		.amdhsa_memory_ordered 1
		.amdhsa_forward_progress 0
		.amdhsa_shared_vgpr_count 0
		.amdhsa_exception_fp_ieee_invalid_op 0
		.amdhsa_exception_fp_denorm_src 0
		.amdhsa_exception_fp_ieee_div_zero 0
		.amdhsa_exception_fp_ieee_overflow 0
		.amdhsa_exception_fp_ieee_underflow 0
		.amdhsa_exception_fp_ieee_inexact 0
		.amdhsa_exception_int_div_zero 0
	.end_amdhsa_kernel
	.section	.text._ZN7rocprim17ROCPRIM_400000_NS6detail17trampoline_kernelINS0_14default_configENS1_25partition_config_selectorILNS1_17partition_subalgoE6EtNS0_10empty_typeEbEEZZNS1_14partition_implILS5_6ELb0ES3_mN6thrust23THRUST_200600_302600_NS6detail15normal_iteratorINSA_10device_ptrItEEEEPS6_SG_NS0_5tupleIJSF_S6_EEENSH_IJSG_SG_EEES6_PlJ5mod_3ItEEEE10hipError_tPvRmT3_T4_T5_T6_T7_T9_mT8_P12ihipStream_tbDpT10_ENKUlT_T0_E_clISt17integral_constantIbLb0EES16_EEDaS11_S12_EUlS11_E_NS1_11comp_targetILNS1_3genE0ELNS1_11target_archE4294967295ELNS1_3gpuE0ELNS1_3repE0EEENS1_30default_config_static_selectorELNS0_4arch9wavefront6targetE0EEEvT1_,"axG",@progbits,_ZN7rocprim17ROCPRIM_400000_NS6detail17trampoline_kernelINS0_14default_configENS1_25partition_config_selectorILNS1_17partition_subalgoE6EtNS0_10empty_typeEbEEZZNS1_14partition_implILS5_6ELb0ES3_mN6thrust23THRUST_200600_302600_NS6detail15normal_iteratorINSA_10device_ptrItEEEEPS6_SG_NS0_5tupleIJSF_S6_EEENSH_IJSG_SG_EEES6_PlJ5mod_3ItEEEE10hipError_tPvRmT3_T4_T5_T6_T7_T9_mT8_P12ihipStream_tbDpT10_ENKUlT_T0_E_clISt17integral_constantIbLb0EES16_EEDaS11_S12_EUlS11_E_NS1_11comp_targetILNS1_3genE0ELNS1_11target_archE4294967295ELNS1_3gpuE0ELNS1_3repE0EEENS1_30default_config_static_selectorELNS0_4arch9wavefront6targetE0EEEvT1_,comdat
.Lfunc_end520:
	.size	_ZN7rocprim17ROCPRIM_400000_NS6detail17trampoline_kernelINS0_14default_configENS1_25partition_config_selectorILNS1_17partition_subalgoE6EtNS0_10empty_typeEbEEZZNS1_14partition_implILS5_6ELb0ES3_mN6thrust23THRUST_200600_302600_NS6detail15normal_iteratorINSA_10device_ptrItEEEEPS6_SG_NS0_5tupleIJSF_S6_EEENSH_IJSG_SG_EEES6_PlJ5mod_3ItEEEE10hipError_tPvRmT3_T4_T5_T6_T7_T9_mT8_P12ihipStream_tbDpT10_ENKUlT_T0_E_clISt17integral_constantIbLb0EES16_EEDaS11_S12_EUlS11_E_NS1_11comp_targetILNS1_3genE0ELNS1_11target_archE4294967295ELNS1_3gpuE0ELNS1_3repE0EEENS1_30default_config_static_selectorELNS0_4arch9wavefront6targetE0EEEvT1_, .Lfunc_end520-_ZN7rocprim17ROCPRIM_400000_NS6detail17trampoline_kernelINS0_14default_configENS1_25partition_config_selectorILNS1_17partition_subalgoE6EtNS0_10empty_typeEbEEZZNS1_14partition_implILS5_6ELb0ES3_mN6thrust23THRUST_200600_302600_NS6detail15normal_iteratorINSA_10device_ptrItEEEEPS6_SG_NS0_5tupleIJSF_S6_EEENSH_IJSG_SG_EEES6_PlJ5mod_3ItEEEE10hipError_tPvRmT3_T4_T5_T6_T7_T9_mT8_P12ihipStream_tbDpT10_ENKUlT_T0_E_clISt17integral_constantIbLb0EES16_EEDaS11_S12_EUlS11_E_NS1_11comp_targetILNS1_3genE0ELNS1_11target_archE4294967295ELNS1_3gpuE0ELNS1_3repE0EEENS1_30default_config_static_selectorELNS0_4arch9wavefront6targetE0EEEvT1_
                                        ; -- End function
	.section	.AMDGPU.csdata,"",@progbits
; Kernel info:
; codeLenInByte = 0
; NumSgprs: 0
; NumVgprs: 0
; ScratchSize: 0
; MemoryBound: 0
; FloatMode: 240
; IeeeMode: 1
; LDSByteSize: 0 bytes/workgroup (compile time only)
; SGPRBlocks: 0
; VGPRBlocks: 0
; NumSGPRsForWavesPerEU: 1
; NumVGPRsForWavesPerEU: 1
; Occupancy: 16
; WaveLimiterHint : 0
; COMPUTE_PGM_RSRC2:SCRATCH_EN: 0
; COMPUTE_PGM_RSRC2:USER_SGPR: 15
; COMPUTE_PGM_RSRC2:TRAP_HANDLER: 0
; COMPUTE_PGM_RSRC2:TGID_X_EN: 1
; COMPUTE_PGM_RSRC2:TGID_Y_EN: 0
; COMPUTE_PGM_RSRC2:TGID_Z_EN: 0
; COMPUTE_PGM_RSRC2:TIDIG_COMP_CNT: 0
	.section	.text._ZN7rocprim17ROCPRIM_400000_NS6detail17trampoline_kernelINS0_14default_configENS1_25partition_config_selectorILNS1_17partition_subalgoE6EtNS0_10empty_typeEbEEZZNS1_14partition_implILS5_6ELb0ES3_mN6thrust23THRUST_200600_302600_NS6detail15normal_iteratorINSA_10device_ptrItEEEEPS6_SG_NS0_5tupleIJSF_S6_EEENSH_IJSG_SG_EEES6_PlJ5mod_3ItEEEE10hipError_tPvRmT3_T4_T5_T6_T7_T9_mT8_P12ihipStream_tbDpT10_ENKUlT_T0_E_clISt17integral_constantIbLb0EES16_EEDaS11_S12_EUlS11_E_NS1_11comp_targetILNS1_3genE5ELNS1_11target_archE942ELNS1_3gpuE9ELNS1_3repE0EEENS1_30default_config_static_selectorELNS0_4arch9wavefront6targetE0EEEvT1_,"axG",@progbits,_ZN7rocprim17ROCPRIM_400000_NS6detail17trampoline_kernelINS0_14default_configENS1_25partition_config_selectorILNS1_17partition_subalgoE6EtNS0_10empty_typeEbEEZZNS1_14partition_implILS5_6ELb0ES3_mN6thrust23THRUST_200600_302600_NS6detail15normal_iteratorINSA_10device_ptrItEEEEPS6_SG_NS0_5tupleIJSF_S6_EEENSH_IJSG_SG_EEES6_PlJ5mod_3ItEEEE10hipError_tPvRmT3_T4_T5_T6_T7_T9_mT8_P12ihipStream_tbDpT10_ENKUlT_T0_E_clISt17integral_constantIbLb0EES16_EEDaS11_S12_EUlS11_E_NS1_11comp_targetILNS1_3genE5ELNS1_11target_archE942ELNS1_3gpuE9ELNS1_3repE0EEENS1_30default_config_static_selectorELNS0_4arch9wavefront6targetE0EEEvT1_,comdat
	.protected	_ZN7rocprim17ROCPRIM_400000_NS6detail17trampoline_kernelINS0_14default_configENS1_25partition_config_selectorILNS1_17partition_subalgoE6EtNS0_10empty_typeEbEEZZNS1_14partition_implILS5_6ELb0ES3_mN6thrust23THRUST_200600_302600_NS6detail15normal_iteratorINSA_10device_ptrItEEEEPS6_SG_NS0_5tupleIJSF_S6_EEENSH_IJSG_SG_EEES6_PlJ5mod_3ItEEEE10hipError_tPvRmT3_T4_T5_T6_T7_T9_mT8_P12ihipStream_tbDpT10_ENKUlT_T0_E_clISt17integral_constantIbLb0EES16_EEDaS11_S12_EUlS11_E_NS1_11comp_targetILNS1_3genE5ELNS1_11target_archE942ELNS1_3gpuE9ELNS1_3repE0EEENS1_30default_config_static_selectorELNS0_4arch9wavefront6targetE0EEEvT1_ ; -- Begin function _ZN7rocprim17ROCPRIM_400000_NS6detail17trampoline_kernelINS0_14default_configENS1_25partition_config_selectorILNS1_17partition_subalgoE6EtNS0_10empty_typeEbEEZZNS1_14partition_implILS5_6ELb0ES3_mN6thrust23THRUST_200600_302600_NS6detail15normal_iteratorINSA_10device_ptrItEEEEPS6_SG_NS0_5tupleIJSF_S6_EEENSH_IJSG_SG_EEES6_PlJ5mod_3ItEEEE10hipError_tPvRmT3_T4_T5_T6_T7_T9_mT8_P12ihipStream_tbDpT10_ENKUlT_T0_E_clISt17integral_constantIbLb0EES16_EEDaS11_S12_EUlS11_E_NS1_11comp_targetILNS1_3genE5ELNS1_11target_archE942ELNS1_3gpuE9ELNS1_3repE0EEENS1_30default_config_static_selectorELNS0_4arch9wavefront6targetE0EEEvT1_
	.globl	_ZN7rocprim17ROCPRIM_400000_NS6detail17trampoline_kernelINS0_14default_configENS1_25partition_config_selectorILNS1_17partition_subalgoE6EtNS0_10empty_typeEbEEZZNS1_14partition_implILS5_6ELb0ES3_mN6thrust23THRUST_200600_302600_NS6detail15normal_iteratorINSA_10device_ptrItEEEEPS6_SG_NS0_5tupleIJSF_S6_EEENSH_IJSG_SG_EEES6_PlJ5mod_3ItEEEE10hipError_tPvRmT3_T4_T5_T6_T7_T9_mT8_P12ihipStream_tbDpT10_ENKUlT_T0_E_clISt17integral_constantIbLb0EES16_EEDaS11_S12_EUlS11_E_NS1_11comp_targetILNS1_3genE5ELNS1_11target_archE942ELNS1_3gpuE9ELNS1_3repE0EEENS1_30default_config_static_selectorELNS0_4arch9wavefront6targetE0EEEvT1_
	.p2align	8
	.type	_ZN7rocprim17ROCPRIM_400000_NS6detail17trampoline_kernelINS0_14default_configENS1_25partition_config_selectorILNS1_17partition_subalgoE6EtNS0_10empty_typeEbEEZZNS1_14partition_implILS5_6ELb0ES3_mN6thrust23THRUST_200600_302600_NS6detail15normal_iteratorINSA_10device_ptrItEEEEPS6_SG_NS0_5tupleIJSF_S6_EEENSH_IJSG_SG_EEES6_PlJ5mod_3ItEEEE10hipError_tPvRmT3_T4_T5_T6_T7_T9_mT8_P12ihipStream_tbDpT10_ENKUlT_T0_E_clISt17integral_constantIbLb0EES16_EEDaS11_S12_EUlS11_E_NS1_11comp_targetILNS1_3genE5ELNS1_11target_archE942ELNS1_3gpuE9ELNS1_3repE0EEENS1_30default_config_static_selectorELNS0_4arch9wavefront6targetE0EEEvT1_,@function
_ZN7rocprim17ROCPRIM_400000_NS6detail17trampoline_kernelINS0_14default_configENS1_25partition_config_selectorILNS1_17partition_subalgoE6EtNS0_10empty_typeEbEEZZNS1_14partition_implILS5_6ELb0ES3_mN6thrust23THRUST_200600_302600_NS6detail15normal_iteratorINSA_10device_ptrItEEEEPS6_SG_NS0_5tupleIJSF_S6_EEENSH_IJSG_SG_EEES6_PlJ5mod_3ItEEEE10hipError_tPvRmT3_T4_T5_T6_T7_T9_mT8_P12ihipStream_tbDpT10_ENKUlT_T0_E_clISt17integral_constantIbLb0EES16_EEDaS11_S12_EUlS11_E_NS1_11comp_targetILNS1_3genE5ELNS1_11target_archE942ELNS1_3gpuE9ELNS1_3repE0EEENS1_30default_config_static_selectorELNS0_4arch9wavefront6targetE0EEEvT1_: ; @_ZN7rocprim17ROCPRIM_400000_NS6detail17trampoline_kernelINS0_14default_configENS1_25partition_config_selectorILNS1_17partition_subalgoE6EtNS0_10empty_typeEbEEZZNS1_14partition_implILS5_6ELb0ES3_mN6thrust23THRUST_200600_302600_NS6detail15normal_iteratorINSA_10device_ptrItEEEEPS6_SG_NS0_5tupleIJSF_S6_EEENSH_IJSG_SG_EEES6_PlJ5mod_3ItEEEE10hipError_tPvRmT3_T4_T5_T6_T7_T9_mT8_P12ihipStream_tbDpT10_ENKUlT_T0_E_clISt17integral_constantIbLb0EES16_EEDaS11_S12_EUlS11_E_NS1_11comp_targetILNS1_3genE5ELNS1_11target_archE942ELNS1_3gpuE9ELNS1_3repE0EEENS1_30default_config_static_selectorELNS0_4arch9wavefront6targetE0EEEvT1_
; %bb.0:
	.section	.rodata,"a",@progbits
	.p2align	6, 0x0
	.amdhsa_kernel _ZN7rocprim17ROCPRIM_400000_NS6detail17trampoline_kernelINS0_14default_configENS1_25partition_config_selectorILNS1_17partition_subalgoE6EtNS0_10empty_typeEbEEZZNS1_14partition_implILS5_6ELb0ES3_mN6thrust23THRUST_200600_302600_NS6detail15normal_iteratorINSA_10device_ptrItEEEEPS6_SG_NS0_5tupleIJSF_S6_EEENSH_IJSG_SG_EEES6_PlJ5mod_3ItEEEE10hipError_tPvRmT3_T4_T5_T6_T7_T9_mT8_P12ihipStream_tbDpT10_ENKUlT_T0_E_clISt17integral_constantIbLb0EES16_EEDaS11_S12_EUlS11_E_NS1_11comp_targetILNS1_3genE5ELNS1_11target_archE942ELNS1_3gpuE9ELNS1_3repE0EEENS1_30default_config_static_selectorELNS0_4arch9wavefront6targetE0EEEvT1_
		.amdhsa_group_segment_fixed_size 0
		.amdhsa_private_segment_fixed_size 0
		.amdhsa_kernarg_size 112
		.amdhsa_user_sgpr_count 15
		.amdhsa_user_sgpr_dispatch_ptr 0
		.amdhsa_user_sgpr_queue_ptr 0
		.amdhsa_user_sgpr_kernarg_segment_ptr 1
		.amdhsa_user_sgpr_dispatch_id 0
		.amdhsa_user_sgpr_private_segment_size 0
		.amdhsa_wavefront_size32 1
		.amdhsa_uses_dynamic_stack 0
		.amdhsa_enable_private_segment 0
		.amdhsa_system_sgpr_workgroup_id_x 1
		.amdhsa_system_sgpr_workgroup_id_y 0
		.amdhsa_system_sgpr_workgroup_id_z 0
		.amdhsa_system_sgpr_workgroup_info 0
		.amdhsa_system_vgpr_workitem_id 0
		.amdhsa_next_free_vgpr 1
		.amdhsa_next_free_sgpr 1
		.amdhsa_reserve_vcc 0
		.amdhsa_float_round_mode_32 0
		.amdhsa_float_round_mode_16_64 0
		.amdhsa_float_denorm_mode_32 3
		.amdhsa_float_denorm_mode_16_64 3
		.amdhsa_dx10_clamp 1
		.amdhsa_ieee_mode 1
		.amdhsa_fp16_overflow 0
		.amdhsa_workgroup_processor_mode 1
		.amdhsa_memory_ordered 1
		.amdhsa_forward_progress 0
		.amdhsa_shared_vgpr_count 0
		.amdhsa_exception_fp_ieee_invalid_op 0
		.amdhsa_exception_fp_denorm_src 0
		.amdhsa_exception_fp_ieee_div_zero 0
		.amdhsa_exception_fp_ieee_overflow 0
		.amdhsa_exception_fp_ieee_underflow 0
		.amdhsa_exception_fp_ieee_inexact 0
		.amdhsa_exception_int_div_zero 0
	.end_amdhsa_kernel
	.section	.text._ZN7rocprim17ROCPRIM_400000_NS6detail17trampoline_kernelINS0_14default_configENS1_25partition_config_selectorILNS1_17partition_subalgoE6EtNS0_10empty_typeEbEEZZNS1_14partition_implILS5_6ELb0ES3_mN6thrust23THRUST_200600_302600_NS6detail15normal_iteratorINSA_10device_ptrItEEEEPS6_SG_NS0_5tupleIJSF_S6_EEENSH_IJSG_SG_EEES6_PlJ5mod_3ItEEEE10hipError_tPvRmT3_T4_T5_T6_T7_T9_mT8_P12ihipStream_tbDpT10_ENKUlT_T0_E_clISt17integral_constantIbLb0EES16_EEDaS11_S12_EUlS11_E_NS1_11comp_targetILNS1_3genE5ELNS1_11target_archE942ELNS1_3gpuE9ELNS1_3repE0EEENS1_30default_config_static_selectorELNS0_4arch9wavefront6targetE0EEEvT1_,"axG",@progbits,_ZN7rocprim17ROCPRIM_400000_NS6detail17trampoline_kernelINS0_14default_configENS1_25partition_config_selectorILNS1_17partition_subalgoE6EtNS0_10empty_typeEbEEZZNS1_14partition_implILS5_6ELb0ES3_mN6thrust23THRUST_200600_302600_NS6detail15normal_iteratorINSA_10device_ptrItEEEEPS6_SG_NS0_5tupleIJSF_S6_EEENSH_IJSG_SG_EEES6_PlJ5mod_3ItEEEE10hipError_tPvRmT3_T4_T5_T6_T7_T9_mT8_P12ihipStream_tbDpT10_ENKUlT_T0_E_clISt17integral_constantIbLb0EES16_EEDaS11_S12_EUlS11_E_NS1_11comp_targetILNS1_3genE5ELNS1_11target_archE942ELNS1_3gpuE9ELNS1_3repE0EEENS1_30default_config_static_selectorELNS0_4arch9wavefront6targetE0EEEvT1_,comdat
.Lfunc_end521:
	.size	_ZN7rocprim17ROCPRIM_400000_NS6detail17trampoline_kernelINS0_14default_configENS1_25partition_config_selectorILNS1_17partition_subalgoE6EtNS0_10empty_typeEbEEZZNS1_14partition_implILS5_6ELb0ES3_mN6thrust23THRUST_200600_302600_NS6detail15normal_iteratorINSA_10device_ptrItEEEEPS6_SG_NS0_5tupleIJSF_S6_EEENSH_IJSG_SG_EEES6_PlJ5mod_3ItEEEE10hipError_tPvRmT3_T4_T5_T6_T7_T9_mT8_P12ihipStream_tbDpT10_ENKUlT_T0_E_clISt17integral_constantIbLb0EES16_EEDaS11_S12_EUlS11_E_NS1_11comp_targetILNS1_3genE5ELNS1_11target_archE942ELNS1_3gpuE9ELNS1_3repE0EEENS1_30default_config_static_selectorELNS0_4arch9wavefront6targetE0EEEvT1_, .Lfunc_end521-_ZN7rocprim17ROCPRIM_400000_NS6detail17trampoline_kernelINS0_14default_configENS1_25partition_config_selectorILNS1_17partition_subalgoE6EtNS0_10empty_typeEbEEZZNS1_14partition_implILS5_6ELb0ES3_mN6thrust23THRUST_200600_302600_NS6detail15normal_iteratorINSA_10device_ptrItEEEEPS6_SG_NS0_5tupleIJSF_S6_EEENSH_IJSG_SG_EEES6_PlJ5mod_3ItEEEE10hipError_tPvRmT3_T4_T5_T6_T7_T9_mT8_P12ihipStream_tbDpT10_ENKUlT_T0_E_clISt17integral_constantIbLb0EES16_EEDaS11_S12_EUlS11_E_NS1_11comp_targetILNS1_3genE5ELNS1_11target_archE942ELNS1_3gpuE9ELNS1_3repE0EEENS1_30default_config_static_selectorELNS0_4arch9wavefront6targetE0EEEvT1_
                                        ; -- End function
	.section	.AMDGPU.csdata,"",@progbits
; Kernel info:
; codeLenInByte = 0
; NumSgprs: 0
; NumVgprs: 0
; ScratchSize: 0
; MemoryBound: 0
; FloatMode: 240
; IeeeMode: 1
; LDSByteSize: 0 bytes/workgroup (compile time only)
; SGPRBlocks: 0
; VGPRBlocks: 0
; NumSGPRsForWavesPerEU: 1
; NumVGPRsForWavesPerEU: 1
; Occupancy: 16
; WaveLimiterHint : 0
; COMPUTE_PGM_RSRC2:SCRATCH_EN: 0
; COMPUTE_PGM_RSRC2:USER_SGPR: 15
; COMPUTE_PGM_RSRC2:TRAP_HANDLER: 0
; COMPUTE_PGM_RSRC2:TGID_X_EN: 1
; COMPUTE_PGM_RSRC2:TGID_Y_EN: 0
; COMPUTE_PGM_RSRC2:TGID_Z_EN: 0
; COMPUTE_PGM_RSRC2:TIDIG_COMP_CNT: 0
	.section	.text._ZN7rocprim17ROCPRIM_400000_NS6detail17trampoline_kernelINS0_14default_configENS1_25partition_config_selectorILNS1_17partition_subalgoE6EtNS0_10empty_typeEbEEZZNS1_14partition_implILS5_6ELb0ES3_mN6thrust23THRUST_200600_302600_NS6detail15normal_iteratorINSA_10device_ptrItEEEEPS6_SG_NS0_5tupleIJSF_S6_EEENSH_IJSG_SG_EEES6_PlJ5mod_3ItEEEE10hipError_tPvRmT3_T4_T5_T6_T7_T9_mT8_P12ihipStream_tbDpT10_ENKUlT_T0_E_clISt17integral_constantIbLb0EES16_EEDaS11_S12_EUlS11_E_NS1_11comp_targetILNS1_3genE4ELNS1_11target_archE910ELNS1_3gpuE8ELNS1_3repE0EEENS1_30default_config_static_selectorELNS0_4arch9wavefront6targetE0EEEvT1_,"axG",@progbits,_ZN7rocprim17ROCPRIM_400000_NS6detail17trampoline_kernelINS0_14default_configENS1_25partition_config_selectorILNS1_17partition_subalgoE6EtNS0_10empty_typeEbEEZZNS1_14partition_implILS5_6ELb0ES3_mN6thrust23THRUST_200600_302600_NS6detail15normal_iteratorINSA_10device_ptrItEEEEPS6_SG_NS0_5tupleIJSF_S6_EEENSH_IJSG_SG_EEES6_PlJ5mod_3ItEEEE10hipError_tPvRmT3_T4_T5_T6_T7_T9_mT8_P12ihipStream_tbDpT10_ENKUlT_T0_E_clISt17integral_constantIbLb0EES16_EEDaS11_S12_EUlS11_E_NS1_11comp_targetILNS1_3genE4ELNS1_11target_archE910ELNS1_3gpuE8ELNS1_3repE0EEENS1_30default_config_static_selectorELNS0_4arch9wavefront6targetE0EEEvT1_,comdat
	.protected	_ZN7rocprim17ROCPRIM_400000_NS6detail17trampoline_kernelINS0_14default_configENS1_25partition_config_selectorILNS1_17partition_subalgoE6EtNS0_10empty_typeEbEEZZNS1_14partition_implILS5_6ELb0ES3_mN6thrust23THRUST_200600_302600_NS6detail15normal_iteratorINSA_10device_ptrItEEEEPS6_SG_NS0_5tupleIJSF_S6_EEENSH_IJSG_SG_EEES6_PlJ5mod_3ItEEEE10hipError_tPvRmT3_T4_T5_T6_T7_T9_mT8_P12ihipStream_tbDpT10_ENKUlT_T0_E_clISt17integral_constantIbLb0EES16_EEDaS11_S12_EUlS11_E_NS1_11comp_targetILNS1_3genE4ELNS1_11target_archE910ELNS1_3gpuE8ELNS1_3repE0EEENS1_30default_config_static_selectorELNS0_4arch9wavefront6targetE0EEEvT1_ ; -- Begin function _ZN7rocprim17ROCPRIM_400000_NS6detail17trampoline_kernelINS0_14default_configENS1_25partition_config_selectorILNS1_17partition_subalgoE6EtNS0_10empty_typeEbEEZZNS1_14partition_implILS5_6ELb0ES3_mN6thrust23THRUST_200600_302600_NS6detail15normal_iteratorINSA_10device_ptrItEEEEPS6_SG_NS0_5tupleIJSF_S6_EEENSH_IJSG_SG_EEES6_PlJ5mod_3ItEEEE10hipError_tPvRmT3_T4_T5_T6_T7_T9_mT8_P12ihipStream_tbDpT10_ENKUlT_T0_E_clISt17integral_constantIbLb0EES16_EEDaS11_S12_EUlS11_E_NS1_11comp_targetILNS1_3genE4ELNS1_11target_archE910ELNS1_3gpuE8ELNS1_3repE0EEENS1_30default_config_static_selectorELNS0_4arch9wavefront6targetE0EEEvT1_
	.globl	_ZN7rocprim17ROCPRIM_400000_NS6detail17trampoline_kernelINS0_14default_configENS1_25partition_config_selectorILNS1_17partition_subalgoE6EtNS0_10empty_typeEbEEZZNS1_14partition_implILS5_6ELb0ES3_mN6thrust23THRUST_200600_302600_NS6detail15normal_iteratorINSA_10device_ptrItEEEEPS6_SG_NS0_5tupleIJSF_S6_EEENSH_IJSG_SG_EEES6_PlJ5mod_3ItEEEE10hipError_tPvRmT3_T4_T5_T6_T7_T9_mT8_P12ihipStream_tbDpT10_ENKUlT_T0_E_clISt17integral_constantIbLb0EES16_EEDaS11_S12_EUlS11_E_NS1_11comp_targetILNS1_3genE4ELNS1_11target_archE910ELNS1_3gpuE8ELNS1_3repE0EEENS1_30default_config_static_selectorELNS0_4arch9wavefront6targetE0EEEvT1_
	.p2align	8
	.type	_ZN7rocprim17ROCPRIM_400000_NS6detail17trampoline_kernelINS0_14default_configENS1_25partition_config_selectorILNS1_17partition_subalgoE6EtNS0_10empty_typeEbEEZZNS1_14partition_implILS5_6ELb0ES3_mN6thrust23THRUST_200600_302600_NS6detail15normal_iteratorINSA_10device_ptrItEEEEPS6_SG_NS0_5tupleIJSF_S6_EEENSH_IJSG_SG_EEES6_PlJ5mod_3ItEEEE10hipError_tPvRmT3_T4_T5_T6_T7_T9_mT8_P12ihipStream_tbDpT10_ENKUlT_T0_E_clISt17integral_constantIbLb0EES16_EEDaS11_S12_EUlS11_E_NS1_11comp_targetILNS1_3genE4ELNS1_11target_archE910ELNS1_3gpuE8ELNS1_3repE0EEENS1_30default_config_static_selectorELNS0_4arch9wavefront6targetE0EEEvT1_,@function
_ZN7rocprim17ROCPRIM_400000_NS6detail17trampoline_kernelINS0_14default_configENS1_25partition_config_selectorILNS1_17partition_subalgoE6EtNS0_10empty_typeEbEEZZNS1_14partition_implILS5_6ELb0ES3_mN6thrust23THRUST_200600_302600_NS6detail15normal_iteratorINSA_10device_ptrItEEEEPS6_SG_NS0_5tupleIJSF_S6_EEENSH_IJSG_SG_EEES6_PlJ5mod_3ItEEEE10hipError_tPvRmT3_T4_T5_T6_T7_T9_mT8_P12ihipStream_tbDpT10_ENKUlT_T0_E_clISt17integral_constantIbLb0EES16_EEDaS11_S12_EUlS11_E_NS1_11comp_targetILNS1_3genE4ELNS1_11target_archE910ELNS1_3gpuE8ELNS1_3repE0EEENS1_30default_config_static_selectorELNS0_4arch9wavefront6targetE0EEEvT1_: ; @_ZN7rocprim17ROCPRIM_400000_NS6detail17trampoline_kernelINS0_14default_configENS1_25partition_config_selectorILNS1_17partition_subalgoE6EtNS0_10empty_typeEbEEZZNS1_14partition_implILS5_6ELb0ES3_mN6thrust23THRUST_200600_302600_NS6detail15normal_iteratorINSA_10device_ptrItEEEEPS6_SG_NS0_5tupleIJSF_S6_EEENSH_IJSG_SG_EEES6_PlJ5mod_3ItEEEE10hipError_tPvRmT3_T4_T5_T6_T7_T9_mT8_P12ihipStream_tbDpT10_ENKUlT_T0_E_clISt17integral_constantIbLb0EES16_EEDaS11_S12_EUlS11_E_NS1_11comp_targetILNS1_3genE4ELNS1_11target_archE910ELNS1_3gpuE8ELNS1_3repE0EEENS1_30default_config_static_selectorELNS0_4arch9wavefront6targetE0EEEvT1_
; %bb.0:
	.section	.rodata,"a",@progbits
	.p2align	6, 0x0
	.amdhsa_kernel _ZN7rocprim17ROCPRIM_400000_NS6detail17trampoline_kernelINS0_14default_configENS1_25partition_config_selectorILNS1_17partition_subalgoE6EtNS0_10empty_typeEbEEZZNS1_14partition_implILS5_6ELb0ES3_mN6thrust23THRUST_200600_302600_NS6detail15normal_iteratorINSA_10device_ptrItEEEEPS6_SG_NS0_5tupleIJSF_S6_EEENSH_IJSG_SG_EEES6_PlJ5mod_3ItEEEE10hipError_tPvRmT3_T4_T5_T6_T7_T9_mT8_P12ihipStream_tbDpT10_ENKUlT_T0_E_clISt17integral_constantIbLb0EES16_EEDaS11_S12_EUlS11_E_NS1_11comp_targetILNS1_3genE4ELNS1_11target_archE910ELNS1_3gpuE8ELNS1_3repE0EEENS1_30default_config_static_selectorELNS0_4arch9wavefront6targetE0EEEvT1_
		.amdhsa_group_segment_fixed_size 0
		.amdhsa_private_segment_fixed_size 0
		.amdhsa_kernarg_size 112
		.amdhsa_user_sgpr_count 15
		.amdhsa_user_sgpr_dispatch_ptr 0
		.amdhsa_user_sgpr_queue_ptr 0
		.amdhsa_user_sgpr_kernarg_segment_ptr 1
		.amdhsa_user_sgpr_dispatch_id 0
		.amdhsa_user_sgpr_private_segment_size 0
		.amdhsa_wavefront_size32 1
		.amdhsa_uses_dynamic_stack 0
		.amdhsa_enable_private_segment 0
		.amdhsa_system_sgpr_workgroup_id_x 1
		.amdhsa_system_sgpr_workgroup_id_y 0
		.amdhsa_system_sgpr_workgroup_id_z 0
		.amdhsa_system_sgpr_workgroup_info 0
		.amdhsa_system_vgpr_workitem_id 0
		.amdhsa_next_free_vgpr 1
		.amdhsa_next_free_sgpr 1
		.amdhsa_reserve_vcc 0
		.amdhsa_float_round_mode_32 0
		.amdhsa_float_round_mode_16_64 0
		.amdhsa_float_denorm_mode_32 3
		.amdhsa_float_denorm_mode_16_64 3
		.amdhsa_dx10_clamp 1
		.amdhsa_ieee_mode 1
		.amdhsa_fp16_overflow 0
		.amdhsa_workgroup_processor_mode 1
		.amdhsa_memory_ordered 1
		.amdhsa_forward_progress 0
		.amdhsa_shared_vgpr_count 0
		.amdhsa_exception_fp_ieee_invalid_op 0
		.amdhsa_exception_fp_denorm_src 0
		.amdhsa_exception_fp_ieee_div_zero 0
		.amdhsa_exception_fp_ieee_overflow 0
		.amdhsa_exception_fp_ieee_underflow 0
		.amdhsa_exception_fp_ieee_inexact 0
		.amdhsa_exception_int_div_zero 0
	.end_amdhsa_kernel
	.section	.text._ZN7rocprim17ROCPRIM_400000_NS6detail17trampoline_kernelINS0_14default_configENS1_25partition_config_selectorILNS1_17partition_subalgoE6EtNS0_10empty_typeEbEEZZNS1_14partition_implILS5_6ELb0ES3_mN6thrust23THRUST_200600_302600_NS6detail15normal_iteratorINSA_10device_ptrItEEEEPS6_SG_NS0_5tupleIJSF_S6_EEENSH_IJSG_SG_EEES6_PlJ5mod_3ItEEEE10hipError_tPvRmT3_T4_T5_T6_T7_T9_mT8_P12ihipStream_tbDpT10_ENKUlT_T0_E_clISt17integral_constantIbLb0EES16_EEDaS11_S12_EUlS11_E_NS1_11comp_targetILNS1_3genE4ELNS1_11target_archE910ELNS1_3gpuE8ELNS1_3repE0EEENS1_30default_config_static_selectorELNS0_4arch9wavefront6targetE0EEEvT1_,"axG",@progbits,_ZN7rocprim17ROCPRIM_400000_NS6detail17trampoline_kernelINS0_14default_configENS1_25partition_config_selectorILNS1_17partition_subalgoE6EtNS0_10empty_typeEbEEZZNS1_14partition_implILS5_6ELb0ES3_mN6thrust23THRUST_200600_302600_NS6detail15normal_iteratorINSA_10device_ptrItEEEEPS6_SG_NS0_5tupleIJSF_S6_EEENSH_IJSG_SG_EEES6_PlJ5mod_3ItEEEE10hipError_tPvRmT3_T4_T5_T6_T7_T9_mT8_P12ihipStream_tbDpT10_ENKUlT_T0_E_clISt17integral_constantIbLb0EES16_EEDaS11_S12_EUlS11_E_NS1_11comp_targetILNS1_3genE4ELNS1_11target_archE910ELNS1_3gpuE8ELNS1_3repE0EEENS1_30default_config_static_selectorELNS0_4arch9wavefront6targetE0EEEvT1_,comdat
.Lfunc_end522:
	.size	_ZN7rocprim17ROCPRIM_400000_NS6detail17trampoline_kernelINS0_14default_configENS1_25partition_config_selectorILNS1_17partition_subalgoE6EtNS0_10empty_typeEbEEZZNS1_14partition_implILS5_6ELb0ES3_mN6thrust23THRUST_200600_302600_NS6detail15normal_iteratorINSA_10device_ptrItEEEEPS6_SG_NS0_5tupleIJSF_S6_EEENSH_IJSG_SG_EEES6_PlJ5mod_3ItEEEE10hipError_tPvRmT3_T4_T5_T6_T7_T9_mT8_P12ihipStream_tbDpT10_ENKUlT_T0_E_clISt17integral_constantIbLb0EES16_EEDaS11_S12_EUlS11_E_NS1_11comp_targetILNS1_3genE4ELNS1_11target_archE910ELNS1_3gpuE8ELNS1_3repE0EEENS1_30default_config_static_selectorELNS0_4arch9wavefront6targetE0EEEvT1_, .Lfunc_end522-_ZN7rocprim17ROCPRIM_400000_NS6detail17trampoline_kernelINS0_14default_configENS1_25partition_config_selectorILNS1_17partition_subalgoE6EtNS0_10empty_typeEbEEZZNS1_14partition_implILS5_6ELb0ES3_mN6thrust23THRUST_200600_302600_NS6detail15normal_iteratorINSA_10device_ptrItEEEEPS6_SG_NS0_5tupleIJSF_S6_EEENSH_IJSG_SG_EEES6_PlJ5mod_3ItEEEE10hipError_tPvRmT3_T4_T5_T6_T7_T9_mT8_P12ihipStream_tbDpT10_ENKUlT_T0_E_clISt17integral_constantIbLb0EES16_EEDaS11_S12_EUlS11_E_NS1_11comp_targetILNS1_3genE4ELNS1_11target_archE910ELNS1_3gpuE8ELNS1_3repE0EEENS1_30default_config_static_selectorELNS0_4arch9wavefront6targetE0EEEvT1_
                                        ; -- End function
	.section	.AMDGPU.csdata,"",@progbits
; Kernel info:
; codeLenInByte = 0
; NumSgprs: 0
; NumVgprs: 0
; ScratchSize: 0
; MemoryBound: 0
; FloatMode: 240
; IeeeMode: 1
; LDSByteSize: 0 bytes/workgroup (compile time only)
; SGPRBlocks: 0
; VGPRBlocks: 0
; NumSGPRsForWavesPerEU: 1
; NumVGPRsForWavesPerEU: 1
; Occupancy: 16
; WaveLimiterHint : 0
; COMPUTE_PGM_RSRC2:SCRATCH_EN: 0
; COMPUTE_PGM_RSRC2:USER_SGPR: 15
; COMPUTE_PGM_RSRC2:TRAP_HANDLER: 0
; COMPUTE_PGM_RSRC2:TGID_X_EN: 1
; COMPUTE_PGM_RSRC2:TGID_Y_EN: 0
; COMPUTE_PGM_RSRC2:TGID_Z_EN: 0
; COMPUTE_PGM_RSRC2:TIDIG_COMP_CNT: 0
	.section	.text._ZN7rocprim17ROCPRIM_400000_NS6detail17trampoline_kernelINS0_14default_configENS1_25partition_config_selectorILNS1_17partition_subalgoE6EtNS0_10empty_typeEbEEZZNS1_14partition_implILS5_6ELb0ES3_mN6thrust23THRUST_200600_302600_NS6detail15normal_iteratorINSA_10device_ptrItEEEEPS6_SG_NS0_5tupleIJSF_S6_EEENSH_IJSG_SG_EEES6_PlJ5mod_3ItEEEE10hipError_tPvRmT3_T4_T5_T6_T7_T9_mT8_P12ihipStream_tbDpT10_ENKUlT_T0_E_clISt17integral_constantIbLb0EES16_EEDaS11_S12_EUlS11_E_NS1_11comp_targetILNS1_3genE3ELNS1_11target_archE908ELNS1_3gpuE7ELNS1_3repE0EEENS1_30default_config_static_selectorELNS0_4arch9wavefront6targetE0EEEvT1_,"axG",@progbits,_ZN7rocprim17ROCPRIM_400000_NS6detail17trampoline_kernelINS0_14default_configENS1_25partition_config_selectorILNS1_17partition_subalgoE6EtNS0_10empty_typeEbEEZZNS1_14partition_implILS5_6ELb0ES3_mN6thrust23THRUST_200600_302600_NS6detail15normal_iteratorINSA_10device_ptrItEEEEPS6_SG_NS0_5tupleIJSF_S6_EEENSH_IJSG_SG_EEES6_PlJ5mod_3ItEEEE10hipError_tPvRmT3_T4_T5_T6_T7_T9_mT8_P12ihipStream_tbDpT10_ENKUlT_T0_E_clISt17integral_constantIbLb0EES16_EEDaS11_S12_EUlS11_E_NS1_11comp_targetILNS1_3genE3ELNS1_11target_archE908ELNS1_3gpuE7ELNS1_3repE0EEENS1_30default_config_static_selectorELNS0_4arch9wavefront6targetE0EEEvT1_,comdat
	.protected	_ZN7rocprim17ROCPRIM_400000_NS6detail17trampoline_kernelINS0_14default_configENS1_25partition_config_selectorILNS1_17partition_subalgoE6EtNS0_10empty_typeEbEEZZNS1_14partition_implILS5_6ELb0ES3_mN6thrust23THRUST_200600_302600_NS6detail15normal_iteratorINSA_10device_ptrItEEEEPS6_SG_NS0_5tupleIJSF_S6_EEENSH_IJSG_SG_EEES6_PlJ5mod_3ItEEEE10hipError_tPvRmT3_T4_T5_T6_T7_T9_mT8_P12ihipStream_tbDpT10_ENKUlT_T0_E_clISt17integral_constantIbLb0EES16_EEDaS11_S12_EUlS11_E_NS1_11comp_targetILNS1_3genE3ELNS1_11target_archE908ELNS1_3gpuE7ELNS1_3repE0EEENS1_30default_config_static_selectorELNS0_4arch9wavefront6targetE0EEEvT1_ ; -- Begin function _ZN7rocprim17ROCPRIM_400000_NS6detail17trampoline_kernelINS0_14default_configENS1_25partition_config_selectorILNS1_17partition_subalgoE6EtNS0_10empty_typeEbEEZZNS1_14partition_implILS5_6ELb0ES3_mN6thrust23THRUST_200600_302600_NS6detail15normal_iteratorINSA_10device_ptrItEEEEPS6_SG_NS0_5tupleIJSF_S6_EEENSH_IJSG_SG_EEES6_PlJ5mod_3ItEEEE10hipError_tPvRmT3_T4_T5_T6_T7_T9_mT8_P12ihipStream_tbDpT10_ENKUlT_T0_E_clISt17integral_constantIbLb0EES16_EEDaS11_S12_EUlS11_E_NS1_11comp_targetILNS1_3genE3ELNS1_11target_archE908ELNS1_3gpuE7ELNS1_3repE0EEENS1_30default_config_static_selectorELNS0_4arch9wavefront6targetE0EEEvT1_
	.globl	_ZN7rocprim17ROCPRIM_400000_NS6detail17trampoline_kernelINS0_14default_configENS1_25partition_config_selectorILNS1_17partition_subalgoE6EtNS0_10empty_typeEbEEZZNS1_14partition_implILS5_6ELb0ES3_mN6thrust23THRUST_200600_302600_NS6detail15normal_iteratorINSA_10device_ptrItEEEEPS6_SG_NS0_5tupleIJSF_S6_EEENSH_IJSG_SG_EEES6_PlJ5mod_3ItEEEE10hipError_tPvRmT3_T4_T5_T6_T7_T9_mT8_P12ihipStream_tbDpT10_ENKUlT_T0_E_clISt17integral_constantIbLb0EES16_EEDaS11_S12_EUlS11_E_NS1_11comp_targetILNS1_3genE3ELNS1_11target_archE908ELNS1_3gpuE7ELNS1_3repE0EEENS1_30default_config_static_selectorELNS0_4arch9wavefront6targetE0EEEvT1_
	.p2align	8
	.type	_ZN7rocprim17ROCPRIM_400000_NS6detail17trampoline_kernelINS0_14default_configENS1_25partition_config_selectorILNS1_17partition_subalgoE6EtNS0_10empty_typeEbEEZZNS1_14partition_implILS5_6ELb0ES3_mN6thrust23THRUST_200600_302600_NS6detail15normal_iteratorINSA_10device_ptrItEEEEPS6_SG_NS0_5tupleIJSF_S6_EEENSH_IJSG_SG_EEES6_PlJ5mod_3ItEEEE10hipError_tPvRmT3_T4_T5_T6_T7_T9_mT8_P12ihipStream_tbDpT10_ENKUlT_T0_E_clISt17integral_constantIbLb0EES16_EEDaS11_S12_EUlS11_E_NS1_11comp_targetILNS1_3genE3ELNS1_11target_archE908ELNS1_3gpuE7ELNS1_3repE0EEENS1_30default_config_static_selectorELNS0_4arch9wavefront6targetE0EEEvT1_,@function
_ZN7rocprim17ROCPRIM_400000_NS6detail17trampoline_kernelINS0_14default_configENS1_25partition_config_selectorILNS1_17partition_subalgoE6EtNS0_10empty_typeEbEEZZNS1_14partition_implILS5_6ELb0ES3_mN6thrust23THRUST_200600_302600_NS6detail15normal_iteratorINSA_10device_ptrItEEEEPS6_SG_NS0_5tupleIJSF_S6_EEENSH_IJSG_SG_EEES6_PlJ5mod_3ItEEEE10hipError_tPvRmT3_T4_T5_T6_T7_T9_mT8_P12ihipStream_tbDpT10_ENKUlT_T0_E_clISt17integral_constantIbLb0EES16_EEDaS11_S12_EUlS11_E_NS1_11comp_targetILNS1_3genE3ELNS1_11target_archE908ELNS1_3gpuE7ELNS1_3repE0EEENS1_30default_config_static_selectorELNS0_4arch9wavefront6targetE0EEEvT1_: ; @_ZN7rocprim17ROCPRIM_400000_NS6detail17trampoline_kernelINS0_14default_configENS1_25partition_config_selectorILNS1_17partition_subalgoE6EtNS0_10empty_typeEbEEZZNS1_14partition_implILS5_6ELb0ES3_mN6thrust23THRUST_200600_302600_NS6detail15normal_iteratorINSA_10device_ptrItEEEEPS6_SG_NS0_5tupleIJSF_S6_EEENSH_IJSG_SG_EEES6_PlJ5mod_3ItEEEE10hipError_tPvRmT3_T4_T5_T6_T7_T9_mT8_P12ihipStream_tbDpT10_ENKUlT_T0_E_clISt17integral_constantIbLb0EES16_EEDaS11_S12_EUlS11_E_NS1_11comp_targetILNS1_3genE3ELNS1_11target_archE908ELNS1_3gpuE7ELNS1_3repE0EEENS1_30default_config_static_selectorELNS0_4arch9wavefront6targetE0EEEvT1_
; %bb.0:
	.section	.rodata,"a",@progbits
	.p2align	6, 0x0
	.amdhsa_kernel _ZN7rocprim17ROCPRIM_400000_NS6detail17trampoline_kernelINS0_14default_configENS1_25partition_config_selectorILNS1_17partition_subalgoE6EtNS0_10empty_typeEbEEZZNS1_14partition_implILS5_6ELb0ES3_mN6thrust23THRUST_200600_302600_NS6detail15normal_iteratorINSA_10device_ptrItEEEEPS6_SG_NS0_5tupleIJSF_S6_EEENSH_IJSG_SG_EEES6_PlJ5mod_3ItEEEE10hipError_tPvRmT3_T4_T5_T6_T7_T9_mT8_P12ihipStream_tbDpT10_ENKUlT_T0_E_clISt17integral_constantIbLb0EES16_EEDaS11_S12_EUlS11_E_NS1_11comp_targetILNS1_3genE3ELNS1_11target_archE908ELNS1_3gpuE7ELNS1_3repE0EEENS1_30default_config_static_selectorELNS0_4arch9wavefront6targetE0EEEvT1_
		.amdhsa_group_segment_fixed_size 0
		.amdhsa_private_segment_fixed_size 0
		.amdhsa_kernarg_size 112
		.amdhsa_user_sgpr_count 15
		.amdhsa_user_sgpr_dispatch_ptr 0
		.amdhsa_user_sgpr_queue_ptr 0
		.amdhsa_user_sgpr_kernarg_segment_ptr 1
		.amdhsa_user_sgpr_dispatch_id 0
		.amdhsa_user_sgpr_private_segment_size 0
		.amdhsa_wavefront_size32 1
		.amdhsa_uses_dynamic_stack 0
		.amdhsa_enable_private_segment 0
		.amdhsa_system_sgpr_workgroup_id_x 1
		.amdhsa_system_sgpr_workgroup_id_y 0
		.amdhsa_system_sgpr_workgroup_id_z 0
		.amdhsa_system_sgpr_workgroup_info 0
		.amdhsa_system_vgpr_workitem_id 0
		.amdhsa_next_free_vgpr 1
		.amdhsa_next_free_sgpr 1
		.amdhsa_reserve_vcc 0
		.amdhsa_float_round_mode_32 0
		.amdhsa_float_round_mode_16_64 0
		.amdhsa_float_denorm_mode_32 3
		.amdhsa_float_denorm_mode_16_64 3
		.amdhsa_dx10_clamp 1
		.amdhsa_ieee_mode 1
		.amdhsa_fp16_overflow 0
		.amdhsa_workgroup_processor_mode 1
		.amdhsa_memory_ordered 1
		.amdhsa_forward_progress 0
		.amdhsa_shared_vgpr_count 0
		.amdhsa_exception_fp_ieee_invalid_op 0
		.amdhsa_exception_fp_denorm_src 0
		.amdhsa_exception_fp_ieee_div_zero 0
		.amdhsa_exception_fp_ieee_overflow 0
		.amdhsa_exception_fp_ieee_underflow 0
		.amdhsa_exception_fp_ieee_inexact 0
		.amdhsa_exception_int_div_zero 0
	.end_amdhsa_kernel
	.section	.text._ZN7rocprim17ROCPRIM_400000_NS6detail17trampoline_kernelINS0_14default_configENS1_25partition_config_selectorILNS1_17partition_subalgoE6EtNS0_10empty_typeEbEEZZNS1_14partition_implILS5_6ELb0ES3_mN6thrust23THRUST_200600_302600_NS6detail15normal_iteratorINSA_10device_ptrItEEEEPS6_SG_NS0_5tupleIJSF_S6_EEENSH_IJSG_SG_EEES6_PlJ5mod_3ItEEEE10hipError_tPvRmT3_T4_T5_T6_T7_T9_mT8_P12ihipStream_tbDpT10_ENKUlT_T0_E_clISt17integral_constantIbLb0EES16_EEDaS11_S12_EUlS11_E_NS1_11comp_targetILNS1_3genE3ELNS1_11target_archE908ELNS1_3gpuE7ELNS1_3repE0EEENS1_30default_config_static_selectorELNS0_4arch9wavefront6targetE0EEEvT1_,"axG",@progbits,_ZN7rocprim17ROCPRIM_400000_NS6detail17trampoline_kernelINS0_14default_configENS1_25partition_config_selectorILNS1_17partition_subalgoE6EtNS0_10empty_typeEbEEZZNS1_14partition_implILS5_6ELb0ES3_mN6thrust23THRUST_200600_302600_NS6detail15normal_iteratorINSA_10device_ptrItEEEEPS6_SG_NS0_5tupleIJSF_S6_EEENSH_IJSG_SG_EEES6_PlJ5mod_3ItEEEE10hipError_tPvRmT3_T4_T5_T6_T7_T9_mT8_P12ihipStream_tbDpT10_ENKUlT_T0_E_clISt17integral_constantIbLb0EES16_EEDaS11_S12_EUlS11_E_NS1_11comp_targetILNS1_3genE3ELNS1_11target_archE908ELNS1_3gpuE7ELNS1_3repE0EEENS1_30default_config_static_selectorELNS0_4arch9wavefront6targetE0EEEvT1_,comdat
.Lfunc_end523:
	.size	_ZN7rocprim17ROCPRIM_400000_NS6detail17trampoline_kernelINS0_14default_configENS1_25partition_config_selectorILNS1_17partition_subalgoE6EtNS0_10empty_typeEbEEZZNS1_14partition_implILS5_6ELb0ES3_mN6thrust23THRUST_200600_302600_NS6detail15normal_iteratorINSA_10device_ptrItEEEEPS6_SG_NS0_5tupleIJSF_S6_EEENSH_IJSG_SG_EEES6_PlJ5mod_3ItEEEE10hipError_tPvRmT3_T4_T5_T6_T7_T9_mT8_P12ihipStream_tbDpT10_ENKUlT_T0_E_clISt17integral_constantIbLb0EES16_EEDaS11_S12_EUlS11_E_NS1_11comp_targetILNS1_3genE3ELNS1_11target_archE908ELNS1_3gpuE7ELNS1_3repE0EEENS1_30default_config_static_selectorELNS0_4arch9wavefront6targetE0EEEvT1_, .Lfunc_end523-_ZN7rocprim17ROCPRIM_400000_NS6detail17trampoline_kernelINS0_14default_configENS1_25partition_config_selectorILNS1_17partition_subalgoE6EtNS0_10empty_typeEbEEZZNS1_14partition_implILS5_6ELb0ES3_mN6thrust23THRUST_200600_302600_NS6detail15normal_iteratorINSA_10device_ptrItEEEEPS6_SG_NS0_5tupleIJSF_S6_EEENSH_IJSG_SG_EEES6_PlJ5mod_3ItEEEE10hipError_tPvRmT3_T4_T5_T6_T7_T9_mT8_P12ihipStream_tbDpT10_ENKUlT_T0_E_clISt17integral_constantIbLb0EES16_EEDaS11_S12_EUlS11_E_NS1_11comp_targetILNS1_3genE3ELNS1_11target_archE908ELNS1_3gpuE7ELNS1_3repE0EEENS1_30default_config_static_selectorELNS0_4arch9wavefront6targetE0EEEvT1_
                                        ; -- End function
	.section	.AMDGPU.csdata,"",@progbits
; Kernel info:
; codeLenInByte = 0
; NumSgprs: 0
; NumVgprs: 0
; ScratchSize: 0
; MemoryBound: 0
; FloatMode: 240
; IeeeMode: 1
; LDSByteSize: 0 bytes/workgroup (compile time only)
; SGPRBlocks: 0
; VGPRBlocks: 0
; NumSGPRsForWavesPerEU: 1
; NumVGPRsForWavesPerEU: 1
; Occupancy: 16
; WaveLimiterHint : 0
; COMPUTE_PGM_RSRC2:SCRATCH_EN: 0
; COMPUTE_PGM_RSRC2:USER_SGPR: 15
; COMPUTE_PGM_RSRC2:TRAP_HANDLER: 0
; COMPUTE_PGM_RSRC2:TGID_X_EN: 1
; COMPUTE_PGM_RSRC2:TGID_Y_EN: 0
; COMPUTE_PGM_RSRC2:TGID_Z_EN: 0
; COMPUTE_PGM_RSRC2:TIDIG_COMP_CNT: 0
	.section	.text._ZN7rocprim17ROCPRIM_400000_NS6detail17trampoline_kernelINS0_14default_configENS1_25partition_config_selectorILNS1_17partition_subalgoE6EtNS0_10empty_typeEbEEZZNS1_14partition_implILS5_6ELb0ES3_mN6thrust23THRUST_200600_302600_NS6detail15normal_iteratorINSA_10device_ptrItEEEEPS6_SG_NS0_5tupleIJSF_S6_EEENSH_IJSG_SG_EEES6_PlJ5mod_3ItEEEE10hipError_tPvRmT3_T4_T5_T6_T7_T9_mT8_P12ihipStream_tbDpT10_ENKUlT_T0_E_clISt17integral_constantIbLb0EES16_EEDaS11_S12_EUlS11_E_NS1_11comp_targetILNS1_3genE2ELNS1_11target_archE906ELNS1_3gpuE6ELNS1_3repE0EEENS1_30default_config_static_selectorELNS0_4arch9wavefront6targetE0EEEvT1_,"axG",@progbits,_ZN7rocprim17ROCPRIM_400000_NS6detail17trampoline_kernelINS0_14default_configENS1_25partition_config_selectorILNS1_17partition_subalgoE6EtNS0_10empty_typeEbEEZZNS1_14partition_implILS5_6ELb0ES3_mN6thrust23THRUST_200600_302600_NS6detail15normal_iteratorINSA_10device_ptrItEEEEPS6_SG_NS0_5tupleIJSF_S6_EEENSH_IJSG_SG_EEES6_PlJ5mod_3ItEEEE10hipError_tPvRmT3_T4_T5_T6_T7_T9_mT8_P12ihipStream_tbDpT10_ENKUlT_T0_E_clISt17integral_constantIbLb0EES16_EEDaS11_S12_EUlS11_E_NS1_11comp_targetILNS1_3genE2ELNS1_11target_archE906ELNS1_3gpuE6ELNS1_3repE0EEENS1_30default_config_static_selectorELNS0_4arch9wavefront6targetE0EEEvT1_,comdat
	.protected	_ZN7rocprim17ROCPRIM_400000_NS6detail17trampoline_kernelINS0_14default_configENS1_25partition_config_selectorILNS1_17partition_subalgoE6EtNS0_10empty_typeEbEEZZNS1_14partition_implILS5_6ELb0ES3_mN6thrust23THRUST_200600_302600_NS6detail15normal_iteratorINSA_10device_ptrItEEEEPS6_SG_NS0_5tupleIJSF_S6_EEENSH_IJSG_SG_EEES6_PlJ5mod_3ItEEEE10hipError_tPvRmT3_T4_T5_T6_T7_T9_mT8_P12ihipStream_tbDpT10_ENKUlT_T0_E_clISt17integral_constantIbLb0EES16_EEDaS11_S12_EUlS11_E_NS1_11comp_targetILNS1_3genE2ELNS1_11target_archE906ELNS1_3gpuE6ELNS1_3repE0EEENS1_30default_config_static_selectorELNS0_4arch9wavefront6targetE0EEEvT1_ ; -- Begin function _ZN7rocprim17ROCPRIM_400000_NS6detail17trampoline_kernelINS0_14default_configENS1_25partition_config_selectorILNS1_17partition_subalgoE6EtNS0_10empty_typeEbEEZZNS1_14partition_implILS5_6ELb0ES3_mN6thrust23THRUST_200600_302600_NS6detail15normal_iteratorINSA_10device_ptrItEEEEPS6_SG_NS0_5tupleIJSF_S6_EEENSH_IJSG_SG_EEES6_PlJ5mod_3ItEEEE10hipError_tPvRmT3_T4_T5_T6_T7_T9_mT8_P12ihipStream_tbDpT10_ENKUlT_T0_E_clISt17integral_constantIbLb0EES16_EEDaS11_S12_EUlS11_E_NS1_11comp_targetILNS1_3genE2ELNS1_11target_archE906ELNS1_3gpuE6ELNS1_3repE0EEENS1_30default_config_static_selectorELNS0_4arch9wavefront6targetE0EEEvT1_
	.globl	_ZN7rocprim17ROCPRIM_400000_NS6detail17trampoline_kernelINS0_14default_configENS1_25partition_config_selectorILNS1_17partition_subalgoE6EtNS0_10empty_typeEbEEZZNS1_14partition_implILS5_6ELb0ES3_mN6thrust23THRUST_200600_302600_NS6detail15normal_iteratorINSA_10device_ptrItEEEEPS6_SG_NS0_5tupleIJSF_S6_EEENSH_IJSG_SG_EEES6_PlJ5mod_3ItEEEE10hipError_tPvRmT3_T4_T5_T6_T7_T9_mT8_P12ihipStream_tbDpT10_ENKUlT_T0_E_clISt17integral_constantIbLb0EES16_EEDaS11_S12_EUlS11_E_NS1_11comp_targetILNS1_3genE2ELNS1_11target_archE906ELNS1_3gpuE6ELNS1_3repE0EEENS1_30default_config_static_selectorELNS0_4arch9wavefront6targetE0EEEvT1_
	.p2align	8
	.type	_ZN7rocprim17ROCPRIM_400000_NS6detail17trampoline_kernelINS0_14default_configENS1_25partition_config_selectorILNS1_17partition_subalgoE6EtNS0_10empty_typeEbEEZZNS1_14partition_implILS5_6ELb0ES3_mN6thrust23THRUST_200600_302600_NS6detail15normal_iteratorINSA_10device_ptrItEEEEPS6_SG_NS0_5tupleIJSF_S6_EEENSH_IJSG_SG_EEES6_PlJ5mod_3ItEEEE10hipError_tPvRmT3_T4_T5_T6_T7_T9_mT8_P12ihipStream_tbDpT10_ENKUlT_T0_E_clISt17integral_constantIbLb0EES16_EEDaS11_S12_EUlS11_E_NS1_11comp_targetILNS1_3genE2ELNS1_11target_archE906ELNS1_3gpuE6ELNS1_3repE0EEENS1_30default_config_static_selectorELNS0_4arch9wavefront6targetE0EEEvT1_,@function
_ZN7rocprim17ROCPRIM_400000_NS6detail17trampoline_kernelINS0_14default_configENS1_25partition_config_selectorILNS1_17partition_subalgoE6EtNS0_10empty_typeEbEEZZNS1_14partition_implILS5_6ELb0ES3_mN6thrust23THRUST_200600_302600_NS6detail15normal_iteratorINSA_10device_ptrItEEEEPS6_SG_NS0_5tupleIJSF_S6_EEENSH_IJSG_SG_EEES6_PlJ5mod_3ItEEEE10hipError_tPvRmT3_T4_T5_T6_T7_T9_mT8_P12ihipStream_tbDpT10_ENKUlT_T0_E_clISt17integral_constantIbLb0EES16_EEDaS11_S12_EUlS11_E_NS1_11comp_targetILNS1_3genE2ELNS1_11target_archE906ELNS1_3gpuE6ELNS1_3repE0EEENS1_30default_config_static_selectorELNS0_4arch9wavefront6targetE0EEEvT1_: ; @_ZN7rocprim17ROCPRIM_400000_NS6detail17trampoline_kernelINS0_14default_configENS1_25partition_config_selectorILNS1_17partition_subalgoE6EtNS0_10empty_typeEbEEZZNS1_14partition_implILS5_6ELb0ES3_mN6thrust23THRUST_200600_302600_NS6detail15normal_iteratorINSA_10device_ptrItEEEEPS6_SG_NS0_5tupleIJSF_S6_EEENSH_IJSG_SG_EEES6_PlJ5mod_3ItEEEE10hipError_tPvRmT3_T4_T5_T6_T7_T9_mT8_P12ihipStream_tbDpT10_ENKUlT_T0_E_clISt17integral_constantIbLb0EES16_EEDaS11_S12_EUlS11_E_NS1_11comp_targetILNS1_3genE2ELNS1_11target_archE906ELNS1_3gpuE6ELNS1_3repE0EEENS1_30default_config_static_selectorELNS0_4arch9wavefront6targetE0EEEvT1_
; %bb.0:
	.section	.rodata,"a",@progbits
	.p2align	6, 0x0
	.amdhsa_kernel _ZN7rocprim17ROCPRIM_400000_NS6detail17trampoline_kernelINS0_14default_configENS1_25partition_config_selectorILNS1_17partition_subalgoE6EtNS0_10empty_typeEbEEZZNS1_14partition_implILS5_6ELb0ES3_mN6thrust23THRUST_200600_302600_NS6detail15normal_iteratorINSA_10device_ptrItEEEEPS6_SG_NS0_5tupleIJSF_S6_EEENSH_IJSG_SG_EEES6_PlJ5mod_3ItEEEE10hipError_tPvRmT3_T4_T5_T6_T7_T9_mT8_P12ihipStream_tbDpT10_ENKUlT_T0_E_clISt17integral_constantIbLb0EES16_EEDaS11_S12_EUlS11_E_NS1_11comp_targetILNS1_3genE2ELNS1_11target_archE906ELNS1_3gpuE6ELNS1_3repE0EEENS1_30default_config_static_selectorELNS0_4arch9wavefront6targetE0EEEvT1_
		.amdhsa_group_segment_fixed_size 0
		.amdhsa_private_segment_fixed_size 0
		.amdhsa_kernarg_size 112
		.amdhsa_user_sgpr_count 15
		.amdhsa_user_sgpr_dispatch_ptr 0
		.amdhsa_user_sgpr_queue_ptr 0
		.amdhsa_user_sgpr_kernarg_segment_ptr 1
		.amdhsa_user_sgpr_dispatch_id 0
		.amdhsa_user_sgpr_private_segment_size 0
		.amdhsa_wavefront_size32 1
		.amdhsa_uses_dynamic_stack 0
		.amdhsa_enable_private_segment 0
		.amdhsa_system_sgpr_workgroup_id_x 1
		.amdhsa_system_sgpr_workgroup_id_y 0
		.amdhsa_system_sgpr_workgroup_id_z 0
		.amdhsa_system_sgpr_workgroup_info 0
		.amdhsa_system_vgpr_workitem_id 0
		.amdhsa_next_free_vgpr 1
		.amdhsa_next_free_sgpr 1
		.amdhsa_reserve_vcc 0
		.amdhsa_float_round_mode_32 0
		.amdhsa_float_round_mode_16_64 0
		.amdhsa_float_denorm_mode_32 3
		.amdhsa_float_denorm_mode_16_64 3
		.amdhsa_dx10_clamp 1
		.amdhsa_ieee_mode 1
		.amdhsa_fp16_overflow 0
		.amdhsa_workgroup_processor_mode 1
		.amdhsa_memory_ordered 1
		.amdhsa_forward_progress 0
		.amdhsa_shared_vgpr_count 0
		.amdhsa_exception_fp_ieee_invalid_op 0
		.amdhsa_exception_fp_denorm_src 0
		.amdhsa_exception_fp_ieee_div_zero 0
		.amdhsa_exception_fp_ieee_overflow 0
		.amdhsa_exception_fp_ieee_underflow 0
		.amdhsa_exception_fp_ieee_inexact 0
		.amdhsa_exception_int_div_zero 0
	.end_amdhsa_kernel
	.section	.text._ZN7rocprim17ROCPRIM_400000_NS6detail17trampoline_kernelINS0_14default_configENS1_25partition_config_selectorILNS1_17partition_subalgoE6EtNS0_10empty_typeEbEEZZNS1_14partition_implILS5_6ELb0ES3_mN6thrust23THRUST_200600_302600_NS6detail15normal_iteratorINSA_10device_ptrItEEEEPS6_SG_NS0_5tupleIJSF_S6_EEENSH_IJSG_SG_EEES6_PlJ5mod_3ItEEEE10hipError_tPvRmT3_T4_T5_T6_T7_T9_mT8_P12ihipStream_tbDpT10_ENKUlT_T0_E_clISt17integral_constantIbLb0EES16_EEDaS11_S12_EUlS11_E_NS1_11comp_targetILNS1_3genE2ELNS1_11target_archE906ELNS1_3gpuE6ELNS1_3repE0EEENS1_30default_config_static_selectorELNS0_4arch9wavefront6targetE0EEEvT1_,"axG",@progbits,_ZN7rocprim17ROCPRIM_400000_NS6detail17trampoline_kernelINS0_14default_configENS1_25partition_config_selectorILNS1_17partition_subalgoE6EtNS0_10empty_typeEbEEZZNS1_14partition_implILS5_6ELb0ES3_mN6thrust23THRUST_200600_302600_NS6detail15normal_iteratorINSA_10device_ptrItEEEEPS6_SG_NS0_5tupleIJSF_S6_EEENSH_IJSG_SG_EEES6_PlJ5mod_3ItEEEE10hipError_tPvRmT3_T4_T5_T6_T7_T9_mT8_P12ihipStream_tbDpT10_ENKUlT_T0_E_clISt17integral_constantIbLb0EES16_EEDaS11_S12_EUlS11_E_NS1_11comp_targetILNS1_3genE2ELNS1_11target_archE906ELNS1_3gpuE6ELNS1_3repE0EEENS1_30default_config_static_selectorELNS0_4arch9wavefront6targetE0EEEvT1_,comdat
.Lfunc_end524:
	.size	_ZN7rocprim17ROCPRIM_400000_NS6detail17trampoline_kernelINS0_14default_configENS1_25partition_config_selectorILNS1_17partition_subalgoE6EtNS0_10empty_typeEbEEZZNS1_14partition_implILS5_6ELb0ES3_mN6thrust23THRUST_200600_302600_NS6detail15normal_iteratorINSA_10device_ptrItEEEEPS6_SG_NS0_5tupleIJSF_S6_EEENSH_IJSG_SG_EEES6_PlJ5mod_3ItEEEE10hipError_tPvRmT3_T4_T5_T6_T7_T9_mT8_P12ihipStream_tbDpT10_ENKUlT_T0_E_clISt17integral_constantIbLb0EES16_EEDaS11_S12_EUlS11_E_NS1_11comp_targetILNS1_3genE2ELNS1_11target_archE906ELNS1_3gpuE6ELNS1_3repE0EEENS1_30default_config_static_selectorELNS0_4arch9wavefront6targetE0EEEvT1_, .Lfunc_end524-_ZN7rocprim17ROCPRIM_400000_NS6detail17trampoline_kernelINS0_14default_configENS1_25partition_config_selectorILNS1_17partition_subalgoE6EtNS0_10empty_typeEbEEZZNS1_14partition_implILS5_6ELb0ES3_mN6thrust23THRUST_200600_302600_NS6detail15normal_iteratorINSA_10device_ptrItEEEEPS6_SG_NS0_5tupleIJSF_S6_EEENSH_IJSG_SG_EEES6_PlJ5mod_3ItEEEE10hipError_tPvRmT3_T4_T5_T6_T7_T9_mT8_P12ihipStream_tbDpT10_ENKUlT_T0_E_clISt17integral_constantIbLb0EES16_EEDaS11_S12_EUlS11_E_NS1_11comp_targetILNS1_3genE2ELNS1_11target_archE906ELNS1_3gpuE6ELNS1_3repE0EEENS1_30default_config_static_selectorELNS0_4arch9wavefront6targetE0EEEvT1_
                                        ; -- End function
	.section	.AMDGPU.csdata,"",@progbits
; Kernel info:
; codeLenInByte = 0
; NumSgprs: 0
; NumVgprs: 0
; ScratchSize: 0
; MemoryBound: 0
; FloatMode: 240
; IeeeMode: 1
; LDSByteSize: 0 bytes/workgroup (compile time only)
; SGPRBlocks: 0
; VGPRBlocks: 0
; NumSGPRsForWavesPerEU: 1
; NumVGPRsForWavesPerEU: 1
; Occupancy: 16
; WaveLimiterHint : 0
; COMPUTE_PGM_RSRC2:SCRATCH_EN: 0
; COMPUTE_PGM_RSRC2:USER_SGPR: 15
; COMPUTE_PGM_RSRC2:TRAP_HANDLER: 0
; COMPUTE_PGM_RSRC2:TGID_X_EN: 1
; COMPUTE_PGM_RSRC2:TGID_Y_EN: 0
; COMPUTE_PGM_RSRC2:TGID_Z_EN: 0
; COMPUTE_PGM_RSRC2:TIDIG_COMP_CNT: 0
	.section	.text._ZN7rocprim17ROCPRIM_400000_NS6detail17trampoline_kernelINS0_14default_configENS1_25partition_config_selectorILNS1_17partition_subalgoE6EtNS0_10empty_typeEbEEZZNS1_14partition_implILS5_6ELb0ES3_mN6thrust23THRUST_200600_302600_NS6detail15normal_iteratorINSA_10device_ptrItEEEEPS6_SG_NS0_5tupleIJSF_S6_EEENSH_IJSG_SG_EEES6_PlJ5mod_3ItEEEE10hipError_tPvRmT3_T4_T5_T6_T7_T9_mT8_P12ihipStream_tbDpT10_ENKUlT_T0_E_clISt17integral_constantIbLb0EES16_EEDaS11_S12_EUlS11_E_NS1_11comp_targetILNS1_3genE10ELNS1_11target_archE1200ELNS1_3gpuE4ELNS1_3repE0EEENS1_30default_config_static_selectorELNS0_4arch9wavefront6targetE0EEEvT1_,"axG",@progbits,_ZN7rocprim17ROCPRIM_400000_NS6detail17trampoline_kernelINS0_14default_configENS1_25partition_config_selectorILNS1_17partition_subalgoE6EtNS0_10empty_typeEbEEZZNS1_14partition_implILS5_6ELb0ES3_mN6thrust23THRUST_200600_302600_NS6detail15normal_iteratorINSA_10device_ptrItEEEEPS6_SG_NS0_5tupleIJSF_S6_EEENSH_IJSG_SG_EEES6_PlJ5mod_3ItEEEE10hipError_tPvRmT3_T4_T5_T6_T7_T9_mT8_P12ihipStream_tbDpT10_ENKUlT_T0_E_clISt17integral_constantIbLb0EES16_EEDaS11_S12_EUlS11_E_NS1_11comp_targetILNS1_3genE10ELNS1_11target_archE1200ELNS1_3gpuE4ELNS1_3repE0EEENS1_30default_config_static_selectorELNS0_4arch9wavefront6targetE0EEEvT1_,comdat
	.protected	_ZN7rocprim17ROCPRIM_400000_NS6detail17trampoline_kernelINS0_14default_configENS1_25partition_config_selectorILNS1_17partition_subalgoE6EtNS0_10empty_typeEbEEZZNS1_14partition_implILS5_6ELb0ES3_mN6thrust23THRUST_200600_302600_NS6detail15normal_iteratorINSA_10device_ptrItEEEEPS6_SG_NS0_5tupleIJSF_S6_EEENSH_IJSG_SG_EEES6_PlJ5mod_3ItEEEE10hipError_tPvRmT3_T4_T5_T6_T7_T9_mT8_P12ihipStream_tbDpT10_ENKUlT_T0_E_clISt17integral_constantIbLb0EES16_EEDaS11_S12_EUlS11_E_NS1_11comp_targetILNS1_3genE10ELNS1_11target_archE1200ELNS1_3gpuE4ELNS1_3repE0EEENS1_30default_config_static_selectorELNS0_4arch9wavefront6targetE0EEEvT1_ ; -- Begin function _ZN7rocprim17ROCPRIM_400000_NS6detail17trampoline_kernelINS0_14default_configENS1_25partition_config_selectorILNS1_17partition_subalgoE6EtNS0_10empty_typeEbEEZZNS1_14partition_implILS5_6ELb0ES3_mN6thrust23THRUST_200600_302600_NS6detail15normal_iteratorINSA_10device_ptrItEEEEPS6_SG_NS0_5tupleIJSF_S6_EEENSH_IJSG_SG_EEES6_PlJ5mod_3ItEEEE10hipError_tPvRmT3_T4_T5_T6_T7_T9_mT8_P12ihipStream_tbDpT10_ENKUlT_T0_E_clISt17integral_constantIbLb0EES16_EEDaS11_S12_EUlS11_E_NS1_11comp_targetILNS1_3genE10ELNS1_11target_archE1200ELNS1_3gpuE4ELNS1_3repE0EEENS1_30default_config_static_selectorELNS0_4arch9wavefront6targetE0EEEvT1_
	.globl	_ZN7rocprim17ROCPRIM_400000_NS6detail17trampoline_kernelINS0_14default_configENS1_25partition_config_selectorILNS1_17partition_subalgoE6EtNS0_10empty_typeEbEEZZNS1_14partition_implILS5_6ELb0ES3_mN6thrust23THRUST_200600_302600_NS6detail15normal_iteratorINSA_10device_ptrItEEEEPS6_SG_NS0_5tupleIJSF_S6_EEENSH_IJSG_SG_EEES6_PlJ5mod_3ItEEEE10hipError_tPvRmT3_T4_T5_T6_T7_T9_mT8_P12ihipStream_tbDpT10_ENKUlT_T0_E_clISt17integral_constantIbLb0EES16_EEDaS11_S12_EUlS11_E_NS1_11comp_targetILNS1_3genE10ELNS1_11target_archE1200ELNS1_3gpuE4ELNS1_3repE0EEENS1_30default_config_static_selectorELNS0_4arch9wavefront6targetE0EEEvT1_
	.p2align	8
	.type	_ZN7rocprim17ROCPRIM_400000_NS6detail17trampoline_kernelINS0_14default_configENS1_25partition_config_selectorILNS1_17partition_subalgoE6EtNS0_10empty_typeEbEEZZNS1_14partition_implILS5_6ELb0ES3_mN6thrust23THRUST_200600_302600_NS6detail15normal_iteratorINSA_10device_ptrItEEEEPS6_SG_NS0_5tupleIJSF_S6_EEENSH_IJSG_SG_EEES6_PlJ5mod_3ItEEEE10hipError_tPvRmT3_T4_T5_T6_T7_T9_mT8_P12ihipStream_tbDpT10_ENKUlT_T0_E_clISt17integral_constantIbLb0EES16_EEDaS11_S12_EUlS11_E_NS1_11comp_targetILNS1_3genE10ELNS1_11target_archE1200ELNS1_3gpuE4ELNS1_3repE0EEENS1_30default_config_static_selectorELNS0_4arch9wavefront6targetE0EEEvT1_,@function
_ZN7rocprim17ROCPRIM_400000_NS6detail17trampoline_kernelINS0_14default_configENS1_25partition_config_selectorILNS1_17partition_subalgoE6EtNS0_10empty_typeEbEEZZNS1_14partition_implILS5_6ELb0ES3_mN6thrust23THRUST_200600_302600_NS6detail15normal_iteratorINSA_10device_ptrItEEEEPS6_SG_NS0_5tupleIJSF_S6_EEENSH_IJSG_SG_EEES6_PlJ5mod_3ItEEEE10hipError_tPvRmT3_T4_T5_T6_T7_T9_mT8_P12ihipStream_tbDpT10_ENKUlT_T0_E_clISt17integral_constantIbLb0EES16_EEDaS11_S12_EUlS11_E_NS1_11comp_targetILNS1_3genE10ELNS1_11target_archE1200ELNS1_3gpuE4ELNS1_3repE0EEENS1_30default_config_static_selectorELNS0_4arch9wavefront6targetE0EEEvT1_: ; @_ZN7rocprim17ROCPRIM_400000_NS6detail17trampoline_kernelINS0_14default_configENS1_25partition_config_selectorILNS1_17partition_subalgoE6EtNS0_10empty_typeEbEEZZNS1_14partition_implILS5_6ELb0ES3_mN6thrust23THRUST_200600_302600_NS6detail15normal_iteratorINSA_10device_ptrItEEEEPS6_SG_NS0_5tupleIJSF_S6_EEENSH_IJSG_SG_EEES6_PlJ5mod_3ItEEEE10hipError_tPvRmT3_T4_T5_T6_T7_T9_mT8_P12ihipStream_tbDpT10_ENKUlT_T0_E_clISt17integral_constantIbLb0EES16_EEDaS11_S12_EUlS11_E_NS1_11comp_targetILNS1_3genE10ELNS1_11target_archE1200ELNS1_3gpuE4ELNS1_3repE0EEENS1_30default_config_static_selectorELNS0_4arch9wavefront6targetE0EEEvT1_
; %bb.0:
	.section	.rodata,"a",@progbits
	.p2align	6, 0x0
	.amdhsa_kernel _ZN7rocprim17ROCPRIM_400000_NS6detail17trampoline_kernelINS0_14default_configENS1_25partition_config_selectorILNS1_17partition_subalgoE6EtNS0_10empty_typeEbEEZZNS1_14partition_implILS5_6ELb0ES3_mN6thrust23THRUST_200600_302600_NS6detail15normal_iteratorINSA_10device_ptrItEEEEPS6_SG_NS0_5tupleIJSF_S6_EEENSH_IJSG_SG_EEES6_PlJ5mod_3ItEEEE10hipError_tPvRmT3_T4_T5_T6_T7_T9_mT8_P12ihipStream_tbDpT10_ENKUlT_T0_E_clISt17integral_constantIbLb0EES16_EEDaS11_S12_EUlS11_E_NS1_11comp_targetILNS1_3genE10ELNS1_11target_archE1200ELNS1_3gpuE4ELNS1_3repE0EEENS1_30default_config_static_selectorELNS0_4arch9wavefront6targetE0EEEvT1_
		.amdhsa_group_segment_fixed_size 0
		.amdhsa_private_segment_fixed_size 0
		.amdhsa_kernarg_size 112
		.amdhsa_user_sgpr_count 15
		.amdhsa_user_sgpr_dispatch_ptr 0
		.amdhsa_user_sgpr_queue_ptr 0
		.amdhsa_user_sgpr_kernarg_segment_ptr 1
		.amdhsa_user_sgpr_dispatch_id 0
		.amdhsa_user_sgpr_private_segment_size 0
		.amdhsa_wavefront_size32 1
		.amdhsa_uses_dynamic_stack 0
		.amdhsa_enable_private_segment 0
		.amdhsa_system_sgpr_workgroup_id_x 1
		.amdhsa_system_sgpr_workgroup_id_y 0
		.amdhsa_system_sgpr_workgroup_id_z 0
		.amdhsa_system_sgpr_workgroup_info 0
		.amdhsa_system_vgpr_workitem_id 0
		.amdhsa_next_free_vgpr 1
		.amdhsa_next_free_sgpr 1
		.amdhsa_reserve_vcc 0
		.amdhsa_float_round_mode_32 0
		.amdhsa_float_round_mode_16_64 0
		.amdhsa_float_denorm_mode_32 3
		.amdhsa_float_denorm_mode_16_64 3
		.amdhsa_dx10_clamp 1
		.amdhsa_ieee_mode 1
		.amdhsa_fp16_overflow 0
		.amdhsa_workgroup_processor_mode 1
		.amdhsa_memory_ordered 1
		.amdhsa_forward_progress 0
		.amdhsa_shared_vgpr_count 0
		.amdhsa_exception_fp_ieee_invalid_op 0
		.amdhsa_exception_fp_denorm_src 0
		.amdhsa_exception_fp_ieee_div_zero 0
		.amdhsa_exception_fp_ieee_overflow 0
		.amdhsa_exception_fp_ieee_underflow 0
		.amdhsa_exception_fp_ieee_inexact 0
		.amdhsa_exception_int_div_zero 0
	.end_amdhsa_kernel
	.section	.text._ZN7rocprim17ROCPRIM_400000_NS6detail17trampoline_kernelINS0_14default_configENS1_25partition_config_selectorILNS1_17partition_subalgoE6EtNS0_10empty_typeEbEEZZNS1_14partition_implILS5_6ELb0ES3_mN6thrust23THRUST_200600_302600_NS6detail15normal_iteratorINSA_10device_ptrItEEEEPS6_SG_NS0_5tupleIJSF_S6_EEENSH_IJSG_SG_EEES6_PlJ5mod_3ItEEEE10hipError_tPvRmT3_T4_T5_T6_T7_T9_mT8_P12ihipStream_tbDpT10_ENKUlT_T0_E_clISt17integral_constantIbLb0EES16_EEDaS11_S12_EUlS11_E_NS1_11comp_targetILNS1_3genE10ELNS1_11target_archE1200ELNS1_3gpuE4ELNS1_3repE0EEENS1_30default_config_static_selectorELNS0_4arch9wavefront6targetE0EEEvT1_,"axG",@progbits,_ZN7rocprim17ROCPRIM_400000_NS6detail17trampoline_kernelINS0_14default_configENS1_25partition_config_selectorILNS1_17partition_subalgoE6EtNS0_10empty_typeEbEEZZNS1_14partition_implILS5_6ELb0ES3_mN6thrust23THRUST_200600_302600_NS6detail15normal_iteratorINSA_10device_ptrItEEEEPS6_SG_NS0_5tupleIJSF_S6_EEENSH_IJSG_SG_EEES6_PlJ5mod_3ItEEEE10hipError_tPvRmT3_T4_T5_T6_T7_T9_mT8_P12ihipStream_tbDpT10_ENKUlT_T0_E_clISt17integral_constantIbLb0EES16_EEDaS11_S12_EUlS11_E_NS1_11comp_targetILNS1_3genE10ELNS1_11target_archE1200ELNS1_3gpuE4ELNS1_3repE0EEENS1_30default_config_static_selectorELNS0_4arch9wavefront6targetE0EEEvT1_,comdat
.Lfunc_end525:
	.size	_ZN7rocprim17ROCPRIM_400000_NS6detail17trampoline_kernelINS0_14default_configENS1_25partition_config_selectorILNS1_17partition_subalgoE6EtNS0_10empty_typeEbEEZZNS1_14partition_implILS5_6ELb0ES3_mN6thrust23THRUST_200600_302600_NS6detail15normal_iteratorINSA_10device_ptrItEEEEPS6_SG_NS0_5tupleIJSF_S6_EEENSH_IJSG_SG_EEES6_PlJ5mod_3ItEEEE10hipError_tPvRmT3_T4_T5_T6_T7_T9_mT8_P12ihipStream_tbDpT10_ENKUlT_T0_E_clISt17integral_constantIbLb0EES16_EEDaS11_S12_EUlS11_E_NS1_11comp_targetILNS1_3genE10ELNS1_11target_archE1200ELNS1_3gpuE4ELNS1_3repE0EEENS1_30default_config_static_selectorELNS0_4arch9wavefront6targetE0EEEvT1_, .Lfunc_end525-_ZN7rocprim17ROCPRIM_400000_NS6detail17trampoline_kernelINS0_14default_configENS1_25partition_config_selectorILNS1_17partition_subalgoE6EtNS0_10empty_typeEbEEZZNS1_14partition_implILS5_6ELb0ES3_mN6thrust23THRUST_200600_302600_NS6detail15normal_iteratorINSA_10device_ptrItEEEEPS6_SG_NS0_5tupleIJSF_S6_EEENSH_IJSG_SG_EEES6_PlJ5mod_3ItEEEE10hipError_tPvRmT3_T4_T5_T6_T7_T9_mT8_P12ihipStream_tbDpT10_ENKUlT_T0_E_clISt17integral_constantIbLb0EES16_EEDaS11_S12_EUlS11_E_NS1_11comp_targetILNS1_3genE10ELNS1_11target_archE1200ELNS1_3gpuE4ELNS1_3repE0EEENS1_30default_config_static_selectorELNS0_4arch9wavefront6targetE0EEEvT1_
                                        ; -- End function
	.section	.AMDGPU.csdata,"",@progbits
; Kernel info:
; codeLenInByte = 0
; NumSgprs: 0
; NumVgprs: 0
; ScratchSize: 0
; MemoryBound: 0
; FloatMode: 240
; IeeeMode: 1
; LDSByteSize: 0 bytes/workgroup (compile time only)
; SGPRBlocks: 0
; VGPRBlocks: 0
; NumSGPRsForWavesPerEU: 1
; NumVGPRsForWavesPerEU: 1
; Occupancy: 15
; WaveLimiterHint : 0
; COMPUTE_PGM_RSRC2:SCRATCH_EN: 0
; COMPUTE_PGM_RSRC2:USER_SGPR: 15
; COMPUTE_PGM_RSRC2:TRAP_HANDLER: 0
; COMPUTE_PGM_RSRC2:TGID_X_EN: 1
; COMPUTE_PGM_RSRC2:TGID_Y_EN: 0
; COMPUTE_PGM_RSRC2:TGID_Z_EN: 0
; COMPUTE_PGM_RSRC2:TIDIG_COMP_CNT: 0
	.section	.text._ZN7rocprim17ROCPRIM_400000_NS6detail17trampoline_kernelINS0_14default_configENS1_25partition_config_selectorILNS1_17partition_subalgoE6EtNS0_10empty_typeEbEEZZNS1_14partition_implILS5_6ELb0ES3_mN6thrust23THRUST_200600_302600_NS6detail15normal_iteratorINSA_10device_ptrItEEEEPS6_SG_NS0_5tupleIJSF_S6_EEENSH_IJSG_SG_EEES6_PlJ5mod_3ItEEEE10hipError_tPvRmT3_T4_T5_T6_T7_T9_mT8_P12ihipStream_tbDpT10_ENKUlT_T0_E_clISt17integral_constantIbLb0EES16_EEDaS11_S12_EUlS11_E_NS1_11comp_targetILNS1_3genE9ELNS1_11target_archE1100ELNS1_3gpuE3ELNS1_3repE0EEENS1_30default_config_static_selectorELNS0_4arch9wavefront6targetE0EEEvT1_,"axG",@progbits,_ZN7rocprim17ROCPRIM_400000_NS6detail17trampoline_kernelINS0_14default_configENS1_25partition_config_selectorILNS1_17partition_subalgoE6EtNS0_10empty_typeEbEEZZNS1_14partition_implILS5_6ELb0ES3_mN6thrust23THRUST_200600_302600_NS6detail15normal_iteratorINSA_10device_ptrItEEEEPS6_SG_NS0_5tupleIJSF_S6_EEENSH_IJSG_SG_EEES6_PlJ5mod_3ItEEEE10hipError_tPvRmT3_T4_T5_T6_T7_T9_mT8_P12ihipStream_tbDpT10_ENKUlT_T0_E_clISt17integral_constantIbLb0EES16_EEDaS11_S12_EUlS11_E_NS1_11comp_targetILNS1_3genE9ELNS1_11target_archE1100ELNS1_3gpuE3ELNS1_3repE0EEENS1_30default_config_static_selectorELNS0_4arch9wavefront6targetE0EEEvT1_,comdat
	.protected	_ZN7rocprim17ROCPRIM_400000_NS6detail17trampoline_kernelINS0_14default_configENS1_25partition_config_selectorILNS1_17partition_subalgoE6EtNS0_10empty_typeEbEEZZNS1_14partition_implILS5_6ELb0ES3_mN6thrust23THRUST_200600_302600_NS6detail15normal_iteratorINSA_10device_ptrItEEEEPS6_SG_NS0_5tupleIJSF_S6_EEENSH_IJSG_SG_EEES6_PlJ5mod_3ItEEEE10hipError_tPvRmT3_T4_T5_T6_T7_T9_mT8_P12ihipStream_tbDpT10_ENKUlT_T0_E_clISt17integral_constantIbLb0EES16_EEDaS11_S12_EUlS11_E_NS1_11comp_targetILNS1_3genE9ELNS1_11target_archE1100ELNS1_3gpuE3ELNS1_3repE0EEENS1_30default_config_static_selectorELNS0_4arch9wavefront6targetE0EEEvT1_ ; -- Begin function _ZN7rocprim17ROCPRIM_400000_NS6detail17trampoline_kernelINS0_14default_configENS1_25partition_config_selectorILNS1_17partition_subalgoE6EtNS0_10empty_typeEbEEZZNS1_14partition_implILS5_6ELb0ES3_mN6thrust23THRUST_200600_302600_NS6detail15normal_iteratorINSA_10device_ptrItEEEEPS6_SG_NS0_5tupleIJSF_S6_EEENSH_IJSG_SG_EEES6_PlJ5mod_3ItEEEE10hipError_tPvRmT3_T4_T5_T6_T7_T9_mT8_P12ihipStream_tbDpT10_ENKUlT_T0_E_clISt17integral_constantIbLb0EES16_EEDaS11_S12_EUlS11_E_NS1_11comp_targetILNS1_3genE9ELNS1_11target_archE1100ELNS1_3gpuE3ELNS1_3repE0EEENS1_30default_config_static_selectorELNS0_4arch9wavefront6targetE0EEEvT1_
	.globl	_ZN7rocprim17ROCPRIM_400000_NS6detail17trampoline_kernelINS0_14default_configENS1_25partition_config_selectorILNS1_17partition_subalgoE6EtNS0_10empty_typeEbEEZZNS1_14partition_implILS5_6ELb0ES3_mN6thrust23THRUST_200600_302600_NS6detail15normal_iteratorINSA_10device_ptrItEEEEPS6_SG_NS0_5tupleIJSF_S6_EEENSH_IJSG_SG_EEES6_PlJ5mod_3ItEEEE10hipError_tPvRmT3_T4_T5_T6_T7_T9_mT8_P12ihipStream_tbDpT10_ENKUlT_T0_E_clISt17integral_constantIbLb0EES16_EEDaS11_S12_EUlS11_E_NS1_11comp_targetILNS1_3genE9ELNS1_11target_archE1100ELNS1_3gpuE3ELNS1_3repE0EEENS1_30default_config_static_selectorELNS0_4arch9wavefront6targetE0EEEvT1_
	.p2align	8
	.type	_ZN7rocprim17ROCPRIM_400000_NS6detail17trampoline_kernelINS0_14default_configENS1_25partition_config_selectorILNS1_17partition_subalgoE6EtNS0_10empty_typeEbEEZZNS1_14partition_implILS5_6ELb0ES3_mN6thrust23THRUST_200600_302600_NS6detail15normal_iteratorINSA_10device_ptrItEEEEPS6_SG_NS0_5tupleIJSF_S6_EEENSH_IJSG_SG_EEES6_PlJ5mod_3ItEEEE10hipError_tPvRmT3_T4_T5_T6_T7_T9_mT8_P12ihipStream_tbDpT10_ENKUlT_T0_E_clISt17integral_constantIbLb0EES16_EEDaS11_S12_EUlS11_E_NS1_11comp_targetILNS1_3genE9ELNS1_11target_archE1100ELNS1_3gpuE3ELNS1_3repE0EEENS1_30default_config_static_selectorELNS0_4arch9wavefront6targetE0EEEvT1_,@function
_ZN7rocprim17ROCPRIM_400000_NS6detail17trampoline_kernelINS0_14default_configENS1_25partition_config_selectorILNS1_17partition_subalgoE6EtNS0_10empty_typeEbEEZZNS1_14partition_implILS5_6ELb0ES3_mN6thrust23THRUST_200600_302600_NS6detail15normal_iteratorINSA_10device_ptrItEEEEPS6_SG_NS0_5tupleIJSF_S6_EEENSH_IJSG_SG_EEES6_PlJ5mod_3ItEEEE10hipError_tPvRmT3_T4_T5_T6_T7_T9_mT8_P12ihipStream_tbDpT10_ENKUlT_T0_E_clISt17integral_constantIbLb0EES16_EEDaS11_S12_EUlS11_E_NS1_11comp_targetILNS1_3genE9ELNS1_11target_archE1100ELNS1_3gpuE3ELNS1_3repE0EEENS1_30default_config_static_selectorELNS0_4arch9wavefront6targetE0EEEvT1_: ; @_ZN7rocprim17ROCPRIM_400000_NS6detail17trampoline_kernelINS0_14default_configENS1_25partition_config_selectorILNS1_17partition_subalgoE6EtNS0_10empty_typeEbEEZZNS1_14partition_implILS5_6ELb0ES3_mN6thrust23THRUST_200600_302600_NS6detail15normal_iteratorINSA_10device_ptrItEEEEPS6_SG_NS0_5tupleIJSF_S6_EEENSH_IJSG_SG_EEES6_PlJ5mod_3ItEEEE10hipError_tPvRmT3_T4_T5_T6_T7_T9_mT8_P12ihipStream_tbDpT10_ENKUlT_T0_E_clISt17integral_constantIbLb0EES16_EEDaS11_S12_EUlS11_E_NS1_11comp_targetILNS1_3genE9ELNS1_11target_archE1100ELNS1_3gpuE3ELNS1_3repE0EEENS1_30default_config_static_selectorELNS0_4arch9wavefront6targetE0EEEvT1_
; %bb.0:
	s_clause 0x3
	s_load_b128 s[16:19], s[0:1], 0x8
	s_load_b128 s[4:7], s[0:1], 0x40
	s_load_b32 s10, s[0:1], 0x68
	s_load_b64 s[2:3], s[0:1], 0x50
	v_lshlrev_b32_e32 v1, 1, v0
	s_waitcnt lgkmcnt(0)
	s_lshl_b64 s[8:9], s[18:19], 1
	s_load_b64 s[6:7], s[6:7], 0x0
	s_mul_i32 s11, s10, 0xf00
	s_add_u32 s16, s16, s8
	s_addc_u32 s17, s17, s9
	s_add_i32 s8, s11, s18
	s_add_i32 s12, s10, -1
	s_sub_i32 s10, s2, s8
	s_add_u32 s8, s18, s11
	s_addc_u32 s9, s19, 0
	s_cmp_eq_u32 s15, s12
	v_cmp_ge_u64_e64 s8, s[8:9], s[2:3]
	s_cselect_b32 s14, -1, 0
	s_mov_b32 s3, 0
	s_mul_i32 s2, s15, 0xf00
	s_delay_alu instid0(SALU_CYCLE_1) | instskip(NEXT) | instid1(VALU_DEP_1)
	s_lshl_b64 s[2:3], s[2:3], 1
	s_and_b32 s12, s14, s8
	s_mov_b32 s8, -1
	s_xor_b32 s13, s12, -1
	s_add_u32 s2, s16, s2
	s_addc_u32 s3, s17, s3
	s_and_b32 vcc_lo, exec_lo, s13
	s_cbranch_vccz .LBB526_2
; %bb.1:
	v_add_co_u32 v2, s8, s2, v1
	s_delay_alu instid0(VALU_DEP_1) | instskip(SKIP_1) | instid1(VALU_DEP_2)
	v_add_co_ci_u32_e64 v3, null, s3, 0, s8
	s_mov_b32 s8, 0
	v_add_co_u32 v4, vcc_lo, 0x1000, v2
	s_clause 0x7
	flat_load_u16 v6, v[2:3]
	flat_load_u16 v7, v[2:3] offset:256
	flat_load_u16 v8, v[2:3] offset:512
	flat_load_u16 v9, v[2:3] offset:768
	flat_load_u16 v10, v[2:3] offset:1024
	flat_load_u16 v11, v[2:3] offset:1280
	flat_load_u16 v12, v[2:3] offset:1536
	flat_load_u16 v13, v[2:3] offset:1792
	v_add_co_ci_u32_e32 v5, vcc_lo, 0, v3, vcc_lo
	s_clause 0x15
	flat_load_u16 v14, v[2:3] offset:2048
	flat_load_u16 v15, v[2:3] offset:2304
	flat_load_u16 v16, v[2:3] offset:2560
	flat_load_u16 v17, v[2:3] offset:2816
	flat_load_u16 v18, v[2:3] offset:3072
	flat_load_u16 v19, v[2:3] offset:3328
	flat_load_u16 v20, v[2:3] offset:3584
	flat_load_u16 v2, v[2:3] offset:3840
	flat_load_u16 v3, v[4:5]
	flat_load_u16 v21, v[4:5] offset:256
	flat_load_u16 v22, v[4:5] offset:512
	;; [unrolled: 1-line block ×13, first 2 shown]
	s_waitcnt vmcnt(29) lgkmcnt(0)
	ds_store_b16 v1, v6
	s_waitcnt vmcnt(28)
	ds_store_b16 v1, v7 offset:256
	s_waitcnt vmcnt(27)
	ds_store_b16 v1, v8 offset:512
	;; [unrolled: 2-line block ×29, first 2 shown]
	s_waitcnt lgkmcnt(0)
	s_barrier
.LBB526_2:
	s_and_not1_b32 vcc_lo, exec_lo, s8
	s_addk_i32 s10, 0xf00
	s_cbranch_vccnz .LBB526_64
; %bb.3:
	s_mov_b32 s8, exec_lo
                                        ; implicit-def: $vgpr2
	v_cmpx_gt_u32_e64 s10, v0
	s_cbranch_execz .LBB526_5
; %bb.4:
	v_add_co_u32 v2, s9, s2, v1
	s_delay_alu instid0(VALU_DEP_1)
	v_add_co_ci_u32_e64 v3, null, s3, 0, s9
	flat_load_u16 v2, v[2:3]
.LBB526_5:
	s_or_b32 exec_lo, exec_lo, s8
	v_or_b32_e32 v3, 0x80, v0
	s_delay_alu instid0(VALU_DEP_1)
	v_cmp_gt_u32_e32 vcc_lo, s10, v3
                                        ; implicit-def: $vgpr3
	s_and_saveexec_b32 s8, vcc_lo
	s_cbranch_execz .LBB526_7
; %bb.6:
	v_add_co_u32 v3, s9, s2, v1
	s_delay_alu instid0(VALU_DEP_1)
	v_add_co_ci_u32_e64 v4, null, s3, 0, s9
	flat_load_u16 v3, v[3:4] offset:256
.LBB526_7:
	s_or_b32 exec_lo, exec_lo, s8
	v_or_b32_e32 v4, 0x100, v0
	s_delay_alu instid0(VALU_DEP_1)
	v_cmp_gt_u32_e32 vcc_lo, s10, v4
                                        ; implicit-def: $vgpr4
	s_and_saveexec_b32 s8, vcc_lo
	s_cbranch_execz .LBB526_9
; %bb.8:
	v_add_co_u32 v4, s9, s2, v1
	s_delay_alu instid0(VALU_DEP_1)
	v_add_co_ci_u32_e64 v5, null, s3, 0, s9
	flat_load_u16 v4, v[4:5] offset:512
.LBB526_9:
	s_or_b32 exec_lo, exec_lo, s8
	v_or_b32_e32 v5, 0x180, v0
	s_delay_alu instid0(VALU_DEP_1)
	v_cmp_gt_u32_e32 vcc_lo, s10, v5
                                        ; implicit-def: $vgpr5
	s_and_saveexec_b32 s8, vcc_lo
	s_cbranch_execz .LBB526_11
; %bb.10:
	v_add_co_u32 v5, s9, s2, v1
	s_delay_alu instid0(VALU_DEP_1)
	v_add_co_ci_u32_e64 v6, null, s3, 0, s9
	flat_load_u16 v5, v[5:6] offset:768
.LBB526_11:
	s_or_b32 exec_lo, exec_lo, s8
	v_or_b32_e32 v6, 0x200, v0
	s_delay_alu instid0(VALU_DEP_1)
	v_cmp_gt_u32_e32 vcc_lo, s10, v6
                                        ; implicit-def: $vgpr6
	s_and_saveexec_b32 s8, vcc_lo
	s_cbranch_execz .LBB526_13
; %bb.12:
	v_add_co_u32 v6, s9, s2, v1
	s_delay_alu instid0(VALU_DEP_1)
	v_add_co_ci_u32_e64 v7, null, s3, 0, s9
	flat_load_u16 v6, v[6:7] offset:1024
.LBB526_13:
	s_or_b32 exec_lo, exec_lo, s8
	v_or_b32_e32 v7, 0x280, v0
	s_delay_alu instid0(VALU_DEP_1)
	v_cmp_gt_u32_e32 vcc_lo, s10, v7
                                        ; implicit-def: $vgpr7
	s_and_saveexec_b32 s8, vcc_lo
	s_cbranch_execz .LBB526_15
; %bb.14:
	v_add_co_u32 v7, s9, s2, v1
	s_delay_alu instid0(VALU_DEP_1)
	v_add_co_ci_u32_e64 v8, null, s3, 0, s9
	flat_load_u16 v7, v[7:8] offset:1280
.LBB526_15:
	s_or_b32 exec_lo, exec_lo, s8
	v_or_b32_e32 v8, 0x300, v0
	s_delay_alu instid0(VALU_DEP_1)
	v_cmp_gt_u32_e32 vcc_lo, s10, v8
                                        ; implicit-def: $vgpr8
	s_and_saveexec_b32 s8, vcc_lo
	s_cbranch_execz .LBB526_17
; %bb.16:
	v_add_co_u32 v8, s9, s2, v1
	s_delay_alu instid0(VALU_DEP_1)
	v_add_co_ci_u32_e64 v9, null, s3, 0, s9
	flat_load_u16 v8, v[8:9] offset:1536
.LBB526_17:
	s_or_b32 exec_lo, exec_lo, s8
	v_or_b32_e32 v9, 0x380, v0
	s_delay_alu instid0(VALU_DEP_1)
	v_cmp_gt_u32_e32 vcc_lo, s10, v9
                                        ; implicit-def: $vgpr9
	s_and_saveexec_b32 s8, vcc_lo
	s_cbranch_execz .LBB526_19
; %bb.18:
	v_add_co_u32 v9, s9, s2, v1
	s_delay_alu instid0(VALU_DEP_1)
	v_add_co_ci_u32_e64 v10, null, s3, 0, s9
	flat_load_u16 v9, v[9:10] offset:1792
.LBB526_19:
	s_or_b32 exec_lo, exec_lo, s8
	v_or_b32_e32 v10, 0x400, v0
	s_delay_alu instid0(VALU_DEP_1)
	v_cmp_gt_u32_e32 vcc_lo, s10, v10
                                        ; implicit-def: $vgpr10
	s_and_saveexec_b32 s8, vcc_lo
	s_cbranch_execz .LBB526_21
; %bb.20:
	v_add_co_u32 v10, s9, s2, v1
	s_delay_alu instid0(VALU_DEP_1)
	v_add_co_ci_u32_e64 v11, null, s3, 0, s9
	flat_load_u16 v10, v[10:11] offset:2048
.LBB526_21:
	s_or_b32 exec_lo, exec_lo, s8
	v_or_b32_e32 v11, 0x480, v0
	s_delay_alu instid0(VALU_DEP_1)
	v_cmp_gt_u32_e32 vcc_lo, s10, v11
                                        ; implicit-def: $vgpr11
	s_and_saveexec_b32 s8, vcc_lo
	s_cbranch_execz .LBB526_23
; %bb.22:
	v_add_co_u32 v11, s9, s2, v1
	s_delay_alu instid0(VALU_DEP_1)
	v_add_co_ci_u32_e64 v12, null, s3, 0, s9
	flat_load_u16 v11, v[11:12] offset:2304
.LBB526_23:
	s_or_b32 exec_lo, exec_lo, s8
	v_or_b32_e32 v12, 0x500, v0
	s_delay_alu instid0(VALU_DEP_1)
	v_cmp_gt_u32_e32 vcc_lo, s10, v12
                                        ; implicit-def: $vgpr12
	s_and_saveexec_b32 s8, vcc_lo
	s_cbranch_execz .LBB526_25
; %bb.24:
	v_add_co_u32 v12, s9, s2, v1
	s_delay_alu instid0(VALU_DEP_1)
	v_add_co_ci_u32_e64 v13, null, s3, 0, s9
	flat_load_u16 v12, v[12:13] offset:2560
.LBB526_25:
	s_or_b32 exec_lo, exec_lo, s8
	v_or_b32_e32 v13, 0x580, v0
	s_delay_alu instid0(VALU_DEP_1)
	v_cmp_gt_u32_e32 vcc_lo, s10, v13
                                        ; implicit-def: $vgpr13
	s_and_saveexec_b32 s8, vcc_lo
	s_cbranch_execz .LBB526_27
; %bb.26:
	v_add_co_u32 v13, s9, s2, v1
	s_delay_alu instid0(VALU_DEP_1)
	v_add_co_ci_u32_e64 v14, null, s3, 0, s9
	flat_load_u16 v13, v[13:14] offset:2816
.LBB526_27:
	s_or_b32 exec_lo, exec_lo, s8
	v_or_b32_e32 v14, 0x600, v0
	s_delay_alu instid0(VALU_DEP_1)
	v_cmp_gt_u32_e32 vcc_lo, s10, v14
                                        ; implicit-def: $vgpr14
	s_and_saveexec_b32 s8, vcc_lo
	s_cbranch_execz .LBB526_29
; %bb.28:
	v_add_co_u32 v14, s9, s2, v1
	s_delay_alu instid0(VALU_DEP_1)
	v_add_co_ci_u32_e64 v15, null, s3, 0, s9
	flat_load_u16 v14, v[14:15] offset:3072
.LBB526_29:
	s_or_b32 exec_lo, exec_lo, s8
	v_or_b32_e32 v15, 0x680, v0
	s_delay_alu instid0(VALU_DEP_1)
	v_cmp_gt_u32_e32 vcc_lo, s10, v15
                                        ; implicit-def: $vgpr15
	s_and_saveexec_b32 s8, vcc_lo
	s_cbranch_execz .LBB526_31
; %bb.30:
	v_add_co_u32 v15, s9, s2, v1
	s_delay_alu instid0(VALU_DEP_1)
	v_add_co_ci_u32_e64 v16, null, s3, 0, s9
	flat_load_u16 v15, v[15:16] offset:3328
.LBB526_31:
	s_or_b32 exec_lo, exec_lo, s8
	v_or_b32_e32 v16, 0x700, v0
	s_delay_alu instid0(VALU_DEP_1)
	v_cmp_gt_u32_e32 vcc_lo, s10, v16
                                        ; implicit-def: $vgpr16
	s_and_saveexec_b32 s8, vcc_lo
	s_cbranch_execz .LBB526_33
; %bb.32:
	v_add_co_u32 v16, s9, s2, v1
	s_delay_alu instid0(VALU_DEP_1)
	v_add_co_ci_u32_e64 v17, null, s3, 0, s9
	flat_load_u16 v16, v[16:17] offset:3584
.LBB526_33:
	s_or_b32 exec_lo, exec_lo, s8
	v_or_b32_e32 v17, 0x780, v0
	s_delay_alu instid0(VALU_DEP_1)
	v_cmp_gt_u32_e32 vcc_lo, s10, v17
                                        ; implicit-def: $vgpr17
	s_and_saveexec_b32 s8, vcc_lo
	s_cbranch_execz .LBB526_35
; %bb.34:
	v_add_co_u32 v17, s9, s2, v1
	s_delay_alu instid0(VALU_DEP_1)
	v_add_co_ci_u32_e64 v18, null, s3, 0, s9
	flat_load_u16 v17, v[17:18] offset:3840
.LBB526_35:
	s_or_b32 exec_lo, exec_lo, s8
	v_or_b32_e32 v19, 0x800, v0
	s_mov_b32 s8, exec_lo
                                        ; implicit-def: $vgpr18
	s_delay_alu instid0(VALU_DEP_1)
	v_cmpx_gt_u32_e64 s10, v19
	s_cbranch_execz .LBB526_37
; %bb.36:
	v_lshlrev_b32_e32 v18, 1, v19
	s_delay_alu instid0(VALU_DEP_1) | instskip(NEXT) | instid1(VALU_DEP_1)
	v_add_co_u32 v18, s9, s2, v18
	v_add_co_ci_u32_e64 v19, null, s3, 0, s9
	flat_load_u16 v18, v[18:19]
.LBB526_37:
	s_or_b32 exec_lo, exec_lo, s8
	v_or_b32_e32 v20, 0x880, v0
	s_mov_b32 s8, exec_lo
                                        ; implicit-def: $vgpr19
	s_delay_alu instid0(VALU_DEP_1)
	v_cmpx_gt_u32_e64 s10, v20
	s_cbranch_execz .LBB526_39
; %bb.38:
	v_lshlrev_b32_e32 v19, 1, v20
	s_delay_alu instid0(VALU_DEP_1) | instskip(NEXT) | instid1(VALU_DEP_1)
	v_add_co_u32 v19, s9, s2, v19
	v_add_co_ci_u32_e64 v20, null, s3, 0, s9
	flat_load_u16 v19, v[19:20]
.LBB526_39:
	s_or_b32 exec_lo, exec_lo, s8
	v_or_b32_e32 v21, 0x900, v0
	s_mov_b32 s8, exec_lo
                                        ; implicit-def: $vgpr20
	s_delay_alu instid0(VALU_DEP_1)
	v_cmpx_gt_u32_e64 s10, v21
	s_cbranch_execz .LBB526_41
; %bb.40:
	v_lshlrev_b32_e32 v20, 1, v21
	s_delay_alu instid0(VALU_DEP_1) | instskip(NEXT) | instid1(VALU_DEP_1)
	v_add_co_u32 v20, s9, s2, v20
	v_add_co_ci_u32_e64 v21, null, s3, 0, s9
	flat_load_u16 v20, v[20:21]
.LBB526_41:
	s_or_b32 exec_lo, exec_lo, s8
	v_or_b32_e32 v22, 0x980, v0
	s_mov_b32 s8, exec_lo
                                        ; implicit-def: $vgpr21
	s_delay_alu instid0(VALU_DEP_1)
	v_cmpx_gt_u32_e64 s10, v22
	s_cbranch_execz .LBB526_43
; %bb.42:
	v_lshlrev_b32_e32 v21, 1, v22
	s_delay_alu instid0(VALU_DEP_1) | instskip(NEXT) | instid1(VALU_DEP_1)
	v_add_co_u32 v21, s9, s2, v21
	v_add_co_ci_u32_e64 v22, null, s3, 0, s9
	flat_load_u16 v21, v[21:22]
.LBB526_43:
	s_or_b32 exec_lo, exec_lo, s8
	v_or_b32_e32 v23, 0xa00, v0
	s_mov_b32 s8, exec_lo
                                        ; implicit-def: $vgpr22
	s_delay_alu instid0(VALU_DEP_1)
	v_cmpx_gt_u32_e64 s10, v23
	s_cbranch_execz .LBB526_45
; %bb.44:
	v_lshlrev_b32_e32 v22, 1, v23
	s_delay_alu instid0(VALU_DEP_1) | instskip(NEXT) | instid1(VALU_DEP_1)
	v_add_co_u32 v22, s9, s2, v22
	v_add_co_ci_u32_e64 v23, null, s3, 0, s9
	flat_load_u16 v22, v[22:23]
.LBB526_45:
	s_or_b32 exec_lo, exec_lo, s8
	v_or_b32_e32 v24, 0xa80, v0
	s_mov_b32 s8, exec_lo
                                        ; implicit-def: $vgpr23
	s_delay_alu instid0(VALU_DEP_1)
	v_cmpx_gt_u32_e64 s10, v24
	s_cbranch_execz .LBB526_47
; %bb.46:
	v_lshlrev_b32_e32 v23, 1, v24
	s_delay_alu instid0(VALU_DEP_1) | instskip(NEXT) | instid1(VALU_DEP_1)
	v_add_co_u32 v23, s9, s2, v23
	v_add_co_ci_u32_e64 v24, null, s3, 0, s9
	flat_load_u16 v23, v[23:24]
.LBB526_47:
	s_or_b32 exec_lo, exec_lo, s8
	v_or_b32_e32 v25, 0xb00, v0
	s_mov_b32 s8, exec_lo
                                        ; implicit-def: $vgpr24
	s_delay_alu instid0(VALU_DEP_1)
	v_cmpx_gt_u32_e64 s10, v25
	s_cbranch_execz .LBB526_49
; %bb.48:
	v_lshlrev_b32_e32 v24, 1, v25
	s_delay_alu instid0(VALU_DEP_1) | instskip(NEXT) | instid1(VALU_DEP_1)
	v_add_co_u32 v24, s9, s2, v24
	v_add_co_ci_u32_e64 v25, null, s3, 0, s9
	flat_load_u16 v24, v[24:25]
.LBB526_49:
	s_or_b32 exec_lo, exec_lo, s8
	v_or_b32_e32 v26, 0xb80, v0
	s_mov_b32 s8, exec_lo
                                        ; implicit-def: $vgpr25
	s_delay_alu instid0(VALU_DEP_1)
	v_cmpx_gt_u32_e64 s10, v26
	s_cbranch_execz .LBB526_51
; %bb.50:
	v_lshlrev_b32_e32 v25, 1, v26
	s_delay_alu instid0(VALU_DEP_1) | instskip(NEXT) | instid1(VALU_DEP_1)
	v_add_co_u32 v25, s9, s2, v25
	v_add_co_ci_u32_e64 v26, null, s3, 0, s9
	flat_load_u16 v25, v[25:26]
.LBB526_51:
	s_or_b32 exec_lo, exec_lo, s8
	v_or_b32_e32 v27, 0xc00, v0
	s_mov_b32 s8, exec_lo
                                        ; implicit-def: $vgpr26
	s_delay_alu instid0(VALU_DEP_1)
	v_cmpx_gt_u32_e64 s10, v27
	s_cbranch_execz .LBB526_53
; %bb.52:
	v_lshlrev_b32_e32 v26, 1, v27
	s_delay_alu instid0(VALU_DEP_1) | instskip(NEXT) | instid1(VALU_DEP_1)
	v_add_co_u32 v26, s9, s2, v26
	v_add_co_ci_u32_e64 v27, null, s3, 0, s9
	flat_load_u16 v26, v[26:27]
.LBB526_53:
	s_or_b32 exec_lo, exec_lo, s8
	v_or_b32_e32 v28, 0xc80, v0
	s_mov_b32 s8, exec_lo
                                        ; implicit-def: $vgpr27
	s_delay_alu instid0(VALU_DEP_1)
	v_cmpx_gt_u32_e64 s10, v28
	s_cbranch_execz .LBB526_55
; %bb.54:
	v_lshlrev_b32_e32 v27, 1, v28
	s_delay_alu instid0(VALU_DEP_1) | instskip(NEXT) | instid1(VALU_DEP_1)
	v_add_co_u32 v27, s9, s2, v27
	v_add_co_ci_u32_e64 v28, null, s3, 0, s9
	flat_load_u16 v27, v[27:28]
.LBB526_55:
	s_or_b32 exec_lo, exec_lo, s8
	v_or_b32_e32 v29, 0xd00, v0
	s_mov_b32 s8, exec_lo
                                        ; implicit-def: $vgpr28
	s_delay_alu instid0(VALU_DEP_1)
	v_cmpx_gt_u32_e64 s10, v29
	s_cbranch_execz .LBB526_57
; %bb.56:
	v_lshlrev_b32_e32 v28, 1, v29
	s_delay_alu instid0(VALU_DEP_1) | instskip(NEXT) | instid1(VALU_DEP_1)
	v_add_co_u32 v28, s9, s2, v28
	v_add_co_ci_u32_e64 v29, null, s3, 0, s9
	flat_load_u16 v28, v[28:29]
.LBB526_57:
	s_or_b32 exec_lo, exec_lo, s8
	v_or_b32_e32 v30, 0xd80, v0
	s_mov_b32 s8, exec_lo
                                        ; implicit-def: $vgpr29
	s_delay_alu instid0(VALU_DEP_1)
	v_cmpx_gt_u32_e64 s10, v30
	s_cbranch_execz .LBB526_59
; %bb.58:
	v_lshlrev_b32_e32 v29, 1, v30
	s_delay_alu instid0(VALU_DEP_1) | instskip(NEXT) | instid1(VALU_DEP_1)
	v_add_co_u32 v29, s9, s2, v29
	v_add_co_ci_u32_e64 v30, null, s3, 0, s9
	flat_load_u16 v29, v[29:30]
.LBB526_59:
	s_or_b32 exec_lo, exec_lo, s8
	v_or_b32_e32 v31, 0xe00, v0
	s_mov_b32 s8, exec_lo
                                        ; implicit-def: $vgpr30
	s_delay_alu instid0(VALU_DEP_1)
	v_cmpx_gt_u32_e64 s10, v31
	s_cbranch_execz .LBB526_61
; %bb.60:
	v_lshlrev_b32_e32 v30, 1, v31
	s_delay_alu instid0(VALU_DEP_1) | instskip(NEXT) | instid1(VALU_DEP_1)
	v_add_co_u32 v30, s9, s2, v30
	v_add_co_ci_u32_e64 v31, null, s3, 0, s9
	flat_load_u16 v30, v[30:31]
.LBB526_61:
	s_or_b32 exec_lo, exec_lo, s8
	v_or_b32_e32 v32, 0xe80, v0
	s_mov_b32 s8, exec_lo
                                        ; implicit-def: $vgpr31
	s_delay_alu instid0(VALU_DEP_1)
	v_cmpx_gt_u32_e64 s10, v32
	s_cbranch_execz .LBB526_63
; %bb.62:
	v_lshlrev_b32_e32 v31, 1, v32
	s_delay_alu instid0(VALU_DEP_1) | instskip(NEXT) | instid1(VALU_DEP_1)
	v_add_co_u32 v31, s2, s2, v31
	v_add_co_ci_u32_e64 v32, null, s3, 0, s2
	flat_load_u16 v31, v[31:32]
.LBB526_63:
	s_or_b32 exec_lo, exec_lo, s8
	s_waitcnt vmcnt(0) lgkmcnt(0)
	ds_store_b16 v1, v2
	ds_store_b16 v1, v3 offset:256
	ds_store_b16 v1, v4 offset:512
	;; [unrolled: 1-line block ×29, first 2 shown]
	s_waitcnt lgkmcnt(0)
	s_barrier
.LBB526_64:
	v_mul_u32_u24_e32 v1, 30, v0
	s_waitcnt lgkmcnt(0)
	buffer_gl0_inv
	s_and_not1_b32 vcc_lo, exec_lo, s13
	v_lshlrev_b32_e32 v2, 1, v1
	ds_load_b32 v81, v2 offset:56
	ds_load_2addr_b32 v[9:10], v2 offset0:12 offset1:13
	ds_load_2addr_b32 v[11:12], v2 offset0:10 offset1:11
	ds_load_2addr_b32 v[21:22], v2 offset1:1
	ds_load_2addr_b32 v[19:20], v2 offset0:2 offset1:3
	ds_load_2addr_b32 v[17:18], v2 offset0:4 offset1:5
	;; [unrolled: 1-line block ×4, first 2 shown]
	s_waitcnt lgkmcnt(0)
	s_barrier
	buffer_gl0_inv
	v_lshrrev_b32_e32 v82, 16, v81
	v_lshrrev_b32_e32 v84, 16, v9
	;; [unrolled: 1-line block ×15, first 2 shown]
	s_cbranch_vccnz .LBB526_66
; %bb.65:
	v_mul_lo_u16 v2, 0xaaab, v21
	v_mul_lo_u16 v3, 0xaaab, v96
	;; [unrolled: 1-line block ×4, first 2 shown]
	s_delay_alu instid0(VALU_DEP_4)
	v_cmp_lt_u16_e32 vcc_lo, 0x5555, v2
	v_mul_lo_u16 v2, 0xaaab, v95
	v_cndmask_b32_e64 v98, 0, 1, vcc_lo
	v_cmp_lt_u16_e32 vcc_lo, 0x5555, v3
	v_mul_lo_u16 v3, 0xaaab, v19
	v_cndmask_b32_e64 v97, 0, 1, vcc_lo
	;; [unrolled: 3-line block ×25, first 2 shown]
	v_cmp_lt_u16_e32 vcc_lo, 0x5555, v2
	v_mul_lo_u16 v2, 0xaaab, v83
	s_delay_alu instid0(VALU_DEP_4) | instskip(SKIP_2) | instid1(VALU_DEP_3)
	v_cmp_lt_u16_e64 s2, 0x5555, v4
	v_cndmask_b32_e64 v121, 0, 1, vcc_lo
	v_cmp_lt_u16_e32 vcc_lo, 0x5555, v3
	v_cndmask_b32_e64 v125, 0, 1, s2
	v_cndmask_b32_e64 v124, 0, 1, vcc_lo
	v_cmp_lt_u16_e32 vcc_lo, 0x5555, v2
	v_cndmask_b32_e64 v123, 0, 1, vcc_lo
	v_cmp_lt_u16_e32 vcc_lo, 0x5555, v5
	s_and_b32 s16, vcc_lo, exec_lo
	s_clause 0x1
	s_load_b64 s[8:9], s[0:1], 0x28
	s_load_b64 s[2:3], s[0:1], 0x60
	s_cbranch_execz .LBB526_67
	s_branch .LBB526_128
.LBB526_66:
                                        ; implicit-def: $sgpr16
                                        ; implicit-def: $vgpr98
                                        ; implicit-def: $vgpr97
                                        ; implicit-def: $vgpr100
                                        ; implicit-def: $vgpr99
                                        ; implicit-def: $vgpr102
                                        ; implicit-def: $vgpr101
                                        ; implicit-def: $vgpr104
                                        ; implicit-def: $vgpr103
                                        ; implicit-def: $vgpr106
                                        ; implicit-def: $vgpr105
                                        ; implicit-def: $vgpr108
                                        ; implicit-def: $vgpr107
                                        ; implicit-def: $vgpr110
                                        ; implicit-def: $vgpr109
                                        ; implicit-def: $vgpr112
                                        ; implicit-def: $vgpr111
                                        ; implicit-def: $vgpr114
                                        ; implicit-def: $vgpr113
                                        ; implicit-def: $vgpr116
                                        ; implicit-def: $vgpr115
                                        ; implicit-def: $vgpr118
                                        ; implicit-def: $vgpr117
                                        ; implicit-def: $vgpr120
                                        ; implicit-def: $vgpr119
                                        ; implicit-def: $vgpr122
                                        ; implicit-def: $vgpr121
                                        ; implicit-def: $vgpr124
                                        ; implicit-def: $vgpr123
                                        ; implicit-def: $vgpr125
	s_clause 0x1
	s_load_b64 s[8:9], s[0:1], 0x28
	s_load_b64 s[2:3], s[0:1], 0x60
.LBB526_67:
	v_dual_mov_b32 v97, 0 :: v_dual_mov_b32 v98, 0
	s_mov_b32 s0, exec_lo
	v_cmpx_gt_u32_e64 s10, v1
; %bb.68:
	v_mul_lo_u16 v2, 0xaaab, v21
	s_delay_alu instid0(VALU_DEP_1)
	v_cmp_lt_u16_e32 vcc_lo, 0x5555, v2
	v_cndmask_b32_e64 v98, 0, 1, vcc_lo
; %bb.69:
	s_or_b32 exec_lo, exec_lo, s0
	v_or_b32_e32 v2, 1, v1
	s_mov_b32 s0, exec_lo
	s_delay_alu instid0(VALU_DEP_1)
	v_cmpx_gt_u32_e64 s10, v2
; %bb.70:
	v_mul_lo_u16 v2, 0xaaab, v96
	s_delay_alu instid0(VALU_DEP_1)
	v_cmp_lt_u16_e32 vcc_lo, 0x5555, v2
	v_cndmask_b32_e64 v97, 0, 1, vcc_lo
; %bb.71:
	s_or_b32 exec_lo, exec_lo, s0
	v_dual_mov_b32 v99, 0 :: v_dual_add_nc_u32 v2, 2, v1
	v_mov_b32_e32 v100, 0
	s_mov_b32 s0, exec_lo
	s_delay_alu instid0(VALU_DEP_2)
	v_cmpx_gt_u32_e64 s10, v2
; %bb.72:
	v_mul_lo_u16 v2, 0xaaab, v22
	s_delay_alu instid0(VALU_DEP_1)
	v_cmp_lt_u16_e32 vcc_lo, 0x5555, v2
	v_cndmask_b32_e64 v100, 0, 1, vcc_lo
; %bb.73:
	s_or_b32 exec_lo, exec_lo, s0
	v_add_nc_u32_e32 v2, 3, v1
	s_mov_b32 s0, exec_lo
	s_delay_alu instid0(VALU_DEP_1)
	v_cmpx_gt_u32_e64 s10, v2
; %bb.74:
	v_mul_lo_u16 v2, 0xaaab, v95
	s_delay_alu instid0(VALU_DEP_1)
	v_cmp_lt_u16_e32 vcc_lo, 0x5555, v2
	v_cndmask_b32_e64 v99, 0, 1, vcc_lo
; %bb.75:
	s_or_b32 exec_lo, exec_lo, s0
	v_dual_mov_b32 v101, 0 :: v_dual_add_nc_u32 v2, 4, v1
	v_mov_b32_e32 v102, 0
	s_mov_b32 s0, exec_lo
	s_delay_alu instid0(VALU_DEP_2)
	v_cmpx_gt_u32_e64 s10, v2
; %bb.76:
	v_mul_lo_u16 v2, 0xaaab, v19
	s_delay_alu instid0(VALU_DEP_1)
	v_cmp_lt_u16_e32 vcc_lo, 0x5555, v2
	v_cndmask_b32_e64 v102, 0, 1, vcc_lo
; %bb.77:
	s_or_b32 exec_lo, exec_lo, s0
	v_add_nc_u32_e32 v2, 5, v1
	;; [unrolled: 23-line block ×13, first 2 shown]
	s_mov_b32 s0, exec_lo
	s_delay_alu instid0(VALU_DEP_1)
	v_cmpx_gt_u32_e64 s10, v2
; %bb.122:
	v_mul_lo_u16 v2, 0xaaab, v83
	s_delay_alu instid0(VALU_DEP_1)
	v_cmp_lt_u16_e32 vcc_lo, 0x5555, v2
	v_cndmask_b32_e64 v123, 0, 1, vcc_lo
; %bb.123:
	s_or_b32 exec_lo, exec_lo, s0
	v_dual_mov_b32 v125, 0 :: v_dual_add_nc_u32 v2, 28, v1
	s_mov_b32 s0, exec_lo
	s_delay_alu instid0(VALU_DEP_1)
	v_cmpx_gt_u32_e64 s10, v2
; %bb.124:
	v_mul_lo_u16 v2, 0xaaab, v81
	s_delay_alu instid0(VALU_DEP_1)
	v_cmp_lt_u16_e32 vcc_lo, 0x5555, v2
	v_cndmask_b32_e64 v125, 0, 1, vcc_lo
; %bb.125:
	s_or_b32 exec_lo, exec_lo, s0
	v_add_nc_u32_e32 v1, 29, v1
	s_mov_b32 s16, 0
	s_mov_b32 s0, exec_lo
	s_delay_alu instid0(VALU_DEP_1)
	v_cmpx_gt_u32_e64 s10, v1
; %bb.126:
	v_mul_lo_u16 v1, 0xaaab, v82
	s_delay_alu instid0(VALU_DEP_1)
	v_cmp_lt_u16_e32 vcc_lo, 0x5555, v1
	s_and_b32 s16, vcc_lo, exec_lo
; %bb.127:
	s_or_b32 exec_lo, exec_lo, s0
.LBB526_128:
	v_dual_mov_b32 v2, 0 :: v_dual_and_b32 v79, 0xff, v125
	v_cndmask_b32_e64 v1, 0, 1, s16
	v_and_b32_e32 v80, 0xff, v123
	v_and_b32_e32 v126, 0xff, v124
	v_and_b32_e32 v127, 0xff, v121
	v_and_b32_e32 v128, 0xff, v122
	v_add_co_u32 v1, s0, v79, v1
	s_delay_alu instid0(VALU_DEP_1) | instskip(SKIP_1) | instid1(VALU_DEP_3)
	v_add_co_ci_u32_e64 v3, null, 0, 0, s0
	v_and_b32_e32 v129, 0xff, v119
	v_add_co_u32 v1, vcc_lo, v1, v80
	s_delay_alu instid0(VALU_DEP_3) | instskip(SKIP_1) | instid1(VALU_DEP_3)
	v_add_co_ci_u32_e32 v3, vcc_lo, 0, v3, vcc_lo
	v_and_b32_e32 v31, 0xff, v120
	v_add_co_u32 v1, vcc_lo, v1, v126
	s_delay_alu instid0(VALU_DEP_3) | instskip(SKIP_1) | instid1(VALU_DEP_3)
	v_add_co_ci_u32_e32 v3, vcc_lo, 0, v3, vcc_lo
	;; [unrolled: 4-line block ×23, first 2 shown]
	v_mbcnt_lo_u32_b32 v54, -1, 0
	v_add_co_u32 v1, vcc_lo, v1, v50
	s_delay_alu instid0(VALU_DEP_3) | instskip(SKIP_1) | instid1(VALU_DEP_3)
	v_add_co_ci_u32_e32 v3, vcc_lo, 0, v3, vcc_lo
	v_and_b32_e32 v42, 0xff, v98
	v_add_co_u32 v1, vcc_lo, v1, v51
	s_delay_alu instid0(VALU_DEP_3) | instskip(SKIP_1) | instid1(VALU_DEP_3)
	v_add_co_ci_u32_e32 v3, vcc_lo, 0, v3, vcc_lo
	v_and_b32_e32 v55, 15, v54
	v_add_co_u32 v1, vcc_lo, v1, v52
	s_delay_alu instid0(VALU_DEP_3) | instskip(NEXT) | instid1(VALU_DEP_3)
	v_add_co_ci_u32_e32 v3, vcc_lo, 0, v3, vcc_lo
	v_cmp_ne_u32_e64 s0, 0, v55
	s_delay_alu instid0(VALU_DEP_3) | instskip(NEXT) | instid1(VALU_DEP_3)
	v_add_co_u32 v1, vcc_lo, v1, v53
	v_add_co_ci_u32_e32 v3, vcc_lo, 0, v3, vcc_lo
	s_cmp_lg_u32 s15, 0
	s_delay_alu instid0(VALU_DEP_2) | instskip(NEXT) | instid1(VALU_DEP_2)
	v_add_co_u32 v23, vcc_lo, v1, v42
	v_add_co_ci_u32_e32 v24, vcc_lo, 0, v3, vcc_lo
	s_mov_b32 s1, -1
	s_cbranch_scc0 .LBB526_188
; %bb.129:
	s_delay_alu instid0(VALU_DEP_2)
	v_mov_b32_e32 v3, v23
	v_mov_b32_dpp v1, v23 row_shr:1 row_mask:0xf bank_mask:0xf
	v_mov_b32_dpp v6, v2 row_shr:1 row_mask:0xf bank_mask:0xf
	v_dual_mov_b32 v5, v23 :: v_dual_mov_b32 v4, v24
	s_and_saveexec_b32 s1, s0
; %bb.130:
	s_delay_alu instid0(VALU_DEP_3) | instskip(SKIP_1) | instid1(VALU_DEP_2)
	v_add_co_u32 v5, vcc_lo, v23, v1
	v_add_co_ci_u32_e32 v2, vcc_lo, 0, v24, vcc_lo
	v_add_co_u32 v1, vcc_lo, 0, v5
	s_delay_alu instid0(VALU_DEP_2) | instskip(NEXT) | instid1(VALU_DEP_1)
	v_add_co_ci_u32_e32 v2, vcc_lo, v6, v2, vcc_lo
	v_dual_mov_b32 v4, v2 :: v_dual_mov_b32 v3, v1
; %bb.131:
	s_or_b32 exec_lo, exec_lo, s1
	v_mov_b32_dpp v1, v5 row_shr:2 row_mask:0xf bank_mask:0xf
	v_mov_b32_dpp v6, v2 row_shr:2 row_mask:0xf bank_mask:0xf
	s_mov_b32 s1, exec_lo
	v_cmpx_lt_u32_e32 1, v55
; %bb.132:
	s_delay_alu instid0(VALU_DEP_3) | instskip(SKIP_1) | instid1(VALU_DEP_2)
	v_add_co_u32 v5, vcc_lo, v3, v1
	v_add_co_ci_u32_e32 v2, vcc_lo, 0, v4, vcc_lo
	v_add_co_u32 v1, vcc_lo, 0, v5
	s_delay_alu instid0(VALU_DEP_2) | instskip(NEXT) | instid1(VALU_DEP_1)
	v_add_co_ci_u32_e32 v2, vcc_lo, v6, v2, vcc_lo
	v_dual_mov_b32 v4, v2 :: v_dual_mov_b32 v3, v1
; %bb.133:
	s_or_b32 exec_lo, exec_lo, s1
	v_mov_b32_dpp v1, v5 row_shr:4 row_mask:0xf bank_mask:0xf
	v_mov_b32_dpp v6, v2 row_shr:4 row_mask:0xf bank_mask:0xf
	s_mov_b32 s1, exec_lo
	v_cmpx_lt_u32_e32 3, v55
	;; [unrolled: 14-line block ×3, first 2 shown]
; %bb.136:
	s_delay_alu instid0(VALU_DEP_3) | instskip(SKIP_1) | instid1(VALU_DEP_2)
	v_add_co_u32 v5, vcc_lo, v3, v6
	v_add_co_ci_u32_e32 v2, vcc_lo, 0, v4, vcc_lo
	v_add_co_u32 v3, vcc_lo, 0, v5
	s_delay_alu instid0(VALU_DEP_2) | instskip(NEXT) | instid1(VALU_DEP_1)
	v_add_co_ci_u32_e32 v4, vcc_lo, v1, v2, vcc_lo
	v_mov_b32_e32 v2, v4
; %bb.137:
	s_or_b32 exec_lo, exec_lo, s1
	ds_swizzle_b32 v1, v5 offset:swizzle(BROADCAST,32,15)
	ds_swizzle_b32 v6, v2 offset:swizzle(BROADCAST,32,15)
	v_and_b32_e32 v7, 16, v54
	s_mov_b32 s1, exec_lo
	s_delay_alu instid0(VALU_DEP_1)
	v_cmpx_ne_u32_e32 0, v7
	s_cbranch_execz .LBB526_139
; %bb.138:
	s_waitcnt lgkmcnt(0)
	v_add_co_u32 v5, vcc_lo, v3, v1
	v_add_co_ci_u32_e32 v2, vcc_lo, 0, v4, vcc_lo
	s_delay_alu instid0(VALU_DEP_2) | instskip(NEXT) | instid1(VALU_DEP_2)
	v_add_co_u32 v1, vcc_lo, 0, v5
	v_add_co_ci_u32_e32 v2, vcc_lo, v6, v2, vcc_lo
	s_delay_alu instid0(VALU_DEP_1)
	v_dual_mov_b32 v4, v2 :: v_dual_mov_b32 v3, v1
.LBB526_139:
	s_or_b32 exec_lo, exec_lo, s1
	s_waitcnt lgkmcnt(0)
	v_or_b32_e32 v6, 31, v0
	v_lshrrev_b32_e32 v1, 5, v0
	s_mov_b32 s1, exec_lo
	s_delay_alu instid0(VALU_DEP_2)
	v_cmpx_eq_u32_e64 v6, v0
	s_cbranch_execz .LBB526_141
; %bb.140:
	s_delay_alu instid0(VALU_DEP_2)
	v_lshlrev_b32_e32 v6, 3, v1
	ds_store_b64 v6, v[3:4]
.LBB526_141:
	s_or_b32 exec_lo, exec_lo, s1
	s_delay_alu instid0(SALU_CYCLE_1)
	s_mov_b32 s1, exec_lo
	s_waitcnt lgkmcnt(0)
	s_barrier
	buffer_gl0_inv
	v_cmpx_gt_u32_e32 4, v0
	s_cbranch_execz .LBB526_147
; %bb.142:
	v_lshlrev_b32_e32 v6, 3, v0
	s_mov_b32 s10, exec_lo
	ds_load_b64 v[3:4], v6
	s_waitcnt lgkmcnt(0)
	v_dual_mov_b32 v8, v3 :: v_dual_and_b32 v7, 3, v54
	v_mov_b32_dpp v26, v3 row_shr:1 row_mask:0xf bank_mask:0xf
	v_mov_b32_dpp v25, v4 row_shr:1 row_mask:0xf bank_mask:0xf
	s_delay_alu instid0(VALU_DEP_3)
	v_cmpx_ne_u32_e32 0, v7
; %bb.143:
	s_delay_alu instid0(VALU_DEP_3) | instskip(SKIP_1) | instid1(VALU_DEP_2)
	v_add_co_u32 v8, vcc_lo, v3, v26
	v_add_co_ci_u32_e32 v4, vcc_lo, 0, v4, vcc_lo
	v_add_co_u32 v3, vcc_lo, 0, v8
	s_delay_alu instid0(VALU_DEP_2)
	v_add_co_ci_u32_e32 v4, vcc_lo, v25, v4, vcc_lo
; %bb.144:
	s_or_b32 exec_lo, exec_lo, s10
	v_mov_b32_dpp v25, v8 row_shr:2 row_mask:0xf bank_mask:0xf
	s_delay_alu instid0(VALU_DEP_2)
	v_mov_b32_dpp v8, v4 row_shr:2 row_mask:0xf bank_mask:0xf
	s_mov_b32 s10, exec_lo
	v_cmpx_lt_u32_e32 1, v7
; %bb.145:
	s_delay_alu instid0(VALU_DEP_3) | instskip(SKIP_1) | instid1(VALU_DEP_2)
	v_add_co_u32 v3, vcc_lo, v3, v25
	v_add_co_ci_u32_e32 v4, vcc_lo, 0, v4, vcc_lo
	v_add_co_u32 v3, vcc_lo, v3, 0
	s_delay_alu instid0(VALU_DEP_2)
	v_add_co_ci_u32_e32 v4, vcc_lo, v4, v8, vcc_lo
; %bb.146:
	s_or_b32 exec_lo, exec_lo, s10
	ds_store_b64 v6, v[3:4]
.LBB526_147:
	s_or_b32 exec_lo, exec_lo, s1
	v_cmp_gt_u32_e32 vcc_lo, 32, v0
	s_mov_b32 s10, exec_lo
	s_waitcnt lgkmcnt(0)
	s_barrier
	buffer_gl0_inv
                                        ; implicit-def: $vgpr25_vgpr26
	v_cmpx_lt_u32_e32 31, v0
	s_cbranch_execz .LBB526_149
; %bb.148:
	v_lshl_add_u32 v1, v1, 3, -8
	ds_load_b64 v[25:26], v1
	s_waitcnt lgkmcnt(0)
	v_add_co_u32 v5, s1, v5, v25
	s_delay_alu instid0(VALU_DEP_1)
	v_add_co_ci_u32_e64 v2, s1, v2, v26, s1
.LBB526_149:
	s_or_b32 exec_lo, exec_lo, s10
	v_add_nc_u32_e32 v1, -1, v54
	s_delay_alu instid0(VALU_DEP_1) | instskip(NEXT) | instid1(VALU_DEP_1)
	v_cmp_gt_i32_e64 s1, 0, v1
	v_cndmask_b32_e64 v1, v1, v54, s1
	v_cmp_eq_u32_e64 s1, 0, v54
	s_delay_alu instid0(VALU_DEP_2)
	v_lshlrev_b32_e32 v1, 2, v1
	ds_bpermute_b32 v56, v1, v5
	ds_bpermute_b32 v57, v1, v2
	s_and_saveexec_b32 s10, vcc_lo
	s_cbranch_execz .LBB526_187
; %bb.150:
	v_mov_b32_e32 v4, 0
	ds_load_b64 v[1:2], v4 offset:24
	s_and_saveexec_b32 s11, s1
	s_cbranch_execz .LBB526_152
; %bb.151:
	s_add_i32 s18, s15, 32
	s_mov_b32 s19, 0
	s_delay_alu instid0(SALU_CYCLE_1) | instskip(NEXT) | instid1(SALU_CYCLE_1)
	s_lshl_b64 s[18:19], s[18:19], 4
	s_add_u32 s18, s2, s18
	s_addc_u32 s19, s3, s19
	v_mov_b32_e32 v5, s18
	v_dual_mov_b32 v3, 1 :: v_dual_mov_b32 v6, s19
	s_waitcnt lgkmcnt(0)
	;;#ASMSTART
	global_store_dwordx4 v[5:6], v[1:4] off	
s_waitcnt vmcnt(0)
	;;#ASMEND
.LBB526_152:
	s_or_b32 exec_lo, exec_lo, s11
	v_xad_u32 v27, v54, -1, s15
	s_mov_b32 s17, 0
	s_mov_b32 s11, exec_lo
	s_delay_alu instid0(VALU_DEP_1) | instskip(NEXT) | instid1(VALU_DEP_1)
	v_add_nc_u32_e32 v3, 32, v27
	v_lshlrev_b64 v[3:4], 4, v[3:4]
	s_delay_alu instid0(VALU_DEP_1) | instskip(NEXT) | instid1(VALU_DEP_2)
	v_add_co_u32 v3, vcc_lo, s2, v3
	v_add_co_ci_u32_e32 v4, vcc_lo, s3, v4, vcc_lo
	;;#ASMSTART
	global_load_dwordx4 v[5:8], v[3:4] off glc	
s_waitcnt vmcnt(0)
	;;#ASMEND
	v_and_b32_e32 v8, 0xff, v6
	v_and_b32_e32 v28, 0xff00, v6
	v_or3_b32 v5, v5, 0, 0
	v_and_b32_e32 v29, 0xff000000, v6
	v_and_b32_e32 v6, 0xff0000, v6
	s_delay_alu instid0(VALU_DEP_4) | instskip(SKIP_2) | instid1(VALU_DEP_3)
	v_or3_b32 v8, 0, v8, v28
	v_and_b32_e32 v28, 0xff, v7
	v_or3_b32 v5, v5, 0, 0
	v_or3_b32 v6, v8, v6, v29
	s_delay_alu instid0(VALU_DEP_3)
	v_cmpx_eq_u16_e32 0, v28
	s_cbranch_execz .LBB526_155
.LBB526_153:                            ; =>This Inner Loop Header: Depth=1
	;;#ASMSTART
	global_load_dwordx4 v[5:8], v[3:4] off glc	
s_waitcnt vmcnt(0)
	;;#ASMEND
	v_and_b32_e32 v8, 0xff, v7
	s_delay_alu instid0(VALU_DEP_1) | instskip(SKIP_1) | instid1(SALU_CYCLE_1)
	v_cmp_ne_u16_e32 vcc_lo, 0, v8
	s_or_b32 s17, vcc_lo, s17
	s_and_not1_b32 exec_lo, exec_lo, s17
	s_cbranch_execnz .LBB526_153
; %bb.154:
	s_or_b32 exec_lo, exec_lo, s17
.LBB526_155:
	s_delay_alu instid0(SALU_CYCLE_1)
	s_or_b32 exec_lo, exec_lo, s11
	v_cmp_ne_u32_e32 vcc_lo, 31, v54
	v_and_b32_e32 v4, 0xff, v7
	v_lshlrev_b32_e64 v59, v54, -1
	s_mov_b32 s11, exec_lo
	v_add_co_ci_u32_e32 v3, vcc_lo, 0, v54, vcc_lo
	s_delay_alu instid0(VALU_DEP_3) | instskip(SKIP_1) | instid1(VALU_DEP_3)
	v_cmp_eq_u16_e32 vcc_lo, 2, v4
	v_mov_b32_e32 v4, v5
	v_lshlrev_b32_e32 v58, 2, v3
	v_and_or_b32 v3, vcc_lo, v59, 0x80000000
	ds_bpermute_b32 v28, v58, v5
	ds_bpermute_b32 v8, v58, v6
	v_ctz_i32_b32_e32 v3, v3
	s_delay_alu instid0(VALU_DEP_1)
	v_cmpx_lt_u32_e64 v54, v3
	s_cbranch_execz .LBB526_157
; %bb.156:
	s_waitcnt lgkmcnt(1)
	v_add_co_u32 v4, vcc_lo, v5, v28
	v_add_co_ci_u32_e32 v6, vcc_lo, 0, v6, vcc_lo
	s_delay_alu instid0(VALU_DEP_2) | instskip(SKIP_1) | instid1(VALU_DEP_2)
	v_add_co_u32 v5, vcc_lo, 0, v4
	s_waitcnt lgkmcnt(0)
	v_add_co_ci_u32_e32 v6, vcc_lo, v8, v6, vcc_lo
.LBB526_157:
	s_or_b32 exec_lo, exec_lo, s11
	v_cmp_gt_u32_e32 vcc_lo, 30, v54
	v_add_nc_u32_e32 v61, 2, v54
	s_mov_b32 s11, exec_lo
	s_waitcnt lgkmcnt(0)
	v_cndmask_b32_e64 v8, 0, 1, vcc_lo
	s_delay_alu instid0(VALU_DEP_1) | instskip(NEXT) | instid1(VALU_DEP_1)
	v_lshlrev_b32_e32 v8, 1, v8
	v_add_lshl_u32 v60, v8, v54, 2
	ds_bpermute_b32 v28, v60, v4
	ds_bpermute_b32 v8, v60, v6
	v_cmpx_le_u32_e64 v61, v3
	s_cbranch_execz .LBB526_159
; %bb.158:
	s_waitcnt lgkmcnt(1)
	v_add_co_u32 v4, vcc_lo, v5, v28
	v_add_co_ci_u32_e32 v6, vcc_lo, 0, v6, vcc_lo
	s_delay_alu instid0(VALU_DEP_2) | instskip(SKIP_1) | instid1(VALU_DEP_2)
	v_add_co_u32 v5, vcc_lo, 0, v4
	s_waitcnt lgkmcnt(0)
	v_add_co_ci_u32_e32 v6, vcc_lo, v8, v6, vcc_lo
.LBB526_159:
	s_or_b32 exec_lo, exec_lo, s11
	v_cmp_gt_u32_e32 vcc_lo, 28, v54
	v_add_nc_u32_e32 v63, 4, v54
	s_mov_b32 s11, exec_lo
	s_waitcnt lgkmcnt(0)
	v_cndmask_b32_e64 v8, 0, 1, vcc_lo
	s_delay_alu instid0(VALU_DEP_1) | instskip(NEXT) | instid1(VALU_DEP_1)
	v_lshlrev_b32_e32 v8, 2, v8
	v_add_lshl_u32 v62, v8, v54, 2
	ds_bpermute_b32 v28, v62, v4
	ds_bpermute_b32 v8, v62, v6
	v_cmpx_le_u32_e64 v63, v3
	s_cbranch_execz .LBB526_161
; %bb.160:
	s_waitcnt lgkmcnt(1)
	v_add_co_u32 v4, vcc_lo, v5, v28
	v_add_co_ci_u32_e32 v6, vcc_lo, 0, v6, vcc_lo
	s_delay_alu instid0(VALU_DEP_2) | instskip(SKIP_1) | instid1(VALU_DEP_2)
	v_add_co_u32 v5, vcc_lo, 0, v4
	s_waitcnt lgkmcnt(0)
	v_add_co_ci_u32_e32 v6, vcc_lo, v8, v6, vcc_lo
.LBB526_161:
	s_or_b32 exec_lo, exec_lo, s11
	v_cmp_gt_u32_e32 vcc_lo, 24, v54
	v_add_nc_u32_e32 v65, 8, v54
	s_mov_b32 s11, exec_lo
	s_waitcnt lgkmcnt(0)
	v_cndmask_b32_e64 v8, 0, 1, vcc_lo
	s_delay_alu instid0(VALU_DEP_1) | instskip(NEXT) | instid1(VALU_DEP_1)
	v_lshlrev_b32_e32 v8, 3, v8
	v_add_lshl_u32 v64, v8, v54, 2
	ds_bpermute_b32 v28, v64, v4
	ds_bpermute_b32 v8, v64, v6
	v_cmpx_le_u32_e64 v65, v3
	s_cbranch_execz .LBB526_163
; %bb.162:
	s_waitcnt lgkmcnt(1)
	v_add_co_u32 v4, vcc_lo, v5, v28
	v_add_co_ci_u32_e32 v6, vcc_lo, 0, v6, vcc_lo
	s_delay_alu instid0(VALU_DEP_2) | instskip(SKIP_1) | instid1(VALU_DEP_2)
	v_add_co_u32 v5, vcc_lo, 0, v4
	s_waitcnt lgkmcnt(0)
	v_add_co_ci_u32_e32 v6, vcc_lo, v8, v6, vcc_lo
.LBB526_163:
	s_or_b32 exec_lo, exec_lo, s11
	v_cmp_gt_u32_e32 vcc_lo, 16, v54
	v_add_nc_u32_e32 v67, 16, v54
	s_mov_b32 s11, exec_lo
	s_waitcnt lgkmcnt(0)
	v_cndmask_b32_e64 v8, 0, 1, vcc_lo
	s_delay_alu instid0(VALU_DEP_1) | instskip(NEXT) | instid1(VALU_DEP_1)
	v_lshlrev_b32_e32 v8, 4, v8
	v_add_lshl_u32 v66, v8, v54, 2
	ds_bpermute_b32 v8, v66, v4
	ds_bpermute_b32 v4, v66, v6
	v_cmpx_le_u32_e64 v67, v3
	s_cbranch_execz .LBB526_165
; %bb.164:
	s_waitcnt lgkmcnt(1)
	v_add_co_u32 v3, vcc_lo, v5, v8
	v_add_co_ci_u32_e32 v6, vcc_lo, 0, v6, vcc_lo
	s_delay_alu instid0(VALU_DEP_2) | instskip(SKIP_1) | instid1(VALU_DEP_2)
	v_add_co_u32 v5, vcc_lo, v3, 0
	s_waitcnt lgkmcnt(0)
	v_add_co_ci_u32_e32 v6, vcc_lo, v6, v4, vcc_lo
.LBB526_165:
	s_or_b32 exec_lo, exec_lo, s11
	v_mov_b32_e32 v28, 0
	s_branch .LBB526_167
.LBB526_166:                            ;   in Loop: Header=BB526_167 Depth=1
	s_or_b32 exec_lo, exec_lo, s11
	v_add_co_u32 v5, vcc_lo, v5, v3
	v_subrev_nc_u32_e32 v27, 32, v27
	v_add_co_ci_u32_e32 v6, vcc_lo, v6, v4, vcc_lo
.LBB526_167:                            ; =>This Loop Header: Depth=1
                                        ;     Child Loop BB526_170 Depth 2
	v_and_b32_e32 v3, 0xff, v7
	s_delay_alu instid0(VALU_DEP_1) | instskip(SKIP_2) | instid1(VALU_DEP_1)
	v_cmp_ne_u16_e32 vcc_lo, 2, v3
	v_cndmask_b32_e64 v3, 0, 1, vcc_lo
	;;#ASMSTART
	;;#ASMEND
	v_cmp_ne_u32_e32 vcc_lo, 0, v3
	s_waitcnt lgkmcnt(0)
	v_dual_mov_b32 v3, v5 :: v_dual_mov_b32 v4, v6
	s_cmp_lg_u32 vcc_lo, exec_lo
	s_cbranch_scc1 .LBB526_182
; %bb.168:                              ;   in Loop: Header=BB526_167 Depth=1
	v_lshlrev_b64 v[5:6], 4, v[27:28]
	s_mov_b32 s11, exec_lo
	s_delay_alu instid0(VALU_DEP_1) | instskip(NEXT) | instid1(VALU_DEP_2)
	v_add_co_u32 v29, vcc_lo, s2, v5
	v_add_co_ci_u32_e32 v30, vcc_lo, s3, v6, vcc_lo
	;;#ASMSTART
	global_load_dwordx4 v[5:8], v[29:30] off glc	
s_waitcnt vmcnt(0)
	;;#ASMEND
	v_and_b32_e32 v8, 0xff, v6
	v_and_b32_e32 v68, 0xff00, v6
	v_or3_b32 v5, v5, 0, 0
	v_and_b32_e32 v69, 0xff000000, v6
	v_and_b32_e32 v6, 0xff0000, v6
	s_delay_alu instid0(VALU_DEP_4) | instskip(SKIP_2) | instid1(VALU_DEP_3)
	v_or3_b32 v8, 0, v8, v68
	v_and_b32_e32 v68, 0xff, v7
	v_or3_b32 v5, v5, 0, 0
	v_or3_b32 v6, v8, v6, v69
	s_delay_alu instid0(VALU_DEP_3)
	v_cmpx_eq_u16_e32 0, v68
	s_cbranch_execz .LBB526_172
; %bb.169:                              ;   in Loop: Header=BB526_167 Depth=1
	s_mov_b32 s17, 0
.LBB526_170:                            ;   Parent Loop BB526_167 Depth=1
                                        ; =>  This Inner Loop Header: Depth=2
	;;#ASMSTART
	global_load_dwordx4 v[5:8], v[29:30] off glc	
s_waitcnt vmcnt(0)
	;;#ASMEND
	v_and_b32_e32 v8, 0xff, v7
	s_delay_alu instid0(VALU_DEP_1) | instskip(SKIP_1) | instid1(SALU_CYCLE_1)
	v_cmp_ne_u16_e32 vcc_lo, 0, v8
	s_or_b32 s17, vcc_lo, s17
	s_and_not1_b32 exec_lo, exec_lo, s17
	s_cbranch_execnz .LBB526_170
; %bb.171:                              ;   in Loop: Header=BB526_167 Depth=1
	s_or_b32 exec_lo, exec_lo, s17
.LBB526_172:                            ;   in Loop: Header=BB526_167 Depth=1
	s_delay_alu instid0(SALU_CYCLE_1)
	s_or_b32 exec_lo, exec_lo, s11
	v_dual_mov_b32 v29, v5 :: v_dual_and_b32 v8, 0xff, v7
	ds_bpermute_b32 v68, v58, v5
	ds_bpermute_b32 v30, v58, v6
	s_mov_b32 s11, exec_lo
	v_cmp_eq_u16_e32 vcc_lo, 2, v8
	v_and_or_b32 v8, vcc_lo, v59, 0x80000000
	s_delay_alu instid0(VALU_DEP_1) | instskip(NEXT) | instid1(VALU_DEP_1)
	v_ctz_i32_b32_e32 v8, v8
	v_cmpx_lt_u32_e64 v54, v8
	s_cbranch_execz .LBB526_174
; %bb.173:                              ;   in Loop: Header=BB526_167 Depth=1
	s_waitcnt lgkmcnt(1)
	v_add_co_u32 v29, vcc_lo, v5, v68
	v_add_co_ci_u32_e32 v6, vcc_lo, 0, v6, vcc_lo
	s_delay_alu instid0(VALU_DEP_2) | instskip(SKIP_1) | instid1(VALU_DEP_2)
	v_add_co_u32 v5, vcc_lo, 0, v29
	s_waitcnt lgkmcnt(0)
	v_add_co_ci_u32_e32 v6, vcc_lo, v30, v6, vcc_lo
.LBB526_174:                            ;   in Loop: Header=BB526_167 Depth=1
	s_or_b32 exec_lo, exec_lo, s11
	s_waitcnt lgkmcnt(1)
	ds_bpermute_b32 v68, v60, v29
	s_waitcnt lgkmcnt(1)
	ds_bpermute_b32 v30, v60, v6
	s_mov_b32 s11, exec_lo
	v_cmpx_le_u32_e64 v61, v8
	s_cbranch_execz .LBB526_176
; %bb.175:                              ;   in Loop: Header=BB526_167 Depth=1
	s_waitcnt lgkmcnt(1)
	v_add_co_u32 v29, vcc_lo, v5, v68
	v_add_co_ci_u32_e32 v6, vcc_lo, 0, v6, vcc_lo
	s_delay_alu instid0(VALU_DEP_2) | instskip(SKIP_1) | instid1(VALU_DEP_2)
	v_add_co_u32 v5, vcc_lo, 0, v29
	s_waitcnt lgkmcnt(0)
	v_add_co_ci_u32_e32 v6, vcc_lo, v30, v6, vcc_lo
.LBB526_176:                            ;   in Loop: Header=BB526_167 Depth=1
	s_or_b32 exec_lo, exec_lo, s11
	s_waitcnt lgkmcnt(1)
	ds_bpermute_b32 v68, v62, v29
	s_waitcnt lgkmcnt(1)
	ds_bpermute_b32 v30, v62, v6
	s_mov_b32 s11, exec_lo
	v_cmpx_le_u32_e64 v63, v8
	;; [unrolled: 17-line block ×3, first 2 shown]
	s_cbranch_execz .LBB526_180
; %bb.179:                              ;   in Loop: Header=BB526_167 Depth=1
	s_waitcnt lgkmcnt(1)
	v_add_co_u32 v29, vcc_lo, v5, v68
	v_add_co_ci_u32_e32 v6, vcc_lo, 0, v6, vcc_lo
	s_delay_alu instid0(VALU_DEP_2) | instskip(SKIP_1) | instid1(VALU_DEP_2)
	v_add_co_u32 v5, vcc_lo, 0, v29
	s_waitcnt lgkmcnt(0)
	v_add_co_ci_u32_e32 v6, vcc_lo, v30, v6, vcc_lo
.LBB526_180:                            ;   in Loop: Header=BB526_167 Depth=1
	s_or_b32 exec_lo, exec_lo, s11
	s_waitcnt lgkmcnt(0)
	ds_bpermute_b32 v30, v66, v29
	ds_bpermute_b32 v29, v66, v6
	s_mov_b32 s11, exec_lo
	v_cmpx_le_u32_e64 v67, v8
	s_cbranch_execz .LBB526_166
; %bb.181:                              ;   in Loop: Header=BB526_167 Depth=1
	s_waitcnt lgkmcnt(1)
	v_add_co_u32 v5, vcc_lo, v5, v30
	v_add_co_ci_u32_e32 v6, vcc_lo, 0, v6, vcc_lo
	s_delay_alu instid0(VALU_DEP_2) | instskip(SKIP_1) | instid1(VALU_DEP_2)
	v_add_co_u32 v5, vcc_lo, v5, 0
	s_waitcnt lgkmcnt(0)
	v_add_co_ci_u32_e32 v6, vcc_lo, v6, v29, vcc_lo
	s_branch .LBB526_166
.LBB526_182:                            ;   in Loop: Header=BB526_167 Depth=1
                                        ; implicit-def: $vgpr5_vgpr6
	s_cbranch_execz .LBB526_167
; %bb.183:
	s_and_saveexec_b32 s11, s1
	s_cbranch_execz .LBB526_185
; %bb.184:
	s_add_i32 s18, s15, 32
	s_mov_b32 s19, 0
	v_add_co_u32 v5, vcc_lo, v3, v1
	s_lshl_b64 s[18:19], s[18:19], 4
	v_dual_mov_b32 v7, 2 :: v_dual_mov_b32 v8, 0
	s_add_u32 s18, s2, s18
	s_addc_u32 s19, s3, s19
	v_add_co_ci_u32_e32 v6, vcc_lo, v4, v2, vcc_lo
	v_dual_mov_b32 v28, s19 :: v_dual_mov_b32 v27, s18
	;;#ASMSTART
	global_store_dwordx4 v[27:28], v[5:8] off	
s_waitcnt vmcnt(0)
	;;#ASMEND
	ds_store_b128 v8, v[1:4] offset:7680
.LBB526_185:
	s_or_b32 exec_lo, exec_lo, s11
	v_cmp_eq_u32_e32 vcc_lo, 0, v0
	s_and_b32 exec_lo, exec_lo, vcc_lo
	s_cbranch_execz .LBB526_187
; %bb.186:
	v_mov_b32_e32 v1, 0
	ds_store_b64 v1, v[3:4] offset:24
.LBB526_187:
	s_or_b32 exec_lo, exec_lo, s10
	s_waitcnt lgkmcnt(0)
	v_cndmask_b32_e64 v8, v57, v26, s1
	v_cmp_ne_u32_e32 vcc_lo, 0, v0
	v_mov_b32_e32 v3, 0
	s_barrier
	buffer_gl0_inv
	v_cndmask_b32_e32 v8, 0, v8, vcc_lo
	ds_load_b64 v[1:2], v3 offset:24
	s_waitcnt lgkmcnt(0)
	s_barrier
	buffer_gl0_inv
	ds_load_b128 v[4:7], v3 offset:7680
	v_cndmask_b32_e64 v3, v56, v25, s1
	s_delay_alu instid0(VALU_DEP_1) | instskip(NEXT) | instid1(VALU_DEP_1)
	v_cndmask_b32_e32 v3, 0, v3, vcc_lo
	v_add_co_u32 v67, vcc_lo, v1, v3
	v_add_co_ci_u32_e32 v68, vcc_lo, v2, v8, vcc_lo
	s_waitcnt lgkmcnt(0)
	v_readfirstlane_b32 s11, v7
	v_readfirstlane_b32 s10, v6
	s_branch .LBB526_212
.LBB526_188:
                                        ; implicit-def: $sgpr10_sgpr11
                                        ; implicit-def: $vgpr4_vgpr5
                                        ; implicit-def: $vgpr67_vgpr68
	s_and_b32 vcc_lo, exec_lo, s1
	s_cbranch_vccz .LBB526_212
; %bb.189:
	v_dual_mov_b32 v2, 0 :: v_dual_mov_b32 v3, v23
	v_mov_b32_dpp v4, v23 row_shr:1 row_mask:0xf bank_mask:0xf
	s_delay_alu instid0(VALU_DEP_2)
	v_mov_b32_dpp v1, v2 row_shr:1 row_mask:0xf bank_mask:0xf
	s_and_saveexec_b32 s1, s0
; %bb.190:
	s_delay_alu instid0(VALU_DEP_2) | instskip(SKIP_1) | instid1(VALU_DEP_2)
	v_add_co_u32 v3, vcc_lo, v23, v4
	v_add_co_ci_u32_e32 v2, vcc_lo, 0, v24, vcc_lo
	v_add_co_u32 v23, vcc_lo, 0, v3
	s_delay_alu instid0(VALU_DEP_2) | instskip(NEXT) | instid1(VALU_DEP_1)
	v_add_co_ci_u32_e32 v24, vcc_lo, v1, v2, vcc_lo
	v_mov_b32_e32 v2, v24
; %bb.191:
	s_or_b32 exec_lo, exec_lo, s1
	v_mov_b32_dpp v1, v3 row_shr:2 row_mask:0xf bank_mask:0xf
	s_delay_alu instid0(VALU_DEP_2)
	v_mov_b32_dpp v4, v2 row_shr:2 row_mask:0xf bank_mask:0xf
	s_mov_b32 s0, exec_lo
	v_cmpx_lt_u32_e32 1, v55
; %bb.192:
	s_delay_alu instid0(VALU_DEP_3) | instskip(SKIP_1) | instid1(VALU_DEP_2)
	v_add_co_u32 v3, vcc_lo, v23, v1
	v_add_co_ci_u32_e32 v2, vcc_lo, 0, v24, vcc_lo
	v_add_co_u32 v1, vcc_lo, 0, v3
	s_delay_alu instid0(VALU_DEP_2) | instskip(NEXT) | instid1(VALU_DEP_1)
	v_add_co_ci_u32_e32 v2, vcc_lo, v4, v2, vcc_lo
	v_dual_mov_b32 v24, v2 :: v_dual_mov_b32 v23, v1
; %bb.193:
	s_or_b32 exec_lo, exec_lo, s0
	v_mov_b32_dpp v1, v3 row_shr:4 row_mask:0xf bank_mask:0xf
	v_mov_b32_dpp v4, v2 row_shr:4 row_mask:0xf bank_mask:0xf
	s_mov_b32 s0, exec_lo
	v_cmpx_lt_u32_e32 3, v55
; %bb.194:
	s_delay_alu instid0(VALU_DEP_3) | instskip(SKIP_1) | instid1(VALU_DEP_2)
	v_add_co_u32 v3, vcc_lo, v23, v1
	v_add_co_ci_u32_e32 v2, vcc_lo, 0, v24, vcc_lo
	v_add_co_u32 v1, vcc_lo, 0, v3
	s_delay_alu instid0(VALU_DEP_2) | instskip(NEXT) | instid1(VALU_DEP_1)
	v_add_co_ci_u32_e32 v2, vcc_lo, v4, v2, vcc_lo
	v_dual_mov_b32 v24, v2 :: v_dual_mov_b32 v23, v1
; %bb.195:
	s_or_b32 exec_lo, exec_lo, s0
	v_mov_b32_dpp v4, v3 row_shr:8 row_mask:0xf bank_mask:0xf
	v_mov_b32_dpp v1, v2 row_shr:8 row_mask:0xf bank_mask:0xf
	s_mov_b32 s0, exec_lo
	v_cmpx_lt_u32_e32 7, v55
; %bb.196:
	s_delay_alu instid0(VALU_DEP_3) | instskip(SKIP_1) | instid1(VALU_DEP_2)
	v_add_co_u32 v3, vcc_lo, v23, v4
	v_add_co_ci_u32_e32 v2, vcc_lo, 0, v24, vcc_lo
	v_add_co_u32 v23, vcc_lo, 0, v3
	s_delay_alu instid0(VALU_DEP_2) | instskip(NEXT) | instid1(VALU_DEP_1)
	v_add_co_ci_u32_e32 v24, vcc_lo, v1, v2, vcc_lo
	v_mov_b32_e32 v2, v24
; %bb.197:
	s_or_b32 exec_lo, exec_lo, s0
	ds_swizzle_b32 v3, v3 offset:swizzle(BROADCAST,32,15)
	ds_swizzle_b32 v1, v2 offset:swizzle(BROADCAST,32,15)
	v_and_b32_e32 v2, 16, v54
	s_mov_b32 s0, exec_lo
	s_delay_alu instid0(VALU_DEP_1)
	v_cmpx_ne_u32_e32 0, v2
	s_cbranch_execz .LBB526_199
; %bb.198:
	s_waitcnt lgkmcnt(0)
	v_add_co_u32 v2, vcc_lo, v23, v3
	v_add_co_ci_u32_e32 v3, vcc_lo, 0, v24, vcc_lo
	s_delay_alu instid0(VALU_DEP_2) | instskip(NEXT) | instid1(VALU_DEP_2)
	v_add_co_u32 v23, vcc_lo, v2, 0
	v_add_co_ci_u32_e32 v24, vcc_lo, v3, v1, vcc_lo
.LBB526_199:
	s_or_b32 exec_lo, exec_lo, s0
	s_waitcnt lgkmcnt(0)
	v_or_b32_e32 v1, 31, v0
	v_lshrrev_b32_e32 v3, 5, v0
	s_mov_b32 s0, exec_lo
	s_delay_alu instid0(VALU_DEP_2)
	v_cmpx_eq_u32_e64 v1, v0
	s_cbranch_execz .LBB526_201
; %bb.200:
	s_delay_alu instid0(VALU_DEP_2)
	v_lshlrev_b32_e32 v1, 3, v3
	ds_store_b64 v1, v[23:24]
.LBB526_201:
	s_or_b32 exec_lo, exec_lo, s0
	s_delay_alu instid0(SALU_CYCLE_1)
	s_mov_b32 s0, exec_lo
	s_waitcnt lgkmcnt(0)
	s_barrier
	buffer_gl0_inv
	v_cmpx_gt_u32_e32 4, v0
	s_cbranch_execz .LBB526_207
; %bb.202:
	v_lshlrev_b32_e32 v4, 3, v0
	s_mov_b32 s1, exec_lo
	ds_load_b64 v[1:2], v4
	s_waitcnt lgkmcnt(0)
	v_dual_mov_b32 v6, v1 :: v_dual_and_b32 v5, 3, v54
	v_mov_b32_dpp v8, v1 row_shr:1 row_mask:0xf bank_mask:0xf
	v_mov_b32_dpp v7, v2 row_shr:1 row_mask:0xf bank_mask:0xf
	s_delay_alu instid0(VALU_DEP_3)
	v_cmpx_ne_u32_e32 0, v5
; %bb.203:
	s_delay_alu instid0(VALU_DEP_3) | instskip(SKIP_1) | instid1(VALU_DEP_2)
	v_add_co_u32 v6, vcc_lo, v1, v8
	v_add_co_ci_u32_e32 v2, vcc_lo, 0, v2, vcc_lo
	v_add_co_u32 v1, vcc_lo, 0, v6
	s_delay_alu instid0(VALU_DEP_2)
	v_add_co_ci_u32_e32 v2, vcc_lo, v7, v2, vcc_lo
; %bb.204:
	s_or_b32 exec_lo, exec_lo, s1
	v_mov_b32_dpp v7, v6 row_shr:2 row_mask:0xf bank_mask:0xf
	s_delay_alu instid0(VALU_DEP_2)
	v_mov_b32_dpp v6, v2 row_shr:2 row_mask:0xf bank_mask:0xf
	s_mov_b32 s1, exec_lo
	v_cmpx_lt_u32_e32 1, v5
; %bb.205:
	s_delay_alu instid0(VALU_DEP_3) | instskip(SKIP_1) | instid1(VALU_DEP_2)
	v_add_co_u32 v1, vcc_lo, v1, v7
	v_add_co_ci_u32_e32 v2, vcc_lo, 0, v2, vcc_lo
	v_add_co_u32 v1, vcc_lo, v1, 0
	s_delay_alu instid0(VALU_DEP_2)
	v_add_co_ci_u32_e32 v2, vcc_lo, v2, v6, vcc_lo
; %bb.206:
	s_or_b32 exec_lo, exec_lo, s1
	ds_store_b64 v4, v[1:2]
.LBB526_207:
	s_or_b32 exec_lo, exec_lo, s0
	v_mov_b32_e32 v1, 0
	v_mov_b32_e32 v2, 0
	s_mov_b32 s0, exec_lo
	s_waitcnt lgkmcnt(0)
	s_barrier
	buffer_gl0_inv
	v_cmpx_lt_u32_e32 31, v0
	s_cbranch_execz .LBB526_209
; %bb.208:
	v_lshl_add_u32 v1, v3, 3, -8
	ds_load_b64 v[1:2], v1
.LBB526_209:
	s_or_b32 exec_lo, exec_lo, s0
	v_add_nc_u32_e32 v3, -1, v54
	v_mov_b32_e32 v7, 0
	s_delay_alu instid0(VALU_DEP_2) | instskip(SKIP_1) | instid1(VALU_DEP_1)
	v_cmp_gt_i32_e32 vcc_lo, 0, v3
	v_cndmask_b32_e32 v3, v3, v54, vcc_lo
	v_lshlrev_b32_e32 v4, 2, v3
	s_waitcnt lgkmcnt(0)
	v_add_co_u32 v3, vcc_lo, v1, v23
	v_add_co_ci_u32_e32 v5, vcc_lo, v2, v24, vcc_lo
	v_cmp_eq_u32_e32 vcc_lo, 0, v0
	ds_bpermute_b32 v3, v4, v3
	ds_bpermute_b32 v8, v4, v5
	ds_load_b64 v[4:5], v7 offset:24
	s_and_saveexec_b32 s0, vcc_lo
	s_cbranch_execz .LBB526_211
; %bb.210:
	s_add_u32 s2, s2, 0x200
	s_addc_u32 s3, s3, 0
	v_mov_b32_e32 v6, 2
	v_dual_mov_b32 v24, s3 :: v_dual_mov_b32 v23, s2
	s_waitcnt lgkmcnt(0)
	;;#ASMSTART
	global_store_dwordx4 v[23:24], v[4:7] off	
s_waitcnt vmcnt(0)
	;;#ASMEND
.LBB526_211:
	s_or_b32 exec_lo, exec_lo, s0
	v_cmp_eq_u32_e64 s0, 0, v54
	s_waitcnt lgkmcnt(0)
	s_barrier
	s_mov_b64 s[10:11], 0
	buffer_gl0_inv
	v_cndmask_b32_e64 v1, v3, v1, s0
	v_cndmask_b32_e64 v2, v8, v2, s0
	s_delay_alu instid0(VALU_DEP_2) | instskip(NEXT) | instid1(VALU_DEP_2)
	v_cndmask_b32_e64 v67, v1, 0, vcc_lo
	v_cndmask_b32_e64 v68, v2, 0, vcc_lo
.LBB526_212:
	s_delay_alu instid0(VALU_DEP_2) | instskip(NEXT) | instid1(VALU_DEP_2)
	v_add_co_u32 v77, vcc_lo, v67, v42
	v_add_co_ci_u32_e32 v78, vcc_lo, 0, v68, vcc_lo
	s_delay_alu instid0(VALU_DEP_2) | instskip(NEXT) | instid1(VALU_DEP_2)
	v_add_co_u32 v75, vcc_lo, v77, v53
	v_add_co_ci_u32_e32 v76, vcc_lo, 0, v78, vcc_lo
	;; [unrolled: 3-line block ×27, first 2 shown]
	v_cmp_gt_u64_e32 vcc_lo, 0x81, v[4:5]
	s_delay_alu instid0(VALU_DEP_3) | instskip(NEXT) | instid1(VALU_DEP_1)
	v_add_co_u32 v23, s0, v6, v80
	v_add_co_ci_u32_e64 v24, s0, 0, v7, s0
	s_delay_alu instid0(VALU_DEP_2) | instskip(NEXT) | instid1(VALU_DEP_1)
	v_add_co_u32 v1, s0, v23, v79
	v_add_co_ci_u32_e64 v2, s0, 0, v24, s0
	s_mov_b32 s0, -1
	s_cbranch_vccnz .LBB526_216
; %bb.213:
	s_and_b32 vcc_lo, exec_lo, s0
	s_cbranch_vccnz .LBB526_306
.LBB526_214:
	v_cmp_eq_u32_e32 vcc_lo, 0, v0
	s_and_b32 s0, vcc_lo, s14
	s_delay_alu instid0(SALU_CYCLE_1)
	s_and_saveexec_b32 s1, s0
	s_cbranch_execnz .LBB526_377
.LBB526_215:
	s_nop 0
	s_sendmsg sendmsg(MSG_DEALLOC_VGPRS)
	s_endpgm
.LBB526_216:
	v_add_co_u32 v79, vcc_lo, s10, v4
	v_add_co_ci_u32_e32 v80, vcc_lo, s11, v5, vcc_lo
	s_lshl_b64 s[0:1], s[6:7], 1
	s_waitcnt lgkmcnt(0)
	s_add_u32 s0, s8, s0
	s_delay_alu instid0(VALU_DEP_1) | instskip(SKIP_2) | instid1(SALU_CYCLE_1)
	v_cmp_lt_u64_e32 vcc_lo, v[67:68], v[79:80]
	s_addc_u32 s1, s9, s1
	s_or_b32 s3, s13, vcc_lo
	s_and_saveexec_b32 s2, s3
	s_cbranch_execz .LBB526_219
; %bb.217:
	v_and_b32_e32 v3, 1, v98
	s_delay_alu instid0(VALU_DEP_1)
	v_cmp_eq_u32_e32 vcc_lo, 1, v3
	s_and_b32 exec_lo, exec_lo, vcc_lo
	s_cbranch_execz .LBB526_219
; %bb.218:
	v_lshlrev_b64 v[126:127], 1, v[67:68]
	s_delay_alu instid0(VALU_DEP_1) | instskip(NEXT) | instid1(VALU_DEP_2)
	v_add_co_u32 v126, vcc_lo, s0, v126
	v_add_co_ci_u32_e32 v127, vcc_lo, s1, v127, vcc_lo
	global_store_b16 v[126:127], v21, off
.LBB526_219:
	s_or_b32 exec_lo, exec_lo, s2
	v_cmp_lt_u64_e32 vcc_lo, v[77:78], v[79:80]
	s_or_b32 s3, s13, vcc_lo
	s_delay_alu instid0(SALU_CYCLE_1)
	s_and_saveexec_b32 s2, s3
	s_cbranch_execz .LBB526_222
; %bb.220:
	v_and_b32_e32 v3, 1, v97
	s_delay_alu instid0(VALU_DEP_1)
	v_cmp_eq_u32_e32 vcc_lo, 1, v3
	s_and_b32 exec_lo, exec_lo, vcc_lo
	s_cbranch_execz .LBB526_222
; %bb.221:
	v_lshlrev_b64 v[126:127], 1, v[77:78]
	s_delay_alu instid0(VALU_DEP_1) | instskip(NEXT) | instid1(VALU_DEP_2)
	v_add_co_u32 v126, vcc_lo, s0, v126
	v_add_co_ci_u32_e32 v127, vcc_lo, s1, v127, vcc_lo
	global_store_b16 v[126:127], v96, off
.LBB526_222:
	s_or_b32 exec_lo, exec_lo, s2
	v_cmp_lt_u64_e32 vcc_lo, v[75:76], v[79:80]
	s_or_b32 s3, s13, vcc_lo
	s_delay_alu instid0(SALU_CYCLE_1)
	;; [unrolled: 19-line block ×28, first 2 shown]
	s_and_saveexec_b32 s2, s3
	s_cbranch_execz .LBB526_303
; %bb.301:
	v_and_b32_e32 v3, 1, v125
	s_delay_alu instid0(VALU_DEP_1)
	v_cmp_eq_u32_e32 vcc_lo, 1, v3
	s_and_b32 exec_lo, exec_lo, vcc_lo
	s_cbranch_execz .LBB526_303
; %bb.302:
	v_lshlrev_b64 v[7:8], 1, v[23:24]
	s_delay_alu instid0(VALU_DEP_1) | instskip(NEXT) | instid1(VALU_DEP_2)
	v_add_co_u32 v7, vcc_lo, s0, v7
	v_add_co_ci_u32_e32 v8, vcc_lo, s1, v8, vcc_lo
	global_store_b16 v[7:8], v81, off
.LBB526_303:
	s_or_b32 exec_lo, exec_lo, s2
	v_cmp_ge_u64_e32 vcc_lo, v[1:2], v[79:80]
	s_xor_b32 s3, s16, -1
	s_and_b32 s2, s12, vcc_lo
	s_delay_alu instid0(SALU_CYCLE_1) | instskip(NEXT) | instid1(SALU_CYCLE_1)
	s_or_b32 s2, s2, s3
	s_xor_b32 s3, s2, -1
	s_delay_alu instid0(SALU_CYCLE_1)
	s_and_saveexec_b32 s2, s3
	s_cbranch_execz .LBB526_305
; %bb.304:
	v_lshlrev_b64 v[2:3], 1, v[1:2]
	s_delay_alu instid0(VALU_DEP_1) | instskip(NEXT) | instid1(VALU_DEP_2)
	v_add_co_u32 v2, vcc_lo, s0, v2
	v_add_co_ci_u32_e32 v3, vcc_lo, s1, v3, vcc_lo
	global_store_b16 v[2:3], v82, off
.LBB526_305:
	s_or_b32 exec_lo, exec_lo, s2
	s_branch .LBB526_214
.LBB526_306:
	v_and_b32_e32 v2, 1, v98
	s_mov_b32 s0, exec_lo
	s_delay_alu instid0(VALU_DEP_1)
	v_cmpx_eq_u32_e32 1, v2
	s_cbranch_execz .LBB526_308
; %bb.307:
	v_subrev_nc_u32_e32 v2, s10, v67
	s_delay_alu instid0(VALU_DEP_1)
	v_lshlrev_b32_e32 v2, 1, v2
	ds_store_b16 v2, v21
.LBB526_308:
	s_or_b32 exec_lo, exec_lo, s0
	v_and_b32_e32 v2, 1, v97
	s_mov_b32 s0, exec_lo
	s_delay_alu instid0(VALU_DEP_1)
	v_cmpx_eq_u32_e32 1, v2
	s_cbranch_execz .LBB526_310
; %bb.309:
	v_subrev_nc_u32_e32 v2, s10, v77
	s_delay_alu instid0(VALU_DEP_1)
	v_lshlrev_b32_e32 v2, 1, v2
	ds_store_b16 v2, v96
.LBB526_310:
	s_or_b32 exec_lo, exec_lo, s0
	;; [unrolled: 12-line block ×29, first 2 shown]
	s_and_saveexec_b32 s0, s16
	s_cbranch_execz .LBB526_366
; %bb.365:
	v_subrev_nc_u32_e32 v1, s10, v1
	s_delay_alu instid0(VALU_DEP_1)
	v_lshlrev_b32_e32 v1, 1, v1
	ds_store_b16 v1, v82
.LBB526_366:
	s_or_b32 exec_lo, exec_lo, s0
	v_mov_b32_e32 v1, 0
	s_mov_b32 s15, exec_lo
	s_waitcnt lgkmcnt(0)
	s_waitcnt_vscnt null, 0x0
	s_barrier
	buffer_gl0_inv
	v_cmpx_gt_u64_e64 v[4:5], v[0:1]
	s_cbranch_execz .LBB526_376
; %bb.367:
	v_not_b32_e32 v2, v0
	v_not_b32_e32 v3, 0
	v_mov_b32_e32 v8, v0
	s_mov_b32 s16, exec_lo
	s_delay_alu instid0(VALU_DEP_3) | instskip(NEXT) | instid1(VALU_DEP_3)
	v_add_co_u32 v6, vcc_lo, v4, v2
	v_add_co_ci_u32_e32 v7, vcc_lo, v5, v3, vcc_lo
	v_dual_mov_b32 v3, v1 :: v_dual_mov_b32 v2, v0
	s_delay_alu instid0(VALU_DEP_2)
	v_cmp_gt_u64_e32 vcc_lo, 0x1a80, v[6:7]
	v_cmpx_lt_u64_e32 0x1a7f, v[6:7]
	s_cbranch_execz .LBB526_373
; %bb.368:
	v_alignbit_b32 v2, v7, v6, 7
	v_not_b32_e32 v3, v0
	v_xor_b32_e32 v8, 0xffffff7f, v0
	s_movk_i32 s13, 0x7f
	s_mov_b32 s12, -1
	v_lshlrev_b32_e32 v9, 7, v2
	v_cmp_lt_u64_e64 s0, s[12:13], v[6:7]
	v_cmp_lt_u32_e64 s1, 0x1ffffff, v2
	s_delay_alu instid0(VALU_DEP_3) | instskip(SKIP_2) | instid1(VALU_DEP_4)
	v_cmp_lt_u32_e64 s3, v8, v9
	v_mov_b32_e32 v8, v0
	v_cmp_gt_u32_e64 s2, v9, v3
	s_or_b32 s0, s1, s0
	v_dual_mov_b32 v3, v1 :: v_dual_mov_b32 v2, v0
	s_or_b32 s0, s0, s3
	s_delay_alu instid0(VALU_DEP_2) | instskip(NEXT) | instid1(SALU_CYCLE_1)
	s_or_b32 s1, s2, s1
	s_or_b32 s0, s1, s0
	s_delay_alu instid0(SALU_CYCLE_1) | instskip(NEXT) | instid1(SALU_CYCLE_1)
	s_xor_b32 s0, s0, -1
	s_and_saveexec_b32 s2, s0
	s_cbranch_execz .LBB526_372
; %bb.369:
	v_lshrrev_b64 v[6:7], 7, v[6:7]
	s_lshl_b64 s[12:13], s[10:11], 1
	v_or_b32_e32 v2, 0x80, v0
	s_mov_b32 s3, 0
	s_delay_alu instid0(VALU_DEP_2) | instskip(NEXT) | instid1(VALU_DEP_1)
	v_add_co_u32 v10, s0, v6, 1
	v_add_co_ci_u32_e64 v11, s0, 0, v7, s0
	s_lshl_b64 s[0:1], s[6:7], 1
	s_delay_alu instid0(VALU_DEP_2) | instskip(SKIP_1) | instid1(VALU_DEP_2)
	v_and_b32_e32 v12, -2, v10
	s_add_u32 s0, s12, s0
	v_mov_b32_e32 v13, v11
	v_lshlrev_b32_e32 v3, 1, v0
	s_addc_u32 s1, s13, s1
	s_add_u32 s0, s8, s0
	s_addc_u32 s1, s9, s1
	v_dual_mov_b32 v17, v13 :: v_dual_mov_b32 v16, v12
	v_add_co_u32 v6, s0, s0, v3
	s_delay_alu instid0(VALU_DEP_1) | instskip(SKIP_1) | instid1(VALU_DEP_3)
	v_add_co_ci_u32_e64 v7, null, s1, 0, s0
	v_mov_b32_e32 v3, v1
	v_add_co_u32 v14, s0, 0x100, v6
	s_delay_alu instid0(VALU_DEP_1) | instskip(NEXT) | instid1(VALU_DEP_3)
	v_add_co_ci_u32_e64 v15, s0, 0, v7, s0
	v_dual_mov_b32 v9, v3 :: v_dual_mov_b32 v6, v0
	v_dual_mov_b32 v8, v2 :: v_dual_mov_b32 v7, v1
	s_set_inst_prefetch_distance 0x1
	.p2align	6
.LBB526_370:                            ; =>This Inner Loop Header: Depth=1
	s_delay_alu instid0(VALU_DEP_2) | instskip(NEXT) | instid1(VALU_DEP_2)
	v_lshlrev_b32_e32 v1, 1, v6
	v_lshlrev_b32_e32 v2, 1, v8
	v_add_co_u32 v8, s0, 0x100, v8
	s_delay_alu instid0(VALU_DEP_1) | instskip(SKIP_3) | instid1(VALU_DEP_1)
	v_add_co_ci_u32_e64 v9, s0, 0, v9, s0
	ds_load_u16 v1, v1
	ds_load_u16 v2, v2
	v_add_co_u32 v16, s0, v16, -2
	v_add_co_ci_u32_e64 v17, s0, -1, v17, s0
	v_add_co_u32 v6, s0, 0x100, v6
	s_delay_alu instid0(VALU_DEP_1) | instskip(NEXT) | instid1(VALU_DEP_3)
	v_add_co_ci_u32_e64 v7, s0, 0, v7, s0
	v_cmp_eq_u64_e64 s0, 0, v[16:17]
	s_waitcnt lgkmcnt(1)
	global_store_b16 v[14:15], v1, off offset:-256
	s_waitcnt lgkmcnt(0)
	global_store_b16 v[14:15], v2, off
	v_add_co_u32 v14, s1, 0x200, v14
	s_delay_alu instid0(VALU_DEP_1) | instskip(SKIP_1) | instid1(SALU_CYCLE_1)
	v_add_co_ci_u32_e64 v15, s1, 0, v15, s1
	s_or_b32 s3, s0, s3
	s_and_not1_b32 exec_lo, exec_lo, s3
	s_cbranch_execnz .LBB526_370
; %bb.371:
	s_set_inst_prefetch_distance 0x2
	s_or_b32 exec_lo, exec_lo, s3
	v_lshlrev_b64 v[1:2], 7, v[12:13]
	v_cmp_ne_u64_e64 s0, v[10:11], v[12:13]
	v_lshl_or_b32 v8, v12, 7, v0
	s_delay_alu instid0(VALU_DEP_3) | instskip(NEXT) | instid1(VALU_DEP_4)
	v_or_b32_e32 v3, 0, v2
	v_or_b32_e32 v2, v1, v0
	s_delay_alu instid0(VALU_DEP_4)
	s_or_not1_b32 s12, s0, exec_lo
.LBB526_372:
	s_or_b32 exec_lo, exec_lo, s2
	s_delay_alu instid0(SALU_CYCLE_1) | instskip(SKIP_1) | instid1(SALU_CYCLE_1)
	s_and_not1_b32 s0, vcc_lo, exec_lo
	s_and_b32 s1, s12, exec_lo
	s_or_b32 vcc_lo, s0, s1
.LBB526_373:
	s_or_b32 exec_lo, exec_lo, s16
	s_delay_alu instid0(SALU_CYCLE_1)
	s_and_b32 exec_lo, exec_lo, vcc_lo
	s_cbranch_execz .LBB526_376
; %bb.374:
	s_lshl_b64 s[0:1], s[10:11], 1
	v_dual_mov_b32 v7, 0 :: v_dual_add_nc_u32 v6, 0x80, v8
	s_add_u32 s0, s8, s0
	s_addc_u32 s8, s9, s1
	s_lshl_b64 s[2:3], s[6:7], 1
	s_delay_alu instid0(SALU_CYCLE_1)
	s_add_u32 s1, s0, s2
	s_addc_u32 s2, s8, s3
	s_mov_b32 s3, 0
	.p2align	6
.LBB526_375:                            ; =>This Inner Loop Header: Depth=1
	v_lshlrev_b32_e32 v1, 1, v2
	v_lshlrev_b64 v[8:9], 1, v[2:3]
	v_mov_b32_e32 v2, v6
	v_cmp_le_u64_e32 vcc_lo, v[4:5], v[6:7]
	v_dual_mov_b32 v3, v7 :: v_dual_add_nc_u32 v6, 0x80, v6
	ds_load_u16 v1, v1
	v_add_co_u32 v8, s0, s1, v8
	s_delay_alu instid0(VALU_DEP_1)
	v_add_co_ci_u32_e64 v9, s0, s2, v9, s0
	s_or_b32 s3, vcc_lo, s3
	s_waitcnt lgkmcnt(0)
	global_store_b16 v[8:9], v1, off
	s_and_not1_b32 exec_lo, exec_lo, s3
	s_cbranch_execnz .LBB526_375
.LBB526_376:
	s_or_b32 exec_lo, exec_lo, s15
	v_cmp_eq_u32_e32 vcc_lo, 0, v0
	s_and_b32 s0, vcc_lo, s14
	s_delay_alu instid0(SALU_CYCLE_1)
	s_and_saveexec_b32 s1, s0
	s_cbranch_execz .LBB526_215
.LBB526_377:
	v_add_co_u32 v0, vcc_lo, s10, v4
	v_add_co_ci_u32_e32 v1, vcc_lo, s11, v5, vcc_lo
	v_mov_b32_e32 v2, 0
	s_delay_alu instid0(VALU_DEP_3) | instskip(NEXT) | instid1(VALU_DEP_3)
	v_add_co_u32 v0, vcc_lo, v0, s6
	v_add_co_ci_u32_e32 v1, vcc_lo, s7, v1, vcc_lo
	global_store_b64 v2, v[0:1], s[4:5]
	s_nop 0
	s_sendmsg sendmsg(MSG_DEALLOC_VGPRS)
	s_endpgm
	.section	.rodata,"a",@progbits
	.p2align	6, 0x0
	.amdhsa_kernel _ZN7rocprim17ROCPRIM_400000_NS6detail17trampoline_kernelINS0_14default_configENS1_25partition_config_selectorILNS1_17partition_subalgoE6EtNS0_10empty_typeEbEEZZNS1_14partition_implILS5_6ELb0ES3_mN6thrust23THRUST_200600_302600_NS6detail15normal_iteratorINSA_10device_ptrItEEEEPS6_SG_NS0_5tupleIJSF_S6_EEENSH_IJSG_SG_EEES6_PlJ5mod_3ItEEEE10hipError_tPvRmT3_T4_T5_T6_T7_T9_mT8_P12ihipStream_tbDpT10_ENKUlT_T0_E_clISt17integral_constantIbLb0EES16_EEDaS11_S12_EUlS11_E_NS1_11comp_targetILNS1_3genE9ELNS1_11target_archE1100ELNS1_3gpuE3ELNS1_3repE0EEENS1_30default_config_static_selectorELNS0_4arch9wavefront6targetE0EEEvT1_
		.amdhsa_group_segment_fixed_size 7696
		.amdhsa_private_segment_fixed_size 0
		.amdhsa_kernarg_size 112
		.amdhsa_user_sgpr_count 15
		.amdhsa_user_sgpr_dispatch_ptr 0
		.amdhsa_user_sgpr_queue_ptr 0
		.amdhsa_user_sgpr_kernarg_segment_ptr 1
		.amdhsa_user_sgpr_dispatch_id 0
		.amdhsa_user_sgpr_private_segment_size 0
		.amdhsa_wavefront_size32 1
		.amdhsa_uses_dynamic_stack 0
		.amdhsa_enable_private_segment 0
		.amdhsa_system_sgpr_workgroup_id_x 1
		.amdhsa_system_sgpr_workgroup_id_y 0
		.amdhsa_system_sgpr_workgroup_id_z 0
		.amdhsa_system_sgpr_workgroup_info 0
		.amdhsa_system_vgpr_workitem_id 0
		.amdhsa_next_free_vgpr 130
		.amdhsa_next_free_sgpr 20
		.amdhsa_reserve_vcc 1
		.amdhsa_float_round_mode_32 0
		.amdhsa_float_round_mode_16_64 0
		.amdhsa_float_denorm_mode_32 3
		.amdhsa_float_denorm_mode_16_64 3
		.amdhsa_dx10_clamp 1
		.amdhsa_ieee_mode 1
		.amdhsa_fp16_overflow 0
		.amdhsa_workgroup_processor_mode 1
		.amdhsa_memory_ordered 1
		.amdhsa_forward_progress 0
		.amdhsa_shared_vgpr_count 0
		.amdhsa_exception_fp_ieee_invalid_op 0
		.amdhsa_exception_fp_denorm_src 0
		.amdhsa_exception_fp_ieee_div_zero 0
		.amdhsa_exception_fp_ieee_overflow 0
		.amdhsa_exception_fp_ieee_underflow 0
		.amdhsa_exception_fp_ieee_inexact 0
		.amdhsa_exception_int_div_zero 0
	.end_amdhsa_kernel
	.section	.text._ZN7rocprim17ROCPRIM_400000_NS6detail17trampoline_kernelINS0_14default_configENS1_25partition_config_selectorILNS1_17partition_subalgoE6EtNS0_10empty_typeEbEEZZNS1_14partition_implILS5_6ELb0ES3_mN6thrust23THRUST_200600_302600_NS6detail15normal_iteratorINSA_10device_ptrItEEEEPS6_SG_NS0_5tupleIJSF_S6_EEENSH_IJSG_SG_EEES6_PlJ5mod_3ItEEEE10hipError_tPvRmT3_T4_T5_T6_T7_T9_mT8_P12ihipStream_tbDpT10_ENKUlT_T0_E_clISt17integral_constantIbLb0EES16_EEDaS11_S12_EUlS11_E_NS1_11comp_targetILNS1_3genE9ELNS1_11target_archE1100ELNS1_3gpuE3ELNS1_3repE0EEENS1_30default_config_static_selectorELNS0_4arch9wavefront6targetE0EEEvT1_,"axG",@progbits,_ZN7rocprim17ROCPRIM_400000_NS6detail17trampoline_kernelINS0_14default_configENS1_25partition_config_selectorILNS1_17partition_subalgoE6EtNS0_10empty_typeEbEEZZNS1_14partition_implILS5_6ELb0ES3_mN6thrust23THRUST_200600_302600_NS6detail15normal_iteratorINSA_10device_ptrItEEEEPS6_SG_NS0_5tupleIJSF_S6_EEENSH_IJSG_SG_EEES6_PlJ5mod_3ItEEEE10hipError_tPvRmT3_T4_T5_T6_T7_T9_mT8_P12ihipStream_tbDpT10_ENKUlT_T0_E_clISt17integral_constantIbLb0EES16_EEDaS11_S12_EUlS11_E_NS1_11comp_targetILNS1_3genE9ELNS1_11target_archE1100ELNS1_3gpuE3ELNS1_3repE0EEENS1_30default_config_static_selectorELNS0_4arch9wavefront6targetE0EEEvT1_,comdat
.Lfunc_end526:
	.size	_ZN7rocprim17ROCPRIM_400000_NS6detail17trampoline_kernelINS0_14default_configENS1_25partition_config_selectorILNS1_17partition_subalgoE6EtNS0_10empty_typeEbEEZZNS1_14partition_implILS5_6ELb0ES3_mN6thrust23THRUST_200600_302600_NS6detail15normal_iteratorINSA_10device_ptrItEEEEPS6_SG_NS0_5tupleIJSF_S6_EEENSH_IJSG_SG_EEES6_PlJ5mod_3ItEEEE10hipError_tPvRmT3_T4_T5_T6_T7_T9_mT8_P12ihipStream_tbDpT10_ENKUlT_T0_E_clISt17integral_constantIbLb0EES16_EEDaS11_S12_EUlS11_E_NS1_11comp_targetILNS1_3genE9ELNS1_11target_archE1100ELNS1_3gpuE3ELNS1_3repE0EEENS1_30default_config_static_selectorELNS0_4arch9wavefront6targetE0EEEvT1_, .Lfunc_end526-_ZN7rocprim17ROCPRIM_400000_NS6detail17trampoline_kernelINS0_14default_configENS1_25partition_config_selectorILNS1_17partition_subalgoE6EtNS0_10empty_typeEbEEZZNS1_14partition_implILS5_6ELb0ES3_mN6thrust23THRUST_200600_302600_NS6detail15normal_iteratorINSA_10device_ptrItEEEEPS6_SG_NS0_5tupleIJSF_S6_EEENSH_IJSG_SG_EEES6_PlJ5mod_3ItEEEE10hipError_tPvRmT3_T4_T5_T6_T7_T9_mT8_P12ihipStream_tbDpT10_ENKUlT_T0_E_clISt17integral_constantIbLb0EES16_EEDaS11_S12_EUlS11_E_NS1_11comp_targetILNS1_3genE9ELNS1_11target_archE1100ELNS1_3gpuE3ELNS1_3repE0EEENS1_30default_config_static_selectorELNS0_4arch9wavefront6targetE0EEEvT1_
                                        ; -- End function
	.section	.AMDGPU.csdata,"",@progbits
; Kernel info:
; codeLenInByte = 14972
; NumSgprs: 22
; NumVgprs: 130
; ScratchSize: 0
; MemoryBound: 0
; FloatMode: 240
; IeeeMode: 1
; LDSByteSize: 7696 bytes/workgroup (compile time only)
; SGPRBlocks: 2
; VGPRBlocks: 16
; NumSGPRsForWavesPerEU: 22
; NumVGPRsForWavesPerEU: 130
; Occupancy: 10
; WaveLimiterHint : 1
; COMPUTE_PGM_RSRC2:SCRATCH_EN: 0
; COMPUTE_PGM_RSRC2:USER_SGPR: 15
; COMPUTE_PGM_RSRC2:TRAP_HANDLER: 0
; COMPUTE_PGM_RSRC2:TGID_X_EN: 1
; COMPUTE_PGM_RSRC2:TGID_Y_EN: 0
; COMPUTE_PGM_RSRC2:TGID_Z_EN: 0
; COMPUTE_PGM_RSRC2:TIDIG_COMP_CNT: 0
	.section	.text._ZN7rocprim17ROCPRIM_400000_NS6detail17trampoline_kernelINS0_14default_configENS1_25partition_config_selectorILNS1_17partition_subalgoE6EtNS0_10empty_typeEbEEZZNS1_14partition_implILS5_6ELb0ES3_mN6thrust23THRUST_200600_302600_NS6detail15normal_iteratorINSA_10device_ptrItEEEEPS6_SG_NS0_5tupleIJSF_S6_EEENSH_IJSG_SG_EEES6_PlJ5mod_3ItEEEE10hipError_tPvRmT3_T4_T5_T6_T7_T9_mT8_P12ihipStream_tbDpT10_ENKUlT_T0_E_clISt17integral_constantIbLb0EES16_EEDaS11_S12_EUlS11_E_NS1_11comp_targetILNS1_3genE8ELNS1_11target_archE1030ELNS1_3gpuE2ELNS1_3repE0EEENS1_30default_config_static_selectorELNS0_4arch9wavefront6targetE0EEEvT1_,"axG",@progbits,_ZN7rocprim17ROCPRIM_400000_NS6detail17trampoline_kernelINS0_14default_configENS1_25partition_config_selectorILNS1_17partition_subalgoE6EtNS0_10empty_typeEbEEZZNS1_14partition_implILS5_6ELb0ES3_mN6thrust23THRUST_200600_302600_NS6detail15normal_iteratorINSA_10device_ptrItEEEEPS6_SG_NS0_5tupleIJSF_S6_EEENSH_IJSG_SG_EEES6_PlJ5mod_3ItEEEE10hipError_tPvRmT3_T4_T5_T6_T7_T9_mT8_P12ihipStream_tbDpT10_ENKUlT_T0_E_clISt17integral_constantIbLb0EES16_EEDaS11_S12_EUlS11_E_NS1_11comp_targetILNS1_3genE8ELNS1_11target_archE1030ELNS1_3gpuE2ELNS1_3repE0EEENS1_30default_config_static_selectorELNS0_4arch9wavefront6targetE0EEEvT1_,comdat
	.protected	_ZN7rocprim17ROCPRIM_400000_NS6detail17trampoline_kernelINS0_14default_configENS1_25partition_config_selectorILNS1_17partition_subalgoE6EtNS0_10empty_typeEbEEZZNS1_14partition_implILS5_6ELb0ES3_mN6thrust23THRUST_200600_302600_NS6detail15normal_iteratorINSA_10device_ptrItEEEEPS6_SG_NS0_5tupleIJSF_S6_EEENSH_IJSG_SG_EEES6_PlJ5mod_3ItEEEE10hipError_tPvRmT3_T4_T5_T6_T7_T9_mT8_P12ihipStream_tbDpT10_ENKUlT_T0_E_clISt17integral_constantIbLb0EES16_EEDaS11_S12_EUlS11_E_NS1_11comp_targetILNS1_3genE8ELNS1_11target_archE1030ELNS1_3gpuE2ELNS1_3repE0EEENS1_30default_config_static_selectorELNS0_4arch9wavefront6targetE0EEEvT1_ ; -- Begin function _ZN7rocprim17ROCPRIM_400000_NS6detail17trampoline_kernelINS0_14default_configENS1_25partition_config_selectorILNS1_17partition_subalgoE6EtNS0_10empty_typeEbEEZZNS1_14partition_implILS5_6ELb0ES3_mN6thrust23THRUST_200600_302600_NS6detail15normal_iteratorINSA_10device_ptrItEEEEPS6_SG_NS0_5tupleIJSF_S6_EEENSH_IJSG_SG_EEES6_PlJ5mod_3ItEEEE10hipError_tPvRmT3_T4_T5_T6_T7_T9_mT8_P12ihipStream_tbDpT10_ENKUlT_T0_E_clISt17integral_constantIbLb0EES16_EEDaS11_S12_EUlS11_E_NS1_11comp_targetILNS1_3genE8ELNS1_11target_archE1030ELNS1_3gpuE2ELNS1_3repE0EEENS1_30default_config_static_selectorELNS0_4arch9wavefront6targetE0EEEvT1_
	.globl	_ZN7rocprim17ROCPRIM_400000_NS6detail17trampoline_kernelINS0_14default_configENS1_25partition_config_selectorILNS1_17partition_subalgoE6EtNS0_10empty_typeEbEEZZNS1_14partition_implILS5_6ELb0ES3_mN6thrust23THRUST_200600_302600_NS6detail15normal_iteratorINSA_10device_ptrItEEEEPS6_SG_NS0_5tupleIJSF_S6_EEENSH_IJSG_SG_EEES6_PlJ5mod_3ItEEEE10hipError_tPvRmT3_T4_T5_T6_T7_T9_mT8_P12ihipStream_tbDpT10_ENKUlT_T0_E_clISt17integral_constantIbLb0EES16_EEDaS11_S12_EUlS11_E_NS1_11comp_targetILNS1_3genE8ELNS1_11target_archE1030ELNS1_3gpuE2ELNS1_3repE0EEENS1_30default_config_static_selectorELNS0_4arch9wavefront6targetE0EEEvT1_
	.p2align	8
	.type	_ZN7rocprim17ROCPRIM_400000_NS6detail17trampoline_kernelINS0_14default_configENS1_25partition_config_selectorILNS1_17partition_subalgoE6EtNS0_10empty_typeEbEEZZNS1_14partition_implILS5_6ELb0ES3_mN6thrust23THRUST_200600_302600_NS6detail15normal_iteratorINSA_10device_ptrItEEEEPS6_SG_NS0_5tupleIJSF_S6_EEENSH_IJSG_SG_EEES6_PlJ5mod_3ItEEEE10hipError_tPvRmT3_T4_T5_T6_T7_T9_mT8_P12ihipStream_tbDpT10_ENKUlT_T0_E_clISt17integral_constantIbLb0EES16_EEDaS11_S12_EUlS11_E_NS1_11comp_targetILNS1_3genE8ELNS1_11target_archE1030ELNS1_3gpuE2ELNS1_3repE0EEENS1_30default_config_static_selectorELNS0_4arch9wavefront6targetE0EEEvT1_,@function
_ZN7rocprim17ROCPRIM_400000_NS6detail17trampoline_kernelINS0_14default_configENS1_25partition_config_selectorILNS1_17partition_subalgoE6EtNS0_10empty_typeEbEEZZNS1_14partition_implILS5_6ELb0ES3_mN6thrust23THRUST_200600_302600_NS6detail15normal_iteratorINSA_10device_ptrItEEEEPS6_SG_NS0_5tupleIJSF_S6_EEENSH_IJSG_SG_EEES6_PlJ5mod_3ItEEEE10hipError_tPvRmT3_T4_T5_T6_T7_T9_mT8_P12ihipStream_tbDpT10_ENKUlT_T0_E_clISt17integral_constantIbLb0EES16_EEDaS11_S12_EUlS11_E_NS1_11comp_targetILNS1_3genE8ELNS1_11target_archE1030ELNS1_3gpuE2ELNS1_3repE0EEENS1_30default_config_static_selectorELNS0_4arch9wavefront6targetE0EEEvT1_: ; @_ZN7rocprim17ROCPRIM_400000_NS6detail17trampoline_kernelINS0_14default_configENS1_25partition_config_selectorILNS1_17partition_subalgoE6EtNS0_10empty_typeEbEEZZNS1_14partition_implILS5_6ELb0ES3_mN6thrust23THRUST_200600_302600_NS6detail15normal_iteratorINSA_10device_ptrItEEEEPS6_SG_NS0_5tupleIJSF_S6_EEENSH_IJSG_SG_EEES6_PlJ5mod_3ItEEEE10hipError_tPvRmT3_T4_T5_T6_T7_T9_mT8_P12ihipStream_tbDpT10_ENKUlT_T0_E_clISt17integral_constantIbLb0EES16_EEDaS11_S12_EUlS11_E_NS1_11comp_targetILNS1_3genE8ELNS1_11target_archE1030ELNS1_3gpuE2ELNS1_3repE0EEENS1_30default_config_static_selectorELNS0_4arch9wavefront6targetE0EEEvT1_
; %bb.0:
	.section	.rodata,"a",@progbits
	.p2align	6, 0x0
	.amdhsa_kernel _ZN7rocprim17ROCPRIM_400000_NS6detail17trampoline_kernelINS0_14default_configENS1_25partition_config_selectorILNS1_17partition_subalgoE6EtNS0_10empty_typeEbEEZZNS1_14partition_implILS5_6ELb0ES3_mN6thrust23THRUST_200600_302600_NS6detail15normal_iteratorINSA_10device_ptrItEEEEPS6_SG_NS0_5tupleIJSF_S6_EEENSH_IJSG_SG_EEES6_PlJ5mod_3ItEEEE10hipError_tPvRmT3_T4_T5_T6_T7_T9_mT8_P12ihipStream_tbDpT10_ENKUlT_T0_E_clISt17integral_constantIbLb0EES16_EEDaS11_S12_EUlS11_E_NS1_11comp_targetILNS1_3genE8ELNS1_11target_archE1030ELNS1_3gpuE2ELNS1_3repE0EEENS1_30default_config_static_selectorELNS0_4arch9wavefront6targetE0EEEvT1_
		.amdhsa_group_segment_fixed_size 0
		.amdhsa_private_segment_fixed_size 0
		.amdhsa_kernarg_size 112
		.amdhsa_user_sgpr_count 15
		.amdhsa_user_sgpr_dispatch_ptr 0
		.amdhsa_user_sgpr_queue_ptr 0
		.amdhsa_user_sgpr_kernarg_segment_ptr 1
		.amdhsa_user_sgpr_dispatch_id 0
		.amdhsa_user_sgpr_private_segment_size 0
		.amdhsa_wavefront_size32 1
		.amdhsa_uses_dynamic_stack 0
		.amdhsa_enable_private_segment 0
		.amdhsa_system_sgpr_workgroup_id_x 1
		.amdhsa_system_sgpr_workgroup_id_y 0
		.amdhsa_system_sgpr_workgroup_id_z 0
		.amdhsa_system_sgpr_workgroup_info 0
		.amdhsa_system_vgpr_workitem_id 0
		.amdhsa_next_free_vgpr 1
		.amdhsa_next_free_sgpr 1
		.amdhsa_reserve_vcc 0
		.amdhsa_float_round_mode_32 0
		.amdhsa_float_round_mode_16_64 0
		.amdhsa_float_denorm_mode_32 3
		.amdhsa_float_denorm_mode_16_64 3
		.amdhsa_dx10_clamp 1
		.amdhsa_ieee_mode 1
		.amdhsa_fp16_overflow 0
		.amdhsa_workgroup_processor_mode 1
		.amdhsa_memory_ordered 1
		.amdhsa_forward_progress 0
		.amdhsa_shared_vgpr_count 0
		.amdhsa_exception_fp_ieee_invalid_op 0
		.amdhsa_exception_fp_denorm_src 0
		.amdhsa_exception_fp_ieee_div_zero 0
		.amdhsa_exception_fp_ieee_overflow 0
		.amdhsa_exception_fp_ieee_underflow 0
		.amdhsa_exception_fp_ieee_inexact 0
		.amdhsa_exception_int_div_zero 0
	.end_amdhsa_kernel
	.section	.text._ZN7rocprim17ROCPRIM_400000_NS6detail17trampoline_kernelINS0_14default_configENS1_25partition_config_selectorILNS1_17partition_subalgoE6EtNS0_10empty_typeEbEEZZNS1_14partition_implILS5_6ELb0ES3_mN6thrust23THRUST_200600_302600_NS6detail15normal_iteratorINSA_10device_ptrItEEEEPS6_SG_NS0_5tupleIJSF_S6_EEENSH_IJSG_SG_EEES6_PlJ5mod_3ItEEEE10hipError_tPvRmT3_T4_T5_T6_T7_T9_mT8_P12ihipStream_tbDpT10_ENKUlT_T0_E_clISt17integral_constantIbLb0EES16_EEDaS11_S12_EUlS11_E_NS1_11comp_targetILNS1_3genE8ELNS1_11target_archE1030ELNS1_3gpuE2ELNS1_3repE0EEENS1_30default_config_static_selectorELNS0_4arch9wavefront6targetE0EEEvT1_,"axG",@progbits,_ZN7rocprim17ROCPRIM_400000_NS6detail17trampoline_kernelINS0_14default_configENS1_25partition_config_selectorILNS1_17partition_subalgoE6EtNS0_10empty_typeEbEEZZNS1_14partition_implILS5_6ELb0ES3_mN6thrust23THRUST_200600_302600_NS6detail15normal_iteratorINSA_10device_ptrItEEEEPS6_SG_NS0_5tupleIJSF_S6_EEENSH_IJSG_SG_EEES6_PlJ5mod_3ItEEEE10hipError_tPvRmT3_T4_T5_T6_T7_T9_mT8_P12ihipStream_tbDpT10_ENKUlT_T0_E_clISt17integral_constantIbLb0EES16_EEDaS11_S12_EUlS11_E_NS1_11comp_targetILNS1_3genE8ELNS1_11target_archE1030ELNS1_3gpuE2ELNS1_3repE0EEENS1_30default_config_static_selectorELNS0_4arch9wavefront6targetE0EEEvT1_,comdat
.Lfunc_end527:
	.size	_ZN7rocprim17ROCPRIM_400000_NS6detail17trampoline_kernelINS0_14default_configENS1_25partition_config_selectorILNS1_17partition_subalgoE6EtNS0_10empty_typeEbEEZZNS1_14partition_implILS5_6ELb0ES3_mN6thrust23THRUST_200600_302600_NS6detail15normal_iteratorINSA_10device_ptrItEEEEPS6_SG_NS0_5tupleIJSF_S6_EEENSH_IJSG_SG_EEES6_PlJ5mod_3ItEEEE10hipError_tPvRmT3_T4_T5_T6_T7_T9_mT8_P12ihipStream_tbDpT10_ENKUlT_T0_E_clISt17integral_constantIbLb0EES16_EEDaS11_S12_EUlS11_E_NS1_11comp_targetILNS1_3genE8ELNS1_11target_archE1030ELNS1_3gpuE2ELNS1_3repE0EEENS1_30default_config_static_selectorELNS0_4arch9wavefront6targetE0EEEvT1_, .Lfunc_end527-_ZN7rocprim17ROCPRIM_400000_NS6detail17trampoline_kernelINS0_14default_configENS1_25partition_config_selectorILNS1_17partition_subalgoE6EtNS0_10empty_typeEbEEZZNS1_14partition_implILS5_6ELb0ES3_mN6thrust23THRUST_200600_302600_NS6detail15normal_iteratorINSA_10device_ptrItEEEEPS6_SG_NS0_5tupleIJSF_S6_EEENSH_IJSG_SG_EEES6_PlJ5mod_3ItEEEE10hipError_tPvRmT3_T4_T5_T6_T7_T9_mT8_P12ihipStream_tbDpT10_ENKUlT_T0_E_clISt17integral_constantIbLb0EES16_EEDaS11_S12_EUlS11_E_NS1_11comp_targetILNS1_3genE8ELNS1_11target_archE1030ELNS1_3gpuE2ELNS1_3repE0EEENS1_30default_config_static_selectorELNS0_4arch9wavefront6targetE0EEEvT1_
                                        ; -- End function
	.section	.AMDGPU.csdata,"",@progbits
; Kernel info:
; codeLenInByte = 0
; NumSgprs: 0
; NumVgprs: 0
; ScratchSize: 0
; MemoryBound: 0
; FloatMode: 240
; IeeeMode: 1
; LDSByteSize: 0 bytes/workgroup (compile time only)
; SGPRBlocks: 0
; VGPRBlocks: 0
; NumSGPRsForWavesPerEU: 1
; NumVGPRsForWavesPerEU: 1
; Occupancy: 16
; WaveLimiterHint : 0
; COMPUTE_PGM_RSRC2:SCRATCH_EN: 0
; COMPUTE_PGM_RSRC2:USER_SGPR: 15
; COMPUTE_PGM_RSRC2:TRAP_HANDLER: 0
; COMPUTE_PGM_RSRC2:TGID_X_EN: 1
; COMPUTE_PGM_RSRC2:TGID_Y_EN: 0
; COMPUTE_PGM_RSRC2:TGID_Z_EN: 0
; COMPUTE_PGM_RSRC2:TIDIG_COMP_CNT: 0
	.section	.text._ZN7rocprim17ROCPRIM_400000_NS6detail17trampoline_kernelINS0_14default_configENS1_25partition_config_selectorILNS1_17partition_subalgoE6EtNS0_10empty_typeEbEEZZNS1_14partition_implILS5_6ELb0ES3_mN6thrust23THRUST_200600_302600_NS6detail15normal_iteratorINSA_10device_ptrItEEEEPS6_SG_NS0_5tupleIJSF_S6_EEENSH_IJSG_SG_EEES6_PlJ5mod_3ItEEEE10hipError_tPvRmT3_T4_T5_T6_T7_T9_mT8_P12ihipStream_tbDpT10_ENKUlT_T0_E_clISt17integral_constantIbLb1EES16_EEDaS11_S12_EUlS11_E_NS1_11comp_targetILNS1_3genE0ELNS1_11target_archE4294967295ELNS1_3gpuE0ELNS1_3repE0EEENS1_30default_config_static_selectorELNS0_4arch9wavefront6targetE0EEEvT1_,"axG",@progbits,_ZN7rocprim17ROCPRIM_400000_NS6detail17trampoline_kernelINS0_14default_configENS1_25partition_config_selectorILNS1_17partition_subalgoE6EtNS0_10empty_typeEbEEZZNS1_14partition_implILS5_6ELb0ES3_mN6thrust23THRUST_200600_302600_NS6detail15normal_iteratorINSA_10device_ptrItEEEEPS6_SG_NS0_5tupleIJSF_S6_EEENSH_IJSG_SG_EEES6_PlJ5mod_3ItEEEE10hipError_tPvRmT3_T4_T5_T6_T7_T9_mT8_P12ihipStream_tbDpT10_ENKUlT_T0_E_clISt17integral_constantIbLb1EES16_EEDaS11_S12_EUlS11_E_NS1_11comp_targetILNS1_3genE0ELNS1_11target_archE4294967295ELNS1_3gpuE0ELNS1_3repE0EEENS1_30default_config_static_selectorELNS0_4arch9wavefront6targetE0EEEvT1_,comdat
	.protected	_ZN7rocprim17ROCPRIM_400000_NS6detail17trampoline_kernelINS0_14default_configENS1_25partition_config_selectorILNS1_17partition_subalgoE6EtNS0_10empty_typeEbEEZZNS1_14partition_implILS5_6ELb0ES3_mN6thrust23THRUST_200600_302600_NS6detail15normal_iteratorINSA_10device_ptrItEEEEPS6_SG_NS0_5tupleIJSF_S6_EEENSH_IJSG_SG_EEES6_PlJ5mod_3ItEEEE10hipError_tPvRmT3_T4_T5_T6_T7_T9_mT8_P12ihipStream_tbDpT10_ENKUlT_T0_E_clISt17integral_constantIbLb1EES16_EEDaS11_S12_EUlS11_E_NS1_11comp_targetILNS1_3genE0ELNS1_11target_archE4294967295ELNS1_3gpuE0ELNS1_3repE0EEENS1_30default_config_static_selectorELNS0_4arch9wavefront6targetE0EEEvT1_ ; -- Begin function _ZN7rocprim17ROCPRIM_400000_NS6detail17trampoline_kernelINS0_14default_configENS1_25partition_config_selectorILNS1_17partition_subalgoE6EtNS0_10empty_typeEbEEZZNS1_14partition_implILS5_6ELb0ES3_mN6thrust23THRUST_200600_302600_NS6detail15normal_iteratorINSA_10device_ptrItEEEEPS6_SG_NS0_5tupleIJSF_S6_EEENSH_IJSG_SG_EEES6_PlJ5mod_3ItEEEE10hipError_tPvRmT3_T4_T5_T6_T7_T9_mT8_P12ihipStream_tbDpT10_ENKUlT_T0_E_clISt17integral_constantIbLb1EES16_EEDaS11_S12_EUlS11_E_NS1_11comp_targetILNS1_3genE0ELNS1_11target_archE4294967295ELNS1_3gpuE0ELNS1_3repE0EEENS1_30default_config_static_selectorELNS0_4arch9wavefront6targetE0EEEvT1_
	.globl	_ZN7rocprim17ROCPRIM_400000_NS6detail17trampoline_kernelINS0_14default_configENS1_25partition_config_selectorILNS1_17partition_subalgoE6EtNS0_10empty_typeEbEEZZNS1_14partition_implILS5_6ELb0ES3_mN6thrust23THRUST_200600_302600_NS6detail15normal_iteratorINSA_10device_ptrItEEEEPS6_SG_NS0_5tupleIJSF_S6_EEENSH_IJSG_SG_EEES6_PlJ5mod_3ItEEEE10hipError_tPvRmT3_T4_T5_T6_T7_T9_mT8_P12ihipStream_tbDpT10_ENKUlT_T0_E_clISt17integral_constantIbLb1EES16_EEDaS11_S12_EUlS11_E_NS1_11comp_targetILNS1_3genE0ELNS1_11target_archE4294967295ELNS1_3gpuE0ELNS1_3repE0EEENS1_30default_config_static_selectorELNS0_4arch9wavefront6targetE0EEEvT1_
	.p2align	8
	.type	_ZN7rocprim17ROCPRIM_400000_NS6detail17trampoline_kernelINS0_14default_configENS1_25partition_config_selectorILNS1_17partition_subalgoE6EtNS0_10empty_typeEbEEZZNS1_14partition_implILS5_6ELb0ES3_mN6thrust23THRUST_200600_302600_NS6detail15normal_iteratorINSA_10device_ptrItEEEEPS6_SG_NS0_5tupleIJSF_S6_EEENSH_IJSG_SG_EEES6_PlJ5mod_3ItEEEE10hipError_tPvRmT3_T4_T5_T6_T7_T9_mT8_P12ihipStream_tbDpT10_ENKUlT_T0_E_clISt17integral_constantIbLb1EES16_EEDaS11_S12_EUlS11_E_NS1_11comp_targetILNS1_3genE0ELNS1_11target_archE4294967295ELNS1_3gpuE0ELNS1_3repE0EEENS1_30default_config_static_selectorELNS0_4arch9wavefront6targetE0EEEvT1_,@function
_ZN7rocprim17ROCPRIM_400000_NS6detail17trampoline_kernelINS0_14default_configENS1_25partition_config_selectorILNS1_17partition_subalgoE6EtNS0_10empty_typeEbEEZZNS1_14partition_implILS5_6ELb0ES3_mN6thrust23THRUST_200600_302600_NS6detail15normal_iteratorINSA_10device_ptrItEEEEPS6_SG_NS0_5tupleIJSF_S6_EEENSH_IJSG_SG_EEES6_PlJ5mod_3ItEEEE10hipError_tPvRmT3_T4_T5_T6_T7_T9_mT8_P12ihipStream_tbDpT10_ENKUlT_T0_E_clISt17integral_constantIbLb1EES16_EEDaS11_S12_EUlS11_E_NS1_11comp_targetILNS1_3genE0ELNS1_11target_archE4294967295ELNS1_3gpuE0ELNS1_3repE0EEENS1_30default_config_static_selectorELNS0_4arch9wavefront6targetE0EEEvT1_: ; @_ZN7rocprim17ROCPRIM_400000_NS6detail17trampoline_kernelINS0_14default_configENS1_25partition_config_selectorILNS1_17partition_subalgoE6EtNS0_10empty_typeEbEEZZNS1_14partition_implILS5_6ELb0ES3_mN6thrust23THRUST_200600_302600_NS6detail15normal_iteratorINSA_10device_ptrItEEEEPS6_SG_NS0_5tupleIJSF_S6_EEENSH_IJSG_SG_EEES6_PlJ5mod_3ItEEEE10hipError_tPvRmT3_T4_T5_T6_T7_T9_mT8_P12ihipStream_tbDpT10_ENKUlT_T0_E_clISt17integral_constantIbLb1EES16_EEDaS11_S12_EUlS11_E_NS1_11comp_targetILNS1_3genE0ELNS1_11target_archE4294967295ELNS1_3gpuE0ELNS1_3repE0EEENS1_30default_config_static_selectorELNS0_4arch9wavefront6targetE0EEEvT1_
; %bb.0:
	.section	.rodata,"a",@progbits
	.p2align	6, 0x0
	.amdhsa_kernel _ZN7rocprim17ROCPRIM_400000_NS6detail17trampoline_kernelINS0_14default_configENS1_25partition_config_selectorILNS1_17partition_subalgoE6EtNS0_10empty_typeEbEEZZNS1_14partition_implILS5_6ELb0ES3_mN6thrust23THRUST_200600_302600_NS6detail15normal_iteratorINSA_10device_ptrItEEEEPS6_SG_NS0_5tupleIJSF_S6_EEENSH_IJSG_SG_EEES6_PlJ5mod_3ItEEEE10hipError_tPvRmT3_T4_T5_T6_T7_T9_mT8_P12ihipStream_tbDpT10_ENKUlT_T0_E_clISt17integral_constantIbLb1EES16_EEDaS11_S12_EUlS11_E_NS1_11comp_targetILNS1_3genE0ELNS1_11target_archE4294967295ELNS1_3gpuE0ELNS1_3repE0EEENS1_30default_config_static_selectorELNS0_4arch9wavefront6targetE0EEEvT1_
		.amdhsa_group_segment_fixed_size 0
		.amdhsa_private_segment_fixed_size 0
		.amdhsa_kernarg_size 128
		.amdhsa_user_sgpr_count 15
		.amdhsa_user_sgpr_dispatch_ptr 0
		.amdhsa_user_sgpr_queue_ptr 0
		.amdhsa_user_sgpr_kernarg_segment_ptr 1
		.amdhsa_user_sgpr_dispatch_id 0
		.amdhsa_user_sgpr_private_segment_size 0
		.amdhsa_wavefront_size32 1
		.amdhsa_uses_dynamic_stack 0
		.amdhsa_enable_private_segment 0
		.amdhsa_system_sgpr_workgroup_id_x 1
		.amdhsa_system_sgpr_workgroup_id_y 0
		.amdhsa_system_sgpr_workgroup_id_z 0
		.amdhsa_system_sgpr_workgroup_info 0
		.amdhsa_system_vgpr_workitem_id 0
		.amdhsa_next_free_vgpr 1
		.amdhsa_next_free_sgpr 1
		.amdhsa_reserve_vcc 0
		.amdhsa_float_round_mode_32 0
		.amdhsa_float_round_mode_16_64 0
		.amdhsa_float_denorm_mode_32 3
		.amdhsa_float_denorm_mode_16_64 3
		.amdhsa_dx10_clamp 1
		.amdhsa_ieee_mode 1
		.amdhsa_fp16_overflow 0
		.amdhsa_workgroup_processor_mode 1
		.amdhsa_memory_ordered 1
		.amdhsa_forward_progress 0
		.amdhsa_shared_vgpr_count 0
		.amdhsa_exception_fp_ieee_invalid_op 0
		.amdhsa_exception_fp_denorm_src 0
		.amdhsa_exception_fp_ieee_div_zero 0
		.amdhsa_exception_fp_ieee_overflow 0
		.amdhsa_exception_fp_ieee_underflow 0
		.amdhsa_exception_fp_ieee_inexact 0
		.amdhsa_exception_int_div_zero 0
	.end_amdhsa_kernel
	.section	.text._ZN7rocprim17ROCPRIM_400000_NS6detail17trampoline_kernelINS0_14default_configENS1_25partition_config_selectorILNS1_17partition_subalgoE6EtNS0_10empty_typeEbEEZZNS1_14partition_implILS5_6ELb0ES3_mN6thrust23THRUST_200600_302600_NS6detail15normal_iteratorINSA_10device_ptrItEEEEPS6_SG_NS0_5tupleIJSF_S6_EEENSH_IJSG_SG_EEES6_PlJ5mod_3ItEEEE10hipError_tPvRmT3_T4_T5_T6_T7_T9_mT8_P12ihipStream_tbDpT10_ENKUlT_T0_E_clISt17integral_constantIbLb1EES16_EEDaS11_S12_EUlS11_E_NS1_11comp_targetILNS1_3genE0ELNS1_11target_archE4294967295ELNS1_3gpuE0ELNS1_3repE0EEENS1_30default_config_static_selectorELNS0_4arch9wavefront6targetE0EEEvT1_,"axG",@progbits,_ZN7rocprim17ROCPRIM_400000_NS6detail17trampoline_kernelINS0_14default_configENS1_25partition_config_selectorILNS1_17partition_subalgoE6EtNS0_10empty_typeEbEEZZNS1_14partition_implILS5_6ELb0ES3_mN6thrust23THRUST_200600_302600_NS6detail15normal_iteratorINSA_10device_ptrItEEEEPS6_SG_NS0_5tupleIJSF_S6_EEENSH_IJSG_SG_EEES6_PlJ5mod_3ItEEEE10hipError_tPvRmT3_T4_T5_T6_T7_T9_mT8_P12ihipStream_tbDpT10_ENKUlT_T0_E_clISt17integral_constantIbLb1EES16_EEDaS11_S12_EUlS11_E_NS1_11comp_targetILNS1_3genE0ELNS1_11target_archE4294967295ELNS1_3gpuE0ELNS1_3repE0EEENS1_30default_config_static_selectorELNS0_4arch9wavefront6targetE0EEEvT1_,comdat
.Lfunc_end528:
	.size	_ZN7rocprim17ROCPRIM_400000_NS6detail17trampoline_kernelINS0_14default_configENS1_25partition_config_selectorILNS1_17partition_subalgoE6EtNS0_10empty_typeEbEEZZNS1_14partition_implILS5_6ELb0ES3_mN6thrust23THRUST_200600_302600_NS6detail15normal_iteratorINSA_10device_ptrItEEEEPS6_SG_NS0_5tupleIJSF_S6_EEENSH_IJSG_SG_EEES6_PlJ5mod_3ItEEEE10hipError_tPvRmT3_T4_T5_T6_T7_T9_mT8_P12ihipStream_tbDpT10_ENKUlT_T0_E_clISt17integral_constantIbLb1EES16_EEDaS11_S12_EUlS11_E_NS1_11comp_targetILNS1_3genE0ELNS1_11target_archE4294967295ELNS1_3gpuE0ELNS1_3repE0EEENS1_30default_config_static_selectorELNS0_4arch9wavefront6targetE0EEEvT1_, .Lfunc_end528-_ZN7rocprim17ROCPRIM_400000_NS6detail17trampoline_kernelINS0_14default_configENS1_25partition_config_selectorILNS1_17partition_subalgoE6EtNS0_10empty_typeEbEEZZNS1_14partition_implILS5_6ELb0ES3_mN6thrust23THRUST_200600_302600_NS6detail15normal_iteratorINSA_10device_ptrItEEEEPS6_SG_NS0_5tupleIJSF_S6_EEENSH_IJSG_SG_EEES6_PlJ5mod_3ItEEEE10hipError_tPvRmT3_T4_T5_T6_T7_T9_mT8_P12ihipStream_tbDpT10_ENKUlT_T0_E_clISt17integral_constantIbLb1EES16_EEDaS11_S12_EUlS11_E_NS1_11comp_targetILNS1_3genE0ELNS1_11target_archE4294967295ELNS1_3gpuE0ELNS1_3repE0EEENS1_30default_config_static_selectorELNS0_4arch9wavefront6targetE0EEEvT1_
                                        ; -- End function
	.section	.AMDGPU.csdata,"",@progbits
; Kernel info:
; codeLenInByte = 0
; NumSgprs: 0
; NumVgprs: 0
; ScratchSize: 0
; MemoryBound: 0
; FloatMode: 240
; IeeeMode: 1
; LDSByteSize: 0 bytes/workgroup (compile time only)
; SGPRBlocks: 0
; VGPRBlocks: 0
; NumSGPRsForWavesPerEU: 1
; NumVGPRsForWavesPerEU: 1
; Occupancy: 16
; WaveLimiterHint : 0
; COMPUTE_PGM_RSRC2:SCRATCH_EN: 0
; COMPUTE_PGM_RSRC2:USER_SGPR: 15
; COMPUTE_PGM_RSRC2:TRAP_HANDLER: 0
; COMPUTE_PGM_RSRC2:TGID_X_EN: 1
; COMPUTE_PGM_RSRC2:TGID_Y_EN: 0
; COMPUTE_PGM_RSRC2:TGID_Z_EN: 0
; COMPUTE_PGM_RSRC2:TIDIG_COMP_CNT: 0
	.section	.text._ZN7rocprim17ROCPRIM_400000_NS6detail17trampoline_kernelINS0_14default_configENS1_25partition_config_selectorILNS1_17partition_subalgoE6EtNS0_10empty_typeEbEEZZNS1_14partition_implILS5_6ELb0ES3_mN6thrust23THRUST_200600_302600_NS6detail15normal_iteratorINSA_10device_ptrItEEEEPS6_SG_NS0_5tupleIJSF_S6_EEENSH_IJSG_SG_EEES6_PlJ5mod_3ItEEEE10hipError_tPvRmT3_T4_T5_T6_T7_T9_mT8_P12ihipStream_tbDpT10_ENKUlT_T0_E_clISt17integral_constantIbLb1EES16_EEDaS11_S12_EUlS11_E_NS1_11comp_targetILNS1_3genE5ELNS1_11target_archE942ELNS1_3gpuE9ELNS1_3repE0EEENS1_30default_config_static_selectorELNS0_4arch9wavefront6targetE0EEEvT1_,"axG",@progbits,_ZN7rocprim17ROCPRIM_400000_NS6detail17trampoline_kernelINS0_14default_configENS1_25partition_config_selectorILNS1_17partition_subalgoE6EtNS0_10empty_typeEbEEZZNS1_14partition_implILS5_6ELb0ES3_mN6thrust23THRUST_200600_302600_NS6detail15normal_iteratorINSA_10device_ptrItEEEEPS6_SG_NS0_5tupleIJSF_S6_EEENSH_IJSG_SG_EEES6_PlJ5mod_3ItEEEE10hipError_tPvRmT3_T4_T5_T6_T7_T9_mT8_P12ihipStream_tbDpT10_ENKUlT_T0_E_clISt17integral_constantIbLb1EES16_EEDaS11_S12_EUlS11_E_NS1_11comp_targetILNS1_3genE5ELNS1_11target_archE942ELNS1_3gpuE9ELNS1_3repE0EEENS1_30default_config_static_selectorELNS0_4arch9wavefront6targetE0EEEvT1_,comdat
	.protected	_ZN7rocprim17ROCPRIM_400000_NS6detail17trampoline_kernelINS0_14default_configENS1_25partition_config_selectorILNS1_17partition_subalgoE6EtNS0_10empty_typeEbEEZZNS1_14partition_implILS5_6ELb0ES3_mN6thrust23THRUST_200600_302600_NS6detail15normal_iteratorINSA_10device_ptrItEEEEPS6_SG_NS0_5tupleIJSF_S6_EEENSH_IJSG_SG_EEES6_PlJ5mod_3ItEEEE10hipError_tPvRmT3_T4_T5_T6_T7_T9_mT8_P12ihipStream_tbDpT10_ENKUlT_T0_E_clISt17integral_constantIbLb1EES16_EEDaS11_S12_EUlS11_E_NS1_11comp_targetILNS1_3genE5ELNS1_11target_archE942ELNS1_3gpuE9ELNS1_3repE0EEENS1_30default_config_static_selectorELNS0_4arch9wavefront6targetE0EEEvT1_ ; -- Begin function _ZN7rocprim17ROCPRIM_400000_NS6detail17trampoline_kernelINS0_14default_configENS1_25partition_config_selectorILNS1_17partition_subalgoE6EtNS0_10empty_typeEbEEZZNS1_14partition_implILS5_6ELb0ES3_mN6thrust23THRUST_200600_302600_NS6detail15normal_iteratorINSA_10device_ptrItEEEEPS6_SG_NS0_5tupleIJSF_S6_EEENSH_IJSG_SG_EEES6_PlJ5mod_3ItEEEE10hipError_tPvRmT3_T4_T5_T6_T7_T9_mT8_P12ihipStream_tbDpT10_ENKUlT_T0_E_clISt17integral_constantIbLb1EES16_EEDaS11_S12_EUlS11_E_NS1_11comp_targetILNS1_3genE5ELNS1_11target_archE942ELNS1_3gpuE9ELNS1_3repE0EEENS1_30default_config_static_selectorELNS0_4arch9wavefront6targetE0EEEvT1_
	.globl	_ZN7rocprim17ROCPRIM_400000_NS6detail17trampoline_kernelINS0_14default_configENS1_25partition_config_selectorILNS1_17partition_subalgoE6EtNS0_10empty_typeEbEEZZNS1_14partition_implILS5_6ELb0ES3_mN6thrust23THRUST_200600_302600_NS6detail15normal_iteratorINSA_10device_ptrItEEEEPS6_SG_NS0_5tupleIJSF_S6_EEENSH_IJSG_SG_EEES6_PlJ5mod_3ItEEEE10hipError_tPvRmT3_T4_T5_T6_T7_T9_mT8_P12ihipStream_tbDpT10_ENKUlT_T0_E_clISt17integral_constantIbLb1EES16_EEDaS11_S12_EUlS11_E_NS1_11comp_targetILNS1_3genE5ELNS1_11target_archE942ELNS1_3gpuE9ELNS1_3repE0EEENS1_30default_config_static_selectorELNS0_4arch9wavefront6targetE0EEEvT1_
	.p2align	8
	.type	_ZN7rocprim17ROCPRIM_400000_NS6detail17trampoline_kernelINS0_14default_configENS1_25partition_config_selectorILNS1_17partition_subalgoE6EtNS0_10empty_typeEbEEZZNS1_14partition_implILS5_6ELb0ES3_mN6thrust23THRUST_200600_302600_NS6detail15normal_iteratorINSA_10device_ptrItEEEEPS6_SG_NS0_5tupleIJSF_S6_EEENSH_IJSG_SG_EEES6_PlJ5mod_3ItEEEE10hipError_tPvRmT3_T4_T5_T6_T7_T9_mT8_P12ihipStream_tbDpT10_ENKUlT_T0_E_clISt17integral_constantIbLb1EES16_EEDaS11_S12_EUlS11_E_NS1_11comp_targetILNS1_3genE5ELNS1_11target_archE942ELNS1_3gpuE9ELNS1_3repE0EEENS1_30default_config_static_selectorELNS0_4arch9wavefront6targetE0EEEvT1_,@function
_ZN7rocprim17ROCPRIM_400000_NS6detail17trampoline_kernelINS0_14default_configENS1_25partition_config_selectorILNS1_17partition_subalgoE6EtNS0_10empty_typeEbEEZZNS1_14partition_implILS5_6ELb0ES3_mN6thrust23THRUST_200600_302600_NS6detail15normal_iteratorINSA_10device_ptrItEEEEPS6_SG_NS0_5tupleIJSF_S6_EEENSH_IJSG_SG_EEES6_PlJ5mod_3ItEEEE10hipError_tPvRmT3_T4_T5_T6_T7_T9_mT8_P12ihipStream_tbDpT10_ENKUlT_T0_E_clISt17integral_constantIbLb1EES16_EEDaS11_S12_EUlS11_E_NS1_11comp_targetILNS1_3genE5ELNS1_11target_archE942ELNS1_3gpuE9ELNS1_3repE0EEENS1_30default_config_static_selectorELNS0_4arch9wavefront6targetE0EEEvT1_: ; @_ZN7rocprim17ROCPRIM_400000_NS6detail17trampoline_kernelINS0_14default_configENS1_25partition_config_selectorILNS1_17partition_subalgoE6EtNS0_10empty_typeEbEEZZNS1_14partition_implILS5_6ELb0ES3_mN6thrust23THRUST_200600_302600_NS6detail15normal_iteratorINSA_10device_ptrItEEEEPS6_SG_NS0_5tupleIJSF_S6_EEENSH_IJSG_SG_EEES6_PlJ5mod_3ItEEEE10hipError_tPvRmT3_T4_T5_T6_T7_T9_mT8_P12ihipStream_tbDpT10_ENKUlT_T0_E_clISt17integral_constantIbLb1EES16_EEDaS11_S12_EUlS11_E_NS1_11comp_targetILNS1_3genE5ELNS1_11target_archE942ELNS1_3gpuE9ELNS1_3repE0EEENS1_30default_config_static_selectorELNS0_4arch9wavefront6targetE0EEEvT1_
; %bb.0:
	.section	.rodata,"a",@progbits
	.p2align	6, 0x0
	.amdhsa_kernel _ZN7rocprim17ROCPRIM_400000_NS6detail17trampoline_kernelINS0_14default_configENS1_25partition_config_selectorILNS1_17partition_subalgoE6EtNS0_10empty_typeEbEEZZNS1_14partition_implILS5_6ELb0ES3_mN6thrust23THRUST_200600_302600_NS6detail15normal_iteratorINSA_10device_ptrItEEEEPS6_SG_NS0_5tupleIJSF_S6_EEENSH_IJSG_SG_EEES6_PlJ5mod_3ItEEEE10hipError_tPvRmT3_T4_T5_T6_T7_T9_mT8_P12ihipStream_tbDpT10_ENKUlT_T0_E_clISt17integral_constantIbLb1EES16_EEDaS11_S12_EUlS11_E_NS1_11comp_targetILNS1_3genE5ELNS1_11target_archE942ELNS1_3gpuE9ELNS1_3repE0EEENS1_30default_config_static_selectorELNS0_4arch9wavefront6targetE0EEEvT1_
		.amdhsa_group_segment_fixed_size 0
		.amdhsa_private_segment_fixed_size 0
		.amdhsa_kernarg_size 128
		.amdhsa_user_sgpr_count 15
		.amdhsa_user_sgpr_dispatch_ptr 0
		.amdhsa_user_sgpr_queue_ptr 0
		.amdhsa_user_sgpr_kernarg_segment_ptr 1
		.amdhsa_user_sgpr_dispatch_id 0
		.amdhsa_user_sgpr_private_segment_size 0
		.amdhsa_wavefront_size32 1
		.amdhsa_uses_dynamic_stack 0
		.amdhsa_enable_private_segment 0
		.amdhsa_system_sgpr_workgroup_id_x 1
		.amdhsa_system_sgpr_workgroup_id_y 0
		.amdhsa_system_sgpr_workgroup_id_z 0
		.amdhsa_system_sgpr_workgroup_info 0
		.amdhsa_system_vgpr_workitem_id 0
		.amdhsa_next_free_vgpr 1
		.amdhsa_next_free_sgpr 1
		.amdhsa_reserve_vcc 0
		.amdhsa_float_round_mode_32 0
		.amdhsa_float_round_mode_16_64 0
		.amdhsa_float_denorm_mode_32 3
		.amdhsa_float_denorm_mode_16_64 3
		.amdhsa_dx10_clamp 1
		.amdhsa_ieee_mode 1
		.amdhsa_fp16_overflow 0
		.amdhsa_workgroup_processor_mode 1
		.amdhsa_memory_ordered 1
		.amdhsa_forward_progress 0
		.amdhsa_shared_vgpr_count 0
		.amdhsa_exception_fp_ieee_invalid_op 0
		.amdhsa_exception_fp_denorm_src 0
		.amdhsa_exception_fp_ieee_div_zero 0
		.amdhsa_exception_fp_ieee_overflow 0
		.amdhsa_exception_fp_ieee_underflow 0
		.amdhsa_exception_fp_ieee_inexact 0
		.amdhsa_exception_int_div_zero 0
	.end_amdhsa_kernel
	.section	.text._ZN7rocprim17ROCPRIM_400000_NS6detail17trampoline_kernelINS0_14default_configENS1_25partition_config_selectorILNS1_17partition_subalgoE6EtNS0_10empty_typeEbEEZZNS1_14partition_implILS5_6ELb0ES3_mN6thrust23THRUST_200600_302600_NS6detail15normal_iteratorINSA_10device_ptrItEEEEPS6_SG_NS0_5tupleIJSF_S6_EEENSH_IJSG_SG_EEES6_PlJ5mod_3ItEEEE10hipError_tPvRmT3_T4_T5_T6_T7_T9_mT8_P12ihipStream_tbDpT10_ENKUlT_T0_E_clISt17integral_constantIbLb1EES16_EEDaS11_S12_EUlS11_E_NS1_11comp_targetILNS1_3genE5ELNS1_11target_archE942ELNS1_3gpuE9ELNS1_3repE0EEENS1_30default_config_static_selectorELNS0_4arch9wavefront6targetE0EEEvT1_,"axG",@progbits,_ZN7rocprim17ROCPRIM_400000_NS6detail17trampoline_kernelINS0_14default_configENS1_25partition_config_selectorILNS1_17partition_subalgoE6EtNS0_10empty_typeEbEEZZNS1_14partition_implILS5_6ELb0ES3_mN6thrust23THRUST_200600_302600_NS6detail15normal_iteratorINSA_10device_ptrItEEEEPS6_SG_NS0_5tupleIJSF_S6_EEENSH_IJSG_SG_EEES6_PlJ5mod_3ItEEEE10hipError_tPvRmT3_T4_T5_T6_T7_T9_mT8_P12ihipStream_tbDpT10_ENKUlT_T0_E_clISt17integral_constantIbLb1EES16_EEDaS11_S12_EUlS11_E_NS1_11comp_targetILNS1_3genE5ELNS1_11target_archE942ELNS1_3gpuE9ELNS1_3repE0EEENS1_30default_config_static_selectorELNS0_4arch9wavefront6targetE0EEEvT1_,comdat
.Lfunc_end529:
	.size	_ZN7rocprim17ROCPRIM_400000_NS6detail17trampoline_kernelINS0_14default_configENS1_25partition_config_selectorILNS1_17partition_subalgoE6EtNS0_10empty_typeEbEEZZNS1_14partition_implILS5_6ELb0ES3_mN6thrust23THRUST_200600_302600_NS6detail15normal_iteratorINSA_10device_ptrItEEEEPS6_SG_NS0_5tupleIJSF_S6_EEENSH_IJSG_SG_EEES6_PlJ5mod_3ItEEEE10hipError_tPvRmT3_T4_T5_T6_T7_T9_mT8_P12ihipStream_tbDpT10_ENKUlT_T0_E_clISt17integral_constantIbLb1EES16_EEDaS11_S12_EUlS11_E_NS1_11comp_targetILNS1_3genE5ELNS1_11target_archE942ELNS1_3gpuE9ELNS1_3repE0EEENS1_30default_config_static_selectorELNS0_4arch9wavefront6targetE0EEEvT1_, .Lfunc_end529-_ZN7rocprim17ROCPRIM_400000_NS6detail17trampoline_kernelINS0_14default_configENS1_25partition_config_selectorILNS1_17partition_subalgoE6EtNS0_10empty_typeEbEEZZNS1_14partition_implILS5_6ELb0ES3_mN6thrust23THRUST_200600_302600_NS6detail15normal_iteratorINSA_10device_ptrItEEEEPS6_SG_NS0_5tupleIJSF_S6_EEENSH_IJSG_SG_EEES6_PlJ5mod_3ItEEEE10hipError_tPvRmT3_T4_T5_T6_T7_T9_mT8_P12ihipStream_tbDpT10_ENKUlT_T0_E_clISt17integral_constantIbLb1EES16_EEDaS11_S12_EUlS11_E_NS1_11comp_targetILNS1_3genE5ELNS1_11target_archE942ELNS1_3gpuE9ELNS1_3repE0EEENS1_30default_config_static_selectorELNS0_4arch9wavefront6targetE0EEEvT1_
                                        ; -- End function
	.section	.AMDGPU.csdata,"",@progbits
; Kernel info:
; codeLenInByte = 0
; NumSgprs: 0
; NumVgprs: 0
; ScratchSize: 0
; MemoryBound: 0
; FloatMode: 240
; IeeeMode: 1
; LDSByteSize: 0 bytes/workgroup (compile time only)
; SGPRBlocks: 0
; VGPRBlocks: 0
; NumSGPRsForWavesPerEU: 1
; NumVGPRsForWavesPerEU: 1
; Occupancy: 16
; WaveLimiterHint : 0
; COMPUTE_PGM_RSRC2:SCRATCH_EN: 0
; COMPUTE_PGM_RSRC2:USER_SGPR: 15
; COMPUTE_PGM_RSRC2:TRAP_HANDLER: 0
; COMPUTE_PGM_RSRC2:TGID_X_EN: 1
; COMPUTE_PGM_RSRC2:TGID_Y_EN: 0
; COMPUTE_PGM_RSRC2:TGID_Z_EN: 0
; COMPUTE_PGM_RSRC2:TIDIG_COMP_CNT: 0
	.section	.text._ZN7rocprim17ROCPRIM_400000_NS6detail17trampoline_kernelINS0_14default_configENS1_25partition_config_selectorILNS1_17partition_subalgoE6EtNS0_10empty_typeEbEEZZNS1_14partition_implILS5_6ELb0ES3_mN6thrust23THRUST_200600_302600_NS6detail15normal_iteratorINSA_10device_ptrItEEEEPS6_SG_NS0_5tupleIJSF_S6_EEENSH_IJSG_SG_EEES6_PlJ5mod_3ItEEEE10hipError_tPvRmT3_T4_T5_T6_T7_T9_mT8_P12ihipStream_tbDpT10_ENKUlT_T0_E_clISt17integral_constantIbLb1EES16_EEDaS11_S12_EUlS11_E_NS1_11comp_targetILNS1_3genE4ELNS1_11target_archE910ELNS1_3gpuE8ELNS1_3repE0EEENS1_30default_config_static_selectorELNS0_4arch9wavefront6targetE0EEEvT1_,"axG",@progbits,_ZN7rocprim17ROCPRIM_400000_NS6detail17trampoline_kernelINS0_14default_configENS1_25partition_config_selectorILNS1_17partition_subalgoE6EtNS0_10empty_typeEbEEZZNS1_14partition_implILS5_6ELb0ES3_mN6thrust23THRUST_200600_302600_NS6detail15normal_iteratorINSA_10device_ptrItEEEEPS6_SG_NS0_5tupleIJSF_S6_EEENSH_IJSG_SG_EEES6_PlJ5mod_3ItEEEE10hipError_tPvRmT3_T4_T5_T6_T7_T9_mT8_P12ihipStream_tbDpT10_ENKUlT_T0_E_clISt17integral_constantIbLb1EES16_EEDaS11_S12_EUlS11_E_NS1_11comp_targetILNS1_3genE4ELNS1_11target_archE910ELNS1_3gpuE8ELNS1_3repE0EEENS1_30default_config_static_selectorELNS0_4arch9wavefront6targetE0EEEvT1_,comdat
	.protected	_ZN7rocprim17ROCPRIM_400000_NS6detail17trampoline_kernelINS0_14default_configENS1_25partition_config_selectorILNS1_17partition_subalgoE6EtNS0_10empty_typeEbEEZZNS1_14partition_implILS5_6ELb0ES3_mN6thrust23THRUST_200600_302600_NS6detail15normal_iteratorINSA_10device_ptrItEEEEPS6_SG_NS0_5tupleIJSF_S6_EEENSH_IJSG_SG_EEES6_PlJ5mod_3ItEEEE10hipError_tPvRmT3_T4_T5_T6_T7_T9_mT8_P12ihipStream_tbDpT10_ENKUlT_T0_E_clISt17integral_constantIbLb1EES16_EEDaS11_S12_EUlS11_E_NS1_11comp_targetILNS1_3genE4ELNS1_11target_archE910ELNS1_3gpuE8ELNS1_3repE0EEENS1_30default_config_static_selectorELNS0_4arch9wavefront6targetE0EEEvT1_ ; -- Begin function _ZN7rocprim17ROCPRIM_400000_NS6detail17trampoline_kernelINS0_14default_configENS1_25partition_config_selectorILNS1_17partition_subalgoE6EtNS0_10empty_typeEbEEZZNS1_14partition_implILS5_6ELb0ES3_mN6thrust23THRUST_200600_302600_NS6detail15normal_iteratorINSA_10device_ptrItEEEEPS6_SG_NS0_5tupleIJSF_S6_EEENSH_IJSG_SG_EEES6_PlJ5mod_3ItEEEE10hipError_tPvRmT3_T4_T5_T6_T7_T9_mT8_P12ihipStream_tbDpT10_ENKUlT_T0_E_clISt17integral_constantIbLb1EES16_EEDaS11_S12_EUlS11_E_NS1_11comp_targetILNS1_3genE4ELNS1_11target_archE910ELNS1_3gpuE8ELNS1_3repE0EEENS1_30default_config_static_selectorELNS0_4arch9wavefront6targetE0EEEvT1_
	.globl	_ZN7rocprim17ROCPRIM_400000_NS6detail17trampoline_kernelINS0_14default_configENS1_25partition_config_selectorILNS1_17partition_subalgoE6EtNS0_10empty_typeEbEEZZNS1_14partition_implILS5_6ELb0ES3_mN6thrust23THRUST_200600_302600_NS6detail15normal_iteratorINSA_10device_ptrItEEEEPS6_SG_NS0_5tupleIJSF_S6_EEENSH_IJSG_SG_EEES6_PlJ5mod_3ItEEEE10hipError_tPvRmT3_T4_T5_T6_T7_T9_mT8_P12ihipStream_tbDpT10_ENKUlT_T0_E_clISt17integral_constantIbLb1EES16_EEDaS11_S12_EUlS11_E_NS1_11comp_targetILNS1_3genE4ELNS1_11target_archE910ELNS1_3gpuE8ELNS1_3repE0EEENS1_30default_config_static_selectorELNS0_4arch9wavefront6targetE0EEEvT1_
	.p2align	8
	.type	_ZN7rocprim17ROCPRIM_400000_NS6detail17trampoline_kernelINS0_14default_configENS1_25partition_config_selectorILNS1_17partition_subalgoE6EtNS0_10empty_typeEbEEZZNS1_14partition_implILS5_6ELb0ES3_mN6thrust23THRUST_200600_302600_NS6detail15normal_iteratorINSA_10device_ptrItEEEEPS6_SG_NS0_5tupleIJSF_S6_EEENSH_IJSG_SG_EEES6_PlJ5mod_3ItEEEE10hipError_tPvRmT3_T4_T5_T6_T7_T9_mT8_P12ihipStream_tbDpT10_ENKUlT_T0_E_clISt17integral_constantIbLb1EES16_EEDaS11_S12_EUlS11_E_NS1_11comp_targetILNS1_3genE4ELNS1_11target_archE910ELNS1_3gpuE8ELNS1_3repE0EEENS1_30default_config_static_selectorELNS0_4arch9wavefront6targetE0EEEvT1_,@function
_ZN7rocprim17ROCPRIM_400000_NS6detail17trampoline_kernelINS0_14default_configENS1_25partition_config_selectorILNS1_17partition_subalgoE6EtNS0_10empty_typeEbEEZZNS1_14partition_implILS5_6ELb0ES3_mN6thrust23THRUST_200600_302600_NS6detail15normal_iteratorINSA_10device_ptrItEEEEPS6_SG_NS0_5tupleIJSF_S6_EEENSH_IJSG_SG_EEES6_PlJ5mod_3ItEEEE10hipError_tPvRmT3_T4_T5_T6_T7_T9_mT8_P12ihipStream_tbDpT10_ENKUlT_T0_E_clISt17integral_constantIbLb1EES16_EEDaS11_S12_EUlS11_E_NS1_11comp_targetILNS1_3genE4ELNS1_11target_archE910ELNS1_3gpuE8ELNS1_3repE0EEENS1_30default_config_static_selectorELNS0_4arch9wavefront6targetE0EEEvT1_: ; @_ZN7rocprim17ROCPRIM_400000_NS6detail17trampoline_kernelINS0_14default_configENS1_25partition_config_selectorILNS1_17partition_subalgoE6EtNS0_10empty_typeEbEEZZNS1_14partition_implILS5_6ELb0ES3_mN6thrust23THRUST_200600_302600_NS6detail15normal_iteratorINSA_10device_ptrItEEEEPS6_SG_NS0_5tupleIJSF_S6_EEENSH_IJSG_SG_EEES6_PlJ5mod_3ItEEEE10hipError_tPvRmT3_T4_T5_T6_T7_T9_mT8_P12ihipStream_tbDpT10_ENKUlT_T0_E_clISt17integral_constantIbLb1EES16_EEDaS11_S12_EUlS11_E_NS1_11comp_targetILNS1_3genE4ELNS1_11target_archE910ELNS1_3gpuE8ELNS1_3repE0EEENS1_30default_config_static_selectorELNS0_4arch9wavefront6targetE0EEEvT1_
; %bb.0:
	.section	.rodata,"a",@progbits
	.p2align	6, 0x0
	.amdhsa_kernel _ZN7rocprim17ROCPRIM_400000_NS6detail17trampoline_kernelINS0_14default_configENS1_25partition_config_selectorILNS1_17partition_subalgoE6EtNS0_10empty_typeEbEEZZNS1_14partition_implILS5_6ELb0ES3_mN6thrust23THRUST_200600_302600_NS6detail15normal_iteratorINSA_10device_ptrItEEEEPS6_SG_NS0_5tupleIJSF_S6_EEENSH_IJSG_SG_EEES6_PlJ5mod_3ItEEEE10hipError_tPvRmT3_T4_T5_T6_T7_T9_mT8_P12ihipStream_tbDpT10_ENKUlT_T0_E_clISt17integral_constantIbLb1EES16_EEDaS11_S12_EUlS11_E_NS1_11comp_targetILNS1_3genE4ELNS1_11target_archE910ELNS1_3gpuE8ELNS1_3repE0EEENS1_30default_config_static_selectorELNS0_4arch9wavefront6targetE0EEEvT1_
		.amdhsa_group_segment_fixed_size 0
		.amdhsa_private_segment_fixed_size 0
		.amdhsa_kernarg_size 128
		.amdhsa_user_sgpr_count 15
		.amdhsa_user_sgpr_dispatch_ptr 0
		.amdhsa_user_sgpr_queue_ptr 0
		.amdhsa_user_sgpr_kernarg_segment_ptr 1
		.amdhsa_user_sgpr_dispatch_id 0
		.amdhsa_user_sgpr_private_segment_size 0
		.amdhsa_wavefront_size32 1
		.amdhsa_uses_dynamic_stack 0
		.amdhsa_enable_private_segment 0
		.amdhsa_system_sgpr_workgroup_id_x 1
		.amdhsa_system_sgpr_workgroup_id_y 0
		.amdhsa_system_sgpr_workgroup_id_z 0
		.amdhsa_system_sgpr_workgroup_info 0
		.amdhsa_system_vgpr_workitem_id 0
		.amdhsa_next_free_vgpr 1
		.amdhsa_next_free_sgpr 1
		.amdhsa_reserve_vcc 0
		.amdhsa_float_round_mode_32 0
		.amdhsa_float_round_mode_16_64 0
		.amdhsa_float_denorm_mode_32 3
		.amdhsa_float_denorm_mode_16_64 3
		.amdhsa_dx10_clamp 1
		.amdhsa_ieee_mode 1
		.amdhsa_fp16_overflow 0
		.amdhsa_workgroup_processor_mode 1
		.amdhsa_memory_ordered 1
		.amdhsa_forward_progress 0
		.amdhsa_shared_vgpr_count 0
		.amdhsa_exception_fp_ieee_invalid_op 0
		.amdhsa_exception_fp_denorm_src 0
		.amdhsa_exception_fp_ieee_div_zero 0
		.amdhsa_exception_fp_ieee_overflow 0
		.amdhsa_exception_fp_ieee_underflow 0
		.amdhsa_exception_fp_ieee_inexact 0
		.amdhsa_exception_int_div_zero 0
	.end_amdhsa_kernel
	.section	.text._ZN7rocprim17ROCPRIM_400000_NS6detail17trampoline_kernelINS0_14default_configENS1_25partition_config_selectorILNS1_17partition_subalgoE6EtNS0_10empty_typeEbEEZZNS1_14partition_implILS5_6ELb0ES3_mN6thrust23THRUST_200600_302600_NS6detail15normal_iteratorINSA_10device_ptrItEEEEPS6_SG_NS0_5tupleIJSF_S6_EEENSH_IJSG_SG_EEES6_PlJ5mod_3ItEEEE10hipError_tPvRmT3_T4_T5_T6_T7_T9_mT8_P12ihipStream_tbDpT10_ENKUlT_T0_E_clISt17integral_constantIbLb1EES16_EEDaS11_S12_EUlS11_E_NS1_11comp_targetILNS1_3genE4ELNS1_11target_archE910ELNS1_3gpuE8ELNS1_3repE0EEENS1_30default_config_static_selectorELNS0_4arch9wavefront6targetE0EEEvT1_,"axG",@progbits,_ZN7rocprim17ROCPRIM_400000_NS6detail17trampoline_kernelINS0_14default_configENS1_25partition_config_selectorILNS1_17partition_subalgoE6EtNS0_10empty_typeEbEEZZNS1_14partition_implILS5_6ELb0ES3_mN6thrust23THRUST_200600_302600_NS6detail15normal_iteratorINSA_10device_ptrItEEEEPS6_SG_NS0_5tupleIJSF_S6_EEENSH_IJSG_SG_EEES6_PlJ5mod_3ItEEEE10hipError_tPvRmT3_T4_T5_T6_T7_T9_mT8_P12ihipStream_tbDpT10_ENKUlT_T0_E_clISt17integral_constantIbLb1EES16_EEDaS11_S12_EUlS11_E_NS1_11comp_targetILNS1_3genE4ELNS1_11target_archE910ELNS1_3gpuE8ELNS1_3repE0EEENS1_30default_config_static_selectorELNS0_4arch9wavefront6targetE0EEEvT1_,comdat
.Lfunc_end530:
	.size	_ZN7rocprim17ROCPRIM_400000_NS6detail17trampoline_kernelINS0_14default_configENS1_25partition_config_selectorILNS1_17partition_subalgoE6EtNS0_10empty_typeEbEEZZNS1_14partition_implILS5_6ELb0ES3_mN6thrust23THRUST_200600_302600_NS6detail15normal_iteratorINSA_10device_ptrItEEEEPS6_SG_NS0_5tupleIJSF_S6_EEENSH_IJSG_SG_EEES6_PlJ5mod_3ItEEEE10hipError_tPvRmT3_T4_T5_T6_T7_T9_mT8_P12ihipStream_tbDpT10_ENKUlT_T0_E_clISt17integral_constantIbLb1EES16_EEDaS11_S12_EUlS11_E_NS1_11comp_targetILNS1_3genE4ELNS1_11target_archE910ELNS1_3gpuE8ELNS1_3repE0EEENS1_30default_config_static_selectorELNS0_4arch9wavefront6targetE0EEEvT1_, .Lfunc_end530-_ZN7rocprim17ROCPRIM_400000_NS6detail17trampoline_kernelINS0_14default_configENS1_25partition_config_selectorILNS1_17partition_subalgoE6EtNS0_10empty_typeEbEEZZNS1_14partition_implILS5_6ELb0ES3_mN6thrust23THRUST_200600_302600_NS6detail15normal_iteratorINSA_10device_ptrItEEEEPS6_SG_NS0_5tupleIJSF_S6_EEENSH_IJSG_SG_EEES6_PlJ5mod_3ItEEEE10hipError_tPvRmT3_T4_T5_T6_T7_T9_mT8_P12ihipStream_tbDpT10_ENKUlT_T0_E_clISt17integral_constantIbLb1EES16_EEDaS11_S12_EUlS11_E_NS1_11comp_targetILNS1_3genE4ELNS1_11target_archE910ELNS1_3gpuE8ELNS1_3repE0EEENS1_30default_config_static_selectorELNS0_4arch9wavefront6targetE0EEEvT1_
                                        ; -- End function
	.section	.AMDGPU.csdata,"",@progbits
; Kernel info:
; codeLenInByte = 0
; NumSgprs: 0
; NumVgprs: 0
; ScratchSize: 0
; MemoryBound: 0
; FloatMode: 240
; IeeeMode: 1
; LDSByteSize: 0 bytes/workgroup (compile time only)
; SGPRBlocks: 0
; VGPRBlocks: 0
; NumSGPRsForWavesPerEU: 1
; NumVGPRsForWavesPerEU: 1
; Occupancy: 16
; WaveLimiterHint : 0
; COMPUTE_PGM_RSRC2:SCRATCH_EN: 0
; COMPUTE_PGM_RSRC2:USER_SGPR: 15
; COMPUTE_PGM_RSRC2:TRAP_HANDLER: 0
; COMPUTE_PGM_RSRC2:TGID_X_EN: 1
; COMPUTE_PGM_RSRC2:TGID_Y_EN: 0
; COMPUTE_PGM_RSRC2:TGID_Z_EN: 0
; COMPUTE_PGM_RSRC2:TIDIG_COMP_CNT: 0
	.section	.text._ZN7rocprim17ROCPRIM_400000_NS6detail17trampoline_kernelINS0_14default_configENS1_25partition_config_selectorILNS1_17partition_subalgoE6EtNS0_10empty_typeEbEEZZNS1_14partition_implILS5_6ELb0ES3_mN6thrust23THRUST_200600_302600_NS6detail15normal_iteratorINSA_10device_ptrItEEEEPS6_SG_NS0_5tupleIJSF_S6_EEENSH_IJSG_SG_EEES6_PlJ5mod_3ItEEEE10hipError_tPvRmT3_T4_T5_T6_T7_T9_mT8_P12ihipStream_tbDpT10_ENKUlT_T0_E_clISt17integral_constantIbLb1EES16_EEDaS11_S12_EUlS11_E_NS1_11comp_targetILNS1_3genE3ELNS1_11target_archE908ELNS1_3gpuE7ELNS1_3repE0EEENS1_30default_config_static_selectorELNS0_4arch9wavefront6targetE0EEEvT1_,"axG",@progbits,_ZN7rocprim17ROCPRIM_400000_NS6detail17trampoline_kernelINS0_14default_configENS1_25partition_config_selectorILNS1_17partition_subalgoE6EtNS0_10empty_typeEbEEZZNS1_14partition_implILS5_6ELb0ES3_mN6thrust23THRUST_200600_302600_NS6detail15normal_iteratorINSA_10device_ptrItEEEEPS6_SG_NS0_5tupleIJSF_S6_EEENSH_IJSG_SG_EEES6_PlJ5mod_3ItEEEE10hipError_tPvRmT3_T4_T5_T6_T7_T9_mT8_P12ihipStream_tbDpT10_ENKUlT_T0_E_clISt17integral_constantIbLb1EES16_EEDaS11_S12_EUlS11_E_NS1_11comp_targetILNS1_3genE3ELNS1_11target_archE908ELNS1_3gpuE7ELNS1_3repE0EEENS1_30default_config_static_selectorELNS0_4arch9wavefront6targetE0EEEvT1_,comdat
	.protected	_ZN7rocprim17ROCPRIM_400000_NS6detail17trampoline_kernelINS0_14default_configENS1_25partition_config_selectorILNS1_17partition_subalgoE6EtNS0_10empty_typeEbEEZZNS1_14partition_implILS5_6ELb0ES3_mN6thrust23THRUST_200600_302600_NS6detail15normal_iteratorINSA_10device_ptrItEEEEPS6_SG_NS0_5tupleIJSF_S6_EEENSH_IJSG_SG_EEES6_PlJ5mod_3ItEEEE10hipError_tPvRmT3_T4_T5_T6_T7_T9_mT8_P12ihipStream_tbDpT10_ENKUlT_T0_E_clISt17integral_constantIbLb1EES16_EEDaS11_S12_EUlS11_E_NS1_11comp_targetILNS1_3genE3ELNS1_11target_archE908ELNS1_3gpuE7ELNS1_3repE0EEENS1_30default_config_static_selectorELNS0_4arch9wavefront6targetE0EEEvT1_ ; -- Begin function _ZN7rocprim17ROCPRIM_400000_NS6detail17trampoline_kernelINS0_14default_configENS1_25partition_config_selectorILNS1_17partition_subalgoE6EtNS0_10empty_typeEbEEZZNS1_14partition_implILS5_6ELb0ES3_mN6thrust23THRUST_200600_302600_NS6detail15normal_iteratorINSA_10device_ptrItEEEEPS6_SG_NS0_5tupleIJSF_S6_EEENSH_IJSG_SG_EEES6_PlJ5mod_3ItEEEE10hipError_tPvRmT3_T4_T5_T6_T7_T9_mT8_P12ihipStream_tbDpT10_ENKUlT_T0_E_clISt17integral_constantIbLb1EES16_EEDaS11_S12_EUlS11_E_NS1_11comp_targetILNS1_3genE3ELNS1_11target_archE908ELNS1_3gpuE7ELNS1_3repE0EEENS1_30default_config_static_selectorELNS0_4arch9wavefront6targetE0EEEvT1_
	.globl	_ZN7rocprim17ROCPRIM_400000_NS6detail17trampoline_kernelINS0_14default_configENS1_25partition_config_selectorILNS1_17partition_subalgoE6EtNS0_10empty_typeEbEEZZNS1_14partition_implILS5_6ELb0ES3_mN6thrust23THRUST_200600_302600_NS6detail15normal_iteratorINSA_10device_ptrItEEEEPS6_SG_NS0_5tupleIJSF_S6_EEENSH_IJSG_SG_EEES6_PlJ5mod_3ItEEEE10hipError_tPvRmT3_T4_T5_T6_T7_T9_mT8_P12ihipStream_tbDpT10_ENKUlT_T0_E_clISt17integral_constantIbLb1EES16_EEDaS11_S12_EUlS11_E_NS1_11comp_targetILNS1_3genE3ELNS1_11target_archE908ELNS1_3gpuE7ELNS1_3repE0EEENS1_30default_config_static_selectorELNS0_4arch9wavefront6targetE0EEEvT1_
	.p2align	8
	.type	_ZN7rocprim17ROCPRIM_400000_NS6detail17trampoline_kernelINS0_14default_configENS1_25partition_config_selectorILNS1_17partition_subalgoE6EtNS0_10empty_typeEbEEZZNS1_14partition_implILS5_6ELb0ES3_mN6thrust23THRUST_200600_302600_NS6detail15normal_iteratorINSA_10device_ptrItEEEEPS6_SG_NS0_5tupleIJSF_S6_EEENSH_IJSG_SG_EEES6_PlJ5mod_3ItEEEE10hipError_tPvRmT3_T4_T5_T6_T7_T9_mT8_P12ihipStream_tbDpT10_ENKUlT_T0_E_clISt17integral_constantIbLb1EES16_EEDaS11_S12_EUlS11_E_NS1_11comp_targetILNS1_3genE3ELNS1_11target_archE908ELNS1_3gpuE7ELNS1_3repE0EEENS1_30default_config_static_selectorELNS0_4arch9wavefront6targetE0EEEvT1_,@function
_ZN7rocprim17ROCPRIM_400000_NS6detail17trampoline_kernelINS0_14default_configENS1_25partition_config_selectorILNS1_17partition_subalgoE6EtNS0_10empty_typeEbEEZZNS1_14partition_implILS5_6ELb0ES3_mN6thrust23THRUST_200600_302600_NS6detail15normal_iteratorINSA_10device_ptrItEEEEPS6_SG_NS0_5tupleIJSF_S6_EEENSH_IJSG_SG_EEES6_PlJ5mod_3ItEEEE10hipError_tPvRmT3_T4_T5_T6_T7_T9_mT8_P12ihipStream_tbDpT10_ENKUlT_T0_E_clISt17integral_constantIbLb1EES16_EEDaS11_S12_EUlS11_E_NS1_11comp_targetILNS1_3genE3ELNS1_11target_archE908ELNS1_3gpuE7ELNS1_3repE0EEENS1_30default_config_static_selectorELNS0_4arch9wavefront6targetE0EEEvT1_: ; @_ZN7rocprim17ROCPRIM_400000_NS6detail17trampoline_kernelINS0_14default_configENS1_25partition_config_selectorILNS1_17partition_subalgoE6EtNS0_10empty_typeEbEEZZNS1_14partition_implILS5_6ELb0ES3_mN6thrust23THRUST_200600_302600_NS6detail15normal_iteratorINSA_10device_ptrItEEEEPS6_SG_NS0_5tupleIJSF_S6_EEENSH_IJSG_SG_EEES6_PlJ5mod_3ItEEEE10hipError_tPvRmT3_T4_T5_T6_T7_T9_mT8_P12ihipStream_tbDpT10_ENKUlT_T0_E_clISt17integral_constantIbLb1EES16_EEDaS11_S12_EUlS11_E_NS1_11comp_targetILNS1_3genE3ELNS1_11target_archE908ELNS1_3gpuE7ELNS1_3repE0EEENS1_30default_config_static_selectorELNS0_4arch9wavefront6targetE0EEEvT1_
; %bb.0:
	.section	.rodata,"a",@progbits
	.p2align	6, 0x0
	.amdhsa_kernel _ZN7rocprim17ROCPRIM_400000_NS6detail17trampoline_kernelINS0_14default_configENS1_25partition_config_selectorILNS1_17partition_subalgoE6EtNS0_10empty_typeEbEEZZNS1_14partition_implILS5_6ELb0ES3_mN6thrust23THRUST_200600_302600_NS6detail15normal_iteratorINSA_10device_ptrItEEEEPS6_SG_NS0_5tupleIJSF_S6_EEENSH_IJSG_SG_EEES6_PlJ5mod_3ItEEEE10hipError_tPvRmT3_T4_T5_T6_T7_T9_mT8_P12ihipStream_tbDpT10_ENKUlT_T0_E_clISt17integral_constantIbLb1EES16_EEDaS11_S12_EUlS11_E_NS1_11comp_targetILNS1_3genE3ELNS1_11target_archE908ELNS1_3gpuE7ELNS1_3repE0EEENS1_30default_config_static_selectorELNS0_4arch9wavefront6targetE0EEEvT1_
		.amdhsa_group_segment_fixed_size 0
		.amdhsa_private_segment_fixed_size 0
		.amdhsa_kernarg_size 128
		.amdhsa_user_sgpr_count 15
		.amdhsa_user_sgpr_dispatch_ptr 0
		.amdhsa_user_sgpr_queue_ptr 0
		.amdhsa_user_sgpr_kernarg_segment_ptr 1
		.amdhsa_user_sgpr_dispatch_id 0
		.amdhsa_user_sgpr_private_segment_size 0
		.amdhsa_wavefront_size32 1
		.amdhsa_uses_dynamic_stack 0
		.amdhsa_enable_private_segment 0
		.amdhsa_system_sgpr_workgroup_id_x 1
		.amdhsa_system_sgpr_workgroup_id_y 0
		.amdhsa_system_sgpr_workgroup_id_z 0
		.amdhsa_system_sgpr_workgroup_info 0
		.amdhsa_system_vgpr_workitem_id 0
		.amdhsa_next_free_vgpr 1
		.amdhsa_next_free_sgpr 1
		.amdhsa_reserve_vcc 0
		.amdhsa_float_round_mode_32 0
		.amdhsa_float_round_mode_16_64 0
		.amdhsa_float_denorm_mode_32 3
		.amdhsa_float_denorm_mode_16_64 3
		.amdhsa_dx10_clamp 1
		.amdhsa_ieee_mode 1
		.amdhsa_fp16_overflow 0
		.amdhsa_workgroup_processor_mode 1
		.amdhsa_memory_ordered 1
		.amdhsa_forward_progress 0
		.amdhsa_shared_vgpr_count 0
		.amdhsa_exception_fp_ieee_invalid_op 0
		.amdhsa_exception_fp_denorm_src 0
		.amdhsa_exception_fp_ieee_div_zero 0
		.amdhsa_exception_fp_ieee_overflow 0
		.amdhsa_exception_fp_ieee_underflow 0
		.amdhsa_exception_fp_ieee_inexact 0
		.amdhsa_exception_int_div_zero 0
	.end_amdhsa_kernel
	.section	.text._ZN7rocprim17ROCPRIM_400000_NS6detail17trampoline_kernelINS0_14default_configENS1_25partition_config_selectorILNS1_17partition_subalgoE6EtNS0_10empty_typeEbEEZZNS1_14partition_implILS5_6ELb0ES3_mN6thrust23THRUST_200600_302600_NS6detail15normal_iteratorINSA_10device_ptrItEEEEPS6_SG_NS0_5tupleIJSF_S6_EEENSH_IJSG_SG_EEES6_PlJ5mod_3ItEEEE10hipError_tPvRmT3_T4_T5_T6_T7_T9_mT8_P12ihipStream_tbDpT10_ENKUlT_T0_E_clISt17integral_constantIbLb1EES16_EEDaS11_S12_EUlS11_E_NS1_11comp_targetILNS1_3genE3ELNS1_11target_archE908ELNS1_3gpuE7ELNS1_3repE0EEENS1_30default_config_static_selectorELNS0_4arch9wavefront6targetE0EEEvT1_,"axG",@progbits,_ZN7rocprim17ROCPRIM_400000_NS6detail17trampoline_kernelINS0_14default_configENS1_25partition_config_selectorILNS1_17partition_subalgoE6EtNS0_10empty_typeEbEEZZNS1_14partition_implILS5_6ELb0ES3_mN6thrust23THRUST_200600_302600_NS6detail15normal_iteratorINSA_10device_ptrItEEEEPS6_SG_NS0_5tupleIJSF_S6_EEENSH_IJSG_SG_EEES6_PlJ5mod_3ItEEEE10hipError_tPvRmT3_T4_T5_T6_T7_T9_mT8_P12ihipStream_tbDpT10_ENKUlT_T0_E_clISt17integral_constantIbLb1EES16_EEDaS11_S12_EUlS11_E_NS1_11comp_targetILNS1_3genE3ELNS1_11target_archE908ELNS1_3gpuE7ELNS1_3repE0EEENS1_30default_config_static_selectorELNS0_4arch9wavefront6targetE0EEEvT1_,comdat
.Lfunc_end531:
	.size	_ZN7rocprim17ROCPRIM_400000_NS6detail17trampoline_kernelINS0_14default_configENS1_25partition_config_selectorILNS1_17partition_subalgoE6EtNS0_10empty_typeEbEEZZNS1_14partition_implILS5_6ELb0ES3_mN6thrust23THRUST_200600_302600_NS6detail15normal_iteratorINSA_10device_ptrItEEEEPS6_SG_NS0_5tupleIJSF_S6_EEENSH_IJSG_SG_EEES6_PlJ5mod_3ItEEEE10hipError_tPvRmT3_T4_T5_T6_T7_T9_mT8_P12ihipStream_tbDpT10_ENKUlT_T0_E_clISt17integral_constantIbLb1EES16_EEDaS11_S12_EUlS11_E_NS1_11comp_targetILNS1_3genE3ELNS1_11target_archE908ELNS1_3gpuE7ELNS1_3repE0EEENS1_30default_config_static_selectorELNS0_4arch9wavefront6targetE0EEEvT1_, .Lfunc_end531-_ZN7rocprim17ROCPRIM_400000_NS6detail17trampoline_kernelINS0_14default_configENS1_25partition_config_selectorILNS1_17partition_subalgoE6EtNS0_10empty_typeEbEEZZNS1_14partition_implILS5_6ELb0ES3_mN6thrust23THRUST_200600_302600_NS6detail15normal_iteratorINSA_10device_ptrItEEEEPS6_SG_NS0_5tupleIJSF_S6_EEENSH_IJSG_SG_EEES6_PlJ5mod_3ItEEEE10hipError_tPvRmT3_T4_T5_T6_T7_T9_mT8_P12ihipStream_tbDpT10_ENKUlT_T0_E_clISt17integral_constantIbLb1EES16_EEDaS11_S12_EUlS11_E_NS1_11comp_targetILNS1_3genE3ELNS1_11target_archE908ELNS1_3gpuE7ELNS1_3repE0EEENS1_30default_config_static_selectorELNS0_4arch9wavefront6targetE0EEEvT1_
                                        ; -- End function
	.section	.AMDGPU.csdata,"",@progbits
; Kernel info:
; codeLenInByte = 0
; NumSgprs: 0
; NumVgprs: 0
; ScratchSize: 0
; MemoryBound: 0
; FloatMode: 240
; IeeeMode: 1
; LDSByteSize: 0 bytes/workgroup (compile time only)
; SGPRBlocks: 0
; VGPRBlocks: 0
; NumSGPRsForWavesPerEU: 1
; NumVGPRsForWavesPerEU: 1
; Occupancy: 16
; WaveLimiterHint : 0
; COMPUTE_PGM_RSRC2:SCRATCH_EN: 0
; COMPUTE_PGM_RSRC2:USER_SGPR: 15
; COMPUTE_PGM_RSRC2:TRAP_HANDLER: 0
; COMPUTE_PGM_RSRC2:TGID_X_EN: 1
; COMPUTE_PGM_RSRC2:TGID_Y_EN: 0
; COMPUTE_PGM_RSRC2:TGID_Z_EN: 0
; COMPUTE_PGM_RSRC2:TIDIG_COMP_CNT: 0
	.section	.text._ZN7rocprim17ROCPRIM_400000_NS6detail17trampoline_kernelINS0_14default_configENS1_25partition_config_selectorILNS1_17partition_subalgoE6EtNS0_10empty_typeEbEEZZNS1_14partition_implILS5_6ELb0ES3_mN6thrust23THRUST_200600_302600_NS6detail15normal_iteratorINSA_10device_ptrItEEEEPS6_SG_NS0_5tupleIJSF_S6_EEENSH_IJSG_SG_EEES6_PlJ5mod_3ItEEEE10hipError_tPvRmT3_T4_T5_T6_T7_T9_mT8_P12ihipStream_tbDpT10_ENKUlT_T0_E_clISt17integral_constantIbLb1EES16_EEDaS11_S12_EUlS11_E_NS1_11comp_targetILNS1_3genE2ELNS1_11target_archE906ELNS1_3gpuE6ELNS1_3repE0EEENS1_30default_config_static_selectorELNS0_4arch9wavefront6targetE0EEEvT1_,"axG",@progbits,_ZN7rocprim17ROCPRIM_400000_NS6detail17trampoline_kernelINS0_14default_configENS1_25partition_config_selectorILNS1_17partition_subalgoE6EtNS0_10empty_typeEbEEZZNS1_14partition_implILS5_6ELb0ES3_mN6thrust23THRUST_200600_302600_NS6detail15normal_iteratorINSA_10device_ptrItEEEEPS6_SG_NS0_5tupleIJSF_S6_EEENSH_IJSG_SG_EEES6_PlJ5mod_3ItEEEE10hipError_tPvRmT3_T4_T5_T6_T7_T9_mT8_P12ihipStream_tbDpT10_ENKUlT_T0_E_clISt17integral_constantIbLb1EES16_EEDaS11_S12_EUlS11_E_NS1_11comp_targetILNS1_3genE2ELNS1_11target_archE906ELNS1_3gpuE6ELNS1_3repE0EEENS1_30default_config_static_selectorELNS0_4arch9wavefront6targetE0EEEvT1_,comdat
	.protected	_ZN7rocprim17ROCPRIM_400000_NS6detail17trampoline_kernelINS0_14default_configENS1_25partition_config_selectorILNS1_17partition_subalgoE6EtNS0_10empty_typeEbEEZZNS1_14partition_implILS5_6ELb0ES3_mN6thrust23THRUST_200600_302600_NS6detail15normal_iteratorINSA_10device_ptrItEEEEPS6_SG_NS0_5tupleIJSF_S6_EEENSH_IJSG_SG_EEES6_PlJ5mod_3ItEEEE10hipError_tPvRmT3_T4_T5_T6_T7_T9_mT8_P12ihipStream_tbDpT10_ENKUlT_T0_E_clISt17integral_constantIbLb1EES16_EEDaS11_S12_EUlS11_E_NS1_11comp_targetILNS1_3genE2ELNS1_11target_archE906ELNS1_3gpuE6ELNS1_3repE0EEENS1_30default_config_static_selectorELNS0_4arch9wavefront6targetE0EEEvT1_ ; -- Begin function _ZN7rocprim17ROCPRIM_400000_NS6detail17trampoline_kernelINS0_14default_configENS1_25partition_config_selectorILNS1_17partition_subalgoE6EtNS0_10empty_typeEbEEZZNS1_14partition_implILS5_6ELb0ES3_mN6thrust23THRUST_200600_302600_NS6detail15normal_iteratorINSA_10device_ptrItEEEEPS6_SG_NS0_5tupleIJSF_S6_EEENSH_IJSG_SG_EEES6_PlJ5mod_3ItEEEE10hipError_tPvRmT3_T4_T5_T6_T7_T9_mT8_P12ihipStream_tbDpT10_ENKUlT_T0_E_clISt17integral_constantIbLb1EES16_EEDaS11_S12_EUlS11_E_NS1_11comp_targetILNS1_3genE2ELNS1_11target_archE906ELNS1_3gpuE6ELNS1_3repE0EEENS1_30default_config_static_selectorELNS0_4arch9wavefront6targetE0EEEvT1_
	.globl	_ZN7rocprim17ROCPRIM_400000_NS6detail17trampoline_kernelINS0_14default_configENS1_25partition_config_selectorILNS1_17partition_subalgoE6EtNS0_10empty_typeEbEEZZNS1_14partition_implILS5_6ELb0ES3_mN6thrust23THRUST_200600_302600_NS6detail15normal_iteratorINSA_10device_ptrItEEEEPS6_SG_NS0_5tupleIJSF_S6_EEENSH_IJSG_SG_EEES6_PlJ5mod_3ItEEEE10hipError_tPvRmT3_T4_T5_T6_T7_T9_mT8_P12ihipStream_tbDpT10_ENKUlT_T0_E_clISt17integral_constantIbLb1EES16_EEDaS11_S12_EUlS11_E_NS1_11comp_targetILNS1_3genE2ELNS1_11target_archE906ELNS1_3gpuE6ELNS1_3repE0EEENS1_30default_config_static_selectorELNS0_4arch9wavefront6targetE0EEEvT1_
	.p2align	8
	.type	_ZN7rocprim17ROCPRIM_400000_NS6detail17trampoline_kernelINS0_14default_configENS1_25partition_config_selectorILNS1_17partition_subalgoE6EtNS0_10empty_typeEbEEZZNS1_14partition_implILS5_6ELb0ES3_mN6thrust23THRUST_200600_302600_NS6detail15normal_iteratorINSA_10device_ptrItEEEEPS6_SG_NS0_5tupleIJSF_S6_EEENSH_IJSG_SG_EEES6_PlJ5mod_3ItEEEE10hipError_tPvRmT3_T4_T5_T6_T7_T9_mT8_P12ihipStream_tbDpT10_ENKUlT_T0_E_clISt17integral_constantIbLb1EES16_EEDaS11_S12_EUlS11_E_NS1_11comp_targetILNS1_3genE2ELNS1_11target_archE906ELNS1_3gpuE6ELNS1_3repE0EEENS1_30default_config_static_selectorELNS0_4arch9wavefront6targetE0EEEvT1_,@function
_ZN7rocprim17ROCPRIM_400000_NS6detail17trampoline_kernelINS0_14default_configENS1_25partition_config_selectorILNS1_17partition_subalgoE6EtNS0_10empty_typeEbEEZZNS1_14partition_implILS5_6ELb0ES3_mN6thrust23THRUST_200600_302600_NS6detail15normal_iteratorINSA_10device_ptrItEEEEPS6_SG_NS0_5tupleIJSF_S6_EEENSH_IJSG_SG_EEES6_PlJ5mod_3ItEEEE10hipError_tPvRmT3_T4_T5_T6_T7_T9_mT8_P12ihipStream_tbDpT10_ENKUlT_T0_E_clISt17integral_constantIbLb1EES16_EEDaS11_S12_EUlS11_E_NS1_11comp_targetILNS1_3genE2ELNS1_11target_archE906ELNS1_3gpuE6ELNS1_3repE0EEENS1_30default_config_static_selectorELNS0_4arch9wavefront6targetE0EEEvT1_: ; @_ZN7rocprim17ROCPRIM_400000_NS6detail17trampoline_kernelINS0_14default_configENS1_25partition_config_selectorILNS1_17partition_subalgoE6EtNS0_10empty_typeEbEEZZNS1_14partition_implILS5_6ELb0ES3_mN6thrust23THRUST_200600_302600_NS6detail15normal_iteratorINSA_10device_ptrItEEEEPS6_SG_NS0_5tupleIJSF_S6_EEENSH_IJSG_SG_EEES6_PlJ5mod_3ItEEEE10hipError_tPvRmT3_T4_T5_T6_T7_T9_mT8_P12ihipStream_tbDpT10_ENKUlT_T0_E_clISt17integral_constantIbLb1EES16_EEDaS11_S12_EUlS11_E_NS1_11comp_targetILNS1_3genE2ELNS1_11target_archE906ELNS1_3gpuE6ELNS1_3repE0EEENS1_30default_config_static_selectorELNS0_4arch9wavefront6targetE0EEEvT1_
; %bb.0:
	.section	.rodata,"a",@progbits
	.p2align	6, 0x0
	.amdhsa_kernel _ZN7rocprim17ROCPRIM_400000_NS6detail17trampoline_kernelINS0_14default_configENS1_25partition_config_selectorILNS1_17partition_subalgoE6EtNS0_10empty_typeEbEEZZNS1_14partition_implILS5_6ELb0ES3_mN6thrust23THRUST_200600_302600_NS6detail15normal_iteratorINSA_10device_ptrItEEEEPS6_SG_NS0_5tupleIJSF_S6_EEENSH_IJSG_SG_EEES6_PlJ5mod_3ItEEEE10hipError_tPvRmT3_T4_T5_T6_T7_T9_mT8_P12ihipStream_tbDpT10_ENKUlT_T0_E_clISt17integral_constantIbLb1EES16_EEDaS11_S12_EUlS11_E_NS1_11comp_targetILNS1_3genE2ELNS1_11target_archE906ELNS1_3gpuE6ELNS1_3repE0EEENS1_30default_config_static_selectorELNS0_4arch9wavefront6targetE0EEEvT1_
		.amdhsa_group_segment_fixed_size 0
		.amdhsa_private_segment_fixed_size 0
		.amdhsa_kernarg_size 128
		.amdhsa_user_sgpr_count 15
		.amdhsa_user_sgpr_dispatch_ptr 0
		.amdhsa_user_sgpr_queue_ptr 0
		.amdhsa_user_sgpr_kernarg_segment_ptr 1
		.amdhsa_user_sgpr_dispatch_id 0
		.amdhsa_user_sgpr_private_segment_size 0
		.amdhsa_wavefront_size32 1
		.amdhsa_uses_dynamic_stack 0
		.amdhsa_enable_private_segment 0
		.amdhsa_system_sgpr_workgroup_id_x 1
		.amdhsa_system_sgpr_workgroup_id_y 0
		.amdhsa_system_sgpr_workgroup_id_z 0
		.amdhsa_system_sgpr_workgroup_info 0
		.amdhsa_system_vgpr_workitem_id 0
		.amdhsa_next_free_vgpr 1
		.amdhsa_next_free_sgpr 1
		.amdhsa_reserve_vcc 0
		.amdhsa_float_round_mode_32 0
		.amdhsa_float_round_mode_16_64 0
		.amdhsa_float_denorm_mode_32 3
		.amdhsa_float_denorm_mode_16_64 3
		.amdhsa_dx10_clamp 1
		.amdhsa_ieee_mode 1
		.amdhsa_fp16_overflow 0
		.amdhsa_workgroup_processor_mode 1
		.amdhsa_memory_ordered 1
		.amdhsa_forward_progress 0
		.amdhsa_shared_vgpr_count 0
		.amdhsa_exception_fp_ieee_invalid_op 0
		.amdhsa_exception_fp_denorm_src 0
		.amdhsa_exception_fp_ieee_div_zero 0
		.amdhsa_exception_fp_ieee_overflow 0
		.amdhsa_exception_fp_ieee_underflow 0
		.amdhsa_exception_fp_ieee_inexact 0
		.amdhsa_exception_int_div_zero 0
	.end_amdhsa_kernel
	.section	.text._ZN7rocprim17ROCPRIM_400000_NS6detail17trampoline_kernelINS0_14default_configENS1_25partition_config_selectorILNS1_17partition_subalgoE6EtNS0_10empty_typeEbEEZZNS1_14partition_implILS5_6ELb0ES3_mN6thrust23THRUST_200600_302600_NS6detail15normal_iteratorINSA_10device_ptrItEEEEPS6_SG_NS0_5tupleIJSF_S6_EEENSH_IJSG_SG_EEES6_PlJ5mod_3ItEEEE10hipError_tPvRmT3_T4_T5_T6_T7_T9_mT8_P12ihipStream_tbDpT10_ENKUlT_T0_E_clISt17integral_constantIbLb1EES16_EEDaS11_S12_EUlS11_E_NS1_11comp_targetILNS1_3genE2ELNS1_11target_archE906ELNS1_3gpuE6ELNS1_3repE0EEENS1_30default_config_static_selectorELNS0_4arch9wavefront6targetE0EEEvT1_,"axG",@progbits,_ZN7rocprim17ROCPRIM_400000_NS6detail17trampoline_kernelINS0_14default_configENS1_25partition_config_selectorILNS1_17partition_subalgoE6EtNS0_10empty_typeEbEEZZNS1_14partition_implILS5_6ELb0ES3_mN6thrust23THRUST_200600_302600_NS6detail15normal_iteratorINSA_10device_ptrItEEEEPS6_SG_NS0_5tupleIJSF_S6_EEENSH_IJSG_SG_EEES6_PlJ5mod_3ItEEEE10hipError_tPvRmT3_T4_T5_T6_T7_T9_mT8_P12ihipStream_tbDpT10_ENKUlT_T0_E_clISt17integral_constantIbLb1EES16_EEDaS11_S12_EUlS11_E_NS1_11comp_targetILNS1_3genE2ELNS1_11target_archE906ELNS1_3gpuE6ELNS1_3repE0EEENS1_30default_config_static_selectorELNS0_4arch9wavefront6targetE0EEEvT1_,comdat
.Lfunc_end532:
	.size	_ZN7rocprim17ROCPRIM_400000_NS6detail17trampoline_kernelINS0_14default_configENS1_25partition_config_selectorILNS1_17partition_subalgoE6EtNS0_10empty_typeEbEEZZNS1_14partition_implILS5_6ELb0ES3_mN6thrust23THRUST_200600_302600_NS6detail15normal_iteratorINSA_10device_ptrItEEEEPS6_SG_NS0_5tupleIJSF_S6_EEENSH_IJSG_SG_EEES6_PlJ5mod_3ItEEEE10hipError_tPvRmT3_T4_T5_T6_T7_T9_mT8_P12ihipStream_tbDpT10_ENKUlT_T0_E_clISt17integral_constantIbLb1EES16_EEDaS11_S12_EUlS11_E_NS1_11comp_targetILNS1_3genE2ELNS1_11target_archE906ELNS1_3gpuE6ELNS1_3repE0EEENS1_30default_config_static_selectorELNS0_4arch9wavefront6targetE0EEEvT1_, .Lfunc_end532-_ZN7rocprim17ROCPRIM_400000_NS6detail17trampoline_kernelINS0_14default_configENS1_25partition_config_selectorILNS1_17partition_subalgoE6EtNS0_10empty_typeEbEEZZNS1_14partition_implILS5_6ELb0ES3_mN6thrust23THRUST_200600_302600_NS6detail15normal_iteratorINSA_10device_ptrItEEEEPS6_SG_NS0_5tupleIJSF_S6_EEENSH_IJSG_SG_EEES6_PlJ5mod_3ItEEEE10hipError_tPvRmT3_T4_T5_T6_T7_T9_mT8_P12ihipStream_tbDpT10_ENKUlT_T0_E_clISt17integral_constantIbLb1EES16_EEDaS11_S12_EUlS11_E_NS1_11comp_targetILNS1_3genE2ELNS1_11target_archE906ELNS1_3gpuE6ELNS1_3repE0EEENS1_30default_config_static_selectorELNS0_4arch9wavefront6targetE0EEEvT1_
                                        ; -- End function
	.section	.AMDGPU.csdata,"",@progbits
; Kernel info:
; codeLenInByte = 0
; NumSgprs: 0
; NumVgprs: 0
; ScratchSize: 0
; MemoryBound: 0
; FloatMode: 240
; IeeeMode: 1
; LDSByteSize: 0 bytes/workgroup (compile time only)
; SGPRBlocks: 0
; VGPRBlocks: 0
; NumSGPRsForWavesPerEU: 1
; NumVGPRsForWavesPerEU: 1
; Occupancy: 16
; WaveLimiterHint : 0
; COMPUTE_PGM_RSRC2:SCRATCH_EN: 0
; COMPUTE_PGM_RSRC2:USER_SGPR: 15
; COMPUTE_PGM_RSRC2:TRAP_HANDLER: 0
; COMPUTE_PGM_RSRC2:TGID_X_EN: 1
; COMPUTE_PGM_RSRC2:TGID_Y_EN: 0
; COMPUTE_PGM_RSRC2:TGID_Z_EN: 0
; COMPUTE_PGM_RSRC2:TIDIG_COMP_CNT: 0
	.section	.text._ZN7rocprim17ROCPRIM_400000_NS6detail17trampoline_kernelINS0_14default_configENS1_25partition_config_selectorILNS1_17partition_subalgoE6EtNS0_10empty_typeEbEEZZNS1_14partition_implILS5_6ELb0ES3_mN6thrust23THRUST_200600_302600_NS6detail15normal_iteratorINSA_10device_ptrItEEEEPS6_SG_NS0_5tupleIJSF_S6_EEENSH_IJSG_SG_EEES6_PlJ5mod_3ItEEEE10hipError_tPvRmT3_T4_T5_T6_T7_T9_mT8_P12ihipStream_tbDpT10_ENKUlT_T0_E_clISt17integral_constantIbLb1EES16_EEDaS11_S12_EUlS11_E_NS1_11comp_targetILNS1_3genE10ELNS1_11target_archE1200ELNS1_3gpuE4ELNS1_3repE0EEENS1_30default_config_static_selectorELNS0_4arch9wavefront6targetE0EEEvT1_,"axG",@progbits,_ZN7rocprim17ROCPRIM_400000_NS6detail17trampoline_kernelINS0_14default_configENS1_25partition_config_selectorILNS1_17partition_subalgoE6EtNS0_10empty_typeEbEEZZNS1_14partition_implILS5_6ELb0ES3_mN6thrust23THRUST_200600_302600_NS6detail15normal_iteratorINSA_10device_ptrItEEEEPS6_SG_NS0_5tupleIJSF_S6_EEENSH_IJSG_SG_EEES6_PlJ5mod_3ItEEEE10hipError_tPvRmT3_T4_T5_T6_T7_T9_mT8_P12ihipStream_tbDpT10_ENKUlT_T0_E_clISt17integral_constantIbLb1EES16_EEDaS11_S12_EUlS11_E_NS1_11comp_targetILNS1_3genE10ELNS1_11target_archE1200ELNS1_3gpuE4ELNS1_3repE0EEENS1_30default_config_static_selectorELNS0_4arch9wavefront6targetE0EEEvT1_,comdat
	.protected	_ZN7rocprim17ROCPRIM_400000_NS6detail17trampoline_kernelINS0_14default_configENS1_25partition_config_selectorILNS1_17partition_subalgoE6EtNS0_10empty_typeEbEEZZNS1_14partition_implILS5_6ELb0ES3_mN6thrust23THRUST_200600_302600_NS6detail15normal_iteratorINSA_10device_ptrItEEEEPS6_SG_NS0_5tupleIJSF_S6_EEENSH_IJSG_SG_EEES6_PlJ5mod_3ItEEEE10hipError_tPvRmT3_T4_T5_T6_T7_T9_mT8_P12ihipStream_tbDpT10_ENKUlT_T0_E_clISt17integral_constantIbLb1EES16_EEDaS11_S12_EUlS11_E_NS1_11comp_targetILNS1_3genE10ELNS1_11target_archE1200ELNS1_3gpuE4ELNS1_3repE0EEENS1_30default_config_static_selectorELNS0_4arch9wavefront6targetE0EEEvT1_ ; -- Begin function _ZN7rocprim17ROCPRIM_400000_NS6detail17trampoline_kernelINS0_14default_configENS1_25partition_config_selectorILNS1_17partition_subalgoE6EtNS0_10empty_typeEbEEZZNS1_14partition_implILS5_6ELb0ES3_mN6thrust23THRUST_200600_302600_NS6detail15normal_iteratorINSA_10device_ptrItEEEEPS6_SG_NS0_5tupleIJSF_S6_EEENSH_IJSG_SG_EEES6_PlJ5mod_3ItEEEE10hipError_tPvRmT3_T4_T5_T6_T7_T9_mT8_P12ihipStream_tbDpT10_ENKUlT_T0_E_clISt17integral_constantIbLb1EES16_EEDaS11_S12_EUlS11_E_NS1_11comp_targetILNS1_3genE10ELNS1_11target_archE1200ELNS1_3gpuE4ELNS1_3repE0EEENS1_30default_config_static_selectorELNS0_4arch9wavefront6targetE0EEEvT1_
	.globl	_ZN7rocprim17ROCPRIM_400000_NS6detail17trampoline_kernelINS0_14default_configENS1_25partition_config_selectorILNS1_17partition_subalgoE6EtNS0_10empty_typeEbEEZZNS1_14partition_implILS5_6ELb0ES3_mN6thrust23THRUST_200600_302600_NS6detail15normal_iteratorINSA_10device_ptrItEEEEPS6_SG_NS0_5tupleIJSF_S6_EEENSH_IJSG_SG_EEES6_PlJ5mod_3ItEEEE10hipError_tPvRmT3_T4_T5_T6_T7_T9_mT8_P12ihipStream_tbDpT10_ENKUlT_T0_E_clISt17integral_constantIbLb1EES16_EEDaS11_S12_EUlS11_E_NS1_11comp_targetILNS1_3genE10ELNS1_11target_archE1200ELNS1_3gpuE4ELNS1_3repE0EEENS1_30default_config_static_selectorELNS0_4arch9wavefront6targetE0EEEvT1_
	.p2align	8
	.type	_ZN7rocprim17ROCPRIM_400000_NS6detail17trampoline_kernelINS0_14default_configENS1_25partition_config_selectorILNS1_17partition_subalgoE6EtNS0_10empty_typeEbEEZZNS1_14partition_implILS5_6ELb0ES3_mN6thrust23THRUST_200600_302600_NS6detail15normal_iteratorINSA_10device_ptrItEEEEPS6_SG_NS0_5tupleIJSF_S6_EEENSH_IJSG_SG_EEES6_PlJ5mod_3ItEEEE10hipError_tPvRmT3_T4_T5_T6_T7_T9_mT8_P12ihipStream_tbDpT10_ENKUlT_T0_E_clISt17integral_constantIbLb1EES16_EEDaS11_S12_EUlS11_E_NS1_11comp_targetILNS1_3genE10ELNS1_11target_archE1200ELNS1_3gpuE4ELNS1_3repE0EEENS1_30default_config_static_selectorELNS0_4arch9wavefront6targetE0EEEvT1_,@function
_ZN7rocprim17ROCPRIM_400000_NS6detail17trampoline_kernelINS0_14default_configENS1_25partition_config_selectorILNS1_17partition_subalgoE6EtNS0_10empty_typeEbEEZZNS1_14partition_implILS5_6ELb0ES3_mN6thrust23THRUST_200600_302600_NS6detail15normal_iteratorINSA_10device_ptrItEEEEPS6_SG_NS0_5tupleIJSF_S6_EEENSH_IJSG_SG_EEES6_PlJ5mod_3ItEEEE10hipError_tPvRmT3_T4_T5_T6_T7_T9_mT8_P12ihipStream_tbDpT10_ENKUlT_T0_E_clISt17integral_constantIbLb1EES16_EEDaS11_S12_EUlS11_E_NS1_11comp_targetILNS1_3genE10ELNS1_11target_archE1200ELNS1_3gpuE4ELNS1_3repE0EEENS1_30default_config_static_selectorELNS0_4arch9wavefront6targetE0EEEvT1_: ; @_ZN7rocprim17ROCPRIM_400000_NS6detail17trampoline_kernelINS0_14default_configENS1_25partition_config_selectorILNS1_17partition_subalgoE6EtNS0_10empty_typeEbEEZZNS1_14partition_implILS5_6ELb0ES3_mN6thrust23THRUST_200600_302600_NS6detail15normal_iteratorINSA_10device_ptrItEEEEPS6_SG_NS0_5tupleIJSF_S6_EEENSH_IJSG_SG_EEES6_PlJ5mod_3ItEEEE10hipError_tPvRmT3_T4_T5_T6_T7_T9_mT8_P12ihipStream_tbDpT10_ENKUlT_T0_E_clISt17integral_constantIbLb1EES16_EEDaS11_S12_EUlS11_E_NS1_11comp_targetILNS1_3genE10ELNS1_11target_archE1200ELNS1_3gpuE4ELNS1_3repE0EEENS1_30default_config_static_selectorELNS0_4arch9wavefront6targetE0EEEvT1_
; %bb.0:
	.section	.rodata,"a",@progbits
	.p2align	6, 0x0
	.amdhsa_kernel _ZN7rocprim17ROCPRIM_400000_NS6detail17trampoline_kernelINS0_14default_configENS1_25partition_config_selectorILNS1_17partition_subalgoE6EtNS0_10empty_typeEbEEZZNS1_14partition_implILS5_6ELb0ES3_mN6thrust23THRUST_200600_302600_NS6detail15normal_iteratorINSA_10device_ptrItEEEEPS6_SG_NS0_5tupleIJSF_S6_EEENSH_IJSG_SG_EEES6_PlJ5mod_3ItEEEE10hipError_tPvRmT3_T4_T5_T6_T7_T9_mT8_P12ihipStream_tbDpT10_ENKUlT_T0_E_clISt17integral_constantIbLb1EES16_EEDaS11_S12_EUlS11_E_NS1_11comp_targetILNS1_3genE10ELNS1_11target_archE1200ELNS1_3gpuE4ELNS1_3repE0EEENS1_30default_config_static_selectorELNS0_4arch9wavefront6targetE0EEEvT1_
		.amdhsa_group_segment_fixed_size 0
		.amdhsa_private_segment_fixed_size 0
		.amdhsa_kernarg_size 128
		.amdhsa_user_sgpr_count 15
		.amdhsa_user_sgpr_dispatch_ptr 0
		.amdhsa_user_sgpr_queue_ptr 0
		.amdhsa_user_sgpr_kernarg_segment_ptr 1
		.amdhsa_user_sgpr_dispatch_id 0
		.amdhsa_user_sgpr_private_segment_size 0
		.amdhsa_wavefront_size32 1
		.amdhsa_uses_dynamic_stack 0
		.amdhsa_enable_private_segment 0
		.amdhsa_system_sgpr_workgroup_id_x 1
		.amdhsa_system_sgpr_workgroup_id_y 0
		.amdhsa_system_sgpr_workgroup_id_z 0
		.amdhsa_system_sgpr_workgroup_info 0
		.amdhsa_system_vgpr_workitem_id 0
		.amdhsa_next_free_vgpr 1
		.amdhsa_next_free_sgpr 1
		.amdhsa_reserve_vcc 0
		.amdhsa_float_round_mode_32 0
		.amdhsa_float_round_mode_16_64 0
		.amdhsa_float_denorm_mode_32 3
		.amdhsa_float_denorm_mode_16_64 3
		.amdhsa_dx10_clamp 1
		.amdhsa_ieee_mode 1
		.amdhsa_fp16_overflow 0
		.amdhsa_workgroup_processor_mode 1
		.amdhsa_memory_ordered 1
		.amdhsa_forward_progress 0
		.amdhsa_shared_vgpr_count 0
		.amdhsa_exception_fp_ieee_invalid_op 0
		.amdhsa_exception_fp_denorm_src 0
		.amdhsa_exception_fp_ieee_div_zero 0
		.amdhsa_exception_fp_ieee_overflow 0
		.amdhsa_exception_fp_ieee_underflow 0
		.amdhsa_exception_fp_ieee_inexact 0
		.amdhsa_exception_int_div_zero 0
	.end_amdhsa_kernel
	.section	.text._ZN7rocprim17ROCPRIM_400000_NS6detail17trampoline_kernelINS0_14default_configENS1_25partition_config_selectorILNS1_17partition_subalgoE6EtNS0_10empty_typeEbEEZZNS1_14partition_implILS5_6ELb0ES3_mN6thrust23THRUST_200600_302600_NS6detail15normal_iteratorINSA_10device_ptrItEEEEPS6_SG_NS0_5tupleIJSF_S6_EEENSH_IJSG_SG_EEES6_PlJ5mod_3ItEEEE10hipError_tPvRmT3_T4_T5_T6_T7_T9_mT8_P12ihipStream_tbDpT10_ENKUlT_T0_E_clISt17integral_constantIbLb1EES16_EEDaS11_S12_EUlS11_E_NS1_11comp_targetILNS1_3genE10ELNS1_11target_archE1200ELNS1_3gpuE4ELNS1_3repE0EEENS1_30default_config_static_selectorELNS0_4arch9wavefront6targetE0EEEvT1_,"axG",@progbits,_ZN7rocprim17ROCPRIM_400000_NS6detail17trampoline_kernelINS0_14default_configENS1_25partition_config_selectorILNS1_17partition_subalgoE6EtNS0_10empty_typeEbEEZZNS1_14partition_implILS5_6ELb0ES3_mN6thrust23THRUST_200600_302600_NS6detail15normal_iteratorINSA_10device_ptrItEEEEPS6_SG_NS0_5tupleIJSF_S6_EEENSH_IJSG_SG_EEES6_PlJ5mod_3ItEEEE10hipError_tPvRmT3_T4_T5_T6_T7_T9_mT8_P12ihipStream_tbDpT10_ENKUlT_T0_E_clISt17integral_constantIbLb1EES16_EEDaS11_S12_EUlS11_E_NS1_11comp_targetILNS1_3genE10ELNS1_11target_archE1200ELNS1_3gpuE4ELNS1_3repE0EEENS1_30default_config_static_selectorELNS0_4arch9wavefront6targetE0EEEvT1_,comdat
.Lfunc_end533:
	.size	_ZN7rocprim17ROCPRIM_400000_NS6detail17trampoline_kernelINS0_14default_configENS1_25partition_config_selectorILNS1_17partition_subalgoE6EtNS0_10empty_typeEbEEZZNS1_14partition_implILS5_6ELb0ES3_mN6thrust23THRUST_200600_302600_NS6detail15normal_iteratorINSA_10device_ptrItEEEEPS6_SG_NS0_5tupleIJSF_S6_EEENSH_IJSG_SG_EEES6_PlJ5mod_3ItEEEE10hipError_tPvRmT3_T4_T5_T6_T7_T9_mT8_P12ihipStream_tbDpT10_ENKUlT_T0_E_clISt17integral_constantIbLb1EES16_EEDaS11_S12_EUlS11_E_NS1_11comp_targetILNS1_3genE10ELNS1_11target_archE1200ELNS1_3gpuE4ELNS1_3repE0EEENS1_30default_config_static_selectorELNS0_4arch9wavefront6targetE0EEEvT1_, .Lfunc_end533-_ZN7rocprim17ROCPRIM_400000_NS6detail17trampoline_kernelINS0_14default_configENS1_25partition_config_selectorILNS1_17partition_subalgoE6EtNS0_10empty_typeEbEEZZNS1_14partition_implILS5_6ELb0ES3_mN6thrust23THRUST_200600_302600_NS6detail15normal_iteratorINSA_10device_ptrItEEEEPS6_SG_NS0_5tupleIJSF_S6_EEENSH_IJSG_SG_EEES6_PlJ5mod_3ItEEEE10hipError_tPvRmT3_T4_T5_T6_T7_T9_mT8_P12ihipStream_tbDpT10_ENKUlT_T0_E_clISt17integral_constantIbLb1EES16_EEDaS11_S12_EUlS11_E_NS1_11comp_targetILNS1_3genE10ELNS1_11target_archE1200ELNS1_3gpuE4ELNS1_3repE0EEENS1_30default_config_static_selectorELNS0_4arch9wavefront6targetE0EEEvT1_
                                        ; -- End function
	.section	.AMDGPU.csdata,"",@progbits
; Kernel info:
; codeLenInByte = 0
; NumSgprs: 0
; NumVgprs: 0
; ScratchSize: 0
; MemoryBound: 0
; FloatMode: 240
; IeeeMode: 1
; LDSByteSize: 0 bytes/workgroup (compile time only)
; SGPRBlocks: 0
; VGPRBlocks: 0
; NumSGPRsForWavesPerEU: 1
; NumVGPRsForWavesPerEU: 1
; Occupancy: 15
; WaveLimiterHint : 0
; COMPUTE_PGM_RSRC2:SCRATCH_EN: 0
; COMPUTE_PGM_RSRC2:USER_SGPR: 15
; COMPUTE_PGM_RSRC2:TRAP_HANDLER: 0
; COMPUTE_PGM_RSRC2:TGID_X_EN: 1
; COMPUTE_PGM_RSRC2:TGID_Y_EN: 0
; COMPUTE_PGM_RSRC2:TGID_Z_EN: 0
; COMPUTE_PGM_RSRC2:TIDIG_COMP_CNT: 0
	.section	.text._ZN7rocprim17ROCPRIM_400000_NS6detail17trampoline_kernelINS0_14default_configENS1_25partition_config_selectorILNS1_17partition_subalgoE6EtNS0_10empty_typeEbEEZZNS1_14partition_implILS5_6ELb0ES3_mN6thrust23THRUST_200600_302600_NS6detail15normal_iteratorINSA_10device_ptrItEEEEPS6_SG_NS0_5tupleIJSF_S6_EEENSH_IJSG_SG_EEES6_PlJ5mod_3ItEEEE10hipError_tPvRmT3_T4_T5_T6_T7_T9_mT8_P12ihipStream_tbDpT10_ENKUlT_T0_E_clISt17integral_constantIbLb1EES16_EEDaS11_S12_EUlS11_E_NS1_11comp_targetILNS1_3genE9ELNS1_11target_archE1100ELNS1_3gpuE3ELNS1_3repE0EEENS1_30default_config_static_selectorELNS0_4arch9wavefront6targetE0EEEvT1_,"axG",@progbits,_ZN7rocprim17ROCPRIM_400000_NS6detail17trampoline_kernelINS0_14default_configENS1_25partition_config_selectorILNS1_17partition_subalgoE6EtNS0_10empty_typeEbEEZZNS1_14partition_implILS5_6ELb0ES3_mN6thrust23THRUST_200600_302600_NS6detail15normal_iteratorINSA_10device_ptrItEEEEPS6_SG_NS0_5tupleIJSF_S6_EEENSH_IJSG_SG_EEES6_PlJ5mod_3ItEEEE10hipError_tPvRmT3_T4_T5_T6_T7_T9_mT8_P12ihipStream_tbDpT10_ENKUlT_T0_E_clISt17integral_constantIbLb1EES16_EEDaS11_S12_EUlS11_E_NS1_11comp_targetILNS1_3genE9ELNS1_11target_archE1100ELNS1_3gpuE3ELNS1_3repE0EEENS1_30default_config_static_selectorELNS0_4arch9wavefront6targetE0EEEvT1_,comdat
	.protected	_ZN7rocprim17ROCPRIM_400000_NS6detail17trampoline_kernelINS0_14default_configENS1_25partition_config_selectorILNS1_17partition_subalgoE6EtNS0_10empty_typeEbEEZZNS1_14partition_implILS5_6ELb0ES3_mN6thrust23THRUST_200600_302600_NS6detail15normal_iteratorINSA_10device_ptrItEEEEPS6_SG_NS0_5tupleIJSF_S6_EEENSH_IJSG_SG_EEES6_PlJ5mod_3ItEEEE10hipError_tPvRmT3_T4_T5_T6_T7_T9_mT8_P12ihipStream_tbDpT10_ENKUlT_T0_E_clISt17integral_constantIbLb1EES16_EEDaS11_S12_EUlS11_E_NS1_11comp_targetILNS1_3genE9ELNS1_11target_archE1100ELNS1_3gpuE3ELNS1_3repE0EEENS1_30default_config_static_selectorELNS0_4arch9wavefront6targetE0EEEvT1_ ; -- Begin function _ZN7rocprim17ROCPRIM_400000_NS6detail17trampoline_kernelINS0_14default_configENS1_25partition_config_selectorILNS1_17partition_subalgoE6EtNS0_10empty_typeEbEEZZNS1_14partition_implILS5_6ELb0ES3_mN6thrust23THRUST_200600_302600_NS6detail15normal_iteratorINSA_10device_ptrItEEEEPS6_SG_NS0_5tupleIJSF_S6_EEENSH_IJSG_SG_EEES6_PlJ5mod_3ItEEEE10hipError_tPvRmT3_T4_T5_T6_T7_T9_mT8_P12ihipStream_tbDpT10_ENKUlT_T0_E_clISt17integral_constantIbLb1EES16_EEDaS11_S12_EUlS11_E_NS1_11comp_targetILNS1_3genE9ELNS1_11target_archE1100ELNS1_3gpuE3ELNS1_3repE0EEENS1_30default_config_static_selectorELNS0_4arch9wavefront6targetE0EEEvT1_
	.globl	_ZN7rocprim17ROCPRIM_400000_NS6detail17trampoline_kernelINS0_14default_configENS1_25partition_config_selectorILNS1_17partition_subalgoE6EtNS0_10empty_typeEbEEZZNS1_14partition_implILS5_6ELb0ES3_mN6thrust23THRUST_200600_302600_NS6detail15normal_iteratorINSA_10device_ptrItEEEEPS6_SG_NS0_5tupleIJSF_S6_EEENSH_IJSG_SG_EEES6_PlJ5mod_3ItEEEE10hipError_tPvRmT3_T4_T5_T6_T7_T9_mT8_P12ihipStream_tbDpT10_ENKUlT_T0_E_clISt17integral_constantIbLb1EES16_EEDaS11_S12_EUlS11_E_NS1_11comp_targetILNS1_3genE9ELNS1_11target_archE1100ELNS1_3gpuE3ELNS1_3repE0EEENS1_30default_config_static_selectorELNS0_4arch9wavefront6targetE0EEEvT1_
	.p2align	8
	.type	_ZN7rocprim17ROCPRIM_400000_NS6detail17trampoline_kernelINS0_14default_configENS1_25partition_config_selectorILNS1_17partition_subalgoE6EtNS0_10empty_typeEbEEZZNS1_14partition_implILS5_6ELb0ES3_mN6thrust23THRUST_200600_302600_NS6detail15normal_iteratorINSA_10device_ptrItEEEEPS6_SG_NS0_5tupleIJSF_S6_EEENSH_IJSG_SG_EEES6_PlJ5mod_3ItEEEE10hipError_tPvRmT3_T4_T5_T6_T7_T9_mT8_P12ihipStream_tbDpT10_ENKUlT_T0_E_clISt17integral_constantIbLb1EES16_EEDaS11_S12_EUlS11_E_NS1_11comp_targetILNS1_3genE9ELNS1_11target_archE1100ELNS1_3gpuE3ELNS1_3repE0EEENS1_30default_config_static_selectorELNS0_4arch9wavefront6targetE0EEEvT1_,@function
_ZN7rocprim17ROCPRIM_400000_NS6detail17trampoline_kernelINS0_14default_configENS1_25partition_config_selectorILNS1_17partition_subalgoE6EtNS0_10empty_typeEbEEZZNS1_14partition_implILS5_6ELb0ES3_mN6thrust23THRUST_200600_302600_NS6detail15normal_iteratorINSA_10device_ptrItEEEEPS6_SG_NS0_5tupleIJSF_S6_EEENSH_IJSG_SG_EEES6_PlJ5mod_3ItEEEE10hipError_tPvRmT3_T4_T5_T6_T7_T9_mT8_P12ihipStream_tbDpT10_ENKUlT_T0_E_clISt17integral_constantIbLb1EES16_EEDaS11_S12_EUlS11_E_NS1_11comp_targetILNS1_3genE9ELNS1_11target_archE1100ELNS1_3gpuE3ELNS1_3repE0EEENS1_30default_config_static_selectorELNS0_4arch9wavefront6targetE0EEEvT1_: ; @_ZN7rocprim17ROCPRIM_400000_NS6detail17trampoline_kernelINS0_14default_configENS1_25partition_config_selectorILNS1_17partition_subalgoE6EtNS0_10empty_typeEbEEZZNS1_14partition_implILS5_6ELb0ES3_mN6thrust23THRUST_200600_302600_NS6detail15normal_iteratorINSA_10device_ptrItEEEEPS6_SG_NS0_5tupleIJSF_S6_EEENSH_IJSG_SG_EEES6_PlJ5mod_3ItEEEE10hipError_tPvRmT3_T4_T5_T6_T7_T9_mT8_P12ihipStream_tbDpT10_ENKUlT_T0_E_clISt17integral_constantIbLb1EES16_EEDaS11_S12_EUlS11_E_NS1_11comp_targetILNS1_3genE9ELNS1_11target_archE1100ELNS1_3gpuE3ELNS1_3repE0EEENS1_30default_config_static_selectorELNS0_4arch9wavefront6targetE0EEEvT1_
; %bb.0:
	s_clause 0x3
	s_load_b64 s[12:13], s[0:1], 0x28
	s_load_b128 s[8:11], s[0:1], 0x40
	s_load_b64 s[16:17], s[0:1], 0x50
	s_load_b64 s[14:15], s[0:1], 0x60
	v_cmp_eq_u32_e64 s2, 0, v0
	s_delay_alu instid0(VALU_DEP_1)
	s_and_saveexec_b32 s3, s2
	s_cbranch_execz .LBB534_4
; %bb.1:
	s_mov_b32 s5, exec_lo
	s_mov_b32 s4, exec_lo
	v_mbcnt_lo_u32_b32 v1, s5, 0
                                        ; implicit-def: $vgpr2
	s_delay_alu instid0(VALU_DEP_1)
	v_cmpx_eq_u32_e32 0, v1
	s_cbranch_execz .LBB534_3
; %bb.2:
	s_load_b64 s[6:7], s[0:1], 0x70
	s_bcnt1_i32_b32 s5, s5
	s_delay_alu instid0(SALU_CYCLE_1)
	v_dual_mov_b32 v2, 0 :: v_dual_mov_b32 v3, s5
	s_waitcnt lgkmcnt(0)
	global_atomic_add_u32 v2, v2, v3, s[6:7] glc
.LBB534_3:
	s_or_b32 exec_lo, exec_lo, s4
	s_waitcnt vmcnt(0)
	v_readfirstlane_b32 s4, v2
	s_delay_alu instid0(VALU_DEP_1)
	v_dual_mov_b32 v2, 0 :: v_dual_add_nc_u32 v1, s4, v1
	ds_store_b32 v2, v1
.LBB534_4:
	s_or_b32 exec_lo, exec_lo, s3
	v_mov_b32_e32 v2, 0
	s_clause 0x1
	s_load_b128 s[4:7], s[0:1], 0x8
	s_load_b32 s0, s[0:1], 0x68
	s_waitcnt lgkmcnt(0)
	s_barrier
	buffer_gl0_inv
	ds_load_b32 v1, v2
	s_waitcnt lgkmcnt(0)
	s_barrier
	buffer_gl0_inv
	global_load_b64 v[12:13], v2, s[10:11]
	s_lshl_b64 s[10:11], s[6:7], 1
	s_mul_i32 s3, s0, 0xf00
	s_add_u32 s18, s4, s10
	s_addc_u32 s11, s5, s11
	s_add_i32 s1, s3, s6
	v_readfirstlane_b32 s10, v1
	v_mul_lo_u32 v1, 0xf00, v1
	s_add_i32 s0, s0, -1
	s_sub_i32 s1, s16, s1
	s_add_u32 s4, s6, s3
	s_addc_u32 s5, s7, 0
	s_cmp_eq_u32 s10, s0
	v_cmp_ge_u64_e64 s3, s[4:5], s[16:17]
	s_cselect_b32 s5, -1, 0
	v_lshlrev_b64 v[2:3], 1, v[1:2]
	v_lshlrev_b32_e32 v1, 1, v0
	s_mov_b32 s0, -1
	s_delay_alu instid0(VALU_DEP_3) | instskip(NEXT) | instid1(VALU_DEP_2)
	s_and_b32 s3, s3, s5
	v_add_co_u32 v2, vcc_lo, s18, v2
	s_delay_alu instid0(VALU_DEP_3) | instskip(SKIP_1) | instid1(SALU_CYCLE_1)
	v_add_co_ci_u32_e32 v3, vcc_lo, s11, v3, vcc_lo
	s_xor_b32 s4, s3, -1
	s_and_b32 vcc_lo, exec_lo, s4
	s_cbranch_vccz .LBB534_6
; %bb.5:
	v_add_co_u32 v4, vcc_lo, v2, v1
	v_add_co_ci_u32_e32 v5, vcc_lo, 0, v3, vcc_lo
	s_mov_b32 s0, 0
	s_delay_alu instid0(VALU_DEP_2)
	v_add_co_u32 v6, vcc_lo, 0x1000, v4
	s_clause 0x7
	flat_load_u16 v8, v[4:5]
	flat_load_u16 v9, v[4:5] offset:256
	flat_load_u16 v10, v[4:5] offset:512
	;; [unrolled: 1-line block ×7, first 2 shown]
	v_add_co_ci_u32_e32 v7, vcc_lo, 0, v5, vcc_lo
	s_clause 0x15
	flat_load_u16 v18, v[4:5] offset:2048
	flat_load_u16 v19, v[4:5] offset:2304
	;; [unrolled: 1-line block ×8, first 2 shown]
	flat_load_u16 v5, v[6:7]
	flat_load_u16 v25, v[6:7] offset:256
	flat_load_u16 v26, v[6:7] offset:512
	;; [unrolled: 1-line block ×13, first 2 shown]
	s_waitcnt vmcnt(29) lgkmcnt(29)
	ds_store_b16 v1, v8
	s_waitcnt vmcnt(28) lgkmcnt(29)
	ds_store_b16 v1, v9 offset:256
	s_waitcnt vmcnt(27) lgkmcnt(29)
	ds_store_b16 v1, v10 offset:512
	;; [unrolled: 2-line block ×29, first 2 shown]
	s_waitcnt lgkmcnt(0)
	s_barrier
.LBB534_6:
	s_and_not1_b32 vcc_lo, exec_lo, s0
	s_addk_i32 s1, 0xf00
	s_cbranch_vccnz .LBB534_68
; %bb.7:
	s_mov_b32 s0, exec_lo
                                        ; implicit-def: $vgpr4
	v_cmpx_gt_u32_e64 s1, v0
	s_cbranch_execz .LBB534_9
; %bb.8:
	v_add_co_u32 v4, vcc_lo, v2, v1
	v_add_co_ci_u32_e32 v5, vcc_lo, 0, v3, vcc_lo
	flat_load_u16 v4, v[4:5]
.LBB534_9:
	s_or_b32 exec_lo, exec_lo, s0
	v_or_b32_e32 v5, 0x80, v0
	s_delay_alu instid0(VALU_DEP_1)
	v_cmp_gt_u32_e32 vcc_lo, s1, v5
                                        ; implicit-def: $vgpr5
	s_and_saveexec_b32 s0, vcc_lo
	s_cbranch_execz .LBB534_11
; %bb.10:
	v_add_co_u32 v5, vcc_lo, v2, v1
	v_add_co_ci_u32_e32 v6, vcc_lo, 0, v3, vcc_lo
	flat_load_u16 v5, v[5:6] offset:256
.LBB534_11:
	s_or_b32 exec_lo, exec_lo, s0
	v_or_b32_e32 v6, 0x100, v0
	s_delay_alu instid0(VALU_DEP_1)
	v_cmp_gt_u32_e32 vcc_lo, s1, v6
                                        ; implicit-def: $vgpr6
	s_and_saveexec_b32 s0, vcc_lo
	s_cbranch_execz .LBB534_13
; %bb.12:
	v_add_co_u32 v6, vcc_lo, v2, v1
	v_add_co_ci_u32_e32 v7, vcc_lo, 0, v3, vcc_lo
	flat_load_u16 v6, v[6:7] offset:512
.LBB534_13:
	s_or_b32 exec_lo, exec_lo, s0
	v_or_b32_e32 v7, 0x180, v0
	s_delay_alu instid0(VALU_DEP_1)
	v_cmp_gt_u32_e32 vcc_lo, s1, v7
                                        ; implicit-def: $vgpr7
	s_and_saveexec_b32 s0, vcc_lo
	s_cbranch_execz .LBB534_15
; %bb.14:
	v_add_co_u32 v7, vcc_lo, v2, v1
	v_add_co_ci_u32_e32 v8, vcc_lo, 0, v3, vcc_lo
	flat_load_u16 v7, v[7:8] offset:768
.LBB534_15:
	s_or_b32 exec_lo, exec_lo, s0
	v_or_b32_e32 v8, 0x200, v0
	s_delay_alu instid0(VALU_DEP_1)
	v_cmp_gt_u32_e32 vcc_lo, s1, v8
                                        ; implicit-def: $vgpr8
	s_and_saveexec_b32 s0, vcc_lo
	s_cbranch_execz .LBB534_17
; %bb.16:
	v_add_co_u32 v8, vcc_lo, v2, v1
	v_add_co_ci_u32_e32 v9, vcc_lo, 0, v3, vcc_lo
	flat_load_u16 v8, v[8:9] offset:1024
.LBB534_17:
	s_or_b32 exec_lo, exec_lo, s0
	v_or_b32_e32 v9, 0x280, v0
	s_delay_alu instid0(VALU_DEP_1)
	v_cmp_gt_u32_e32 vcc_lo, s1, v9
                                        ; implicit-def: $vgpr9
	s_and_saveexec_b32 s0, vcc_lo
	s_cbranch_execz .LBB534_19
; %bb.18:
	v_add_co_u32 v9, vcc_lo, v2, v1
	v_add_co_ci_u32_e32 v10, vcc_lo, 0, v3, vcc_lo
	flat_load_u16 v9, v[9:10] offset:1280
.LBB534_19:
	s_or_b32 exec_lo, exec_lo, s0
	v_or_b32_e32 v10, 0x300, v0
	s_delay_alu instid0(VALU_DEP_1)
	v_cmp_gt_u32_e32 vcc_lo, s1, v10
                                        ; implicit-def: $vgpr10
	s_and_saveexec_b32 s0, vcc_lo
	s_cbranch_execz .LBB534_21
; %bb.20:
	v_add_co_u32 v10, vcc_lo, v2, v1
	v_add_co_ci_u32_e32 v11, vcc_lo, 0, v3, vcc_lo
	flat_load_u16 v10, v[10:11] offset:1536
.LBB534_21:
	s_or_b32 exec_lo, exec_lo, s0
	v_or_b32_e32 v11, 0x380, v0
	s_delay_alu instid0(VALU_DEP_1)
	v_cmp_gt_u32_e32 vcc_lo, s1, v11
                                        ; implicit-def: $vgpr11
	s_and_saveexec_b32 s0, vcc_lo
	s_cbranch_execz .LBB534_23
; %bb.22:
	v_add_co_u32 v14, vcc_lo, v2, v1
	v_add_co_ci_u32_e32 v15, vcc_lo, 0, v3, vcc_lo
	flat_load_u16 v11, v[14:15] offset:1792
.LBB534_23:
	s_or_b32 exec_lo, exec_lo, s0
	v_or_b32_e32 v14, 0x400, v0
	s_delay_alu instid0(VALU_DEP_1)
	v_cmp_gt_u32_e32 vcc_lo, s1, v14
                                        ; implicit-def: $vgpr14
	s_and_saveexec_b32 s0, vcc_lo
	s_cbranch_execz .LBB534_25
; %bb.24:
	v_add_co_u32 v14, vcc_lo, v2, v1
	v_add_co_ci_u32_e32 v15, vcc_lo, 0, v3, vcc_lo
	flat_load_u16 v14, v[14:15] offset:2048
.LBB534_25:
	s_or_b32 exec_lo, exec_lo, s0
	v_or_b32_e32 v15, 0x480, v0
	s_delay_alu instid0(VALU_DEP_1)
	v_cmp_gt_u32_e32 vcc_lo, s1, v15
                                        ; implicit-def: $vgpr15
	s_and_saveexec_b32 s0, vcc_lo
	s_cbranch_execz .LBB534_27
; %bb.26:
	v_add_co_u32 v15, vcc_lo, v2, v1
	v_add_co_ci_u32_e32 v16, vcc_lo, 0, v3, vcc_lo
	flat_load_u16 v15, v[15:16] offset:2304
.LBB534_27:
	s_or_b32 exec_lo, exec_lo, s0
	v_or_b32_e32 v16, 0x500, v0
	s_delay_alu instid0(VALU_DEP_1)
	v_cmp_gt_u32_e32 vcc_lo, s1, v16
                                        ; implicit-def: $vgpr16
	s_and_saveexec_b32 s0, vcc_lo
	s_cbranch_execz .LBB534_29
; %bb.28:
	v_add_co_u32 v16, vcc_lo, v2, v1
	v_add_co_ci_u32_e32 v17, vcc_lo, 0, v3, vcc_lo
	flat_load_u16 v16, v[16:17] offset:2560
.LBB534_29:
	s_or_b32 exec_lo, exec_lo, s0
	v_or_b32_e32 v17, 0x580, v0
	s_delay_alu instid0(VALU_DEP_1)
	v_cmp_gt_u32_e32 vcc_lo, s1, v17
                                        ; implicit-def: $vgpr17
	s_and_saveexec_b32 s0, vcc_lo
	s_cbranch_execz .LBB534_31
; %bb.30:
	v_add_co_u32 v17, vcc_lo, v2, v1
	v_add_co_ci_u32_e32 v18, vcc_lo, 0, v3, vcc_lo
	flat_load_u16 v17, v[17:18] offset:2816
.LBB534_31:
	s_or_b32 exec_lo, exec_lo, s0
	v_or_b32_e32 v18, 0x600, v0
	s_delay_alu instid0(VALU_DEP_1)
	v_cmp_gt_u32_e32 vcc_lo, s1, v18
                                        ; implicit-def: $vgpr18
	s_and_saveexec_b32 s0, vcc_lo
	s_cbranch_execz .LBB534_33
; %bb.32:
	v_add_co_u32 v18, vcc_lo, v2, v1
	v_add_co_ci_u32_e32 v19, vcc_lo, 0, v3, vcc_lo
	flat_load_u16 v18, v[18:19] offset:3072
.LBB534_33:
	s_or_b32 exec_lo, exec_lo, s0
	v_or_b32_e32 v19, 0x680, v0
	s_delay_alu instid0(VALU_DEP_1)
	v_cmp_gt_u32_e32 vcc_lo, s1, v19
                                        ; implicit-def: $vgpr19
	s_and_saveexec_b32 s0, vcc_lo
	s_cbranch_execz .LBB534_35
; %bb.34:
	v_add_co_u32 v19, vcc_lo, v2, v1
	v_add_co_ci_u32_e32 v20, vcc_lo, 0, v3, vcc_lo
	flat_load_u16 v19, v[19:20] offset:3328
.LBB534_35:
	s_or_b32 exec_lo, exec_lo, s0
	v_or_b32_e32 v20, 0x700, v0
	s_delay_alu instid0(VALU_DEP_1)
	v_cmp_gt_u32_e32 vcc_lo, s1, v20
                                        ; implicit-def: $vgpr20
	s_and_saveexec_b32 s0, vcc_lo
	s_cbranch_execz .LBB534_37
; %bb.36:
	v_add_co_u32 v20, vcc_lo, v2, v1
	v_add_co_ci_u32_e32 v21, vcc_lo, 0, v3, vcc_lo
	flat_load_u16 v20, v[20:21] offset:3584
.LBB534_37:
	s_or_b32 exec_lo, exec_lo, s0
	v_or_b32_e32 v21, 0x780, v0
	s_delay_alu instid0(VALU_DEP_1)
	v_cmp_gt_u32_e32 vcc_lo, s1, v21
                                        ; implicit-def: $vgpr21
	s_and_saveexec_b32 s0, vcc_lo
	s_cbranch_execz .LBB534_39
; %bb.38:
	v_add_co_u32 v21, vcc_lo, v2, v1
	v_add_co_ci_u32_e32 v22, vcc_lo, 0, v3, vcc_lo
	flat_load_u16 v21, v[21:22] offset:3840
.LBB534_39:
	s_or_b32 exec_lo, exec_lo, s0
	v_or_b32_e32 v23, 0x800, v0
	s_mov_b32 s0, exec_lo
                                        ; implicit-def: $vgpr22
	s_delay_alu instid0(VALU_DEP_1)
	v_cmpx_gt_u32_e64 s1, v23
	s_cbranch_execz .LBB534_41
; %bb.40:
	v_lshlrev_b32_e32 v22, 1, v23
	s_delay_alu instid0(VALU_DEP_1)
	v_add_co_u32 v22, vcc_lo, v2, v22
	v_add_co_ci_u32_e32 v23, vcc_lo, 0, v3, vcc_lo
	flat_load_u16 v22, v[22:23]
.LBB534_41:
	s_or_b32 exec_lo, exec_lo, s0
	v_or_b32_e32 v24, 0x880, v0
	s_mov_b32 s0, exec_lo
                                        ; implicit-def: $vgpr23
	s_delay_alu instid0(VALU_DEP_1)
	v_cmpx_gt_u32_e64 s1, v24
	s_cbranch_execz .LBB534_43
; %bb.42:
	v_lshlrev_b32_e32 v23, 1, v24
	s_delay_alu instid0(VALU_DEP_1)
	v_add_co_u32 v23, vcc_lo, v2, v23
	v_add_co_ci_u32_e32 v24, vcc_lo, 0, v3, vcc_lo
	flat_load_u16 v23, v[23:24]
.LBB534_43:
	s_or_b32 exec_lo, exec_lo, s0
	v_or_b32_e32 v25, 0x900, v0
	s_mov_b32 s0, exec_lo
                                        ; implicit-def: $vgpr24
	s_delay_alu instid0(VALU_DEP_1)
	v_cmpx_gt_u32_e64 s1, v25
	s_cbranch_execz .LBB534_45
; %bb.44:
	v_lshlrev_b32_e32 v24, 1, v25
	s_delay_alu instid0(VALU_DEP_1)
	v_add_co_u32 v24, vcc_lo, v2, v24
	v_add_co_ci_u32_e32 v25, vcc_lo, 0, v3, vcc_lo
	flat_load_u16 v24, v[24:25]
.LBB534_45:
	s_or_b32 exec_lo, exec_lo, s0
	v_or_b32_e32 v26, 0x980, v0
	s_mov_b32 s0, exec_lo
                                        ; implicit-def: $vgpr25
	s_delay_alu instid0(VALU_DEP_1)
	v_cmpx_gt_u32_e64 s1, v26
	s_cbranch_execz .LBB534_47
; %bb.46:
	v_lshlrev_b32_e32 v25, 1, v26
	s_delay_alu instid0(VALU_DEP_1)
	v_add_co_u32 v25, vcc_lo, v2, v25
	v_add_co_ci_u32_e32 v26, vcc_lo, 0, v3, vcc_lo
	flat_load_u16 v25, v[25:26]
.LBB534_47:
	s_or_b32 exec_lo, exec_lo, s0
	v_or_b32_e32 v27, 0xa00, v0
	s_mov_b32 s0, exec_lo
                                        ; implicit-def: $vgpr26
	s_delay_alu instid0(VALU_DEP_1)
	v_cmpx_gt_u32_e64 s1, v27
	s_cbranch_execz .LBB534_49
; %bb.48:
	v_lshlrev_b32_e32 v26, 1, v27
	s_delay_alu instid0(VALU_DEP_1)
	v_add_co_u32 v26, vcc_lo, v2, v26
	v_add_co_ci_u32_e32 v27, vcc_lo, 0, v3, vcc_lo
	flat_load_u16 v26, v[26:27]
.LBB534_49:
	s_or_b32 exec_lo, exec_lo, s0
	v_or_b32_e32 v28, 0xa80, v0
	s_mov_b32 s0, exec_lo
                                        ; implicit-def: $vgpr27
	s_delay_alu instid0(VALU_DEP_1)
	v_cmpx_gt_u32_e64 s1, v28
	s_cbranch_execz .LBB534_51
; %bb.50:
	v_lshlrev_b32_e32 v27, 1, v28
	s_delay_alu instid0(VALU_DEP_1)
	v_add_co_u32 v27, vcc_lo, v2, v27
	v_add_co_ci_u32_e32 v28, vcc_lo, 0, v3, vcc_lo
	flat_load_u16 v27, v[27:28]
.LBB534_51:
	s_or_b32 exec_lo, exec_lo, s0
	v_or_b32_e32 v29, 0xb00, v0
	s_mov_b32 s0, exec_lo
                                        ; implicit-def: $vgpr28
	s_delay_alu instid0(VALU_DEP_1)
	v_cmpx_gt_u32_e64 s1, v29
	s_cbranch_execz .LBB534_53
; %bb.52:
	v_lshlrev_b32_e32 v28, 1, v29
	s_delay_alu instid0(VALU_DEP_1)
	v_add_co_u32 v28, vcc_lo, v2, v28
	v_add_co_ci_u32_e32 v29, vcc_lo, 0, v3, vcc_lo
	flat_load_u16 v28, v[28:29]
.LBB534_53:
	s_or_b32 exec_lo, exec_lo, s0
	v_or_b32_e32 v30, 0xb80, v0
	s_mov_b32 s0, exec_lo
                                        ; implicit-def: $vgpr29
	s_delay_alu instid0(VALU_DEP_1)
	v_cmpx_gt_u32_e64 s1, v30
	s_cbranch_execz .LBB534_55
; %bb.54:
	v_lshlrev_b32_e32 v29, 1, v30
	s_delay_alu instid0(VALU_DEP_1)
	v_add_co_u32 v29, vcc_lo, v2, v29
	v_add_co_ci_u32_e32 v30, vcc_lo, 0, v3, vcc_lo
	flat_load_u16 v29, v[29:30]
.LBB534_55:
	s_or_b32 exec_lo, exec_lo, s0
	v_or_b32_e32 v31, 0xc00, v0
	s_mov_b32 s0, exec_lo
                                        ; implicit-def: $vgpr30
	s_delay_alu instid0(VALU_DEP_1)
	v_cmpx_gt_u32_e64 s1, v31
	s_cbranch_execz .LBB534_57
; %bb.56:
	v_lshlrev_b32_e32 v30, 1, v31
	s_delay_alu instid0(VALU_DEP_1)
	v_add_co_u32 v30, vcc_lo, v2, v30
	v_add_co_ci_u32_e32 v31, vcc_lo, 0, v3, vcc_lo
	flat_load_u16 v30, v[30:31]
.LBB534_57:
	s_or_b32 exec_lo, exec_lo, s0
	v_or_b32_e32 v32, 0xc80, v0
	s_mov_b32 s0, exec_lo
                                        ; implicit-def: $vgpr31
	s_delay_alu instid0(VALU_DEP_1)
	v_cmpx_gt_u32_e64 s1, v32
	s_cbranch_execz .LBB534_59
; %bb.58:
	v_lshlrev_b32_e32 v31, 1, v32
	s_delay_alu instid0(VALU_DEP_1)
	v_add_co_u32 v31, vcc_lo, v2, v31
	v_add_co_ci_u32_e32 v32, vcc_lo, 0, v3, vcc_lo
	flat_load_u16 v31, v[31:32]
.LBB534_59:
	s_or_b32 exec_lo, exec_lo, s0
	v_or_b32_e32 v33, 0xd00, v0
	s_mov_b32 s0, exec_lo
                                        ; implicit-def: $vgpr32
	s_delay_alu instid0(VALU_DEP_1)
	v_cmpx_gt_u32_e64 s1, v33
	s_cbranch_execz .LBB534_61
; %bb.60:
	v_lshlrev_b32_e32 v32, 1, v33
	s_delay_alu instid0(VALU_DEP_1)
	v_add_co_u32 v32, vcc_lo, v2, v32
	v_add_co_ci_u32_e32 v33, vcc_lo, 0, v3, vcc_lo
	flat_load_u16 v32, v[32:33]
.LBB534_61:
	s_or_b32 exec_lo, exec_lo, s0
	v_or_b32_e32 v34, 0xd80, v0
	s_mov_b32 s0, exec_lo
                                        ; implicit-def: $vgpr33
	s_delay_alu instid0(VALU_DEP_1)
	v_cmpx_gt_u32_e64 s1, v34
	s_cbranch_execz .LBB534_63
; %bb.62:
	v_lshlrev_b32_e32 v33, 1, v34
	s_delay_alu instid0(VALU_DEP_1)
	v_add_co_u32 v33, vcc_lo, v2, v33
	v_add_co_ci_u32_e32 v34, vcc_lo, 0, v3, vcc_lo
	flat_load_u16 v33, v[33:34]
.LBB534_63:
	s_or_b32 exec_lo, exec_lo, s0
	v_or_b32_e32 v35, 0xe00, v0
	s_mov_b32 s0, exec_lo
                                        ; implicit-def: $vgpr34
	s_delay_alu instid0(VALU_DEP_1)
	v_cmpx_gt_u32_e64 s1, v35
	s_cbranch_execz .LBB534_65
; %bb.64:
	v_lshlrev_b32_e32 v34, 1, v35
	s_delay_alu instid0(VALU_DEP_1)
	v_add_co_u32 v34, vcc_lo, v2, v34
	v_add_co_ci_u32_e32 v35, vcc_lo, 0, v3, vcc_lo
	flat_load_u16 v34, v[34:35]
.LBB534_65:
	s_or_b32 exec_lo, exec_lo, s0
	v_or_b32_e32 v36, 0xe80, v0
	s_mov_b32 s0, exec_lo
                                        ; implicit-def: $vgpr35
	s_delay_alu instid0(VALU_DEP_1)
	v_cmpx_gt_u32_e64 s1, v36
	s_cbranch_execz .LBB534_67
; %bb.66:
	v_lshlrev_b32_e32 v35, 1, v36
	s_delay_alu instid0(VALU_DEP_1)
	v_add_co_u32 v2, vcc_lo, v2, v35
	v_add_co_ci_u32_e32 v3, vcc_lo, 0, v3, vcc_lo
	flat_load_u16 v35, v[2:3]
.LBB534_67:
	s_or_b32 exec_lo, exec_lo, s0
	s_waitcnt vmcnt(0) lgkmcnt(0)
	ds_store_b16 v1, v4
	ds_store_b16 v1, v5 offset:256
	ds_store_b16 v1, v6 offset:512
	;; [unrolled: 1-line block ×29, first 2 shown]
	s_waitcnt lgkmcnt(0)
	s_barrier
.LBB534_68:
	v_mul_u32_u24_e32 v1, 30, v0
	s_waitcnt vmcnt(0)
	buffer_gl0_inv
	s_and_not1_b32 vcc_lo, exec_lo, s4
	v_lshlrev_b32_e32 v2, 1, v1
	ds_load_b32 v11, v2 offset:56
	ds_load_2addr_b32 v[9:10], v2 offset0:12 offset1:13
	ds_load_2addr_b32 v[14:15], v2 offset0:10 offset1:11
	ds_load_2addr_b32 v[24:25], v2 offset1:1
	ds_load_2addr_b32 v[22:23], v2 offset0:2 offset1:3
	ds_load_2addr_b32 v[20:21], v2 offset0:4 offset1:5
	;; [unrolled: 1-line block ×4, first 2 shown]
	s_waitcnt lgkmcnt(0)
	s_barrier
	buffer_gl0_inv
	v_lshrrev_b32_e32 v86, 16, v11
	v_lshrrev_b32_e32 v88, 16, v9
	v_lshrrev_b32_e32 v87, 16, v10
	v_lshrrev_b32_e32 v90, 16, v14
	v_lshrrev_b32_e32 v89, 16, v15
	v_lshrrev_b32_e32 v100, 16, v24
	v_lshrrev_b32_e32 v99, 16, v25
	v_lshrrev_b32_e32 v98, 16, v22
	v_lshrrev_b32_e32 v97, 16, v23
	v_lshrrev_b32_e32 v96, 16, v20
	v_lshrrev_b32_e32 v95, 16, v21
	v_lshrrev_b32_e32 v94, 16, v18
	v_lshrrev_b32_e32 v93, 16, v19
	v_lshrrev_b32_e32 v92, 16, v16
	v_lshrrev_b32_e32 v91, 16, v17
	s_cbranch_vccnz .LBB534_70
; %bb.69:
	v_mul_lo_u16 v2, 0xaaab, v24
	v_mul_lo_u16 v3, 0xaaab, v100
	;; [unrolled: 1-line block ×4, first 2 shown]
	s_delay_alu instid0(VALU_DEP_4)
	v_cmp_lt_u16_e32 vcc_lo, 0x5555, v2
	v_mul_lo_u16 v2, 0xaaab, v99
	v_cndmask_b32_e64 v102, 0, 1, vcc_lo
	v_cmp_lt_u16_e32 vcc_lo, 0x5555, v3
	v_mul_lo_u16 v3, 0xaaab, v22
	v_cndmask_b32_e64 v101, 0, 1, vcc_lo
	;; [unrolled: 3-line block ×25, first 2 shown]
	v_cmp_lt_u16_e32 vcc_lo, 0x5555, v2
	v_mul_lo_u16 v2, 0xaaab, v87
	s_delay_alu instid0(VALU_DEP_4) | instskip(SKIP_2) | instid1(VALU_DEP_3)
	v_cmp_lt_u16_e64 s0, 0x5555, v4
	v_cndmask_b32_e64 v125, 0, 1, vcc_lo
	v_cmp_lt_u16_e32 vcc_lo, 0x5555, v3
	v_cndmask_b32_e64 v129, 0, 1, s0
	v_cndmask_b32_e64 v128, 0, 1, vcc_lo
	v_cmp_lt_u16_e32 vcc_lo, 0x5555, v2
	v_cndmask_b32_e64 v127, 0, 1, vcc_lo
	v_cmp_lt_u16_e32 vcc_lo, 0x5555, v5
	s_and_b32 s6, vcc_lo, exec_lo
	s_cbranch_execz .LBB534_71
	s_branch .LBB534_132
.LBB534_70:
                                        ; implicit-def: $sgpr6
                                        ; implicit-def: $vgpr102
                                        ; implicit-def: $vgpr101
                                        ; implicit-def: $vgpr104
                                        ; implicit-def: $vgpr103
                                        ; implicit-def: $vgpr106
                                        ; implicit-def: $vgpr105
                                        ; implicit-def: $vgpr108
                                        ; implicit-def: $vgpr107
                                        ; implicit-def: $vgpr110
                                        ; implicit-def: $vgpr109
                                        ; implicit-def: $vgpr112
                                        ; implicit-def: $vgpr111
                                        ; implicit-def: $vgpr114
                                        ; implicit-def: $vgpr113
                                        ; implicit-def: $vgpr116
                                        ; implicit-def: $vgpr115
                                        ; implicit-def: $vgpr118
                                        ; implicit-def: $vgpr117
                                        ; implicit-def: $vgpr120
                                        ; implicit-def: $vgpr119
                                        ; implicit-def: $vgpr122
                                        ; implicit-def: $vgpr121
                                        ; implicit-def: $vgpr124
                                        ; implicit-def: $vgpr123
                                        ; implicit-def: $vgpr126
                                        ; implicit-def: $vgpr125
                                        ; implicit-def: $vgpr128
                                        ; implicit-def: $vgpr127
                                        ; implicit-def: $vgpr129
.LBB534_71:
	v_dual_mov_b32 v101, 0 :: v_dual_mov_b32 v102, 0
	s_mov_b32 s0, exec_lo
	v_cmpx_gt_u32_e64 s1, v1
; %bb.72:
	v_mul_lo_u16 v2, 0xaaab, v24
	s_delay_alu instid0(VALU_DEP_1)
	v_cmp_lt_u16_e32 vcc_lo, 0x5555, v2
	v_cndmask_b32_e64 v102, 0, 1, vcc_lo
; %bb.73:
	s_or_b32 exec_lo, exec_lo, s0
	v_or_b32_e32 v2, 1, v1
	s_mov_b32 s0, exec_lo
	s_delay_alu instid0(VALU_DEP_1)
	v_cmpx_gt_u32_e64 s1, v2
; %bb.74:
	v_mul_lo_u16 v2, 0xaaab, v100
	s_delay_alu instid0(VALU_DEP_1)
	v_cmp_lt_u16_e32 vcc_lo, 0x5555, v2
	v_cndmask_b32_e64 v101, 0, 1, vcc_lo
; %bb.75:
	s_or_b32 exec_lo, exec_lo, s0
	v_dual_mov_b32 v103, 0 :: v_dual_add_nc_u32 v2, 2, v1
	v_mov_b32_e32 v104, 0
	s_mov_b32 s0, exec_lo
	s_delay_alu instid0(VALU_DEP_2)
	v_cmpx_gt_u32_e64 s1, v2
; %bb.76:
	v_mul_lo_u16 v2, 0xaaab, v25
	s_delay_alu instid0(VALU_DEP_1)
	v_cmp_lt_u16_e32 vcc_lo, 0x5555, v2
	v_cndmask_b32_e64 v104, 0, 1, vcc_lo
; %bb.77:
	s_or_b32 exec_lo, exec_lo, s0
	v_add_nc_u32_e32 v2, 3, v1
	s_mov_b32 s0, exec_lo
	s_delay_alu instid0(VALU_DEP_1)
	v_cmpx_gt_u32_e64 s1, v2
; %bb.78:
	v_mul_lo_u16 v2, 0xaaab, v99
	s_delay_alu instid0(VALU_DEP_1)
	v_cmp_lt_u16_e32 vcc_lo, 0x5555, v2
	v_cndmask_b32_e64 v103, 0, 1, vcc_lo
; %bb.79:
	s_or_b32 exec_lo, exec_lo, s0
	v_dual_mov_b32 v105, 0 :: v_dual_add_nc_u32 v2, 4, v1
	v_mov_b32_e32 v106, 0
	s_mov_b32 s0, exec_lo
	s_delay_alu instid0(VALU_DEP_2)
	v_cmpx_gt_u32_e64 s1, v2
; %bb.80:
	v_mul_lo_u16 v2, 0xaaab, v22
	s_delay_alu instid0(VALU_DEP_1)
	v_cmp_lt_u16_e32 vcc_lo, 0x5555, v2
	v_cndmask_b32_e64 v106, 0, 1, vcc_lo
; %bb.81:
	s_or_b32 exec_lo, exec_lo, s0
	v_add_nc_u32_e32 v2, 5, v1
	;; [unrolled: 23-line block ×13, first 2 shown]
	s_mov_b32 s0, exec_lo
	s_delay_alu instid0(VALU_DEP_1)
	v_cmpx_gt_u32_e64 s1, v2
; %bb.126:
	v_mul_lo_u16 v2, 0xaaab, v87
	s_delay_alu instid0(VALU_DEP_1)
	v_cmp_lt_u16_e32 vcc_lo, 0x5555, v2
	v_cndmask_b32_e64 v127, 0, 1, vcc_lo
; %bb.127:
	s_or_b32 exec_lo, exec_lo, s0
	v_dual_mov_b32 v129, 0 :: v_dual_add_nc_u32 v2, 28, v1
	s_mov_b32 s0, exec_lo
	s_delay_alu instid0(VALU_DEP_1)
	v_cmpx_gt_u32_e64 s1, v2
; %bb.128:
	v_mul_lo_u16 v2, 0xaaab, v11
	s_delay_alu instid0(VALU_DEP_1)
	v_cmp_lt_u16_e32 vcc_lo, 0x5555, v2
	v_cndmask_b32_e64 v129, 0, 1, vcc_lo
; %bb.129:
	s_or_b32 exec_lo, exec_lo, s0
	v_add_nc_u32_e32 v1, 29, v1
	s_mov_b32 s6, 0
	s_mov_b32 s0, exec_lo
	s_delay_alu instid0(VALU_DEP_1)
	v_cmpx_gt_u32_e64 s1, v1
; %bb.130:
	v_mul_lo_u16 v1, 0xaaab, v86
	s_delay_alu instid0(VALU_DEP_1)
	v_cmp_lt_u16_e32 vcc_lo, 0x5555, v1
	s_and_b32 s6, vcc_lo, exec_lo
; %bb.131:
	s_or_b32 exec_lo, exec_lo, s0
.LBB534_132:
	v_and_b32_e32 v84, 0xff, v129
	v_cndmask_b32_e64 v1, 0, 1, s6
	v_dual_mov_b32 v2, 0 :: v_dual_and_b32 v85, 0xff, v127
	v_and_b32_e32 v130, 0xff, v128
	v_and_b32_e32 v131, 0xff, v125
	s_delay_alu instid0(VALU_DEP_4) | instskip(NEXT) | instid1(VALU_DEP_1)
	v_add_co_u32 v1, s0, v84, v1
	v_add_co_ci_u32_e64 v3, null, 0, 0, s0
	v_and_b32_e32 v132, 0xff, v126
	s_delay_alu instid0(VALU_DEP_3) | instskip(NEXT) | instid1(VALU_DEP_3)
	v_add_co_u32 v1, vcc_lo, v1, v85
	v_add_co_ci_u32_e32 v3, vcc_lo, 0, v3, vcc_lo
	v_and_b32_e32 v34, 0xff, v123
	s_delay_alu instid0(VALU_DEP_3) | instskip(NEXT) | instid1(VALU_DEP_3)
	v_add_co_u32 v1, vcc_lo, v1, v130
	v_add_co_ci_u32_e32 v3, vcc_lo, 0, v3, vcc_lo
	v_and_b32_e32 v35, 0xff, v124
	s_delay_alu instid0(VALU_DEP_3) | instskip(NEXT) | instid1(VALU_DEP_3)
	v_add_co_u32 v1, vcc_lo, v1, v131
	v_add_co_ci_u32_e32 v3, vcc_lo, 0, v3, vcc_lo
	v_and_b32_e32 v36, 0xff, v121
	s_delay_alu instid0(VALU_DEP_3) | instskip(NEXT) | instid1(VALU_DEP_3)
	v_add_co_u32 v1, vcc_lo, v1, v132
	v_add_co_ci_u32_e32 v3, vcc_lo, 0, v3, vcc_lo
	v_and_b32_e32 v37, 0xff, v122
	s_delay_alu instid0(VALU_DEP_3) | instskip(NEXT) | instid1(VALU_DEP_3)
	v_add_co_u32 v1, vcc_lo, v1, v34
	v_add_co_ci_u32_e32 v3, vcc_lo, 0, v3, vcc_lo
	v_and_b32_e32 v38, 0xff, v119
	s_delay_alu instid0(VALU_DEP_3) | instskip(NEXT) | instid1(VALU_DEP_3)
	v_add_co_u32 v1, vcc_lo, v1, v35
	v_add_co_ci_u32_e32 v3, vcc_lo, 0, v3, vcc_lo
	v_and_b32_e32 v39, 0xff, v120
	s_delay_alu instid0(VALU_DEP_3) | instskip(NEXT) | instid1(VALU_DEP_3)
	v_add_co_u32 v1, vcc_lo, v1, v36
	v_add_co_ci_u32_e32 v3, vcc_lo, 0, v3, vcc_lo
	v_and_b32_e32 v40, 0xff, v117
	s_delay_alu instid0(VALU_DEP_3) | instskip(NEXT) | instid1(VALU_DEP_3)
	v_add_co_u32 v1, vcc_lo, v1, v37
	v_add_co_ci_u32_e32 v3, vcc_lo, 0, v3, vcc_lo
	v_and_b32_e32 v41, 0xff, v118
	s_delay_alu instid0(VALU_DEP_3) | instskip(NEXT) | instid1(VALU_DEP_3)
	v_add_co_u32 v1, vcc_lo, v1, v38
	v_add_co_ci_u32_e32 v3, vcc_lo, 0, v3, vcc_lo
	v_and_b32_e32 v42, 0xff, v115
	s_delay_alu instid0(VALU_DEP_3) | instskip(NEXT) | instid1(VALU_DEP_3)
	v_add_co_u32 v1, vcc_lo, v1, v39
	v_add_co_ci_u32_e32 v3, vcc_lo, 0, v3, vcc_lo
	v_and_b32_e32 v43, 0xff, v116
	s_delay_alu instid0(VALU_DEP_3) | instskip(NEXT) | instid1(VALU_DEP_3)
	v_add_co_u32 v1, vcc_lo, v1, v40
	v_add_co_ci_u32_e32 v3, vcc_lo, 0, v3, vcc_lo
	v_and_b32_e32 v44, 0xff, v113
	s_delay_alu instid0(VALU_DEP_3) | instskip(NEXT) | instid1(VALU_DEP_3)
	v_add_co_u32 v1, vcc_lo, v1, v41
	v_add_co_ci_u32_e32 v3, vcc_lo, 0, v3, vcc_lo
	v_and_b32_e32 v45, 0xff, v114
	s_delay_alu instid0(VALU_DEP_3) | instskip(NEXT) | instid1(VALU_DEP_3)
	v_add_co_u32 v1, vcc_lo, v1, v42
	v_add_co_ci_u32_e32 v3, vcc_lo, 0, v3, vcc_lo
	v_and_b32_e32 v47, 0xff, v111
	s_delay_alu instid0(VALU_DEP_3) | instskip(NEXT) | instid1(VALU_DEP_3)
	v_add_co_u32 v1, vcc_lo, v1, v43
	v_add_co_ci_u32_e32 v3, vcc_lo, 0, v3, vcc_lo
	v_and_b32_e32 v48, 0xff, v112
	s_delay_alu instid0(VALU_DEP_3) | instskip(NEXT) | instid1(VALU_DEP_3)
	v_add_co_u32 v1, vcc_lo, v1, v44
	v_add_co_ci_u32_e32 v3, vcc_lo, 0, v3, vcc_lo
	v_and_b32_e32 v49, 0xff, v109
	s_delay_alu instid0(VALU_DEP_3) | instskip(NEXT) | instid1(VALU_DEP_3)
	v_add_co_u32 v1, vcc_lo, v1, v45
	v_add_co_ci_u32_e32 v3, vcc_lo, 0, v3, vcc_lo
	v_and_b32_e32 v50, 0xff, v110
	s_delay_alu instid0(VALU_DEP_3) | instskip(NEXT) | instid1(VALU_DEP_3)
	v_add_co_u32 v1, vcc_lo, v1, v47
	v_add_co_ci_u32_e32 v3, vcc_lo, 0, v3, vcc_lo
	v_and_b32_e32 v51, 0xff, v107
	s_delay_alu instid0(VALU_DEP_3) | instskip(NEXT) | instid1(VALU_DEP_3)
	v_add_co_u32 v1, vcc_lo, v1, v48
	v_add_co_ci_u32_e32 v3, vcc_lo, 0, v3, vcc_lo
	v_and_b32_e32 v52, 0xff, v108
	s_delay_alu instid0(VALU_DEP_3) | instskip(NEXT) | instid1(VALU_DEP_3)
	v_add_co_u32 v1, vcc_lo, v1, v49
	v_add_co_ci_u32_e32 v3, vcc_lo, 0, v3, vcc_lo
	v_and_b32_e32 v53, 0xff, v105
	s_delay_alu instid0(VALU_DEP_3) | instskip(NEXT) | instid1(VALU_DEP_3)
	v_add_co_u32 v1, vcc_lo, v1, v50
	v_add_co_ci_u32_e32 v3, vcc_lo, 0, v3, vcc_lo
	v_and_b32_e32 v54, 0xff, v106
	s_delay_alu instid0(VALU_DEP_3) | instskip(NEXT) | instid1(VALU_DEP_3)
	v_add_co_u32 v1, vcc_lo, v1, v51
	v_add_co_ci_u32_e32 v3, vcc_lo, 0, v3, vcc_lo
	v_and_b32_e32 v55, 0xff, v103
	s_delay_alu instid0(VALU_DEP_3) | instskip(NEXT) | instid1(VALU_DEP_3)
	v_add_co_u32 v1, vcc_lo, v1, v52
	v_add_co_ci_u32_e32 v3, vcc_lo, 0, v3, vcc_lo
	v_and_b32_e32 v56, 0xff, v104
	s_delay_alu instid0(VALU_DEP_3) | instskip(NEXT) | instid1(VALU_DEP_3)
	v_add_co_u32 v1, vcc_lo, v1, v53
	v_add_co_ci_u32_e32 v3, vcc_lo, 0, v3, vcc_lo
	v_and_b32_e32 v57, 0xff, v101
	s_delay_alu instid0(VALU_DEP_3) | instskip(NEXT) | instid1(VALU_DEP_3)
	v_add_co_u32 v1, vcc_lo, v1, v54
	v_add_co_ci_u32_e32 v3, vcc_lo, 0, v3, vcc_lo
	v_mbcnt_lo_u32_b32 v58, -1, 0
	s_delay_alu instid0(VALU_DEP_3) | instskip(NEXT) | instid1(VALU_DEP_3)
	v_add_co_u32 v1, vcc_lo, v1, v55
	v_add_co_ci_u32_e32 v3, vcc_lo, 0, v3, vcc_lo
	v_and_b32_e32 v46, 0xff, v102
	s_delay_alu instid0(VALU_DEP_3) | instskip(NEXT) | instid1(VALU_DEP_3)
	v_add_co_u32 v1, vcc_lo, v1, v56
	v_add_co_ci_u32_e32 v3, vcc_lo, 0, v3, vcc_lo
	v_and_b32_e32 v59, 15, v58
	s_delay_alu instid0(VALU_DEP_3) | instskip(NEXT) | instid1(VALU_DEP_3)
	v_add_co_u32 v1, vcc_lo, v1, v57
	v_add_co_ci_u32_e32 v3, vcc_lo, 0, v3, vcc_lo
	s_delay_alu instid0(VALU_DEP_3) | instskip(NEXT) | instid1(VALU_DEP_3)
	v_cmp_ne_u32_e64 s0, 0, v59
	v_add_co_u32 v26, vcc_lo, v1, v46
	s_delay_alu instid0(VALU_DEP_3)
	v_add_co_ci_u32_e32 v27, vcc_lo, 0, v3, vcc_lo
	s_cmp_lg_u32 s10, 0
	s_mov_b32 s1, -1
	s_cbranch_scc0 .LBB534_197
; %bb.133:
	v_mov_b32_e32 v3, v26
	v_mov_b32_dpp v1, v26 row_shr:1 row_mask:0xf bank_mask:0xf
	v_mov_b32_dpp v6, v2 row_shr:1 row_mask:0xf bank_mask:0xf
	v_dual_mov_b32 v5, v26 :: v_dual_mov_b32 v4, v27
	s_and_saveexec_b32 s1, s0
; %bb.134:
	s_delay_alu instid0(VALU_DEP_3) | instskip(SKIP_1) | instid1(VALU_DEP_2)
	v_add_co_u32 v5, vcc_lo, v26, v1
	v_add_co_ci_u32_e32 v2, vcc_lo, 0, v27, vcc_lo
	v_add_co_u32 v1, vcc_lo, 0, v5
	s_delay_alu instid0(VALU_DEP_2) | instskip(NEXT) | instid1(VALU_DEP_1)
	v_add_co_ci_u32_e32 v2, vcc_lo, v6, v2, vcc_lo
	v_dual_mov_b32 v4, v2 :: v_dual_mov_b32 v3, v1
; %bb.135:
	s_or_b32 exec_lo, exec_lo, s1
	v_mov_b32_dpp v1, v5 row_shr:2 row_mask:0xf bank_mask:0xf
	v_mov_b32_dpp v6, v2 row_shr:2 row_mask:0xf bank_mask:0xf
	s_mov_b32 s1, exec_lo
	v_cmpx_lt_u32_e32 1, v59
; %bb.136:
	s_delay_alu instid0(VALU_DEP_3) | instskip(SKIP_1) | instid1(VALU_DEP_2)
	v_add_co_u32 v5, vcc_lo, v3, v1
	v_add_co_ci_u32_e32 v2, vcc_lo, 0, v4, vcc_lo
	v_add_co_u32 v1, vcc_lo, 0, v5
	s_delay_alu instid0(VALU_DEP_2) | instskip(NEXT) | instid1(VALU_DEP_1)
	v_add_co_ci_u32_e32 v2, vcc_lo, v6, v2, vcc_lo
	v_dual_mov_b32 v4, v2 :: v_dual_mov_b32 v3, v1
; %bb.137:
	s_or_b32 exec_lo, exec_lo, s1
	v_mov_b32_dpp v1, v5 row_shr:4 row_mask:0xf bank_mask:0xf
	v_mov_b32_dpp v6, v2 row_shr:4 row_mask:0xf bank_mask:0xf
	s_mov_b32 s1, exec_lo
	v_cmpx_lt_u32_e32 3, v59
	;; [unrolled: 14-line block ×3, first 2 shown]
; %bb.140:
	s_delay_alu instid0(VALU_DEP_3) | instskip(SKIP_1) | instid1(VALU_DEP_2)
	v_add_co_u32 v5, vcc_lo, v3, v6
	v_add_co_ci_u32_e32 v2, vcc_lo, 0, v4, vcc_lo
	v_add_co_u32 v3, vcc_lo, 0, v5
	s_delay_alu instid0(VALU_DEP_2) | instskip(NEXT) | instid1(VALU_DEP_1)
	v_add_co_ci_u32_e32 v4, vcc_lo, v1, v2, vcc_lo
	v_mov_b32_e32 v2, v4
; %bb.141:
	s_or_b32 exec_lo, exec_lo, s1
	ds_swizzle_b32 v1, v5 offset:swizzle(BROADCAST,32,15)
	ds_swizzle_b32 v6, v2 offset:swizzle(BROADCAST,32,15)
	v_and_b32_e32 v7, 16, v58
	s_mov_b32 s1, exec_lo
	s_delay_alu instid0(VALU_DEP_1)
	v_cmpx_ne_u32_e32 0, v7
	s_cbranch_execz .LBB534_143
; %bb.142:
	s_waitcnt lgkmcnt(1)
	v_add_co_u32 v5, vcc_lo, v3, v1
	v_add_co_ci_u32_e32 v2, vcc_lo, 0, v4, vcc_lo
	s_delay_alu instid0(VALU_DEP_2) | instskip(SKIP_1) | instid1(VALU_DEP_2)
	v_add_co_u32 v1, vcc_lo, 0, v5
	s_waitcnt lgkmcnt(0)
	v_add_co_ci_u32_e32 v2, vcc_lo, v6, v2, vcc_lo
	s_delay_alu instid0(VALU_DEP_1)
	v_dual_mov_b32 v4, v2 :: v_dual_mov_b32 v3, v1
.LBB534_143:
	s_or_b32 exec_lo, exec_lo, s1
	s_waitcnt lgkmcnt(0)
	v_or_b32_e32 v6, 31, v0
	v_lshrrev_b32_e32 v1, 5, v0
	s_mov_b32 s1, exec_lo
	s_delay_alu instid0(VALU_DEP_2)
	v_cmpx_eq_u32_e64 v6, v0
	s_cbranch_execz .LBB534_145
; %bb.144:
	s_delay_alu instid0(VALU_DEP_2)
	v_lshlrev_b32_e32 v6, 3, v1
	ds_store_b64 v6, v[3:4]
.LBB534_145:
	s_or_b32 exec_lo, exec_lo, s1
	s_delay_alu instid0(SALU_CYCLE_1)
	s_mov_b32 s1, exec_lo
	s_waitcnt lgkmcnt(0)
	s_barrier
	buffer_gl0_inv
	v_cmpx_gt_u32_e32 4, v0
	s_cbranch_execz .LBB534_151
; %bb.146:
	v_lshlrev_b32_e32 v6, 3, v0
	s_mov_b32 s7, exec_lo
	ds_load_b64 v[3:4], v6
	s_waitcnt lgkmcnt(0)
	v_dual_mov_b32 v8, v3 :: v_dual_and_b32 v7, 3, v58
	v_mov_b32_dpp v29, v3 row_shr:1 row_mask:0xf bank_mask:0xf
	v_mov_b32_dpp v28, v4 row_shr:1 row_mask:0xf bank_mask:0xf
	s_delay_alu instid0(VALU_DEP_3)
	v_cmpx_ne_u32_e32 0, v7
; %bb.147:
	s_delay_alu instid0(VALU_DEP_3) | instskip(SKIP_1) | instid1(VALU_DEP_2)
	v_add_co_u32 v8, vcc_lo, v3, v29
	v_add_co_ci_u32_e32 v4, vcc_lo, 0, v4, vcc_lo
	v_add_co_u32 v3, vcc_lo, 0, v8
	s_delay_alu instid0(VALU_DEP_2)
	v_add_co_ci_u32_e32 v4, vcc_lo, v28, v4, vcc_lo
; %bb.148:
	s_or_b32 exec_lo, exec_lo, s7
	v_mov_b32_dpp v28, v8 row_shr:2 row_mask:0xf bank_mask:0xf
	s_delay_alu instid0(VALU_DEP_2)
	v_mov_b32_dpp v8, v4 row_shr:2 row_mask:0xf bank_mask:0xf
	s_mov_b32 s7, exec_lo
	v_cmpx_lt_u32_e32 1, v7
; %bb.149:
	s_delay_alu instid0(VALU_DEP_3) | instskip(SKIP_1) | instid1(VALU_DEP_2)
	v_add_co_u32 v3, vcc_lo, v3, v28
	v_add_co_ci_u32_e32 v4, vcc_lo, 0, v4, vcc_lo
	v_add_co_u32 v3, vcc_lo, v3, 0
	s_delay_alu instid0(VALU_DEP_2)
	v_add_co_ci_u32_e32 v4, vcc_lo, v4, v8, vcc_lo
; %bb.150:
	s_or_b32 exec_lo, exec_lo, s7
	ds_store_b64 v6, v[3:4]
.LBB534_151:
	s_or_b32 exec_lo, exec_lo, s1
	v_cmp_gt_u32_e32 vcc_lo, 32, v0
	s_mov_b32 s7, exec_lo
	s_waitcnt lgkmcnt(0)
	s_barrier
	buffer_gl0_inv
                                        ; implicit-def: $vgpr28_vgpr29
	v_cmpx_lt_u32_e32 31, v0
	s_cbranch_execz .LBB534_153
; %bb.152:
	v_lshl_add_u32 v1, v1, 3, -8
	ds_load_b64 v[28:29], v1
	s_waitcnt lgkmcnt(0)
	v_add_co_u32 v5, s1, v5, v28
	s_delay_alu instid0(VALU_DEP_1)
	v_add_co_ci_u32_e64 v2, s1, v2, v29, s1
.LBB534_153:
	s_or_b32 exec_lo, exec_lo, s7
	v_add_nc_u32_e32 v1, -1, v58
	s_delay_alu instid0(VALU_DEP_1) | instskip(NEXT) | instid1(VALU_DEP_1)
	v_cmp_gt_i32_e64 s1, 0, v1
	v_cndmask_b32_e64 v1, v1, v58, s1
	v_cmp_eq_u32_e64 s1, 0, v58
	s_delay_alu instid0(VALU_DEP_2)
	v_lshlrev_b32_e32 v1, 2, v1
	ds_bpermute_b32 v60, v1, v5
	ds_bpermute_b32 v61, v1, v2
	s_and_saveexec_b32 s7, vcc_lo
	s_cbranch_execz .LBB534_196
; %bb.154:
	v_mov_b32_e32 v4, 0
	ds_load_b64 v[1:2], v4 offset:24
	s_and_saveexec_b32 s11, s1
	s_cbranch_execz .LBB534_156
; %bb.155:
	s_add_i32 s16, s10, 32
	s_mov_b32 s17, 0
	s_delay_alu instid0(SALU_CYCLE_1) | instskip(NEXT) | instid1(SALU_CYCLE_1)
	s_lshl_b64 s[16:17], s[16:17], 4
	s_add_u32 s16, s14, s16
	s_addc_u32 s17, s15, s17
	v_mov_b32_e32 v5, s16
	v_dual_mov_b32 v3, 1 :: v_dual_mov_b32 v6, s17
	s_waitcnt lgkmcnt(0)
	;;#ASMSTART
	global_store_dwordx4 v[5:6], v[1:4] off	
s_waitcnt vmcnt(0)
	;;#ASMEND
.LBB534_156:
	s_or_b32 exec_lo, exec_lo, s11
	v_xad_u32 v30, v58, -1, s10
	s_mov_b32 s16, 0
	s_mov_b32 s11, exec_lo
	s_delay_alu instid0(VALU_DEP_1) | instskip(NEXT) | instid1(VALU_DEP_1)
	v_add_nc_u32_e32 v3, 32, v30
	v_lshlrev_b64 v[3:4], 4, v[3:4]
	s_delay_alu instid0(VALU_DEP_1) | instskip(NEXT) | instid1(VALU_DEP_2)
	v_add_co_u32 v3, vcc_lo, s14, v3
	v_add_co_ci_u32_e32 v4, vcc_lo, s15, v4, vcc_lo
	;;#ASMSTART
	global_load_dwordx4 v[5:8], v[3:4] off glc	
s_waitcnt vmcnt(0)
	;;#ASMEND
	v_and_b32_e32 v8, 0xff, v6
	v_and_b32_e32 v31, 0xff00, v6
	v_or3_b32 v5, v5, 0, 0
	v_and_b32_e32 v32, 0xff000000, v6
	v_and_b32_e32 v6, 0xff0000, v6
	s_delay_alu instid0(VALU_DEP_4) | instskip(SKIP_2) | instid1(VALU_DEP_3)
	v_or3_b32 v8, 0, v8, v31
	v_and_b32_e32 v31, 0xff, v7
	v_or3_b32 v5, v5, 0, 0
	v_or3_b32 v6, v8, v6, v32
	s_delay_alu instid0(VALU_DEP_3)
	v_cmpx_eq_u16_e32 0, v31
	s_cbranch_execz .LBB534_162
; %bb.157:
	s_mov_b32 s17, 1
	.p2align	6
.LBB534_158:                            ; =>This Loop Header: Depth=1
                                        ;     Child Loop BB534_159 Depth 2
	s_delay_alu instid0(SALU_CYCLE_1)
	s_max_u32 s18, s17, 1
.LBB534_159:                            ;   Parent Loop BB534_158 Depth=1
                                        ; =>  This Inner Loop Header: Depth=2
	s_delay_alu instid0(SALU_CYCLE_1)
	s_add_i32 s18, s18, -1
	s_sleep 1
	s_cmp_eq_u32 s18, 0
	s_cbranch_scc0 .LBB534_159
; %bb.160:                              ;   in Loop: Header=BB534_158 Depth=1
	;;#ASMSTART
	global_load_dwordx4 v[5:8], v[3:4] off glc	
s_waitcnt vmcnt(0)
	;;#ASMEND
	v_and_b32_e32 v8, 0xff, v7
	s_cmp_lt_u32 s17, 32
	s_cselect_b32 s18, -1, 0
	s_delay_alu instid0(SALU_CYCLE_1) | instskip(NEXT) | instid1(VALU_DEP_1)
	s_cmp_lg_u32 s18, 0
	v_cmp_ne_u16_e32 vcc_lo, 0, v8
	s_addc_u32 s17, s17, 0
	s_or_b32 s16, vcc_lo, s16
	s_delay_alu instid0(SALU_CYCLE_1)
	s_and_not1_b32 exec_lo, exec_lo, s16
	s_cbranch_execnz .LBB534_158
; %bb.161:
	s_or_b32 exec_lo, exec_lo, s16
.LBB534_162:
	s_delay_alu instid0(SALU_CYCLE_1)
	s_or_b32 exec_lo, exec_lo, s11
	v_cmp_ne_u32_e32 vcc_lo, 31, v58
	v_and_b32_e32 v4, 0xff, v7
	v_lshlrev_b32_e64 v63, v58, -1
	s_mov_b32 s11, exec_lo
	v_add_co_ci_u32_e32 v3, vcc_lo, 0, v58, vcc_lo
	s_delay_alu instid0(VALU_DEP_3) | instskip(SKIP_1) | instid1(VALU_DEP_3)
	v_cmp_eq_u16_e32 vcc_lo, 2, v4
	v_mov_b32_e32 v4, v5
	v_lshlrev_b32_e32 v62, 2, v3
	v_and_or_b32 v3, vcc_lo, v63, 0x80000000
	ds_bpermute_b32 v31, v62, v5
	ds_bpermute_b32 v8, v62, v6
	v_ctz_i32_b32_e32 v3, v3
	s_delay_alu instid0(VALU_DEP_1)
	v_cmpx_lt_u32_e64 v58, v3
	s_cbranch_execz .LBB534_164
; %bb.163:
	s_waitcnt lgkmcnt(1)
	v_add_co_u32 v4, vcc_lo, v5, v31
	v_add_co_ci_u32_e32 v6, vcc_lo, 0, v6, vcc_lo
	s_delay_alu instid0(VALU_DEP_2) | instskip(SKIP_1) | instid1(VALU_DEP_2)
	v_add_co_u32 v5, vcc_lo, 0, v4
	s_waitcnt lgkmcnt(0)
	v_add_co_ci_u32_e32 v6, vcc_lo, v8, v6, vcc_lo
.LBB534_164:
	s_or_b32 exec_lo, exec_lo, s11
	v_cmp_gt_u32_e32 vcc_lo, 30, v58
	v_add_nc_u32_e32 v65, 2, v58
	s_mov_b32 s11, exec_lo
	s_waitcnt lgkmcnt(0)
	v_cndmask_b32_e64 v8, 0, 1, vcc_lo
	s_delay_alu instid0(VALU_DEP_1) | instskip(NEXT) | instid1(VALU_DEP_1)
	v_lshlrev_b32_e32 v8, 1, v8
	v_add_lshl_u32 v64, v8, v58, 2
	ds_bpermute_b32 v31, v64, v4
	ds_bpermute_b32 v8, v64, v6
	v_cmpx_le_u32_e64 v65, v3
	s_cbranch_execz .LBB534_166
; %bb.165:
	s_waitcnt lgkmcnt(1)
	v_add_co_u32 v4, vcc_lo, v5, v31
	v_add_co_ci_u32_e32 v6, vcc_lo, 0, v6, vcc_lo
	s_delay_alu instid0(VALU_DEP_2) | instskip(SKIP_1) | instid1(VALU_DEP_2)
	v_add_co_u32 v5, vcc_lo, 0, v4
	s_waitcnt lgkmcnt(0)
	v_add_co_ci_u32_e32 v6, vcc_lo, v8, v6, vcc_lo
.LBB534_166:
	s_or_b32 exec_lo, exec_lo, s11
	v_cmp_gt_u32_e32 vcc_lo, 28, v58
	v_add_nc_u32_e32 v67, 4, v58
	s_mov_b32 s11, exec_lo
	s_waitcnt lgkmcnt(0)
	v_cndmask_b32_e64 v8, 0, 1, vcc_lo
	s_delay_alu instid0(VALU_DEP_1) | instskip(NEXT) | instid1(VALU_DEP_1)
	v_lshlrev_b32_e32 v8, 2, v8
	v_add_lshl_u32 v66, v8, v58, 2
	ds_bpermute_b32 v31, v66, v4
	ds_bpermute_b32 v8, v66, v6
	v_cmpx_le_u32_e64 v67, v3
	;; [unrolled: 22-line block ×4, first 2 shown]
	s_cbranch_execz .LBB534_172
; %bb.171:
	s_waitcnt lgkmcnt(1)
	v_add_co_u32 v3, vcc_lo, v5, v8
	v_add_co_ci_u32_e32 v6, vcc_lo, 0, v6, vcc_lo
	s_delay_alu instid0(VALU_DEP_2) | instskip(SKIP_1) | instid1(VALU_DEP_2)
	v_add_co_u32 v5, vcc_lo, v3, 0
	s_waitcnt lgkmcnt(0)
	v_add_co_ci_u32_e32 v6, vcc_lo, v6, v4, vcc_lo
.LBB534_172:
	s_or_b32 exec_lo, exec_lo, s11
	v_mov_b32_e32 v31, 0
	s_branch .LBB534_174
.LBB534_173:                            ;   in Loop: Header=BB534_174 Depth=1
	s_or_b32 exec_lo, exec_lo, s11
	v_add_co_u32 v5, vcc_lo, v5, v3
	v_subrev_nc_u32_e32 v30, 32, v30
	v_add_co_ci_u32_e32 v6, vcc_lo, v6, v4, vcc_lo
.LBB534_174:                            ; =>This Loop Header: Depth=1
                                        ;     Child Loop BB534_177 Depth 2
                                        ;       Child Loop BB534_178 Depth 3
	v_and_b32_e32 v3, 0xff, v7
	s_delay_alu instid0(VALU_DEP_1) | instskip(SKIP_2) | instid1(VALU_DEP_1)
	v_cmp_ne_u16_e32 vcc_lo, 2, v3
	v_cndmask_b32_e64 v3, 0, 1, vcc_lo
	;;#ASMSTART
	;;#ASMEND
	v_cmp_ne_u32_e32 vcc_lo, 0, v3
	s_waitcnt lgkmcnt(0)
	v_dual_mov_b32 v3, v5 :: v_dual_mov_b32 v4, v6
	s_cmp_lg_u32 vcc_lo, exec_lo
	s_cbranch_scc1 .LBB534_191
; %bb.175:                              ;   in Loop: Header=BB534_174 Depth=1
	v_lshlrev_b64 v[5:6], 4, v[30:31]
	s_mov_b32 s11, exec_lo
	s_delay_alu instid0(VALU_DEP_1) | instskip(NEXT) | instid1(VALU_DEP_2)
	v_add_co_u32 v32, vcc_lo, s14, v5
	v_add_co_ci_u32_e32 v33, vcc_lo, s15, v6, vcc_lo
	;;#ASMSTART
	global_load_dwordx4 v[5:8], v[32:33] off glc	
s_waitcnt vmcnt(0)
	;;#ASMEND
	v_and_b32_e32 v8, 0xff, v6
	v_and_b32_e32 v72, 0xff00, v6
	v_or3_b32 v5, v5, 0, 0
	v_and_b32_e32 v73, 0xff000000, v6
	v_and_b32_e32 v6, 0xff0000, v6
	s_delay_alu instid0(VALU_DEP_4) | instskip(SKIP_2) | instid1(VALU_DEP_3)
	v_or3_b32 v8, 0, v8, v72
	v_and_b32_e32 v72, 0xff, v7
	v_or3_b32 v5, v5, 0, 0
	v_or3_b32 v6, v8, v6, v73
	s_delay_alu instid0(VALU_DEP_3)
	v_cmpx_eq_u16_e32 0, v72
	s_cbranch_execz .LBB534_181
; %bb.176:                              ;   in Loop: Header=BB534_174 Depth=1
	s_mov_b32 s17, 1
	s_mov_b32 s16, 0
	.p2align	6
.LBB534_177:                            ;   Parent Loop BB534_174 Depth=1
                                        ; =>  This Loop Header: Depth=2
                                        ;       Child Loop BB534_178 Depth 3
	s_max_u32 s18, s17, 1
.LBB534_178:                            ;   Parent Loop BB534_174 Depth=1
                                        ;     Parent Loop BB534_177 Depth=2
                                        ; =>    This Inner Loop Header: Depth=3
	s_delay_alu instid0(SALU_CYCLE_1)
	s_add_i32 s18, s18, -1
	s_sleep 1
	s_cmp_eq_u32 s18, 0
	s_cbranch_scc0 .LBB534_178
; %bb.179:                              ;   in Loop: Header=BB534_177 Depth=2
	;;#ASMSTART
	global_load_dwordx4 v[5:8], v[32:33] off glc	
s_waitcnt vmcnt(0)
	;;#ASMEND
	v_and_b32_e32 v8, 0xff, v7
	s_cmp_lt_u32 s17, 32
	s_cselect_b32 s18, -1, 0
	s_delay_alu instid0(SALU_CYCLE_1) | instskip(NEXT) | instid1(VALU_DEP_1)
	s_cmp_lg_u32 s18, 0
	v_cmp_ne_u16_e32 vcc_lo, 0, v8
	s_addc_u32 s17, s17, 0
	s_or_b32 s16, vcc_lo, s16
	s_delay_alu instid0(SALU_CYCLE_1)
	s_and_not1_b32 exec_lo, exec_lo, s16
	s_cbranch_execnz .LBB534_177
; %bb.180:                              ;   in Loop: Header=BB534_174 Depth=1
	s_or_b32 exec_lo, exec_lo, s16
.LBB534_181:                            ;   in Loop: Header=BB534_174 Depth=1
	s_delay_alu instid0(SALU_CYCLE_1)
	s_or_b32 exec_lo, exec_lo, s11
	v_and_b32_e32 v8, 0xff, v7
	ds_bpermute_b32 v72, v62, v5
	ds_bpermute_b32 v33, v62, v6
	v_mov_b32_e32 v32, v5
	s_mov_b32 s11, exec_lo
	v_cmp_eq_u16_e32 vcc_lo, 2, v8
	v_and_or_b32 v8, vcc_lo, v63, 0x80000000
	s_delay_alu instid0(VALU_DEP_1) | instskip(NEXT) | instid1(VALU_DEP_1)
	v_ctz_i32_b32_e32 v8, v8
	v_cmpx_lt_u32_e64 v58, v8
	s_cbranch_execz .LBB534_183
; %bb.182:                              ;   in Loop: Header=BB534_174 Depth=1
	s_waitcnt lgkmcnt(1)
	v_add_co_u32 v32, vcc_lo, v5, v72
	v_add_co_ci_u32_e32 v6, vcc_lo, 0, v6, vcc_lo
	s_delay_alu instid0(VALU_DEP_2) | instskip(SKIP_1) | instid1(VALU_DEP_2)
	v_add_co_u32 v5, vcc_lo, 0, v32
	s_waitcnt lgkmcnt(0)
	v_add_co_ci_u32_e32 v6, vcc_lo, v33, v6, vcc_lo
.LBB534_183:                            ;   in Loop: Header=BB534_174 Depth=1
	s_or_b32 exec_lo, exec_lo, s11
	s_waitcnt lgkmcnt(1)
	ds_bpermute_b32 v72, v64, v32
	s_waitcnt lgkmcnt(1)
	ds_bpermute_b32 v33, v64, v6
	s_mov_b32 s11, exec_lo
	v_cmpx_le_u32_e64 v65, v8
	s_cbranch_execz .LBB534_185
; %bb.184:                              ;   in Loop: Header=BB534_174 Depth=1
	s_waitcnt lgkmcnt(1)
	v_add_co_u32 v32, vcc_lo, v5, v72
	v_add_co_ci_u32_e32 v6, vcc_lo, 0, v6, vcc_lo
	s_delay_alu instid0(VALU_DEP_2) | instskip(SKIP_1) | instid1(VALU_DEP_2)
	v_add_co_u32 v5, vcc_lo, 0, v32
	s_waitcnt lgkmcnt(0)
	v_add_co_ci_u32_e32 v6, vcc_lo, v33, v6, vcc_lo
.LBB534_185:                            ;   in Loop: Header=BB534_174 Depth=1
	s_or_b32 exec_lo, exec_lo, s11
	s_waitcnt lgkmcnt(1)
	ds_bpermute_b32 v72, v66, v32
	s_waitcnt lgkmcnt(1)
	ds_bpermute_b32 v33, v66, v6
	s_mov_b32 s11, exec_lo
	v_cmpx_le_u32_e64 v67, v8
	;; [unrolled: 17-line block ×3, first 2 shown]
	s_cbranch_execz .LBB534_189
; %bb.188:                              ;   in Loop: Header=BB534_174 Depth=1
	s_waitcnt lgkmcnt(1)
	v_add_co_u32 v32, vcc_lo, v5, v72
	v_add_co_ci_u32_e32 v6, vcc_lo, 0, v6, vcc_lo
	s_delay_alu instid0(VALU_DEP_2) | instskip(SKIP_1) | instid1(VALU_DEP_2)
	v_add_co_u32 v5, vcc_lo, 0, v32
	s_waitcnt lgkmcnt(0)
	v_add_co_ci_u32_e32 v6, vcc_lo, v33, v6, vcc_lo
.LBB534_189:                            ;   in Loop: Header=BB534_174 Depth=1
	s_or_b32 exec_lo, exec_lo, s11
	s_waitcnt lgkmcnt(0)
	ds_bpermute_b32 v33, v70, v32
	ds_bpermute_b32 v32, v70, v6
	s_mov_b32 s11, exec_lo
	v_cmpx_le_u32_e64 v71, v8
	s_cbranch_execz .LBB534_173
; %bb.190:                              ;   in Loop: Header=BB534_174 Depth=1
	s_waitcnt lgkmcnt(1)
	v_add_co_u32 v5, vcc_lo, v5, v33
	v_add_co_ci_u32_e32 v6, vcc_lo, 0, v6, vcc_lo
	s_delay_alu instid0(VALU_DEP_2) | instskip(SKIP_1) | instid1(VALU_DEP_2)
	v_add_co_u32 v5, vcc_lo, v5, 0
	s_waitcnt lgkmcnt(0)
	v_add_co_ci_u32_e32 v6, vcc_lo, v6, v32, vcc_lo
	s_branch .LBB534_173
.LBB534_191:                            ;   in Loop: Header=BB534_174 Depth=1
                                        ; implicit-def: $vgpr5_vgpr6
	s_cbranch_execz .LBB534_174
; %bb.192:
	s_and_saveexec_b32 s11, s1
	s_cbranch_execz .LBB534_194
; %bb.193:
	s_add_i32 s16, s10, 32
	s_mov_b32 s17, 0
	v_add_co_u32 v5, vcc_lo, v3, v1
	s_lshl_b64 s[16:17], s[16:17], 4
	v_dual_mov_b32 v7, 2 :: v_dual_mov_b32 v8, 0
	s_add_u32 s16, s14, s16
	s_addc_u32 s17, s15, s17
	v_add_co_ci_u32_e32 v6, vcc_lo, v4, v2, vcc_lo
	v_dual_mov_b32 v31, s17 :: v_dual_mov_b32 v30, s16
	;;#ASMSTART
	global_store_dwordx4 v[30:31], v[5:8] off	
s_waitcnt vmcnt(0)
	;;#ASMEND
	ds_store_b128 v8, v[1:4] offset:7680
.LBB534_194:
	s_or_b32 exec_lo, exec_lo, s11
	s_delay_alu instid0(SALU_CYCLE_1)
	s_and_b32 exec_lo, exec_lo, s2
	s_cbranch_execz .LBB534_196
; %bb.195:
	v_mov_b32_e32 v1, 0
	ds_store_b64 v1, v[3:4] offset:24
.LBB534_196:
	s_or_b32 exec_lo, exec_lo, s7
	v_mov_b32_e32 v3, 0
	s_waitcnt lgkmcnt(0)
	s_barrier
	buffer_gl0_inv
	v_cndmask_b32_e64 v8, v61, v29, s1
	ds_load_b64 v[1:2], v3 offset:24
	s_waitcnt lgkmcnt(0)
	s_barrier
	buffer_gl0_inv
	ds_load_b128 v[4:7], v3 offset:7680
	v_cndmask_b32_e64 v3, v60, v28, s1
	v_cndmask_b32_e64 v8, v8, 0, s2
	s_delay_alu instid0(VALU_DEP_2) | instskip(NEXT) | instid1(VALU_DEP_1)
	v_cndmask_b32_e64 v3, v3, 0, s2
	v_add_co_u32 v74, vcc_lo, v1, v3
	s_delay_alu instid0(VALU_DEP_3)
	v_add_co_ci_u32_e32 v75, vcc_lo, v2, v8, vcc_lo
	s_branch .LBB534_221
.LBB534_197:
                                        ; implicit-def: $vgpr6_vgpr7
                                        ; implicit-def: $vgpr74_vgpr75
	s_and_b32 vcc_lo, exec_lo, s1
	s_cbranch_vccz .LBB534_221
; %bb.198:
	v_dual_mov_b32 v2, 0 :: v_dual_mov_b32 v3, v26
	s_waitcnt lgkmcnt(0)
	v_mov_b32_dpp v4, v26 row_shr:1 row_mask:0xf bank_mask:0xf
	s_delay_alu instid0(VALU_DEP_2)
	v_mov_b32_dpp v1, v2 row_shr:1 row_mask:0xf bank_mask:0xf
	s_and_saveexec_b32 s1, s0
; %bb.199:
	s_delay_alu instid0(VALU_DEP_2) | instskip(SKIP_1) | instid1(VALU_DEP_2)
	v_add_co_u32 v3, vcc_lo, v26, v4
	v_add_co_ci_u32_e32 v2, vcc_lo, 0, v27, vcc_lo
	v_add_co_u32 v26, vcc_lo, 0, v3
	s_delay_alu instid0(VALU_DEP_2) | instskip(NEXT) | instid1(VALU_DEP_1)
	v_add_co_ci_u32_e32 v27, vcc_lo, v1, v2, vcc_lo
	v_mov_b32_e32 v2, v27
; %bb.200:
	s_or_b32 exec_lo, exec_lo, s1
	v_mov_b32_dpp v1, v3 row_shr:2 row_mask:0xf bank_mask:0xf
	s_delay_alu instid0(VALU_DEP_2)
	v_mov_b32_dpp v4, v2 row_shr:2 row_mask:0xf bank_mask:0xf
	s_mov_b32 s0, exec_lo
	v_cmpx_lt_u32_e32 1, v59
; %bb.201:
	s_delay_alu instid0(VALU_DEP_3) | instskip(SKIP_1) | instid1(VALU_DEP_2)
	v_add_co_u32 v3, vcc_lo, v26, v1
	v_add_co_ci_u32_e32 v2, vcc_lo, 0, v27, vcc_lo
	v_add_co_u32 v1, vcc_lo, 0, v3
	s_delay_alu instid0(VALU_DEP_2) | instskip(NEXT) | instid1(VALU_DEP_1)
	v_add_co_ci_u32_e32 v2, vcc_lo, v4, v2, vcc_lo
	v_dual_mov_b32 v27, v2 :: v_dual_mov_b32 v26, v1
; %bb.202:
	s_or_b32 exec_lo, exec_lo, s0
	v_mov_b32_dpp v1, v3 row_shr:4 row_mask:0xf bank_mask:0xf
	v_mov_b32_dpp v4, v2 row_shr:4 row_mask:0xf bank_mask:0xf
	s_mov_b32 s0, exec_lo
	v_cmpx_lt_u32_e32 3, v59
; %bb.203:
	s_delay_alu instid0(VALU_DEP_3) | instskip(SKIP_1) | instid1(VALU_DEP_2)
	v_add_co_u32 v3, vcc_lo, v26, v1
	v_add_co_ci_u32_e32 v2, vcc_lo, 0, v27, vcc_lo
	v_add_co_u32 v1, vcc_lo, 0, v3
	s_delay_alu instid0(VALU_DEP_2) | instskip(NEXT) | instid1(VALU_DEP_1)
	v_add_co_ci_u32_e32 v2, vcc_lo, v4, v2, vcc_lo
	v_dual_mov_b32 v27, v2 :: v_dual_mov_b32 v26, v1
; %bb.204:
	s_or_b32 exec_lo, exec_lo, s0
	v_mov_b32_dpp v4, v3 row_shr:8 row_mask:0xf bank_mask:0xf
	v_mov_b32_dpp v1, v2 row_shr:8 row_mask:0xf bank_mask:0xf
	s_mov_b32 s0, exec_lo
	v_cmpx_lt_u32_e32 7, v59
; %bb.205:
	s_delay_alu instid0(VALU_DEP_3) | instskip(SKIP_1) | instid1(VALU_DEP_2)
	v_add_co_u32 v3, vcc_lo, v26, v4
	v_add_co_ci_u32_e32 v2, vcc_lo, 0, v27, vcc_lo
	v_add_co_u32 v26, vcc_lo, 0, v3
	s_delay_alu instid0(VALU_DEP_2) | instskip(NEXT) | instid1(VALU_DEP_1)
	v_add_co_ci_u32_e32 v27, vcc_lo, v1, v2, vcc_lo
	v_mov_b32_e32 v2, v27
; %bb.206:
	s_or_b32 exec_lo, exec_lo, s0
	ds_swizzle_b32 v3, v3 offset:swizzle(BROADCAST,32,15)
	ds_swizzle_b32 v1, v2 offset:swizzle(BROADCAST,32,15)
	v_and_b32_e32 v2, 16, v58
	s_mov_b32 s0, exec_lo
	s_delay_alu instid0(VALU_DEP_1)
	v_cmpx_ne_u32_e32 0, v2
	s_cbranch_execz .LBB534_208
; %bb.207:
	s_waitcnt lgkmcnt(1)
	v_add_co_u32 v2, vcc_lo, v26, v3
	v_add_co_ci_u32_e32 v3, vcc_lo, 0, v27, vcc_lo
	s_delay_alu instid0(VALU_DEP_2) | instskip(SKIP_1) | instid1(VALU_DEP_2)
	v_add_co_u32 v26, vcc_lo, v2, 0
	s_waitcnt lgkmcnt(0)
	v_add_co_ci_u32_e32 v27, vcc_lo, v3, v1, vcc_lo
.LBB534_208:
	s_or_b32 exec_lo, exec_lo, s0
	s_waitcnt lgkmcnt(0)
	v_or_b32_e32 v1, 31, v0
	v_lshrrev_b32_e32 v3, 5, v0
	s_mov_b32 s0, exec_lo
	s_delay_alu instid0(VALU_DEP_2)
	v_cmpx_eq_u32_e64 v1, v0
	s_cbranch_execz .LBB534_210
; %bb.209:
	s_delay_alu instid0(VALU_DEP_2)
	v_lshlrev_b32_e32 v1, 3, v3
	ds_store_b64 v1, v[26:27]
.LBB534_210:
	s_or_b32 exec_lo, exec_lo, s0
	s_delay_alu instid0(SALU_CYCLE_1)
	s_mov_b32 s0, exec_lo
	s_waitcnt lgkmcnt(0)
	s_barrier
	buffer_gl0_inv
	v_cmpx_gt_u32_e32 4, v0
	s_cbranch_execz .LBB534_216
; %bb.211:
	v_lshlrev_b32_e32 v4, 3, v0
	s_mov_b32 s1, exec_lo
	ds_load_b64 v[1:2], v4
	s_waitcnt lgkmcnt(0)
	v_dual_mov_b32 v6, v1 :: v_dual_and_b32 v5, 3, v58
	v_mov_b32_dpp v8, v1 row_shr:1 row_mask:0xf bank_mask:0xf
	v_mov_b32_dpp v7, v2 row_shr:1 row_mask:0xf bank_mask:0xf
	s_delay_alu instid0(VALU_DEP_3)
	v_cmpx_ne_u32_e32 0, v5
; %bb.212:
	s_delay_alu instid0(VALU_DEP_3) | instskip(SKIP_1) | instid1(VALU_DEP_2)
	v_add_co_u32 v6, vcc_lo, v1, v8
	v_add_co_ci_u32_e32 v2, vcc_lo, 0, v2, vcc_lo
	v_add_co_u32 v1, vcc_lo, 0, v6
	s_delay_alu instid0(VALU_DEP_2)
	v_add_co_ci_u32_e32 v2, vcc_lo, v7, v2, vcc_lo
; %bb.213:
	s_or_b32 exec_lo, exec_lo, s1
	v_mov_b32_dpp v7, v6 row_shr:2 row_mask:0xf bank_mask:0xf
	s_delay_alu instid0(VALU_DEP_2)
	v_mov_b32_dpp v6, v2 row_shr:2 row_mask:0xf bank_mask:0xf
	s_mov_b32 s1, exec_lo
	v_cmpx_lt_u32_e32 1, v5
; %bb.214:
	s_delay_alu instid0(VALU_DEP_3) | instskip(SKIP_1) | instid1(VALU_DEP_2)
	v_add_co_u32 v1, vcc_lo, v1, v7
	v_add_co_ci_u32_e32 v2, vcc_lo, 0, v2, vcc_lo
	v_add_co_u32 v1, vcc_lo, v1, 0
	s_delay_alu instid0(VALU_DEP_2)
	v_add_co_ci_u32_e32 v2, vcc_lo, v2, v6, vcc_lo
; %bb.215:
	s_or_b32 exec_lo, exec_lo, s1
	ds_store_b64 v4, v[1:2]
.LBB534_216:
	s_or_b32 exec_lo, exec_lo, s0
	v_mov_b32_e32 v1, 0
	v_mov_b32_e32 v2, 0
	s_mov_b32 s0, exec_lo
	s_waitcnt lgkmcnt(0)
	s_barrier
	buffer_gl0_inv
	v_cmpx_lt_u32_e32 31, v0
	s_cbranch_execz .LBB534_218
; %bb.217:
	v_lshl_add_u32 v1, v3, 3, -8
	ds_load_b64 v[1:2], v1
.LBB534_218:
	s_or_b32 exec_lo, exec_lo, s0
	v_add_nc_u32_e32 v3, -1, v58
	v_mov_b32_e32 v7, 0
	s_delay_alu instid0(VALU_DEP_2) | instskip(SKIP_1) | instid1(VALU_DEP_1)
	v_cmp_gt_i32_e32 vcc_lo, 0, v3
	v_cndmask_b32_e32 v3, v3, v58, vcc_lo
	v_lshlrev_b32_e32 v4, 2, v3
	s_waitcnt lgkmcnt(0)
	v_add_co_u32 v3, vcc_lo, v1, v26
	v_add_co_ci_u32_e32 v5, vcc_lo, v2, v27, vcc_lo
	ds_bpermute_b32 v3, v4, v3
	ds_bpermute_b32 v8, v4, v5
	ds_load_b64 v[4:5], v7 offset:24
	s_and_saveexec_b32 s0, s2
	s_cbranch_execz .LBB534_220
; %bb.219:
	s_add_u32 s10, s14, 0x200
	s_addc_u32 s11, s15, 0
	s_delay_alu instid0(SALU_CYCLE_1)
	v_dual_mov_b32 v6, 2 :: v_dual_mov_b32 v27, s11
	v_mov_b32_e32 v26, s10
	s_waitcnt lgkmcnt(0)
	;;#ASMSTART
	global_store_dwordx4 v[26:27], v[4:7] off	
s_waitcnt vmcnt(0)
	;;#ASMEND
.LBB534_220:
	s_or_b32 exec_lo, exec_lo, s0
	v_cmp_eq_u32_e32 vcc_lo, 0, v58
	v_mov_b32_e32 v6, 0
	v_mov_b32_e32 v7, 0
	s_waitcnt lgkmcnt(0)
	s_barrier
	v_dual_cndmask_b32 v1, v3, v1 :: v_dual_cndmask_b32 v2, v8, v2
	buffer_gl0_inv
	v_cndmask_b32_e64 v74, v1, 0, s2
	v_cndmask_b32_e64 v75, v2, 0, s2
.LBB534_221:
	s_delay_alu instid0(VALU_DEP_2) | instskip(NEXT) | instid1(VALU_DEP_2)
	v_add_co_u32 v82, vcc_lo, v74, v46
	v_add_co_ci_u32_e32 v83, vcc_lo, 0, v75, vcc_lo
	s_delay_alu instid0(VALU_DEP_2) | instskip(NEXT) | instid1(VALU_DEP_2)
	v_add_co_u32 v80, vcc_lo, v82, v57
	v_add_co_ci_u32_e32 v81, vcc_lo, 0, v83, vcc_lo
	;; [unrolled: 3-line block ×27, first 2 shown]
	s_waitcnt lgkmcnt(0)
	v_cmp_gt_u64_e32 vcc_lo, 0x81, v[4:5]
	s_delay_alu instid0(VALU_DEP_3) | instskip(NEXT) | instid1(VALU_DEP_1)
	v_add_co_u32 v28, s0, v26, v85
	v_add_co_ci_u32_e64 v29, s0, 0, v27, s0
	s_delay_alu instid0(VALU_DEP_2) | instskip(NEXT) | instid1(VALU_DEP_1)
	v_add_co_u32 v1, s0, v28, v84
	v_add_co_ci_u32_e64 v2, s0, 0, v29, s0
	s_mov_b32 s0, -1
	s_cbranch_vccnz .LBB534_225
; %bb.222:
	s_and_b32 vcc_lo, exec_lo, s0
	s_cbranch_vccnz .LBB534_315
.LBB534_223:
	s_and_b32 s0, s2, s5
	s_delay_alu instid0(SALU_CYCLE_1)
	s_and_saveexec_b32 s1, s0
	s_cbranch_execnz .LBB534_386
.LBB534_224:
	s_nop 0
	s_sendmsg sendmsg(MSG_DEALLOC_VGPRS)
	s_endpgm
.LBB534_225:
	v_add_co_u32 v84, vcc_lo, v6, v4
	v_add_co_ci_u32_e32 v85, vcc_lo, v7, v5, vcc_lo
	v_lshlrev_b64 v[130:131], 1, v[12:13]
	s_delay_alu instid0(VALU_DEP_2) | instskip(NEXT) | instid1(VALU_DEP_2)
	v_cmp_lt_u64_e32 vcc_lo, v[74:75], v[84:85]
	v_add_co_u32 v3, s0, s12, v130
	s_delay_alu instid0(VALU_DEP_1) | instskip(SKIP_1) | instid1(SALU_CYCLE_1)
	v_add_co_ci_u32_e64 v8, s0, s13, v131, s0
	s_or_b32 s1, s4, vcc_lo
	s_and_saveexec_b32 s0, s1
	s_cbranch_execz .LBB534_228
; %bb.226:
	v_and_b32_e32 v130, 1, v102
	s_delay_alu instid0(VALU_DEP_1)
	v_cmp_eq_u32_e32 vcc_lo, 1, v130
	s_and_b32 exec_lo, exec_lo, vcc_lo
	s_cbranch_execz .LBB534_228
; %bb.227:
	v_lshlrev_b64 v[130:131], 1, v[74:75]
	s_delay_alu instid0(VALU_DEP_1) | instskip(NEXT) | instid1(VALU_DEP_2)
	v_add_co_u32 v130, vcc_lo, v3, v130
	v_add_co_ci_u32_e32 v131, vcc_lo, v8, v131, vcc_lo
	global_store_b16 v[130:131], v24, off
.LBB534_228:
	s_or_b32 exec_lo, exec_lo, s0
	v_cmp_lt_u64_e32 vcc_lo, v[82:83], v[84:85]
	s_or_b32 s1, s4, vcc_lo
	s_delay_alu instid0(SALU_CYCLE_1)
	s_and_saveexec_b32 s0, s1
	s_cbranch_execz .LBB534_231
; %bb.229:
	v_and_b32_e32 v75, 1, v101
	s_delay_alu instid0(VALU_DEP_1)
	v_cmp_eq_u32_e32 vcc_lo, 1, v75
	s_and_b32 exec_lo, exec_lo, vcc_lo
	s_cbranch_execz .LBB534_231
; %bb.230:
	v_lshlrev_b64 v[130:131], 1, v[82:83]
	s_delay_alu instid0(VALU_DEP_1) | instskip(NEXT) | instid1(VALU_DEP_2)
	v_add_co_u32 v130, vcc_lo, v3, v130
	v_add_co_ci_u32_e32 v131, vcc_lo, v8, v131, vcc_lo
	global_store_b16 v[130:131], v100, off
.LBB534_231:
	s_or_b32 exec_lo, exec_lo, s0
	v_cmp_lt_u64_e32 vcc_lo, v[80:81], v[84:85]
	s_or_b32 s1, s4, vcc_lo
	s_delay_alu instid0(SALU_CYCLE_1)
	;; [unrolled: 19-line block ×28, first 2 shown]
	s_and_saveexec_b32 s0, s1
	s_cbranch_execz .LBB534_312
; %bb.310:
	v_and_b32_e32 v27, 1, v129
	s_delay_alu instid0(VALU_DEP_1)
	v_cmp_eq_u32_e32 vcc_lo, 1, v27
	s_and_b32 exec_lo, exec_lo, vcc_lo
	s_cbranch_execz .LBB534_312
; %bb.311:
	v_lshlrev_b64 v[130:131], 1, v[28:29]
	s_delay_alu instid0(VALU_DEP_1) | instskip(NEXT) | instid1(VALU_DEP_2)
	v_add_co_u32 v130, vcc_lo, v3, v130
	v_add_co_ci_u32_e32 v131, vcc_lo, v8, v131, vcc_lo
	global_store_b16 v[130:131], v11, off
.LBB534_312:
	s_or_b32 exec_lo, exec_lo, s0
	v_cmp_ge_u64_e32 vcc_lo, v[1:2], v[84:85]
	s_xor_b32 s1, s6, -1
	s_and_b32 s0, s3, vcc_lo
	s_delay_alu instid0(SALU_CYCLE_1) | instskip(NEXT) | instid1(SALU_CYCLE_1)
	s_or_b32 s0, s0, s1
	s_xor_b32 s1, s0, -1
	s_delay_alu instid0(SALU_CYCLE_1)
	s_and_saveexec_b32 s0, s1
	s_cbranch_execz .LBB534_314
; %bb.313:
	v_lshlrev_b64 v[83:84], 1, v[1:2]
	s_delay_alu instid0(VALU_DEP_1) | instskip(NEXT) | instid1(VALU_DEP_2)
	v_add_co_u32 v2, vcc_lo, v3, v83
	v_add_co_ci_u32_e32 v3, vcc_lo, v8, v84, vcc_lo
	global_store_b16 v[2:3], v86, off
.LBB534_314:
	s_or_b32 exec_lo, exec_lo, s0
	s_branch .LBB534_223
.LBB534_315:
	v_and_b32_e32 v2, 1, v102
	s_mov_b32 s0, exec_lo
	s_delay_alu instid0(VALU_DEP_1)
	v_cmpx_eq_u32_e32 1, v2
	s_cbranch_execz .LBB534_317
; %bb.316:
	v_sub_nc_u32_e32 v2, v74, v6
	s_delay_alu instid0(VALU_DEP_1)
	v_lshlrev_b32_e32 v2, 1, v2
	ds_store_b16 v2, v24
.LBB534_317:
	s_or_b32 exec_lo, exec_lo, s0
	v_and_b32_e32 v2, 1, v101
	s_mov_b32 s0, exec_lo
	s_delay_alu instid0(VALU_DEP_1)
	v_cmpx_eq_u32_e32 1, v2
	s_cbranch_execz .LBB534_319
; %bb.318:
	v_sub_nc_u32_e32 v2, v82, v6
	s_delay_alu instid0(VALU_DEP_1)
	v_lshlrev_b32_e32 v2, 1, v2
	ds_store_b16 v2, v100
.LBB534_319:
	s_or_b32 exec_lo, exec_lo, s0
	;; [unrolled: 12-line block ×29, first 2 shown]
	s_and_saveexec_b32 s0, s6
	s_cbranch_execz .LBB534_375
; %bb.374:
	v_sub_nc_u32_e32 v1, v1, v6
	s_delay_alu instid0(VALU_DEP_1)
	v_lshlrev_b32_e32 v1, 1, v1
	ds_store_b16 v1, v86
.LBB534_375:
	s_or_b32 exec_lo, exec_lo, s0
	v_mov_b32_e32 v1, 0
	s_mov_b32 s10, exec_lo
	s_waitcnt lgkmcnt(0)
	s_waitcnt_vscnt null, 0x0
	s_barrier
	buffer_gl0_inv
	v_cmpx_gt_u64_e64 v[4:5], v[0:1]
	s_cbranch_execz .LBB534_385
; %bb.376:
	v_not_b32_e32 v2, v0
	v_not_b32_e32 v3, 0
	s_mov_b32 s11, exec_lo
	s_delay_alu instid0(VALU_DEP_2) | instskip(NEXT) | instid1(VALU_DEP_2)
	v_add_co_u32 v8, vcc_lo, v4, v2
	v_add_co_ci_u32_e32 v9, vcc_lo, v5, v3, vcc_lo
	v_dual_mov_b32 v3, v1 :: v_dual_mov_b32 v2, v0
	s_delay_alu instid0(VALU_DEP_2)
	v_cmp_gt_u64_e32 vcc_lo, 0x1a80, v[8:9]
	v_cmpx_lt_u64_e32 0x1a7f, v[8:9]
	s_cbranch_execz .LBB534_382
; %bb.377:
	v_alignbit_b32 v2, v9, v8, 7
	v_not_b32_e32 v3, v0
	v_xor_b32_e32 v10, 0xffffff7f, v0
	s_movk_i32 s7, 0x7f
	s_mov_b32 s6, -1
	v_lshlrev_b32_e32 v11, 7, v2
	v_cmp_lt_u64_e64 s0, s[6:7], v[8:9]
	v_cmp_lt_u32_e64 s1, 0x1ffffff, v2
	s_delay_alu instid0(VALU_DEP_3) | instskip(SKIP_2) | instid1(VALU_DEP_4)
	v_cmp_gt_u32_e64 s3, v11, v3
	v_dual_mov_b32 v3, v1 :: v_dual_mov_b32 v2, v0
	v_cmp_lt_u32_e64 s4, v10, v11
	s_or_b32 s0, s1, s0
	s_delay_alu instid0(VALU_DEP_3) | instskip(NEXT) | instid1(VALU_DEP_1)
	s_or_b32 s1, s3, s1
	s_or_b32 s0, s0, s4
	s_delay_alu instid0(SALU_CYCLE_1) | instskip(NEXT) | instid1(SALU_CYCLE_1)
	s_or_b32 s0, s1, s0
	s_xor_b32 s0, s0, -1
	s_delay_alu instid0(SALU_CYCLE_1)
	s_and_saveexec_b32 s3, s0
	s_cbranch_execz .LBB534_381
; %bb.378:
	v_lshrrev_b64 v[2:3], 7, v[8:9]
	v_lshlrev_b64 v[8:9], 1, v[6:7]
	s_mov_b32 s4, 0
	s_delay_alu instid0(VALU_DEP_2) | instskip(NEXT) | instid1(VALU_DEP_1)
	v_add_co_u32 v14, s0, v2, 1
	v_add_co_ci_u32_e64 v15, s0, 0, v3, s0
	v_lshlrev_b64 v[2:3], 1, v[12:13]
	s_delay_alu instid0(VALU_DEP_2) | instskip(NEXT) | instid1(VALU_DEP_2)
	v_dual_mov_b32 v17, v15 :: v_dual_and_b32 v16, -2, v14
	v_add_co_u32 v2, s0, v8, v2
	s_delay_alu instid0(VALU_DEP_1) | instskip(SKIP_1) | instid1(VALU_DEP_3)
	v_add_co_ci_u32_e64 v3, s0, v9, v3, s0
	v_lshlrev_b32_e32 v8, 1, v0
	v_add_co_u32 v9, s0, s12, v2
	s_delay_alu instid0(VALU_DEP_1) | instskip(SKIP_1) | instid1(VALU_DEP_3)
	v_add_co_ci_u32_e64 v3, s0, s13, v3, s0
	v_or_b32_e32 v2, 0x80, v0
	v_add_co_u32 v8, s0, v9, v8
	s_delay_alu instid0(VALU_DEP_1) | instskip(SKIP_1) | instid1(VALU_DEP_3)
	v_add_co_ci_u32_e64 v9, s0, 0, v3, s0
	v_mov_b32_e32 v3, v1
	v_add_co_u32 v18, s0, 0x100, v8
	s_delay_alu instid0(VALU_DEP_1) | instskip(NEXT) | instid1(VALU_DEP_3)
	v_add_co_ci_u32_e64 v19, s0, 0, v9, s0
	v_dual_mov_b32 v11, v3 :: v_dual_mov_b32 v10, v2
	v_dual_mov_b32 v21, v17 :: v_dual_mov_b32 v20, v16
	;; [unrolled: 1-line block ×3, first 2 shown]
	s_set_inst_prefetch_distance 0x1
	.p2align	6
.LBB534_379:                            ; =>This Inner Loop Header: Depth=1
	s_delay_alu instid0(VALU_DEP_1) | instskip(SKIP_2) | instid1(VALU_DEP_1)
	v_lshlrev_b32_e32 v1, 1, v8
	v_lshlrev_b32_e32 v2, 1, v10
	v_add_co_u32 v10, s0, 0x100, v10
	v_add_co_ci_u32_e64 v11, s0, 0, v11, s0
	ds_load_u16 v1, v1
	ds_load_u16 v2, v2
	v_add_co_u32 v20, s0, v20, -2
	s_delay_alu instid0(VALU_DEP_1) | instskip(SKIP_1) | instid1(VALU_DEP_1)
	v_add_co_ci_u32_e64 v21, s0, -1, v21, s0
	v_add_co_u32 v8, s0, 0x100, v8
	v_add_co_ci_u32_e64 v9, s0, 0, v9, s0
	s_delay_alu instid0(VALU_DEP_3)
	v_cmp_eq_u64_e64 s0, 0, v[20:21]
	s_waitcnt lgkmcnt(1)
	global_store_b16 v[18:19], v1, off offset:-256
	s_waitcnt lgkmcnt(0)
	global_store_b16 v[18:19], v2, off
	v_add_co_u32 v18, s1, 0x200, v18
	s_delay_alu instid0(VALU_DEP_1) | instskip(SKIP_1) | instid1(SALU_CYCLE_1)
	v_add_co_ci_u32_e64 v19, s1, 0, v19, s1
	s_or_b32 s4, s0, s4
	s_and_not1_b32 exec_lo, exec_lo, s4
	s_cbranch_execnz .LBB534_379
; %bb.380:
	s_set_inst_prefetch_distance 0x2
	s_or_b32 exec_lo, exec_lo, s4
	v_lshlrev_b64 v[1:2], 7, v[16:17]
	v_cmp_ne_u64_e64 s0, v[14:15], v[16:17]
	s_delay_alu instid0(VALU_DEP_2) | instskip(NEXT) | instid1(VALU_DEP_3)
	v_or_b32_e32 v3, 0, v2
	v_or_b32_e32 v2, v1, v0
	v_lshl_or_b32 v0, v16, 7, v0
	s_delay_alu instid0(VALU_DEP_4)
	s_or_not1_b32 s6, s0, exec_lo
.LBB534_381:
	s_or_b32 exec_lo, exec_lo, s3
	s_delay_alu instid0(SALU_CYCLE_1) | instskip(SKIP_1) | instid1(SALU_CYCLE_1)
	s_and_not1_b32 s0, vcc_lo, exec_lo
	s_and_b32 s1, s6, exec_lo
	s_or_b32 vcc_lo, s0, s1
.LBB534_382:
	s_or_b32 exec_lo, exec_lo, s11
	s_delay_alu instid0(SALU_CYCLE_1)
	s_and_b32 exec_lo, exec_lo, vcc_lo
	s_cbranch_execz .LBB534_385
; %bb.383:
	v_lshlrev_b64 v[8:9], 1, v[6:7]
	v_lshlrev_b64 v[10:11], 1, v[12:13]
	v_add_nc_u32_e32 v0, 0x80, v0
	s_mov_b32 s1, 0
	s_delay_alu instid0(VALU_DEP_3) | instskip(NEXT) | instid1(VALU_DEP_4)
	v_add_co_u32 v1, vcc_lo, s12, v8
	v_add_co_ci_u32_e32 v9, vcc_lo, s13, v9, vcc_lo
	s_delay_alu instid0(VALU_DEP_2) | instskip(SKIP_1) | instid1(VALU_DEP_3)
	v_add_co_u32 v8, vcc_lo, v1, v10
	v_mov_b32_e32 v1, 0
	v_add_co_ci_u32_e32 v9, vcc_lo, v9, v11, vcc_lo
	.p2align	6
.LBB534_384:                            ; =>This Inner Loop Header: Depth=1
	v_lshlrev_b32_e32 v10, 1, v2
	s_delay_alu instid0(VALU_DEP_3)
	v_cmp_le_u64_e32 vcc_lo, v[4:5], v[0:1]
	ds_load_u16 v14, v10
	v_lshlrev_b64 v[10:11], 1, v[2:3]
	v_dual_mov_b32 v3, v1 :: v_dual_mov_b32 v2, v0
	v_add_nc_u32_e32 v0, 0x80, v0
	s_or_b32 s1, vcc_lo, s1
	s_delay_alu instid0(VALU_DEP_3) | instskip(NEXT) | instid1(VALU_DEP_1)
	v_add_co_u32 v10, s0, v8, v10
	v_add_co_ci_u32_e64 v11, s0, v9, v11, s0
	s_waitcnt lgkmcnt(0)
	global_store_b16 v[10:11], v14, off
	s_and_not1_b32 exec_lo, exec_lo, s1
	s_cbranch_execnz .LBB534_384
.LBB534_385:
	s_or_b32 exec_lo, exec_lo, s10
	s_and_b32 s0, s2, s5
	s_delay_alu instid0(SALU_CYCLE_1)
	s_and_saveexec_b32 s1, s0
	s_cbranch_execz .LBB534_224
.LBB534_386:
	v_add_co_u32 v0, vcc_lo, v6, v4
	v_add_co_ci_u32_e32 v1, vcc_lo, v7, v5, vcc_lo
	v_mov_b32_e32 v2, 0
	s_delay_alu instid0(VALU_DEP_3) | instskip(NEXT) | instid1(VALU_DEP_3)
	v_add_co_u32 v0, vcc_lo, v0, v12
	v_add_co_ci_u32_e32 v1, vcc_lo, v1, v13, vcc_lo
	global_store_b64 v2, v[0:1], s[8:9]
	s_nop 0
	s_sendmsg sendmsg(MSG_DEALLOC_VGPRS)
	s_endpgm
	.section	.rodata,"a",@progbits
	.p2align	6, 0x0
	.amdhsa_kernel _ZN7rocprim17ROCPRIM_400000_NS6detail17trampoline_kernelINS0_14default_configENS1_25partition_config_selectorILNS1_17partition_subalgoE6EtNS0_10empty_typeEbEEZZNS1_14partition_implILS5_6ELb0ES3_mN6thrust23THRUST_200600_302600_NS6detail15normal_iteratorINSA_10device_ptrItEEEEPS6_SG_NS0_5tupleIJSF_S6_EEENSH_IJSG_SG_EEES6_PlJ5mod_3ItEEEE10hipError_tPvRmT3_T4_T5_T6_T7_T9_mT8_P12ihipStream_tbDpT10_ENKUlT_T0_E_clISt17integral_constantIbLb1EES16_EEDaS11_S12_EUlS11_E_NS1_11comp_targetILNS1_3genE9ELNS1_11target_archE1100ELNS1_3gpuE3ELNS1_3repE0EEENS1_30default_config_static_selectorELNS0_4arch9wavefront6targetE0EEEvT1_
		.amdhsa_group_segment_fixed_size 7696
		.amdhsa_private_segment_fixed_size 0
		.amdhsa_kernarg_size 128
		.amdhsa_user_sgpr_count 15
		.amdhsa_user_sgpr_dispatch_ptr 0
		.amdhsa_user_sgpr_queue_ptr 0
		.amdhsa_user_sgpr_kernarg_segment_ptr 1
		.amdhsa_user_sgpr_dispatch_id 0
		.amdhsa_user_sgpr_private_segment_size 0
		.amdhsa_wavefront_size32 1
		.amdhsa_uses_dynamic_stack 0
		.amdhsa_enable_private_segment 0
		.amdhsa_system_sgpr_workgroup_id_x 1
		.amdhsa_system_sgpr_workgroup_id_y 0
		.amdhsa_system_sgpr_workgroup_id_z 0
		.amdhsa_system_sgpr_workgroup_info 0
		.amdhsa_system_vgpr_workitem_id 0
		.amdhsa_next_free_vgpr 133
		.amdhsa_next_free_sgpr 19
		.amdhsa_reserve_vcc 1
		.amdhsa_float_round_mode_32 0
		.amdhsa_float_round_mode_16_64 0
		.amdhsa_float_denorm_mode_32 3
		.amdhsa_float_denorm_mode_16_64 3
		.amdhsa_dx10_clamp 1
		.amdhsa_ieee_mode 1
		.amdhsa_fp16_overflow 0
		.amdhsa_workgroup_processor_mode 1
		.amdhsa_memory_ordered 1
		.amdhsa_forward_progress 0
		.amdhsa_shared_vgpr_count 0
		.amdhsa_exception_fp_ieee_invalid_op 0
		.amdhsa_exception_fp_denorm_src 0
		.amdhsa_exception_fp_ieee_div_zero 0
		.amdhsa_exception_fp_ieee_overflow 0
		.amdhsa_exception_fp_ieee_underflow 0
		.amdhsa_exception_fp_ieee_inexact 0
		.amdhsa_exception_int_div_zero 0
	.end_amdhsa_kernel
	.section	.text._ZN7rocprim17ROCPRIM_400000_NS6detail17trampoline_kernelINS0_14default_configENS1_25partition_config_selectorILNS1_17partition_subalgoE6EtNS0_10empty_typeEbEEZZNS1_14partition_implILS5_6ELb0ES3_mN6thrust23THRUST_200600_302600_NS6detail15normal_iteratorINSA_10device_ptrItEEEEPS6_SG_NS0_5tupleIJSF_S6_EEENSH_IJSG_SG_EEES6_PlJ5mod_3ItEEEE10hipError_tPvRmT3_T4_T5_T6_T7_T9_mT8_P12ihipStream_tbDpT10_ENKUlT_T0_E_clISt17integral_constantIbLb1EES16_EEDaS11_S12_EUlS11_E_NS1_11comp_targetILNS1_3genE9ELNS1_11target_archE1100ELNS1_3gpuE3ELNS1_3repE0EEENS1_30default_config_static_selectorELNS0_4arch9wavefront6targetE0EEEvT1_,"axG",@progbits,_ZN7rocprim17ROCPRIM_400000_NS6detail17trampoline_kernelINS0_14default_configENS1_25partition_config_selectorILNS1_17partition_subalgoE6EtNS0_10empty_typeEbEEZZNS1_14partition_implILS5_6ELb0ES3_mN6thrust23THRUST_200600_302600_NS6detail15normal_iteratorINSA_10device_ptrItEEEEPS6_SG_NS0_5tupleIJSF_S6_EEENSH_IJSG_SG_EEES6_PlJ5mod_3ItEEEE10hipError_tPvRmT3_T4_T5_T6_T7_T9_mT8_P12ihipStream_tbDpT10_ENKUlT_T0_E_clISt17integral_constantIbLb1EES16_EEDaS11_S12_EUlS11_E_NS1_11comp_targetILNS1_3genE9ELNS1_11target_archE1100ELNS1_3gpuE3ELNS1_3repE0EEENS1_30default_config_static_selectorELNS0_4arch9wavefront6targetE0EEEvT1_,comdat
.Lfunc_end534:
	.size	_ZN7rocprim17ROCPRIM_400000_NS6detail17trampoline_kernelINS0_14default_configENS1_25partition_config_selectorILNS1_17partition_subalgoE6EtNS0_10empty_typeEbEEZZNS1_14partition_implILS5_6ELb0ES3_mN6thrust23THRUST_200600_302600_NS6detail15normal_iteratorINSA_10device_ptrItEEEEPS6_SG_NS0_5tupleIJSF_S6_EEENSH_IJSG_SG_EEES6_PlJ5mod_3ItEEEE10hipError_tPvRmT3_T4_T5_T6_T7_T9_mT8_P12ihipStream_tbDpT10_ENKUlT_T0_E_clISt17integral_constantIbLb1EES16_EEDaS11_S12_EUlS11_E_NS1_11comp_targetILNS1_3genE9ELNS1_11target_archE1100ELNS1_3gpuE3ELNS1_3repE0EEENS1_30default_config_static_selectorELNS0_4arch9wavefront6targetE0EEEvT1_, .Lfunc_end534-_ZN7rocprim17ROCPRIM_400000_NS6detail17trampoline_kernelINS0_14default_configENS1_25partition_config_selectorILNS1_17partition_subalgoE6EtNS0_10empty_typeEbEEZZNS1_14partition_implILS5_6ELb0ES3_mN6thrust23THRUST_200600_302600_NS6detail15normal_iteratorINSA_10device_ptrItEEEEPS6_SG_NS0_5tupleIJSF_S6_EEENSH_IJSG_SG_EEES6_PlJ5mod_3ItEEEE10hipError_tPvRmT3_T4_T5_T6_T7_T9_mT8_P12ihipStream_tbDpT10_ENKUlT_T0_E_clISt17integral_constantIbLb1EES16_EEDaS11_S12_EUlS11_E_NS1_11comp_targetILNS1_3genE9ELNS1_11target_archE1100ELNS1_3gpuE3ELNS1_3repE0EEENS1_30default_config_static_selectorELNS0_4arch9wavefront6targetE0EEEvT1_
                                        ; -- End function
	.section	.AMDGPU.csdata,"",@progbits
; Kernel info:
; codeLenInByte = 15096
; NumSgprs: 21
; NumVgprs: 133
; ScratchSize: 0
; MemoryBound: 0
; FloatMode: 240
; IeeeMode: 1
; LDSByteSize: 7696 bytes/workgroup (compile time only)
; SGPRBlocks: 2
; VGPRBlocks: 16
; NumSGPRsForWavesPerEU: 21
; NumVGPRsForWavesPerEU: 133
; Occupancy: 10
; WaveLimiterHint : 1
; COMPUTE_PGM_RSRC2:SCRATCH_EN: 0
; COMPUTE_PGM_RSRC2:USER_SGPR: 15
; COMPUTE_PGM_RSRC2:TRAP_HANDLER: 0
; COMPUTE_PGM_RSRC2:TGID_X_EN: 1
; COMPUTE_PGM_RSRC2:TGID_Y_EN: 0
; COMPUTE_PGM_RSRC2:TGID_Z_EN: 0
; COMPUTE_PGM_RSRC2:TIDIG_COMP_CNT: 0
	.section	.text._ZN7rocprim17ROCPRIM_400000_NS6detail17trampoline_kernelINS0_14default_configENS1_25partition_config_selectorILNS1_17partition_subalgoE6EtNS0_10empty_typeEbEEZZNS1_14partition_implILS5_6ELb0ES3_mN6thrust23THRUST_200600_302600_NS6detail15normal_iteratorINSA_10device_ptrItEEEEPS6_SG_NS0_5tupleIJSF_S6_EEENSH_IJSG_SG_EEES6_PlJ5mod_3ItEEEE10hipError_tPvRmT3_T4_T5_T6_T7_T9_mT8_P12ihipStream_tbDpT10_ENKUlT_T0_E_clISt17integral_constantIbLb1EES16_EEDaS11_S12_EUlS11_E_NS1_11comp_targetILNS1_3genE8ELNS1_11target_archE1030ELNS1_3gpuE2ELNS1_3repE0EEENS1_30default_config_static_selectorELNS0_4arch9wavefront6targetE0EEEvT1_,"axG",@progbits,_ZN7rocprim17ROCPRIM_400000_NS6detail17trampoline_kernelINS0_14default_configENS1_25partition_config_selectorILNS1_17partition_subalgoE6EtNS0_10empty_typeEbEEZZNS1_14partition_implILS5_6ELb0ES3_mN6thrust23THRUST_200600_302600_NS6detail15normal_iteratorINSA_10device_ptrItEEEEPS6_SG_NS0_5tupleIJSF_S6_EEENSH_IJSG_SG_EEES6_PlJ5mod_3ItEEEE10hipError_tPvRmT3_T4_T5_T6_T7_T9_mT8_P12ihipStream_tbDpT10_ENKUlT_T0_E_clISt17integral_constantIbLb1EES16_EEDaS11_S12_EUlS11_E_NS1_11comp_targetILNS1_3genE8ELNS1_11target_archE1030ELNS1_3gpuE2ELNS1_3repE0EEENS1_30default_config_static_selectorELNS0_4arch9wavefront6targetE0EEEvT1_,comdat
	.protected	_ZN7rocprim17ROCPRIM_400000_NS6detail17trampoline_kernelINS0_14default_configENS1_25partition_config_selectorILNS1_17partition_subalgoE6EtNS0_10empty_typeEbEEZZNS1_14partition_implILS5_6ELb0ES3_mN6thrust23THRUST_200600_302600_NS6detail15normal_iteratorINSA_10device_ptrItEEEEPS6_SG_NS0_5tupleIJSF_S6_EEENSH_IJSG_SG_EEES6_PlJ5mod_3ItEEEE10hipError_tPvRmT3_T4_T5_T6_T7_T9_mT8_P12ihipStream_tbDpT10_ENKUlT_T0_E_clISt17integral_constantIbLb1EES16_EEDaS11_S12_EUlS11_E_NS1_11comp_targetILNS1_3genE8ELNS1_11target_archE1030ELNS1_3gpuE2ELNS1_3repE0EEENS1_30default_config_static_selectorELNS0_4arch9wavefront6targetE0EEEvT1_ ; -- Begin function _ZN7rocprim17ROCPRIM_400000_NS6detail17trampoline_kernelINS0_14default_configENS1_25partition_config_selectorILNS1_17partition_subalgoE6EtNS0_10empty_typeEbEEZZNS1_14partition_implILS5_6ELb0ES3_mN6thrust23THRUST_200600_302600_NS6detail15normal_iteratorINSA_10device_ptrItEEEEPS6_SG_NS0_5tupleIJSF_S6_EEENSH_IJSG_SG_EEES6_PlJ5mod_3ItEEEE10hipError_tPvRmT3_T4_T5_T6_T7_T9_mT8_P12ihipStream_tbDpT10_ENKUlT_T0_E_clISt17integral_constantIbLb1EES16_EEDaS11_S12_EUlS11_E_NS1_11comp_targetILNS1_3genE8ELNS1_11target_archE1030ELNS1_3gpuE2ELNS1_3repE0EEENS1_30default_config_static_selectorELNS0_4arch9wavefront6targetE0EEEvT1_
	.globl	_ZN7rocprim17ROCPRIM_400000_NS6detail17trampoline_kernelINS0_14default_configENS1_25partition_config_selectorILNS1_17partition_subalgoE6EtNS0_10empty_typeEbEEZZNS1_14partition_implILS5_6ELb0ES3_mN6thrust23THRUST_200600_302600_NS6detail15normal_iteratorINSA_10device_ptrItEEEEPS6_SG_NS0_5tupleIJSF_S6_EEENSH_IJSG_SG_EEES6_PlJ5mod_3ItEEEE10hipError_tPvRmT3_T4_T5_T6_T7_T9_mT8_P12ihipStream_tbDpT10_ENKUlT_T0_E_clISt17integral_constantIbLb1EES16_EEDaS11_S12_EUlS11_E_NS1_11comp_targetILNS1_3genE8ELNS1_11target_archE1030ELNS1_3gpuE2ELNS1_3repE0EEENS1_30default_config_static_selectorELNS0_4arch9wavefront6targetE0EEEvT1_
	.p2align	8
	.type	_ZN7rocprim17ROCPRIM_400000_NS6detail17trampoline_kernelINS0_14default_configENS1_25partition_config_selectorILNS1_17partition_subalgoE6EtNS0_10empty_typeEbEEZZNS1_14partition_implILS5_6ELb0ES3_mN6thrust23THRUST_200600_302600_NS6detail15normal_iteratorINSA_10device_ptrItEEEEPS6_SG_NS0_5tupleIJSF_S6_EEENSH_IJSG_SG_EEES6_PlJ5mod_3ItEEEE10hipError_tPvRmT3_T4_T5_T6_T7_T9_mT8_P12ihipStream_tbDpT10_ENKUlT_T0_E_clISt17integral_constantIbLb1EES16_EEDaS11_S12_EUlS11_E_NS1_11comp_targetILNS1_3genE8ELNS1_11target_archE1030ELNS1_3gpuE2ELNS1_3repE0EEENS1_30default_config_static_selectorELNS0_4arch9wavefront6targetE0EEEvT1_,@function
_ZN7rocprim17ROCPRIM_400000_NS6detail17trampoline_kernelINS0_14default_configENS1_25partition_config_selectorILNS1_17partition_subalgoE6EtNS0_10empty_typeEbEEZZNS1_14partition_implILS5_6ELb0ES3_mN6thrust23THRUST_200600_302600_NS6detail15normal_iteratorINSA_10device_ptrItEEEEPS6_SG_NS0_5tupleIJSF_S6_EEENSH_IJSG_SG_EEES6_PlJ5mod_3ItEEEE10hipError_tPvRmT3_T4_T5_T6_T7_T9_mT8_P12ihipStream_tbDpT10_ENKUlT_T0_E_clISt17integral_constantIbLb1EES16_EEDaS11_S12_EUlS11_E_NS1_11comp_targetILNS1_3genE8ELNS1_11target_archE1030ELNS1_3gpuE2ELNS1_3repE0EEENS1_30default_config_static_selectorELNS0_4arch9wavefront6targetE0EEEvT1_: ; @_ZN7rocprim17ROCPRIM_400000_NS6detail17trampoline_kernelINS0_14default_configENS1_25partition_config_selectorILNS1_17partition_subalgoE6EtNS0_10empty_typeEbEEZZNS1_14partition_implILS5_6ELb0ES3_mN6thrust23THRUST_200600_302600_NS6detail15normal_iteratorINSA_10device_ptrItEEEEPS6_SG_NS0_5tupleIJSF_S6_EEENSH_IJSG_SG_EEES6_PlJ5mod_3ItEEEE10hipError_tPvRmT3_T4_T5_T6_T7_T9_mT8_P12ihipStream_tbDpT10_ENKUlT_T0_E_clISt17integral_constantIbLb1EES16_EEDaS11_S12_EUlS11_E_NS1_11comp_targetILNS1_3genE8ELNS1_11target_archE1030ELNS1_3gpuE2ELNS1_3repE0EEENS1_30default_config_static_selectorELNS0_4arch9wavefront6targetE0EEEvT1_
; %bb.0:
	.section	.rodata,"a",@progbits
	.p2align	6, 0x0
	.amdhsa_kernel _ZN7rocprim17ROCPRIM_400000_NS6detail17trampoline_kernelINS0_14default_configENS1_25partition_config_selectorILNS1_17partition_subalgoE6EtNS0_10empty_typeEbEEZZNS1_14partition_implILS5_6ELb0ES3_mN6thrust23THRUST_200600_302600_NS6detail15normal_iteratorINSA_10device_ptrItEEEEPS6_SG_NS0_5tupleIJSF_S6_EEENSH_IJSG_SG_EEES6_PlJ5mod_3ItEEEE10hipError_tPvRmT3_T4_T5_T6_T7_T9_mT8_P12ihipStream_tbDpT10_ENKUlT_T0_E_clISt17integral_constantIbLb1EES16_EEDaS11_S12_EUlS11_E_NS1_11comp_targetILNS1_3genE8ELNS1_11target_archE1030ELNS1_3gpuE2ELNS1_3repE0EEENS1_30default_config_static_selectorELNS0_4arch9wavefront6targetE0EEEvT1_
		.amdhsa_group_segment_fixed_size 0
		.amdhsa_private_segment_fixed_size 0
		.amdhsa_kernarg_size 128
		.amdhsa_user_sgpr_count 15
		.amdhsa_user_sgpr_dispatch_ptr 0
		.amdhsa_user_sgpr_queue_ptr 0
		.amdhsa_user_sgpr_kernarg_segment_ptr 1
		.amdhsa_user_sgpr_dispatch_id 0
		.amdhsa_user_sgpr_private_segment_size 0
		.amdhsa_wavefront_size32 1
		.amdhsa_uses_dynamic_stack 0
		.amdhsa_enable_private_segment 0
		.amdhsa_system_sgpr_workgroup_id_x 1
		.amdhsa_system_sgpr_workgroup_id_y 0
		.amdhsa_system_sgpr_workgroup_id_z 0
		.amdhsa_system_sgpr_workgroup_info 0
		.amdhsa_system_vgpr_workitem_id 0
		.amdhsa_next_free_vgpr 1
		.amdhsa_next_free_sgpr 1
		.amdhsa_reserve_vcc 0
		.amdhsa_float_round_mode_32 0
		.amdhsa_float_round_mode_16_64 0
		.amdhsa_float_denorm_mode_32 3
		.amdhsa_float_denorm_mode_16_64 3
		.amdhsa_dx10_clamp 1
		.amdhsa_ieee_mode 1
		.amdhsa_fp16_overflow 0
		.amdhsa_workgroup_processor_mode 1
		.amdhsa_memory_ordered 1
		.amdhsa_forward_progress 0
		.amdhsa_shared_vgpr_count 0
		.amdhsa_exception_fp_ieee_invalid_op 0
		.amdhsa_exception_fp_denorm_src 0
		.amdhsa_exception_fp_ieee_div_zero 0
		.amdhsa_exception_fp_ieee_overflow 0
		.amdhsa_exception_fp_ieee_underflow 0
		.amdhsa_exception_fp_ieee_inexact 0
		.amdhsa_exception_int_div_zero 0
	.end_amdhsa_kernel
	.section	.text._ZN7rocprim17ROCPRIM_400000_NS6detail17trampoline_kernelINS0_14default_configENS1_25partition_config_selectorILNS1_17partition_subalgoE6EtNS0_10empty_typeEbEEZZNS1_14partition_implILS5_6ELb0ES3_mN6thrust23THRUST_200600_302600_NS6detail15normal_iteratorINSA_10device_ptrItEEEEPS6_SG_NS0_5tupleIJSF_S6_EEENSH_IJSG_SG_EEES6_PlJ5mod_3ItEEEE10hipError_tPvRmT3_T4_T5_T6_T7_T9_mT8_P12ihipStream_tbDpT10_ENKUlT_T0_E_clISt17integral_constantIbLb1EES16_EEDaS11_S12_EUlS11_E_NS1_11comp_targetILNS1_3genE8ELNS1_11target_archE1030ELNS1_3gpuE2ELNS1_3repE0EEENS1_30default_config_static_selectorELNS0_4arch9wavefront6targetE0EEEvT1_,"axG",@progbits,_ZN7rocprim17ROCPRIM_400000_NS6detail17trampoline_kernelINS0_14default_configENS1_25partition_config_selectorILNS1_17partition_subalgoE6EtNS0_10empty_typeEbEEZZNS1_14partition_implILS5_6ELb0ES3_mN6thrust23THRUST_200600_302600_NS6detail15normal_iteratorINSA_10device_ptrItEEEEPS6_SG_NS0_5tupleIJSF_S6_EEENSH_IJSG_SG_EEES6_PlJ5mod_3ItEEEE10hipError_tPvRmT3_T4_T5_T6_T7_T9_mT8_P12ihipStream_tbDpT10_ENKUlT_T0_E_clISt17integral_constantIbLb1EES16_EEDaS11_S12_EUlS11_E_NS1_11comp_targetILNS1_3genE8ELNS1_11target_archE1030ELNS1_3gpuE2ELNS1_3repE0EEENS1_30default_config_static_selectorELNS0_4arch9wavefront6targetE0EEEvT1_,comdat
.Lfunc_end535:
	.size	_ZN7rocprim17ROCPRIM_400000_NS6detail17trampoline_kernelINS0_14default_configENS1_25partition_config_selectorILNS1_17partition_subalgoE6EtNS0_10empty_typeEbEEZZNS1_14partition_implILS5_6ELb0ES3_mN6thrust23THRUST_200600_302600_NS6detail15normal_iteratorINSA_10device_ptrItEEEEPS6_SG_NS0_5tupleIJSF_S6_EEENSH_IJSG_SG_EEES6_PlJ5mod_3ItEEEE10hipError_tPvRmT3_T4_T5_T6_T7_T9_mT8_P12ihipStream_tbDpT10_ENKUlT_T0_E_clISt17integral_constantIbLb1EES16_EEDaS11_S12_EUlS11_E_NS1_11comp_targetILNS1_3genE8ELNS1_11target_archE1030ELNS1_3gpuE2ELNS1_3repE0EEENS1_30default_config_static_selectorELNS0_4arch9wavefront6targetE0EEEvT1_, .Lfunc_end535-_ZN7rocprim17ROCPRIM_400000_NS6detail17trampoline_kernelINS0_14default_configENS1_25partition_config_selectorILNS1_17partition_subalgoE6EtNS0_10empty_typeEbEEZZNS1_14partition_implILS5_6ELb0ES3_mN6thrust23THRUST_200600_302600_NS6detail15normal_iteratorINSA_10device_ptrItEEEEPS6_SG_NS0_5tupleIJSF_S6_EEENSH_IJSG_SG_EEES6_PlJ5mod_3ItEEEE10hipError_tPvRmT3_T4_T5_T6_T7_T9_mT8_P12ihipStream_tbDpT10_ENKUlT_T0_E_clISt17integral_constantIbLb1EES16_EEDaS11_S12_EUlS11_E_NS1_11comp_targetILNS1_3genE8ELNS1_11target_archE1030ELNS1_3gpuE2ELNS1_3repE0EEENS1_30default_config_static_selectorELNS0_4arch9wavefront6targetE0EEEvT1_
                                        ; -- End function
	.section	.AMDGPU.csdata,"",@progbits
; Kernel info:
; codeLenInByte = 0
; NumSgprs: 0
; NumVgprs: 0
; ScratchSize: 0
; MemoryBound: 0
; FloatMode: 240
; IeeeMode: 1
; LDSByteSize: 0 bytes/workgroup (compile time only)
; SGPRBlocks: 0
; VGPRBlocks: 0
; NumSGPRsForWavesPerEU: 1
; NumVGPRsForWavesPerEU: 1
; Occupancy: 16
; WaveLimiterHint : 0
; COMPUTE_PGM_RSRC2:SCRATCH_EN: 0
; COMPUTE_PGM_RSRC2:USER_SGPR: 15
; COMPUTE_PGM_RSRC2:TRAP_HANDLER: 0
; COMPUTE_PGM_RSRC2:TGID_X_EN: 1
; COMPUTE_PGM_RSRC2:TGID_Y_EN: 0
; COMPUTE_PGM_RSRC2:TGID_Z_EN: 0
; COMPUTE_PGM_RSRC2:TIDIG_COMP_CNT: 0
	.section	.text._ZN7rocprim17ROCPRIM_400000_NS6detail17trampoline_kernelINS0_14default_configENS1_25partition_config_selectorILNS1_17partition_subalgoE6EtNS0_10empty_typeEbEEZZNS1_14partition_implILS5_6ELb0ES3_mN6thrust23THRUST_200600_302600_NS6detail15normal_iteratorINSA_10device_ptrItEEEEPS6_SG_NS0_5tupleIJSF_S6_EEENSH_IJSG_SG_EEES6_PlJ5mod_3ItEEEE10hipError_tPvRmT3_T4_T5_T6_T7_T9_mT8_P12ihipStream_tbDpT10_ENKUlT_T0_E_clISt17integral_constantIbLb1EES15_IbLb0EEEEDaS11_S12_EUlS11_E_NS1_11comp_targetILNS1_3genE0ELNS1_11target_archE4294967295ELNS1_3gpuE0ELNS1_3repE0EEENS1_30default_config_static_selectorELNS0_4arch9wavefront6targetE0EEEvT1_,"axG",@progbits,_ZN7rocprim17ROCPRIM_400000_NS6detail17trampoline_kernelINS0_14default_configENS1_25partition_config_selectorILNS1_17partition_subalgoE6EtNS0_10empty_typeEbEEZZNS1_14partition_implILS5_6ELb0ES3_mN6thrust23THRUST_200600_302600_NS6detail15normal_iteratorINSA_10device_ptrItEEEEPS6_SG_NS0_5tupleIJSF_S6_EEENSH_IJSG_SG_EEES6_PlJ5mod_3ItEEEE10hipError_tPvRmT3_T4_T5_T6_T7_T9_mT8_P12ihipStream_tbDpT10_ENKUlT_T0_E_clISt17integral_constantIbLb1EES15_IbLb0EEEEDaS11_S12_EUlS11_E_NS1_11comp_targetILNS1_3genE0ELNS1_11target_archE4294967295ELNS1_3gpuE0ELNS1_3repE0EEENS1_30default_config_static_selectorELNS0_4arch9wavefront6targetE0EEEvT1_,comdat
	.protected	_ZN7rocprim17ROCPRIM_400000_NS6detail17trampoline_kernelINS0_14default_configENS1_25partition_config_selectorILNS1_17partition_subalgoE6EtNS0_10empty_typeEbEEZZNS1_14partition_implILS5_6ELb0ES3_mN6thrust23THRUST_200600_302600_NS6detail15normal_iteratorINSA_10device_ptrItEEEEPS6_SG_NS0_5tupleIJSF_S6_EEENSH_IJSG_SG_EEES6_PlJ5mod_3ItEEEE10hipError_tPvRmT3_T4_T5_T6_T7_T9_mT8_P12ihipStream_tbDpT10_ENKUlT_T0_E_clISt17integral_constantIbLb1EES15_IbLb0EEEEDaS11_S12_EUlS11_E_NS1_11comp_targetILNS1_3genE0ELNS1_11target_archE4294967295ELNS1_3gpuE0ELNS1_3repE0EEENS1_30default_config_static_selectorELNS0_4arch9wavefront6targetE0EEEvT1_ ; -- Begin function _ZN7rocprim17ROCPRIM_400000_NS6detail17trampoline_kernelINS0_14default_configENS1_25partition_config_selectorILNS1_17partition_subalgoE6EtNS0_10empty_typeEbEEZZNS1_14partition_implILS5_6ELb0ES3_mN6thrust23THRUST_200600_302600_NS6detail15normal_iteratorINSA_10device_ptrItEEEEPS6_SG_NS0_5tupleIJSF_S6_EEENSH_IJSG_SG_EEES6_PlJ5mod_3ItEEEE10hipError_tPvRmT3_T4_T5_T6_T7_T9_mT8_P12ihipStream_tbDpT10_ENKUlT_T0_E_clISt17integral_constantIbLb1EES15_IbLb0EEEEDaS11_S12_EUlS11_E_NS1_11comp_targetILNS1_3genE0ELNS1_11target_archE4294967295ELNS1_3gpuE0ELNS1_3repE0EEENS1_30default_config_static_selectorELNS0_4arch9wavefront6targetE0EEEvT1_
	.globl	_ZN7rocprim17ROCPRIM_400000_NS6detail17trampoline_kernelINS0_14default_configENS1_25partition_config_selectorILNS1_17partition_subalgoE6EtNS0_10empty_typeEbEEZZNS1_14partition_implILS5_6ELb0ES3_mN6thrust23THRUST_200600_302600_NS6detail15normal_iteratorINSA_10device_ptrItEEEEPS6_SG_NS0_5tupleIJSF_S6_EEENSH_IJSG_SG_EEES6_PlJ5mod_3ItEEEE10hipError_tPvRmT3_T4_T5_T6_T7_T9_mT8_P12ihipStream_tbDpT10_ENKUlT_T0_E_clISt17integral_constantIbLb1EES15_IbLb0EEEEDaS11_S12_EUlS11_E_NS1_11comp_targetILNS1_3genE0ELNS1_11target_archE4294967295ELNS1_3gpuE0ELNS1_3repE0EEENS1_30default_config_static_selectorELNS0_4arch9wavefront6targetE0EEEvT1_
	.p2align	8
	.type	_ZN7rocprim17ROCPRIM_400000_NS6detail17trampoline_kernelINS0_14default_configENS1_25partition_config_selectorILNS1_17partition_subalgoE6EtNS0_10empty_typeEbEEZZNS1_14partition_implILS5_6ELb0ES3_mN6thrust23THRUST_200600_302600_NS6detail15normal_iteratorINSA_10device_ptrItEEEEPS6_SG_NS0_5tupleIJSF_S6_EEENSH_IJSG_SG_EEES6_PlJ5mod_3ItEEEE10hipError_tPvRmT3_T4_T5_T6_T7_T9_mT8_P12ihipStream_tbDpT10_ENKUlT_T0_E_clISt17integral_constantIbLb1EES15_IbLb0EEEEDaS11_S12_EUlS11_E_NS1_11comp_targetILNS1_3genE0ELNS1_11target_archE4294967295ELNS1_3gpuE0ELNS1_3repE0EEENS1_30default_config_static_selectorELNS0_4arch9wavefront6targetE0EEEvT1_,@function
_ZN7rocprim17ROCPRIM_400000_NS6detail17trampoline_kernelINS0_14default_configENS1_25partition_config_selectorILNS1_17partition_subalgoE6EtNS0_10empty_typeEbEEZZNS1_14partition_implILS5_6ELb0ES3_mN6thrust23THRUST_200600_302600_NS6detail15normal_iteratorINSA_10device_ptrItEEEEPS6_SG_NS0_5tupleIJSF_S6_EEENSH_IJSG_SG_EEES6_PlJ5mod_3ItEEEE10hipError_tPvRmT3_T4_T5_T6_T7_T9_mT8_P12ihipStream_tbDpT10_ENKUlT_T0_E_clISt17integral_constantIbLb1EES15_IbLb0EEEEDaS11_S12_EUlS11_E_NS1_11comp_targetILNS1_3genE0ELNS1_11target_archE4294967295ELNS1_3gpuE0ELNS1_3repE0EEENS1_30default_config_static_selectorELNS0_4arch9wavefront6targetE0EEEvT1_: ; @_ZN7rocprim17ROCPRIM_400000_NS6detail17trampoline_kernelINS0_14default_configENS1_25partition_config_selectorILNS1_17partition_subalgoE6EtNS0_10empty_typeEbEEZZNS1_14partition_implILS5_6ELb0ES3_mN6thrust23THRUST_200600_302600_NS6detail15normal_iteratorINSA_10device_ptrItEEEEPS6_SG_NS0_5tupleIJSF_S6_EEENSH_IJSG_SG_EEES6_PlJ5mod_3ItEEEE10hipError_tPvRmT3_T4_T5_T6_T7_T9_mT8_P12ihipStream_tbDpT10_ENKUlT_T0_E_clISt17integral_constantIbLb1EES15_IbLb0EEEEDaS11_S12_EUlS11_E_NS1_11comp_targetILNS1_3genE0ELNS1_11target_archE4294967295ELNS1_3gpuE0ELNS1_3repE0EEENS1_30default_config_static_selectorELNS0_4arch9wavefront6targetE0EEEvT1_
; %bb.0:
	.section	.rodata,"a",@progbits
	.p2align	6, 0x0
	.amdhsa_kernel _ZN7rocprim17ROCPRIM_400000_NS6detail17trampoline_kernelINS0_14default_configENS1_25partition_config_selectorILNS1_17partition_subalgoE6EtNS0_10empty_typeEbEEZZNS1_14partition_implILS5_6ELb0ES3_mN6thrust23THRUST_200600_302600_NS6detail15normal_iteratorINSA_10device_ptrItEEEEPS6_SG_NS0_5tupleIJSF_S6_EEENSH_IJSG_SG_EEES6_PlJ5mod_3ItEEEE10hipError_tPvRmT3_T4_T5_T6_T7_T9_mT8_P12ihipStream_tbDpT10_ENKUlT_T0_E_clISt17integral_constantIbLb1EES15_IbLb0EEEEDaS11_S12_EUlS11_E_NS1_11comp_targetILNS1_3genE0ELNS1_11target_archE4294967295ELNS1_3gpuE0ELNS1_3repE0EEENS1_30default_config_static_selectorELNS0_4arch9wavefront6targetE0EEEvT1_
		.amdhsa_group_segment_fixed_size 0
		.amdhsa_private_segment_fixed_size 0
		.amdhsa_kernarg_size 112
		.amdhsa_user_sgpr_count 15
		.amdhsa_user_sgpr_dispatch_ptr 0
		.amdhsa_user_sgpr_queue_ptr 0
		.amdhsa_user_sgpr_kernarg_segment_ptr 1
		.amdhsa_user_sgpr_dispatch_id 0
		.amdhsa_user_sgpr_private_segment_size 0
		.amdhsa_wavefront_size32 1
		.amdhsa_uses_dynamic_stack 0
		.amdhsa_enable_private_segment 0
		.amdhsa_system_sgpr_workgroup_id_x 1
		.amdhsa_system_sgpr_workgroup_id_y 0
		.amdhsa_system_sgpr_workgroup_id_z 0
		.amdhsa_system_sgpr_workgroup_info 0
		.amdhsa_system_vgpr_workitem_id 0
		.amdhsa_next_free_vgpr 1
		.amdhsa_next_free_sgpr 1
		.amdhsa_reserve_vcc 0
		.amdhsa_float_round_mode_32 0
		.amdhsa_float_round_mode_16_64 0
		.amdhsa_float_denorm_mode_32 3
		.amdhsa_float_denorm_mode_16_64 3
		.amdhsa_dx10_clamp 1
		.amdhsa_ieee_mode 1
		.amdhsa_fp16_overflow 0
		.amdhsa_workgroup_processor_mode 1
		.amdhsa_memory_ordered 1
		.amdhsa_forward_progress 0
		.amdhsa_shared_vgpr_count 0
		.amdhsa_exception_fp_ieee_invalid_op 0
		.amdhsa_exception_fp_denorm_src 0
		.amdhsa_exception_fp_ieee_div_zero 0
		.amdhsa_exception_fp_ieee_overflow 0
		.amdhsa_exception_fp_ieee_underflow 0
		.amdhsa_exception_fp_ieee_inexact 0
		.amdhsa_exception_int_div_zero 0
	.end_amdhsa_kernel
	.section	.text._ZN7rocprim17ROCPRIM_400000_NS6detail17trampoline_kernelINS0_14default_configENS1_25partition_config_selectorILNS1_17partition_subalgoE6EtNS0_10empty_typeEbEEZZNS1_14partition_implILS5_6ELb0ES3_mN6thrust23THRUST_200600_302600_NS6detail15normal_iteratorINSA_10device_ptrItEEEEPS6_SG_NS0_5tupleIJSF_S6_EEENSH_IJSG_SG_EEES6_PlJ5mod_3ItEEEE10hipError_tPvRmT3_T4_T5_T6_T7_T9_mT8_P12ihipStream_tbDpT10_ENKUlT_T0_E_clISt17integral_constantIbLb1EES15_IbLb0EEEEDaS11_S12_EUlS11_E_NS1_11comp_targetILNS1_3genE0ELNS1_11target_archE4294967295ELNS1_3gpuE0ELNS1_3repE0EEENS1_30default_config_static_selectorELNS0_4arch9wavefront6targetE0EEEvT1_,"axG",@progbits,_ZN7rocprim17ROCPRIM_400000_NS6detail17trampoline_kernelINS0_14default_configENS1_25partition_config_selectorILNS1_17partition_subalgoE6EtNS0_10empty_typeEbEEZZNS1_14partition_implILS5_6ELb0ES3_mN6thrust23THRUST_200600_302600_NS6detail15normal_iteratorINSA_10device_ptrItEEEEPS6_SG_NS0_5tupleIJSF_S6_EEENSH_IJSG_SG_EEES6_PlJ5mod_3ItEEEE10hipError_tPvRmT3_T4_T5_T6_T7_T9_mT8_P12ihipStream_tbDpT10_ENKUlT_T0_E_clISt17integral_constantIbLb1EES15_IbLb0EEEEDaS11_S12_EUlS11_E_NS1_11comp_targetILNS1_3genE0ELNS1_11target_archE4294967295ELNS1_3gpuE0ELNS1_3repE0EEENS1_30default_config_static_selectorELNS0_4arch9wavefront6targetE0EEEvT1_,comdat
.Lfunc_end536:
	.size	_ZN7rocprim17ROCPRIM_400000_NS6detail17trampoline_kernelINS0_14default_configENS1_25partition_config_selectorILNS1_17partition_subalgoE6EtNS0_10empty_typeEbEEZZNS1_14partition_implILS5_6ELb0ES3_mN6thrust23THRUST_200600_302600_NS6detail15normal_iteratorINSA_10device_ptrItEEEEPS6_SG_NS0_5tupleIJSF_S6_EEENSH_IJSG_SG_EEES6_PlJ5mod_3ItEEEE10hipError_tPvRmT3_T4_T5_T6_T7_T9_mT8_P12ihipStream_tbDpT10_ENKUlT_T0_E_clISt17integral_constantIbLb1EES15_IbLb0EEEEDaS11_S12_EUlS11_E_NS1_11comp_targetILNS1_3genE0ELNS1_11target_archE4294967295ELNS1_3gpuE0ELNS1_3repE0EEENS1_30default_config_static_selectorELNS0_4arch9wavefront6targetE0EEEvT1_, .Lfunc_end536-_ZN7rocprim17ROCPRIM_400000_NS6detail17trampoline_kernelINS0_14default_configENS1_25partition_config_selectorILNS1_17partition_subalgoE6EtNS0_10empty_typeEbEEZZNS1_14partition_implILS5_6ELb0ES3_mN6thrust23THRUST_200600_302600_NS6detail15normal_iteratorINSA_10device_ptrItEEEEPS6_SG_NS0_5tupleIJSF_S6_EEENSH_IJSG_SG_EEES6_PlJ5mod_3ItEEEE10hipError_tPvRmT3_T4_T5_T6_T7_T9_mT8_P12ihipStream_tbDpT10_ENKUlT_T0_E_clISt17integral_constantIbLb1EES15_IbLb0EEEEDaS11_S12_EUlS11_E_NS1_11comp_targetILNS1_3genE0ELNS1_11target_archE4294967295ELNS1_3gpuE0ELNS1_3repE0EEENS1_30default_config_static_selectorELNS0_4arch9wavefront6targetE0EEEvT1_
                                        ; -- End function
	.section	.AMDGPU.csdata,"",@progbits
; Kernel info:
; codeLenInByte = 0
; NumSgprs: 0
; NumVgprs: 0
; ScratchSize: 0
; MemoryBound: 0
; FloatMode: 240
; IeeeMode: 1
; LDSByteSize: 0 bytes/workgroup (compile time only)
; SGPRBlocks: 0
; VGPRBlocks: 0
; NumSGPRsForWavesPerEU: 1
; NumVGPRsForWavesPerEU: 1
; Occupancy: 16
; WaveLimiterHint : 0
; COMPUTE_PGM_RSRC2:SCRATCH_EN: 0
; COMPUTE_PGM_RSRC2:USER_SGPR: 15
; COMPUTE_PGM_RSRC2:TRAP_HANDLER: 0
; COMPUTE_PGM_RSRC2:TGID_X_EN: 1
; COMPUTE_PGM_RSRC2:TGID_Y_EN: 0
; COMPUTE_PGM_RSRC2:TGID_Z_EN: 0
; COMPUTE_PGM_RSRC2:TIDIG_COMP_CNT: 0
	.section	.text._ZN7rocprim17ROCPRIM_400000_NS6detail17trampoline_kernelINS0_14default_configENS1_25partition_config_selectorILNS1_17partition_subalgoE6EtNS0_10empty_typeEbEEZZNS1_14partition_implILS5_6ELb0ES3_mN6thrust23THRUST_200600_302600_NS6detail15normal_iteratorINSA_10device_ptrItEEEEPS6_SG_NS0_5tupleIJSF_S6_EEENSH_IJSG_SG_EEES6_PlJ5mod_3ItEEEE10hipError_tPvRmT3_T4_T5_T6_T7_T9_mT8_P12ihipStream_tbDpT10_ENKUlT_T0_E_clISt17integral_constantIbLb1EES15_IbLb0EEEEDaS11_S12_EUlS11_E_NS1_11comp_targetILNS1_3genE5ELNS1_11target_archE942ELNS1_3gpuE9ELNS1_3repE0EEENS1_30default_config_static_selectorELNS0_4arch9wavefront6targetE0EEEvT1_,"axG",@progbits,_ZN7rocprim17ROCPRIM_400000_NS6detail17trampoline_kernelINS0_14default_configENS1_25partition_config_selectorILNS1_17partition_subalgoE6EtNS0_10empty_typeEbEEZZNS1_14partition_implILS5_6ELb0ES3_mN6thrust23THRUST_200600_302600_NS6detail15normal_iteratorINSA_10device_ptrItEEEEPS6_SG_NS0_5tupleIJSF_S6_EEENSH_IJSG_SG_EEES6_PlJ5mod_3ItEEEE10hipError_tPvRmT3_T4_T5_T6_T7_T9_mT8_P12ihipStream_tbDpT10_ENKUlT_T0_E_clISt17integral_constantIbLb1EES15_IbLb0EEEEDaS11_S12_EUlS11_E_NS1_11comp_targetILNS1_3genE5ELNS1_11target_archE942ELNS1_3gpuE9ELNS1_3repE0EEENS1_30default_config_static_selectorELNS0_4arch9wavefront6targetE0EEEvT1_,comdat
	.protected	_ZN7rocprim17ROCPRIM_400000_NS6detail17trampoline_kernelINS0_14default_configENS1_25partition_config_selectorILNS1_17partition_subalgoE6EtNS0_10empty_typeEbEEZZNS1_14partition_implILS5_6ELb0ES3_mN6thrust23THRUST_200600_302600_NS6detail15normal_iteratorINSA_10device_ptrItEEEEPS6_SG_NS0_5tupleIJSF_S6_EEENSH_IJSG_SG_EEES6_PlJ5mod_3ItEEEE10hipError_tPvRmT3_T4_T5_T6_T7_T9_mT8_P12ihipStream_tbDpT10_ENKUlT_T0_E_clISt17integral_constantIbLb1EES15_IbLb0EEEEDaS11_S12_EUlS11_E_NS1_11comp_targetILNS1_3genE5ELNS1_11target_archE942ELNS1_3gpuE9ELNS1_3repE0EEENS1_30default_config_static_selectorELNS0_4arch9wavefront6targetE0EEEvT1_ ; -- Begin function _ZN7rocprim17ROCPRIM_400000_NS6detail17trampoline_kernelINS0_14default_configENS1_25partition_config_selectorILNS1_17partition_subalgoE6EtNS0_10empty_typeEbEEZZNS1_14partition_implILS5_6ELb0ES3_mN6thrust23THRUST_200600_302600_NS6detail15normal_iteratorINSA_10device_ptrItEEEEPS6_SG_NS0_5tupleIJSF_S6_EEENSH_IJSG_SG_EEES6_PlJ5mod_3ItEEEE10hipError_tPvRmT3_T4_T5_T6_T7_T9_mT8_P12ihipStream_tbDpT10_ENKUlT_T0_E_clISt17integral_constantIbLb1EES15_IbLb0EEEEDaS11_S12_EUlS11_E_NS1_11comp_targetILNS1_3genE5ELNS1_11target_archE942ELNS1_3gpuE9ELNS1_3repE0EEENS1_30default_config_static_selectorELNS0_4arch9wavefront6targetE0EEEvT1_
	.globl	_ZN7rocprim17ROCPRIM_400000_NS6detail17trampoline_kernelINS0_14default_configENS1_25partition_config_selectorILNS1_17partition_subalgoE6EtNS0_10empty_typeEbEEZZNS1_14partition_implILS5_6ELb0ES3_mN6thrust23THRUST_200600_302600_NS6detail15normal_iteratorINSA_10device_ptrItEEEEPS6_SG_NS0_5tupleIJSF_S6_EEENSH_IJSG_SG_EEES6_PlJ5mod_3ItEEEE10hipError_tPvRmT3_T4_T5_T6_T7_T9_mT8_P12ihipStream_tbDpT10_ENKUlT_T0_E_clISt17integral_constantIbLb1EES15_IbLb0EEEEDaS11_S12_EUlS11_E_NS1_11comp_targetILNS1_3genE5ELNS1_11target_archE942ELNS1_3gpuE9ELNS1_3repE0EEENS1_30default_config_static_selectorELNS0_4arch9wavefront6targetE0EEEvT1_
	.p2align	8
	.type	_ZN7rocprim17ROCPRIM_400000_NS6detail17trampoline_kernelINS0_14default_configENS1_25partition_config_selectorILNS1_17partition_subalgoE6EtNS0_10empty_typeEbEEZZNS1_14partition_implILS5_6ELb0ES3_mN6thrust23THRUST_200600_302600_NS6detail15normal_iteratorINSA_10device_ptrItEEEEPS6_SG_NS0_5tupleIJSF_S6_EEENSH_IJSG_SG_EEES6_PlJ5mod_3ItEEEE10hipError_tPvRmT3_T4_T5_T6_T7_T9_mT8_P12ihipStream_tbDpT10_ENKUlT_T0_E_clISt17integral_constantIbLb1EES15_IbLb0EEEEDaS11_S12_EUlS11_E_NS1_11comp_targetILNS1_3genE5ELNS1_11target_archE942ELNS1_3gpuE9ELNS1_3repE0EEENS1_30default_config_static_selectorELNS0_4arch9wavefront6targetE0EEEvT1_,@function
_ZN7rocprim17ROCPRIM_400000_NS6detail17trampoline_kernelINS0_14default_configENS1_25partition_config_selectorILNS1_17partition_subalgoE6EtNS0_10empty_typeEbEEZZNS1_14partition_implILS5_6ELb0ES3_mN6thrust23THRUST_200600_302600_NS6detail15normal_iteratorINSA_10device_ptrItEEEEPS6_SG_NS0_5tupleIJSF_S6_EEENSH_IJSG_SG_EEES6_PlJ5mod_3ItEEEE10hipError_tPvRmT3_T4_T5_T6_T7_T9_mT8_P12ihipStream_tbDpT10_ENKUlT_T0_E_clISt17integral_constantIbLb1EES15_IbLb0EEEEDaS11_S12_EUlS11_E_NS1_11comp_targetILNS1_3genE5ELNS1_11target_archE942ELNS1_3gpuE9ELNS1_3repE0EEENS1_30default_config_static_selectorELNS0_4arch9wavefront6targetE0EEEvT1_: ; @_ZN7rocprim17ROCPRIM_400000_NS6detail17trampoline_kernelINS0_14default_configENS1_25partition_config_selectorILNS1_17partition_subalgoE6EtNS0_10empty_typeEbEEZZNS1_14partition_implILS5_6ELb0ES3_mN6thrust23THRUST_200600_302600_NS6detail15normal_iteratorINSA_10device_ptrItEEEEPS6_SG_NS0_5tupleIJSF_S6_EEENSH_IJSG_SG_EEES6_PlJ5mod_3ItEEEE10hipError_tPvRmT3_T4_T5_T6_T7_T9_mT8_P12ihipStream_tbDpT10_ENKUlT_T0_E_clISt17integral_constantIbLb1EES15_IbLb0EEEEDaS11_S12_EUlS11_E_NS1_11comp_targetILNS1_3genE5ELNS1_11target_archE942ELNS1_3gpuE9ELNS1_3repE0EEENS1_30default_config_static_selectorELNS0_4arch9wavefront6targetE0EEEvT1_
; %bb.0:
	.section	.rodata,"a",@progbits
	.p2align	6, 0x0
	.amdhsa_kernel _ZN7rocprim17ROCPRIM_400000_NS6detail17trampoline_kernelINS0_14default_configENS1_25partition_config_selectorILNS1_17partition_subalgoE6EtNS0_10empty_typeEbEEZZNS1_14partition_implILS5_6ELb0ES3_mN6thrust23THRUST_200600_302600_NS6detail15normal_iteratorINSA_10device_ptrItEEEEPS6_SG_NS0_5tupleIJSF_S6_EEENSH_IJSG_SG_EEES6_PlJ5mod_3ItEEEE10hipError_tPvRmT3_T4_T5_T6_T7_T9_mT8_P12ihipStream_tbDpT10_ENKUlT_T0_E_clISt17integral_constantIbLb1EES15_IbLb0EEEEDaS11_S12_EUlS11_E_NS1_11comp_targetILNS1_3genE5ELNS1_11target_archE942ELNS1_3gpuE9ELNS1_3repE0EEENS1_30default_config_static_selectorELNS0_4arch9wavefront6targetE0EEEvT1_
		.amdhsa_group_segment_fixed_size 0
		.amdhsa_private_segment_fixed_size 0
		.amdhsa_kernarg_size 112
		.amdhsa_user_sgpr_count 15
		.amdhsa_user_sgpr_dispatch_ptr 0
		.amdhsa_user_sgpr_queue_ptr 0
		.amdhsa_user_sgpr_kernarg_segment_ptr 1
		.amdhsa_user_sgpr_dispatch_id 0
		.amdhsa_user_sgpr_private_segment_size 0
		.amdhsa_wavefront_size32 1
		.amdhsa_uses_dynamic_stack 0
		.amdhsa_enable_private_segment 0
		.amdhsa_system_sgpr_workgroup_id_x 1
		.amdhsa_system_sgpr_workgroup_id_y 0
		.amdhsa_system_sgpr_workgroup_id_z 0
		.amdhsa_system_sgpr_workgroup_info 0
		.amdhsa_system_vgpr_workitem_id 0
		.amdhsa_next_free_vgpr 1
		.amdhsa_next_free_sgpr 1
		.amdhsa_reserve_vcc 0
		.amdhsa_float_round_mode_32 0
		.amdhsa_float_round_mode_16_64 0
		.amdhsa_float_denorm_mode_32 3
		.amdhsa_float_denorm_mode_16_64 3
		.amdhsa_dx10_clamp 1
		.amdhsa_ieee_mode 1
		.amdhsa_fp16_overflow 0
		.amdhsa_workgroup_processor_mode 1
		.amdhsa_memory_ordered 1
		.amdhsa_forward_progress 0
		.amdhsa_shared_vgpr_count 0
		.amdhsa_exception_fp_ieee_invalid_op 0
		.amdhsa_exception_fp_denorm_src 0
		.amdhsa_exception_fp_ieee_div_zero 0
		.amdhsa_exception_fp_ieee_overflow 0
		.amdhsa_exception_fp_ieee_underflow 0
		.amdhsa_exception_fp_ieee_inexact 0
		.amdhsa_exception_int_div_zero 0
	.end_amdhsa_kernel
	.section	.text._ZN7rocprim17ROCPRIM_400000_NS6detail17trampoline_kernelINS0_14default_configENS1_25partition_config_selectorILNS1_17partition_subalgoE6EtNS0_10empty_typeEbEEZZNS1_14partition_implILS5_6ELb0ES3_mN6thrust23THRUST_200600_302600_NS6detail15normal_iteratorINSA_10device_ptrItEEEEPS6_SG_NS0_5tupleIJSF_S6_EEENSH_IJSG_SG_EEES6_PlJ5mod_3ItEEEE10hipError_tPvRmT3_T4_T5_T6_T7_T9_mT8_P12ihipStream_tbDpT10_ENKUlT_T0_E_clISt17integral_constantIbLb1EES15_IbLb0EEEEDaS11_S12_EUlS11_E_NS1_11comp_targetILNS1_3genE5ELNS1_11target_archE942ELNS1_3gpuE9ELNS1_3repE0EEENS1_30default_config_static_selectorELNS0_4arch9wavefront6targetE0EEEvT1_,"axG",@progbits,_ZN7rocprim17ROCPRIM_400000_NS6detail17trampoline_kernelINS0_14default_configENS1_25partition_config_selectorILNS1_17partition_subalgoE6EtNS0_10empty_typeEbEEZZNS1_14partition_implILS5_6ELb0ES3_mN6thrust23THRUST_200600_302600_NS6detail15normal_iteratorINSA_10device_ptrItEEEEPS6_SG_NS0_5tupleIJSF_S6_EEENSH_IJSG_SG_EEES6_PlJ5mod_3ItEEEE10hipError_tPvRmT3_T4_T5_T6_T7_T9_mT8_P12ihipStream_tbDpT10_ENKUlT_T0_E_clISt17integral_constantIbLb1EES15_IbLb0EEEEDaS11_S12_EUlS11_E_NS1_11comp_targetILNS1_3genE5ELNS1_11target_archE942ELNS1_3gpuE9ELNS1_3repE0EEENS1_30default_config_static_selectorELNS0_4arch9wavefront6targetE0EEEvT1_,comdat
.Lfunc_end537:
	.size	_ZN7rocprim17ROCPRIM_400000_NS6detail17trampoline_kernelINS0_14default_configENS1_25partition_config_selectorILNS1_17partition_subalgoE6EtNS0_10empty_typeEbEEZZNS1_14partition_implILS5_6ELb0ES3_mN6thrust23THRUST_200600_302600_NS6detail15normal_iteratorINSA_10device_ptrItEEEEPS6_SG_NS0_5tupleIJSF_S6_EEENSH_IJSG_SG_EEES6_PlJ5mod_3ItEEEE10hipError_tPvRmT3_T4_T5_T6_T7_T9_mT8_P12ihipStream_tbDpT10_ENKUlT_T0_E_clISt17integral_constantIbLb1EES15_IbLb0EEEEDaS11_S12_EUlS11_E_NS1_11comp_targetILNS1_3genE5ELNS1_11target_archE942ELNS1_3gpuE9ELNS1_3repE0EEENS1_30default_config_static_selectorELNS0_4arch9wavefront6targetE0EEEvT1_, .Lfunc_end537-_ZN7rocprim17ROCPRIM_400000_NS6detail17trampoline_kernelINS0_14default_configENS1_25partition_config_selectorILNS1_17partition_subalgoE6EtNS0_10empty_typeEbEEZZNS1_14partition_implILS5_6ELb0ES3_mN6thrust23THRUST_200600_302600_NS6detail15normal_iteratorINSA_10device_ptrItEEEEPS6_SG_NS0_5tupleIJSF_S6_EEENSH_IJSG_SG_EEES6_PlJ5mod_3ItEEEE10hipError_tPvRmT3_T4_T5_T6_T7_T9_mT8_P12ihipStream_tbDpT10_ENKUlT_T0_E_clISt17integral_constantIbLb1EES15_IbLb0EEEEDaS11_S12_EUlS11_E_NS1_11comp_targetILNS1_3genE5ELNS1_11target_archE942ELNS1_3gpuE9ELNS1_3repE0EEENS1_30default_config_static_selectorELNS0_4arch9wavefront6targetE0EEEvT1_
                                        ; -- End function
	.section	.AMDGPU.csdata,"",@progbits
; Kernel info:
; codeLenInByte = 0
; NumSgprs: 0
; NumVgprs: 0
; ScratchSize: 0
; MemoryBound: 0
; FloatMode: 240
; IeeeMode: 1
; LDSByteSize: 0 bytes/workgroup (compile time only)
; SGPRBlocks: 0
; VGPRBlocks: 0
; NumSGPRsForWavesPerEU: 1
; NumVGPRsForWavesPerEU: 1
; Occupancy: 16
; WaveLimiterHint : 0
; COMPUTE_PGM_RSRC2:SCRATCH_EN: 0
; COMPUTE_PGM_RSRC2:USER_SGPR: 15
; COMPUTE_PGM_RSRC2:TRAP_HANDLER: 0
; COMPUTE_PGM_RSRC2:TGID_X_EN: 1
; COMPUTE_PGM_RSRC2:TGID_Y_EN: 0
; COMPUTE_PGM_RSRC2:TGID_Z_EN: 0
; COMPUTE_PGM_RSRC2:TIDIG_COMP_CNT: 0
	.section	.text._ZN7rocprim17ROCPRIM_400000_NS6detail17trampoline_kernelINS0_14default_configENS1_25partition_config_selectorILNS1_17partition_subalgoE6EtNS0_10empty_typeEbEEZZNS1_14partition_implILS5_6ELb0ES3_mN6thrust23THRUST_200600_302600_NS6detail15normal_iteratorINSA_10device_ptrItEEEEPS6_SG_NS0_5tupleIJSF_S6_EEENSH_IJSG_SG_EEES6_PlJ5mod_3ItEEEE10hipError_tPvRmT3_T4_T5_T6_T7_T9_mT8_P12ihipStream_tbDpT10_ENKUlT_T0_E_clISt17integral_constantIbLb1EES15_IbLb0EEEEDaS11_S12_EUlS11_E_NS1_11comp_targetILNS1_3genE4ELNS1_11target_archE910ELNS1_3gpuE8ELNS1_3repE0EEENS1_30default_config_static_selectorELNS0_4arch9wavefront6targetE0EEEvT1_,"axG",@progbits,_ZN7rocprim17ROCPRIM_400000_NS6detail17trampoline_kernelINS0_14default_configENS1_25partition_config_selectorILNS1_17partition_subalgoE6EtNS0_10empty_typeEbEEZZNS1_14partition_implILS5_6ELb0ES3_mN6thrust23THRUST_200600_302600_NS6detail15normal_iteratorINSA_10device_ptrItEEEEPS6_SG_NS0_5tupleIJSF_S6_EEENSH_IJSG_SG_EEES6_PlJ5mod_3ItEEEE10hipError_tPvRmT3_T4_T5_T6_T7_T9_mT8_P12ihipStream_tbDpT10_ENKUlT_T0_E_clISt17integral_constantIbLb1EES15_IbLb0EEEEDaS11_S12_EUlS11_E_NS1_11comp_targetILNS1_3genE4ELNS1_11target_archE910ELNS1_3gpuE8ELNS1_3repE0EEENS1_30default_config_static_selectorELNS0_4arch9wavefront6targetE0EEEvT1_,comdat
	.protected	_ZN7rocprim17ROCPRIM_400000_NS6detail17trampoline_kernelINS0_14default_configENS1_25partition_config_selectorILNS1_17partition_subalgoE6EtNS0_10empty_typeEbEEZZNS1_14partition_implILS5_6ELb0ES3_mN6thrust23THRUST_200600_302600_NS6detail15normal_iteratorINSA_10device_ptrItEEEEPS6_SG_NS0_5tupleIJSF_S6_EEENSH_IJSG_SG_EEES6_PlJ5mod_3ItEEEE10hipError_tPvRmT3_T4_T5_T6_T7_T9_mT8_P12ihipStream_tbDpT10_ENKUlT_T0_E_clISt17integral_constantIbLb1EES15_IbLb0EEEEDaS11_S12_EUlS11_E_NS1_11comp_targetILNS1_3genE4ELNS1_11target_archE910ELNS1_3gpuE8ELNS1_3repE0EEENS1_30default_config_static_selectorELNS0_4arch9wavefront6targetE0EEEvT1_ ; -- Begin function _ZN7rocprim17ROCPRIM_400000_NS6detail17trampoline_kernelINS0_14default_configENS1_25partition_config_selectorILNS1_17partition_subalgoE6EtNS0_10empty_typeEbEEZZNS1_14partition_implILS5_6ELb0ES3_mN6thrust23THRUST_200600_302600_NS6detail15normal_iteratorINSA_10device_ptrItEEEEPS6_SG_NS0_5tupleIJSF_S6_EEENSH_IJSG_SG_EEES6_PlJ5mod_3ItEEEE10hipError_tPvRmT3_T4_T5_T6_T7_T9_mT8_P12ihipStream_tbDpT10_ENKUlT_T0_E_clISt17integral_constantIbLb1EES15_IbLb0EEEEDaS11_S12_EUlS11_E_NS1_11comp_targetILNS1_3genE4ELNS1_11target_archE910ELNS1_3gpuE8ELNS1_3repE0EEENS1_30default_config_static_selectorELNS0_4arch9wavefront6targetE0EEEvT1_
	.globl	_ZN7rocprim17ROCPRIM_400000_NS6detail17trampoline_kernelINS0_14default_configENS1_25partition_config_selectorILNS1_17partition_subalgoE6EtNS0_10empty_typeEbEEZZNS1_14partition_implILS5_6ELb0ES3_mN6thrust23THRUST_200600_302600_NS6detail15normal_iteratorINSA_10device_ptrItEEEEPS6_SG_NS0_5tupleIJSF_S6_EEENSH_IJSG_SG_EEES6_PlJ5mod_3ItEEEE10hipError_tPvRmT3_T4_T5_T6_T7_T9_mT8_P12ihipStream_tbDpT10_ENKUlT_T0_E_clISt17integral_constantIbLb1EES15_IbLb0EEEEDaS11_S12_EUlS11_E_NS1_11comp_targetILNS1_3genE4ELNS1_11target_archE910ELNS1_3gpuE8ELNS1_3repE0EEENS1_30default_config_static_selectorELNS0_4arch9wavefront6targetE0EEEvT1_
	.p2align	8
	.type	_ZN7rocprim17ROCPRIM_400000_NS6detail17trampoline_kernelINS0_14default_configENS1_25partition_config_selectorILNS1_17partition_subalgoE6EtNS0_10empty_typeEbEEZZNS1_14partition_implILS5_6ELb0ES3_mN6thrust23THRUST_200600_302600_NS6detail15normal_iteratorINSA_10device_ptrItEEEEPS6_SG_NS0_5tupleIJSF_S6_EEENSH_IJSG_SG_EEES6_PlJ5mod_3ItEEEE10hipError_tPvRmT3_T4_T5_T6_T7_T9_mT8_P12ihipStream_tbDpT10_ENKUlT_T0_E_clISt17integral_constantIbLb1EES15_IbLb0EEEEDaS11_S12_EUlS11_E_NS1_11comp_targetILNS1_3genE4ELNS1_11target_archE910ELNS1_3gpuE8ELNS1_3repE0EEENS1_30default_config_static_selectorELNS0_4arch9wavefront6targetE0EEEvT1_,@function
_ZN7rocprim17ROCPRIM_400000_NS6detail17trampoline_kernelINS0_14default_configENS1_25partition_config_selectorILNS1_17partition_subalgoE6EtNS0_10empty_typeEbEEZZNS1_14partition_implILS5_6ELb0ES3_mN6thrust23THRUST_200600_302600_NS6detail15normal_iteratorINSA_10device_ptrItEEEEPS6_SG_NS0_5tupleIJSF_S6_EEENSH_IJSG_SG_EEES6_PlJ5mod_3ItEEEE10hipError_tPvRmT3_T4_T5_T6_T7_T9_mT8_P12ihipStream_tbDpT10_ENKUlT_T0_E_clISt17integral_constantIbLb1EES15_IbLb0EEEEDaS11_S12_EUlS11_E_NS1_11comp_targetILNS1_3genE4ELNS1_11target_archE910ELNS1_3gpuE8ELNS1_3repE0EEENS1_30default_config_static_selectorELNS0_4arch9wavefront6targetE0EEEvT1_: ; @_ZN7rocprim17ROCPRIM_400000_NS6detail17trampoline_kernelINS0_14default_configENS1_25partition_config_selectorILNS1_17partition_subalgoE6EtNS0_10empty_typeEbEEZZNS1_14partition_implILS5_6ELb0ES3_mN6thrust23THRUST_200600_302600_NS6detail15normal_iteratorINSA_10device_ptrItEEEEPS6_SG_NS0_5tupleIJSF_S6_EEENSH_IJSG_SG_EEES6_PlJ5mod_3ItEEEE10hipError_tPvRmT3_T4_T5_T6_T7_T9_mT8_P12ihipStream_tbDpT10_ENKUlT_T0_E_clISt17integral_constantIbLb1EES15_IbLb0EEEEDaS11_S12_EUlS11_E_NS1_11comp_targetILNS1_3genE4ELNS1_11target_archE910ELNS1_3gpuE8ELNS1_3repE0EEENS1_30default_config_static_selectorELNS0_4arch9wavefront6targetE0EEEvT1_
; %bb.0:
	.section	.rodata,"a",@progbits
	.p2align	6, 0x0
	.amdhsa_kernel _ZN7rocprim17ROCPRIM_400000_NS6detail17trampoline_kernelINS0_14default_configENS1_25partition_config_selectorILNS1_17partition_subalgoE6EtNS0_10empty_typeEbEEZZNS1_14partition_implILS5_6ELb0ES3_mN6thrust23THRUST_200600_302600_NS6detail15normal_iteratorINSA_10device_ptrItEEEEPS6_SG_NS0_5tupleIJSF_S6_EEENSH_IJSG_SG_EEES6_PlJ5mod_3ItEEEE10hipError_tPvRmT3_T4_T5_T6_T7_T9_mT8_P12ihipStream_tbDpT10_ENKUlT_T0_E_clISt17integral_constantIbLb1EES15_IbLb0EEEEDaS11_S12_EUlS11_E_NS1_11comp_targetILNS1_3genE4ELNS1_11target_archE910ELNS1_3gpuE8ELNS1_3repE0EEENS1_30default_config_static_selectorELNS0_4arch9wavefront6targetE0EEEvT1_
		.amdhsa_group_segment_fixed_size 0
		.amdhsa_private_segment_fixed_size 0
		.amdhsa_kernarg_size 112
		.amdhsa_user_sgpr_count 15
		.amdhsa_user_sgpr_dispatch_ptr 0
		.amdhsa_user_sgpr_queue_ptr 0
		.amdhsa_user_sgpr_kernarg_segment_ptr 1
		.amdhsa_user_sgpr_dispatch_id 0
		.amdhsa_user_sgpr_private_segment_size 0
		.amdhsa_wavefront_size32 1
		.amdhsa_uses_dynamic_stack 0
		.amdhsa_enable_private_segment 0
		.amdhsa_system_sgpr_workgroup_id_x 1
		.amdhsa_system_sgpr_workgroup_id_y 0
		.amdhsa_system_sgpr_workgroup_id_z 0
		.amdhsa_system_sgpr_workgroup_info 0
		.amdhsa_system_vgpr_workitem_id 0
		.amdhsa_next_free_vgpr 1
		.amdhsa_next_free_sgpr 1
		.amdhsa_reserve_vcc 0
		.amdhsa_float_round_mode_32 0
		.amdhsa_float_round_mode_16_64 0
		.amdhsa_float_denorm_mode_32 3
		.amdhsa_float_denorm_mode_16_64 3
		.amdhsa_dx10_clamp 1
		.amdhsa_ieee_mode 1
		.amdhsa_fp16_overflow 0
		.amdhsa_workgroup_processor_mode 1
		.amdhsa_memory_ordered 1
		.amdhsa_forward_progress 0
		.amdhsa_shared_vgpr_count 0
		.amdhsa_exception_fp_ieee_invalid_op 0
		.amdhsa_exception_fp_denorm_src 0
		.amdhsa_exception_fp_ieee_div_zero 0
		.amdhsa_exception_fp_ieee_overflow 0
		.amdhsa_exception_fp_ieee_underflow 0
		.amdhsa_exception_fp_ieee_inexact 0
		.amdhsa_exception_int_div_zero 0
	.end_amdhsa_kernel
	.section	.text._ZN7rocprim17ROCPRIM_400000_NS6detail17trampoline_kernelINS0_14default_configENS1_25partition_config_selectorILNS1_17partition_subalgoE6EtNS0_10empty_typeEbEEZZNS1_14partition_implILS5_6ELb0ES3_mN6thrust23THRUST_200600_302600_NS6detail15normal_iteratorINSA_10device_ptrItEEEEPS6_SG_NS0_5tupleIJSF_S6_EEENSH_IJSG_SG_EEES6_PlJ5mod_3ItEEEE10hipError_tPvRmT3_T4_T5_T6_T7_T9_mT8_P12ihipStream_tbDpT10_ENKUlT_T0_E_clISt17integral_constantIbLb1EES15_IbLb0EEEEDaS11_S12_EUlS11_E_NS1_11comp_targetILNS1_3genE4ELNS1_11target_archE910ELNS1_3gpuE8ELNS1_3repE0EEENS1_30default_config_static_selectorELNS0_4arch9wavefront6targetE0EEEvT1_,"axG",@progbits,_ZN7rocprim17ROCPRIM_400000_NS6detail17trampoline_kernelINS0_14default_configENS1_25partition_config_selectorILNS1_17partition_subalgoE6EtNS0_10empty_typeEbEEZZNS1_14partition_implILS5_6ELb0ES3_mN6thrust23THRUST_200600_302600_NS6detail15normal_iteratorINSA_10device_ptrItEEEEPS6_SG_NS0_5tupleIJSF_S6_EEENSH_IJSG_SG_EEES6_PlJ5mod_3ItEEEE10hipError_tPvRmT3_T4_T5_T6_T7_T9_mT8_P12ihipStream_tbDpT10_ENKUlT_T0_E_clISt17integral_constantIbLb1EES15_IbLb0EEEEDaS11_S12_EUlS11_E_NS1_11comp_targetILNS1_3genE4ELNS1_11target_archE910ELNS1_3gpuE8ELNS1_3repE0EEENS1_30default_config_static_selectorELNS0_4arch9wavefront6targetE0EEEvT1_,comdat
.Lfunc_end538:
	.size	_ZN7rocprim17ROCPRIM_400000_NS6detail17trampoline_kernelINS0_14default_configENS1_25partition_config_selectorILNS1_17partition_subalgoE6EtNS0_10empty_typeEbEEZZNS1_14partition_implILS5_6ELb0ES3_mN6thrust23THRUST_200600_302600_NS6detail15normal_iteratorINSA_10device_ptrItEEEEPS6_SG_NS0_5tupleIJSF_S6_EEENSH_IJSG_SG_EEES6_PlJ5mod_3ItEEEE10hipError_tPvRmT3_T4_T5_T6_T7_T9_mT8_P12ihipStream_tbDpT10_ENKUlT_T0_E_clISt17integral_constantIbLb1EES15_IbLb0EEEEDaS11_S12_EUlS11_E_NS1_11comp_targetILNS1_3genE4ELNS1_11target_archE910ELNS1_3gpuE8ELNS1_3repE0EEENS1_30default_config_static_selectorELNS0_4arch9wavefront6targetE0EEEvT1_, .Lfunc_end538-_ZN7rocprim17ROCPRIM_400000_NS6detail17trampoline_kernelINS0_14default_configENS1_25partition_config_selectorILNS1_17partition_subalgoE6EtNS0_10empty_typeEbEEZZNS1_14partition_implILS5_6ELb0ES3_mN6thrust23THRUST_200600_302600_NS6detail15normal_iteratorINSA_10device_ptrItEEEEPS6_SG_NS0_5tupleIJSF_S6_EEENSH_IJSG_SG_EEES6_PlJ5mod_3ItEEEE10hipError_tPvRmT3_T4_T5_T6_T7_T9_mT8_P12ihipStream_tbDpT10_ENKUlT_T0_E_clISt17integral_constantIbLb1EES15_IbLb0EEEEDaS11_S12_EUlS11_E_NS1_11comp_targetILNS1_3genE4ELNS1_11target_archE910ELNS1_3gpuE8ELNS1_3repE0EEENS1_30default_config_static_selectorELNS0_4arch9wavefront6targetE0EEEvT1_
                                        ; -- End function
	.section	.AMDGPU.csdata,"",@progbits
; Kernel info:
; codeLenInByte = 0
; NumSgprs: 0
; NumVgprs: 0
; ScratchSize: 0
; MemoryBound: 0
; FloatMode: 240
; IeeeMode: 1
; LDSByteSize: 0 bytes/workgroup (compile time only)
; SGPRBlocks: 0
; VGPRBlocks: 0
; NumSGPRsForWavesPerEU: 1
; NumVGPRsForWavesPerEU: 1
; Occupancy: 16
; WaveLimiterHint : 0
; COMPUTE_PGM_RSRC2:SCRATCH_EN: 0
; COMPUTE_PGM_RSRC2:USER_SGPR: 15
; COMPUTE_PGM_RSRC2:TRAP_HANDLER: 0
; COMPUTE_PGM_RSRC2:TGID_X_EN: 1
; COMPUTE_PGM_RSRC2:TGID_Y_EN: 0
; COMPUTE_PGM_RSRC2:TGID_Z_EN: 0
; COMPUTE_PGM_RSRC2:TIDIG_COMP_CNT: 0
	.section	.text._ZN7rocprim17ROCPRIM_400000_NS6detail17trampoline_kernelINS0_14default_configENS1_25partition_config_selectorILNS1_17partition_subalgoE6EtNS0_10empty_typeEbEEZZNS1_14partition_implILS5_6ELb0ES3_mN6thrust23THRUST_200600_302600_NS6detail15normal_iteratorINSA_10device_ptrItEEEEPS6_SG_NS0_5tupleIJSF_S6_EEENSH_IJSG_SG_EEES6_PlJ5mod_3ItEEEE10hipError_tPvRmT3_T4_T5_T6_T7_T9_mT8_P12ihipStream_tbDpT10_ENKUlT_T0_E_clISt17integral_constantIbLb1EES15_IbLb0EEEEDaS11_S12_EUlS11_E_NS1_11comp_targetILNS1_3genE3ELNS1_11target_archE908ELNS1_3gpuE7ELNS1_3repE0EEENS1_30default_config_static_selectorELNS0_4arch9wavefront6targetE0EEEvT1_,"axG",@progbits,_ZN7rocprim17ROCPRIM_400000_NS6detail17trampoline_kernelINS0_14default_configENS1_25partition_config_selectorILNS1_17partition_subalgoE6EtNS0_10empty_typeEbEEZZNS1_14partition_implILS5_6ELb0ES3_mN6thrust23THRUST_200600_302600_NS6detail15normal_iteratorINSA_10device_ptrItEEEEPS6_SG_NS0_5tupleIJSF_S6_EEENSH_IJSG_SG_EEES6_PlJ5mod_3ItEEEE10hipError_tPvRmT3_T4_T5_T6_T7_T9_mT8_P12ihipStream_tbDpT10_ENKUlT_T0_E_clISt17integral_constantIbLb1EES15_IbLb0EEEEDaS11_S12_EUlS11_E_NS1_11comp_targetILNS1_3genE3ELNS1_11target_archE908ELNS1_3gpuE7ELNS1_3repE0EEENS1_30default_config_static_selectorELNS0_4arch9wavefront6targetE0EEEvT1_,comdat
	.protected	_ZN7rocprim17ROCPRIM_400000_NS6detail17trampoline_kernelINS0_14default_configENS1_25partition_config_selectorILNS1_17partition_subalgoE6EtNS0_10empty_typeEbEEZZNS1_14partition_implILS5_6ELb0ES3_mN6thrust23THRUST_200600_302600_NS6detail15normal_iteratorINSA_10device_ptrItEEEEPS6_SG_NS0_5tupleIJSF_S6_EEENSH_IJSG_SG_EEES6_PlJ5mod_3ItEEEE10hipError_tPvRmT3_T4_T5_T6_T7_T9_mT8_P12ihipStream_tbDpT10_ENKUlT_T0_E_clISt17integral_constantIbLb1EES15_IbLb0EEEEDaS11_S12_EUlS11_E_NS1_11comp_targetILNS1_3genE3ELNS1_11target_archE908ELNS1_3gpuE7ELNS1_3repE0EEENS1_30default_config_static_selectorELNS0_4arch9wavefront6targetE0EEEvT1_ ; -- Begin function _ZN7rocprim17ROCPRIM_400000_NS6detail17trampoline_kernelINS0_14default_configENS1_25partition_config_selectorILNS1_17partition_subalgoE6EtNS0_10empty_typeEbEEZZNS1_14partition_implILS5_6ELb0ES3_mN6thrust23THRUST_200600_302600_NS6detail15normal_iteratorINSA_10device_ptrItEEEEPS6_SG_NS0_5tupleIJSF_S6_EEENSH_IJSG_SG_EEES6_PlJ5mod_3ItEEEE10hipError_tPvRmT3_T4_T5_T6_T7_T9_mT8_P12ihipStream_tbDpT10_ENKUlT_T0_E_clISt17integral_constantIbLb1EES15_IbLb0EEEEDaS11_S12_EUlS11_E_NS1_11comp_targetILNS1_3genE3ELNS1_11target_archE908ELNS1_3gpuE7ELNS1_3repE0EEENS1_30default_config_static_selectorELNS0_4arch9wavefront6targetE0EEEvT1_
	.globl	_ZN7rocprim17ROCPRIM_400000_NS6detail17trampoline_kernelINS0_14default_configENS1_25partition_config_selectorILNS1_17partition_subalgoE6EtNS0_10empty_typeEbEEZZNS1_14partition_implILS5_6ELb0ES3_mN6thrust23THRUST_200600_302600_NS6detail15normal_iteratorINSA_10device_ptrItEEEEPS6_SG_NS0_5tupleIJSF_S6_EEENSH_IJSG_SG_EEES6_PlJ5mod_3ItEEEE10hipError_tPvRmT3_T4_T5_T6_T7_T9_mT8_P12ihipStream_tbDpT10_ENKUlT_T0_E_clISt17integral_constantIbLb1EES15_IbLb0EEEEDaS11_S12_EUlS11_E_NS1_11comp_targetILNS1_3genE3ELNS1_11target_archE908ELNS1_3gpuE7ELNS1_3repE0EEENS1_30default_config_static_selectorELNS0_4arch9wavefront6targetE0EEEvT1_
	.p2align	8
	.type	_ZN7rocprim17ROCPRIM_400000_NS6detail17trampoline_kernelINS0_14default_configENS1_25partition_config_selectorILNS1_17partition_subalgoE6EtNS0_10empty_typeEbEEZZNS1_14partition_implILS5_6ELb0ES3_mN6thrust23THRUST_200600_302600_NS6detail15normal_iteratorINSA_10device_ptrItEEEEPS6_SG_NS0_5tupleIJSF_S6_EEENSH_IJSG_SG_EEES6_PlJ5mod_3ItEEEE10hipError_tPvRmT3_T4_T5_T6_T7_T9_mT8_P12ihipStream_tbDpT10_ENKUlT_T0_E_clISt17integral_constantIbLb1EES15_IbLb0EEEEDaS11_S12_EUlS11_E_NS1_11comp_targetILNS1_3genE3ELNS1_11target_archE908ELNS1_3gpuE7ELNS1_3repE0EEENS1_30default_config_static_selectorELNS0_4arch9wavefront6targetE0EEEvT1_,@function
_ZN7rocprim17ROCPRIM_400000_NS6detail17trampoline_kernelINS0_14default_configENS1_25partition_config_selectorILNS1_17partition_subalgoE6EtNS0_10empty_typeEbEEZZNS1_14partition_implILS5_6ELb0ES3_mN6thrust23THRUST_200600_302600_NS6detail15normal_iteratorINSA_10device_ptrItEEEEPS6_SG_NS0_5tupleIJSF_S6_EEENSH_IJSG_SG_EEES6_PlJ5mod_3ItEEEE10hipError_tPvRmT3_T4_T5_T6_T7_T9_mT8_P12ihipStream_tbDpT10_ENKUlT_T0_E_clISt17integral_constantIbLb1EES15_IbLb0EEEEDaS11_S12_EUlS11_E_NS1_11comp_targetILNS1_3genE3ELNS1_11target_archE908ELNS1_3gpuE7ELNS1_3repE0EEENS1_30default_config_static_selectorELNS0_4arch9wavefront6targetE0EEEvT1_: ; @_ZN7rocprim17ROCPRIM_400000_NS6detail17trampoline_kernelINS0_14default_configENS1_25partition_config_selectorILNS1_17partition_subalgoE6EtNS0_10empty_typeEbEEZZNS1_14partition_implILS5_6ELb0ES3_mN6thrust23THRUST_200600_302600_NS6detail15normal_iteratorINSA_10device_ptrItEEEEPS6_SG_NS0_5tupleIJSF_S6_EEENSH_IJSG_SG_EEES6_PlJ5mod_3ItEEEE10hipError_tPvRmT3_T4_T5_T6_T7_T9_mT8_P12ihipStream_tbDpT10_ENKUlT_T0_E_clISt17integral_constantIbLb1EES15_IbLb0EEEEDaS11_S12_EUlS11_E_NS1_11comp_targetILNS1_3genE3ELNS1_11target_archE908ELNS1_3gpuE7ELNS1_3repE0EEENS1_30default_config_static_selectorELNS0_4arch9wavefront6targetE0EEEvT1_
; %bb.0:
	.section	.rodata,"a",@progbits
	.p2align	6, 0x0
	.amdhsa_kernel _ZN7rocprim17ROCPRIM_400000_NS6detail17trampoline_kernelINS0_14default_configENS1_25partition_config_selectorILNS1_17partition_subalgoE6EtNS0_10empty_typeEbEEZZNS1_14partition_implILS5_6ELb0ES3_mN6thrust23THRUST_200600_302600_NS6detail15normal_iteratorINSA_10device_ptrItEEEEPS6_SG_NS0_5tupleIJSF_S6_EEENSH_IJSG_SG_EEES6_PlJ5mod_3ItEEEE10hipError_tPvRmT3_T4_T5_T6_T7_T9_mT8_P12ihipStream_tbDpT10_ENKUlT_T0_E_clISt17integral_constantIbLb1EES15_IbLb0EEEEDaS11_S12_EUlS11_E_NS1_11comp_targetILNS1_3genE3ELNS1_11target_archE908ELNS1_3gpuE7ELNS1_3repE0EEENS1_30default_config_static_selectorELNS0_4arch9wavefront6targetE0EEEvT1_
		.amdhsa_group_segment_fixed_size 0
		.amdhsa_private_segment_fixed_size 0
		.amdhsa_kernarg_size 112
		.amdhsa_user_sgpr_count 15
		.amdhsa_user_sgpr_dispatch_ptr 0
		.amdhsa_user_sgpr_queue_ptr 0
		.amdhsa_user_sgpr_kernarg_segment_ptr 1
		.amdhsa_user_sgpr_dispatch_id 0
		.amdhsa_user_sgpr_private_segment_size 0
		.amdhsa_wavefront_size32 1
		.amdhsa_uses_dynamic_stack 0
		.amdhsa_enable_private_segment 0
		.amdhsa_system_sgpr_workgroup_id_x 1
		.amdhsa_system_sgpr_workgroup_id_y 0
		.amdhsa_system_sgpr_workgroup_id_z 0
		.amdhsa_system_sgpr_workgroup_info 0
		.amdhsa_system_vgpr_workitem_id 0
		.amdhsa_next_free_vgpr 1
		.amdhsa_next_free_sgpr 1
		.amdhsa_reserve_vcc 0
		.amdhsa_float_round_mode_32 0
		.amdhsa_float_round_mode_16_64 0
		.amdhsa_float_denorm_mode_32 3
		.amdhsa_float_denorm_mode_16_64 3
		.amdhsa_dx10_clamp 1
		.amdhsa_ieee_mode 1
		.amdhsa_fp16_overflow 0
		.amdhsa_workgroup_processor_mode 1
		.amdhsa_memory_ordered 1
		.amdhsa_forward_progress 0
		.amdhsa_shared_vgpr_count 0
		.amdhsa_exception_fp_ieee_invalid_op 0
		.amdhsa_exception_fp_denorm_src 0
		.amdhsa_exception_fp_ieee_div_zero 0
		.amdhsa_exception_fp_ieee_overflow 0
		.amdhsa_exception_fp_ieee_underflow 0
		.amdhsa_exception_fp_ieee_inexact 0
		.amdhsa_exception_int_div_zero 0
	.end_amdhsa_kernel
	.section	.text._ZN7rocprim17ROCPRIM_400000_NS6detail17trampoline_kernelINS0_14default_configENS1_25partition_config_selectorILNS1_17partition_subalgoE6EtNS0_10empty_typeEbEEZZNS1_14partition_implILS5_6ELb0ES3_mN6thrust23THRUST_200600_302600_NS6detail15normal_iteratorINSA_10device_ptrItEEEEPS6_SG_NS0_5tupleIJSF_S6_EEENSH_IJSG_SG_EEES6_PlJ5mod_3ItEEEE10hipError_tPvRmT3_T4_T5_T6_T7_T9_mT8_P12ihipStream_tbDpT10_ENKUlT_T0_E_clISt17integral_constantIbLb1EES15_IbLb0EEEEDaS11_S12_EUlS11_E_NS1_11comp_targetILNS1_3genE3ELNS1_11target_archE908ELNS1_3gpuE7ELNS1_3repE0EEENS1_30default_config_static_selectorELNS0_4arch9wavefront6targetE0EEEvT1_,"axG",@progbits,_ZN7rocprim17ROCPRIM_400000_NS6detail17trampoline_kernelINS0_14default_configENS1_25partition_config_selectorILNS1_17partition_subalgoE6EtNS0_10empty_typeEbEEZZNS1_14partition_implILS5_6ELb0ES3_mN6thrust23THRUST_200600_302600_NS6detail15normal_iteratorINSA_10device_ptrItEEEEPS6_SG_NS0_5tupleIJSF_S6_EEENSH_IJSG_SG_EEES6_PlJ5mod_3ItEEEE10hipError_tPvRmT3_T4_T5_T6_T7_T9_mT8_P12ihipStream_tbDpT10_ENKUlT_T0_E_clISt17integral_constantIbLb1EES15_IbLb0EEEEDaS11_S12_EUlS11_E_NS1_11comp_targetILNS1_3genE3ELNS1_11target_archE908ELNS1_3gpuE7ELNS1_3repE0EEENS1_30default_config_static_selectorELNS0_4arch9wavefront6targetE0EEEvT1_,comdat
.Lfunc_end539:
	.size	_ZN7rocprim17ROCPRIM_400000_NS6detail17trampoline_kernelINS0_14default_configENS1_25partition_config_selectorILNS1_17partition_subalgoE6EtNS0_10empty_typeEbEEZZNS1_14partition_implILS5_6ELb0ES3_mN6thrust23THRUST_200600_302600_NS6detail15normal_iteratorINSA_10device_ptrItEEEEPS6_SG_NS0_5tupleIJSF_S6_EEENSH_IJSG_SG_EEES6_PlJ5mod_3ItEEEE10hipError_tPvRmT3_T4_T5_T6_T7_T9_mT8_P12ihipStream_tbDpT10_ENKUlT_T0_E_clISt17integral_constantIbLb1EES15_IbLb0EEEEDaS11_S12_EUlS11_E_NS1_11comp_targetILNS1_3genE3ELNS1_11target_archE908ELNS1_3gpuE7ELNS1_3repE0EEENS1_30default_config_static_selectorELNS0_4arch9wavefront6targetE0EEEvT1_, .Lfunc_end539-_ZN7rocprim17ROCPRIM_400000_NS6detail17trampoline_kernelINS0_14default_configENS1_25partition_config_selectorILNS1_17partition_subalgoE6EtNS0_10empty_typeEbEEZZNS1_14partition_implILS5_6ELb0ES3_mN6thrust23THRUST_200600_302600_NS6detail15normal_iteratorINSA_10device_ptrItEEEEPS6_SG_NS0_5tupleIJSF_S6_EEENSH_IJSG_SG_EEES6_PlJ5mod_3ItEEEE10hipError_tPvRmT3_T4_T5_T6_T7_T9_mT8_P12ihipStream_tbDpT10_ENKUlT_T0_E_clISt17integral_constantIbLb1EES15_IbLb0EEEEDaS11_S12_EUlS11_E_NS1_11comp_targetILNS1_3genE3ELNS1_11target_archE908ELNS1_3gpuE7ELNS1_3repE0EEENS1_30default_config_static_selectorELNS0_4arch9wavefront6targetE0EEEvT1_
                                        ; -- End function
	.section	.AMDGPU.csdata,"",@progbits
; Kernel info:
; codeLenInByte = 0
; NumSgprs: 0
; NumVgprs: 0
; ScratchSize: 0
; MemoryBound: 0
; FloatMode: 240
; IeeeMode: 1
; LDSByteSize: 0 bytes/workgroup (compile time only)
; SGPRBlocks: 0
; VGPRBlocks: 0
; NumSGPRsForWavesPerEU: 1
; NumVGPRsForWavesPerEU: 1
; Occupancy: 16
; WaveLimiterHint : 0
; COMPUTE_PGM_RSRC2:SCRATCH_EN: 0
; COMPUTE_PGM_RSRC2:USER_SGPR: 15
; COMPUTE_PGM_RSRC2:TRAP_HANDLER: 0
; COMPUTE_PGM_RSRC2:TGID_X_EN: 1
; COMPUTE_PGM_RSRC2:TGID_Y_EN: 0
; COMPUTE_PGM_RSRC2:TGID_Z_EN: 0
; COMPUTE_PGM_RSRC2:TIDIG_COMP_CNT: 0
	.section	.text._ZN7rocprim17ROCPRIM_400000_NS6detail17trampoline_kernelINS0_14default_configENS1_25partition_config_selectorILNS1_17partition_subalgoE6EtNS0_10empty_typeEbEEZZNS1_14partition_implILS5_6ELb0ES3_mN6thrust23THRUST_200600_302600_NS6detail15normal_iteratorINSA_10device_ptrItEEEEPS6_SG_NS0_5tupleIJSF_S6_EEENSH_IJSG_SG_EEES6_PlJ5mod_3ItEEEE10hipError_tPvRmT3_T4_T5_T6_T7_T9_mT8_P12ihipStream_tbDpT10_ENKUlT_T0_E_clISt17integral_constantIbLb1EES15_IbLb0EEEEDaS11_S12_EUlS11_E_NS1_11comp_targetILNS1_3genE2ELNS1_11target_archE906ELNS1_3gpuE6ELNS1_3repE0EEENS1_30default_config_static_selectorELNS0_4arch9wavefront6targetE0EEEvT1_,"axG",@progbits,_ZN7rocprim17ROCPRIM_400000_NS6detail17trampoline_kernelINS0_14default_configENS1_25partition_config_selectorILNS1_17partition_subalgoE6EtNS0_10empty_typeEbEEZZNS1_14partition_implILS5_6ELb0ES3_mN6thrust23THRUST_200600_302600_NS6detail15normal_iteratorINSA_10device_ptrItEEEEPS6_SG_NS0_5tupleIJSF_S6_EEENSH_IJSG_SG_EEES6_PlJ5mod_3ItEEEE10hipError_tPvRmT3_T4_T5_T6_T7_T9_mT8_P12ihipStream_tbDpT10_ENKUlT_T0_E_clISt17integral_constantIbLb1EES15_IbLb0EEEEDaS11_S12_EUlS11_E_NS1_11comp_targetILNS1_3genE2ELNS1_11target_archE906ELNS1_3gpuE6ELNS1_3repE0EEENS1_30default_config_static_selectorELNS0_4arch9wavefront6targetE0EEEvT1_,comdat
	.protected	_ZN7rocprim17ROCPRIM_400000_NS6detail17trampoline_kernelINS0_14default_configENS1_25partition_config_selectorILNS1_17partition_subalgoE6EtNS0_10empty_typeEbEEZZNS1_14partition_implILS5_6ELb0ES3_mN6thrust23THRUST_200600_302600_NS6detail15normal_iteratorINSA_10device_ptrItEEEEPS6_SG_NS0_5tupleIJSF_S6_EEENSH_IJSG_SG_EEES6_PlJ5mod_3ItEEEE10hipError_tPvRmT3_T4_T5_T6_T7_T9_mT8_P12ihipStream_tbDpT10_ENKUlT_T0_E_clISt17integral_constantIbLb1EES15_IbLb0EEEEDaS11_S12_EUlS11_E_NS1_11comp_targetILNS1_3genE2ELNS1_11target_archE906ELNS1_3gpuE6ELNS1_3repE0EEENS1_30default_config_static_selectorELNS0_4arch9wavefront6targetE0EEEvT1_ ; -- Begin function _ZN7rocprim17ROCPRIM_400000_NS6detail17trampoline_kernelINS0_14default_configENS1_25partition_config_selectorILNS1_17partition_subalgoE6EtNS0_10empty_typeEbEEZZNS1_14partition_implILS5_6ELb0ES3_mN6thrust23THRUST_200600_302600_NS6detail15normal_iteratorINSA_10device_ptrItEEEEPS6_SG_NS0_5tupleIJSF_S6_EEENSH_IJSG_SG_EEES6_PlJ5mod_3ItEEEE10hipError_tPvRmT3_T4_T5_T6_T7_T9_mT8_P12ihipStream_tbDpT10_ENKUlT_T0_E_clISt17integral_constantIbLb1EES15_IbLb0EEEEDaS11_S12_EUlS11_E_NS1_11comp_targetILNS1_3genE2ELNS1_11target_archE906ELNS1_3gpuE6ELNS1_3repE0EEENS1_30default_config_static_selectorELNS0_4arch9wavefront6targetE0EEEvT1_
	.globl	_ZN7rocprim17ROCPRIM_400000_NS6detail17trampoline_kernelINS0_14default_configENS1_25partition_config_selectorILNS1_17partition_subalgoE6EtNS0_10empty_typeEbEEZZNS1_14partition_implILS5_6ELb0ES3_mN6thrust23THRUST_200600_302600_NS6detail15normal_iteratorINSA_10device_ptrItEEEEPS6_SG_NS0_5tupleIJSF_S6_EEENSH_IJSG_SG_EEES6_PlJ5mod_3ItEEEE10hipError_tPvRmT3_T4_T5_T6_T7_T9_mT8_P12ihipStream_tbDpT10_ENKUlT_T0_E_clISt17integral_constantIbLb1EES15_IbLb0EEEEDaS11_S12_EUlS11_E_NS1_11comp_targetILNS1_3genE2ELNS1_11target_archE906ELNS1_3gpuE6ELNS1_3repE0EEENS1_30default_config_static_selectorELNS0_4arch9wavefront6targetE0EEEvT1_
	.p2align	8
	.type	_ZN7rocprim17ROCPRIM_400000_NS6detail17trampoline_kernelINS0_14default_configENS1_25partition_config_selectorILNS1_17partition_subalgoE6EtNS0_10empty_typeEbEEZZNS1_14partition_implILS5_6ELb0ES3_mN6thrust23THRUST_200600_302600_NS6detail15normal_iteratorINSA_10device_ptrItEEEEPS6_SG_NS0_5tupleIJSF_S6_EEENSH_IJSG_SG_EEES6_PlJ5mod_3ItEEEE10hipError_tPvRmT3_T4_T5_T6_T7_T9_mT8_P12ihipStream_tbDpT10_ENKUlT_T0_E_clISt17integral_constantIbLb1EES15_IbLb0EEEEDaS11_S12_EUlS11_E_NS1_11comp_targetILNS1_3genE2ELNS1_11target_archE906ELNS1_3gpuE6ELNS1_3repE0EEENS1_30default_config_static_selectorELNS0_4arch9wavefront6targetE0EEEvT1_,@function
_ZN7rocprim17ROCPRIM_400000_NS6detail17trampoline_kernelINS0_14default_configENS1_25partition_config_selectorILNS1_17partition_subalgoE6EtNS0_10empty_typeEbEEZZNS1_14partition_implILS5_6ELb0ES3_mN6thrust23THRUST_200600_302600_NS6detail15normal_iteratorINSA_10device_ptrItEEEEPS6_SG_NS0_5tupleIJSF_S6_EEENSH_IJSG_SG_EEES6_PlJ5mod_3ItEEEE10hipError_tPvRmT3_T4_T5_T6_T7_T9_mT8_P12ihipStream_tbDpT10_ENKUlT_T0_E_clISt17integral_constantIbLb1EES15_IbLb0EEEEDaS11_S12_EUlS11_E_NS1_11comp_targetILNS1_3genE2ELNS1_11target_archE906ELNS1_3gpuE6ELNS1_3repE0EEENS1_30default_config_static_selectorELNS0_4arch9wavefront6targetE0EEEvT1_: ; @_ZN7rocprim17ROCPRIM_400000_NS6detail17trampoline_kernelINS0_14default_configENS1_25partition_config_selectorILNS1_17partition_subalgoE6EtNS0_10empty_typeEbEEZZNS1_14partition_implILS5_6ELb0ES3_mN6thrust23THRUST_200600_302600_NS6detail15normal_iteratorINSA_10device_ptrItEEEEPS6_SG_NS0_5tupleIJSF_S6_EEENSH_IJSG_SG_EEES6_PlJ5mod_3ItEEEE10hipError_tPvRmT3_T4_T5_T6_T7_T9_mT8_P12ihipStream_tbDpT10_ENKUlT_T0_E_clISt17integral_constantIbLb1EES15_IbLb0EEEEDaS11_S12_EUlS11_E_NS1_11comp_targetILNS1_3genE2ELNS1_11target_archE906ELNS1_3gpuE6ELNS1_3repE0EEENS1_30default_config_static_selectorELNS0_4arch9wavefront6targetE0EEEvT1_
; %bb.0:
	.section	.rodata,"a",@progbits
	.p2align	6, 0x0
	.amdhsa_kernel _ZN7rocprim17ROCPRIM_400000_NS6detail17trampoline_kernelINS0_14default_configENS1_25partition_config_selectorILNS1_17partition_subalgoE6EtNS0_10empty_typeEbEEZZNS1_14partition_implILS5_6ELb0ES3_mN6thrust23THRUST_200600_302600_NS6detail15normal_iteratorINSA_10device_ptrItEEEEPS6_SG_NS0_5tupleIJSF_S6_EEENSH_IJSG_SG_EEES6_PlJ5mod_3ItEEEE10hipError_tPvRmT3_T4_T5_T6_T7_T9_mT8_P12ihipStream_tbDpT10_ENKUlT_T0_E_clISt17integral_constantIbLb1EES15_IbLb0EEEEDaS11_S12_EUlS11_E_NS1_11comp_targetILNS1_3genE2ELNS1_11target_archE906ELNS1_3gpuE6ELNS1_3repE0EEENS1_30default_config_static_selectorELNS0_4arch9wavefront6targetE0EEEvT1_
		.amdhsa_group_segment_fixed_size 0
		.amdhsa_private_segment_fixed_size 0
		.amdhsa_kernarg_size 112
		.amdhsa_user_sgpr_count 15
		.amdhsa_user_sgpr_dispatch_ptr 0
		.amdhsa_user_sgpr_queue_ptr 0
		.amdhsa_user_sgpr_kernarg_segment_ptr 1
		.amdhsa_user_sgpr_dispatch_id 0
		.amdhsa_user_sgpr_private_segment_size 0
		.amdhsa_wavefront_size32 1
		.amdhsa_uses_dynamic_stack 0
		.amdhsa_enable_private_segment 0
		.amdhsa_system_sgpr_workgroup_id_x 1
		.amdhsa_system_sgpr_workgroup_id_y 0
		.amdhsa_system_sgpr_workgroup_id_z 0
		.amdhsa_system_sgpr_workgroup_info 0
		.amdhsa_system_vgpr_workitem_id 0
		.amdhsa_next_free_vgpr 1
		.amdhsa_next_free_sgpr 1
		.amdhsa_reserve_vcc 0
		.amdhsa_float_round_mode_32 0
		.amdhsa_float_round_mode_16_64 0
		.amdhsa_float_denorm_mode_32 3
		.amdhsa_float_denorm_mode_16_64 3
		.amdhsa_dx10_clamp 1
		.amdhsa_ieee_mode 1
		.amdhsa_fp16_overflow 0
		.amdhsa_workgroup_processor_mode 1
		.amdhsa_memory_ordered 1
		.amdhsa_forward_progress 0
		.amdhsa_shared_vgpr_count 0
		.amdhsa_exception_fp_ieee_invalid_op 0
		.amdhsa_exception_fp_denorm_src 0
		.amdhsa_exception_fp_ieee_div_zero 0
		.amdhsa_exception_fp_ieee_overflow 0
		.amdhsa_exception_fp_ieee_underflow 0
		.amdhsa_exception_fp_ieee_inexact 0
		.amdhsa_exception_int_div_zero 0
	.end_amdhsa_kernel
	.section	.text._ZN7rocprim17ROCPRIM_400000_NS6detail17trampoline_kernelINS0_14default_configENS1_25partition_config_selectorILNS1_17partition_subalgoE6EtNS0_10empty_typeEbEEZZNS1_14partition_implILS5_6ELb0ES3_mN6thrust23THRUST_200600_302600_NS6detail15normal_iteratorINSA_10device_ptrItEEEEPS6_SG_NS0_5tupleIJSF_S6_EEENSH_IJSG_SG_EEES6_PlJ5mod_3ItEEEE10hipError_tPvRmT3_T4_T5_T6_T7_T9_mT8_P12ihipStream_tbDpT10_ENKUlT_T0_E_clISt17integral_constantIbLb1EES15_IbLb0EEEEDaS11_S12_EUlS11_E_NS1_11comp_targetILNS1_3genE2ELNS1_11target_archE906ELNS1_3gpuE6ELNS1_3repE0EEENS1_30default_config_static_selectorELNS0_4arch9wavefront6targetE0EEEvT1_,"axG",@progbits,_ZN7rocprim17ROCPRIM_400000_NS6detail17trampoline_kernelINS0_14default_configENS1_25partition_config_selectorILNS1_17partition_subalgoE6EtNS0_10empty_typeEbEEZZNS1_14partition_implILS5_6ELb0ES3_mN6thrust23THRUST_200600_302600_NS6detail15normal_iteratorINSA_10device_ptrItEEEEPS6_SG_NS0_5tupleIJSF_S6_EEENSH_IJSG_SG_EEES6_PlJ5mod_3ItEEEE10hipError_tPvRmT3_T4_T5_T6_T7_T9_mT8_P12ihipStream_tbDpT10_ENKUlT_T0_E_clISt17integral_constantIbLb1EES15_IbLb0EEEEDaS11_S12_EUlS11_E_NS1_11comp_targetILNS1_3genE2ELNS1_11target_archE906ELNS1_3gpuE6ELNS1_3repE0EEENS1_30default_config_static_selectorELNS0_4arch9wavefront6targetE0EEEvT1_,comdat
.Lfunc_end540:
	.size	_ZN7rocprim17ROCPRIM_400000_NS6detail17trampoline_kernelINS0_14default_configENS1_25partition_config_selectorILNS1_17partition_subalgoE6EtNS0_10empty_typeEbEEZZNS1_14partition_implILS5_6ELb0ES3_mN6thrust23THRUST_200600_302600_NS6detail15normal_iteratorINSA_10device_ptrItEEEEPS6_SG_NS0_5tupleIJSF_S6_EEENSH_IJSG_SG_EEES6_PlJ5mod_3ItEEEE10hipError_tPvRmT3_T4_T5_T6_T7_T9_mT8_P12ihipStream_tbDpT10_ENKUlT_T0_E_clISt17integral_constantIbLb1EES15_IbLb0EEEEDaS11_S12_EUlS11_E_NS1_11comp_targetILNS1_3genE2ELNS1_11target_archE906ELNS1_3gpuE6ELNS1_3repE0EEENS1_30default_config_static_selectorELNS0_4arch9wavefront6targetE0EEEvT1_, .Lfunc_end540-_ZN7rocprim17ROCPRIM_400000_NS6detail17trampoline_kernelINS0_14default_configENS1_25partition_config_selectorILNS1_17partition_subalgoE6EtNS0_10empty_typeEbEEZZNS1_14partition_implILS5_6ELb0ES3_mN6thrust23THRUST_200600_302600_NS6detail15normal_iteratorINSA_10device_ptrItEEEEPS6_SG_NS0_5tupleIJSF_S6_EEENSH_IJSG_SG_EEES6_PlJ5mod_3ItEEEE10hipError_tPvRmT3_T4_T5_T6_T7_T9_mT8_P12ihipStream_tbDpT10_ENKUlT_T0_E_clISt17integral_constantIbLb1EES15_IbLb0EEEEDaS11_S12_EUlS11_E_NS1_11comp_targetILNS1_3genE2ELNS1_11target_archE906ELNS1_3gpuE6ELNS1_3repE0EEENS1_30default_config_static_selectorELNS0_4arch9wavefront6targetE0EEEvT1_
                                        ; -- End function
	.section	.AMDGPU.csdata,"",@progbits
; Kernel info:
; codeLenInByte = 0
; NumSgprs: 0
; NumVgprs: 0
; ScratchSize: 0
; MemoryBound: 0
; FloatMode: 240
; IeeeMode: 1
; LDSByteSize: 0 bytes/workgroup (compile time only)
; SGPRBlocks: 0
; VGPRBlocks: 0
; NumSGPRsForWavesPerEU: 1
; NumVGPRsForWavesPerEU: 1
; Occupancy: 16
; WaveLimiterHint : 0
; COMPUTE_PGM_RSRC2:SCRATCH_EN: 0
; COMPUTE_PGM_RSRC2:USER_SGPR: 15
; COMPUTE_PGM_RSRC2:TRAP_HANDLER: 0
; COMPUTE_PGM_RSRC2:TGID_X_EN: 1
; COMPUTE_PGM_RSRC2:TGID_Y_EN: 0
; COMPUTE_PGM_RSRC2:TGID_Z_EN: 0
; COMPUTE_PGM_RSRC2:TIDIG_COMP_CNT: 0
	.section	.text._ZN7rocprim17ROCPRIM_400000_NS6detail17trampoline_kernelINS0_14default_configENS1_25partition_config_selectorILNS1_17partition_subalgoE6EtNS0_10empty_typeEbEEZZNS1_14partition_implILS5_6ELb0ES3_mN6thrust23THRUST_200600_302600_NS6detail15normal_iteratorINSA_10device_ptrItEEEEPS6_SG_NS0_5tupleIJSF_S6_EEENSH_IJSG_SG_EEES6_PlJ5mod_3ItEEEE10hipError_tPvRmT3_T4_T5_T6_T7_T9_mT8_P12ihipStream_tbDpT10_ENKUlT_T0_E_clISt17integral_constantIbLb1EES15_IbLb0EEEEDaS11_S12_EUlS11_E_NS1_11comp_targetILNS1_3genE10ELNS1_11target_archE1200ELNS1_3gpuE4ELNS1_3repE0EEENS1_30default_config_static_selectorELNS0_4arch9wavefront6targetE0EEEvT1_,"axG",@progbits,_ZN7rocprim17ROCPRIM_400000_NS6detail17trampoline_kernelINS0_14default_configENS1_25partition_config_selectorILNS1_17partition_subalgoE6EtNS0_10empty_typeEbEEZZNS1_14partition_implILS5_6ELb0ES3_mN6thrust23THRUST_200600_302600_NS6detail15normal_iteratorINSA_10device_ptrItEEEEPS6_SG_NS0_5tupleIJSF_S6_EEENSH_IJSG_SG_EEES6_PlJ5mod_3ItEEEE10hipError_tPvRmT3_T4_T5_T6_T7_T9_mT8_P12ihipStream_tbDpT10_ENKUlT_T0_E_clISt17integral_constantIbLb1EES15_IbLb0EEEEDaS11_S12_EUlS11_E_NS1_11comp_targetILNS1_3genE10ELNS1_11target_archE1200ELNS1_3gpuE4ELNS1_3repE0EEENS1_30default_config_static_selectorELNS0_4arch9wavefront6targetE0EEEvT1_,comdat
	.protected	_ZN7rocprim17ROCPRIM_400000_NS6detail17trampoline_kernelINS0_14default_configENS1_25partition_config_selectorILNS1_17partition_subalgoE6EtNS0_10empty_typeEbEEZZNS1_14partition_implILS5_6ELb0ES3_mN6thrust23THRUST_200600_302600_NS6detail15normal_iteratorINSA_10device_ptrItEEEEPS6_SG_NS0_5tupleIJSF_S6_EEENSH_IJSG_SG_EEES6_PlJ5mod_3ItEEEE10hipError_tPvRmT3_T4_T5_T6_T7_T9_mT8_P12ihipStream_tbDpT10_ENKUlT_T0_E_clISt17integral_constantIbLb1EES15_IbLb0EEEEDaS11_S12_EUlS11_E_NS1_11comp_targetILNS1_3genE10ELNS1_11target_archE1200ELNS1_3gpuE4ELNS1_3repE0EEENS1_30default_config_static_selectorELNS0_4arch9wavefront6targetE0EEEvT1_ ; -- Begin function _ZN7rocprim17ROCPRIM_400000_NS6detail17trampoline_kernelINS0_14default_configENS1_25partition_config_selectorILNS1_17partition_subalgoE6EtNS0_10empty_typeEbEEZZNS1_14partition_implILS5_6ELb0ES3_mN6thrust23THRUST_200600_302600_NS6detail15normal_iteratorINSA_10device_ptrItEEEEPS6_SG_NS0_5tupleIJSF_S6_EEENSH_IJSG_SG_EEES6_PlJ5mod_3ItEEEE10hipError_tPvRmT3_T4_T5_T6_T7_T9_mT8_P12ihipStream_tbDpT10_ENKUlT_T0_E_clISt17integral_constantIbLb1EES15_IbLb0EEEEDaS11_S12_EUlS11_E_NS1_11comp_targetILNS1_3genE10ELNS1_11target_archE1200ELNS1_3gpuE4ELNS1_3repE0EEENS1_30default_config_static_selectorELNS0_4arch9wavefront6targetE0EEEvT1_
	.globl	_ZN7rocprim17ROCPRIM_400000_NS6detail17trampoline_kernelINS0_14default_configENS1_25partition_config_selectorILNS1_17partition_subalgoE6EtNS0_10empty_typeEbEEZZNS1_14partition_implILS5_6ELb0ES3_mN6thrust23THRUST_200600_302600_NS6detail15normal_iteratorINSA_10device_ptrItEEEEPS6_SG_NS0_5tupleIJSF_S6_EEENSH_IJSG_SG_EEES6_PlJ5mod_3ItEEEE10hipError_tPvRmT3_T4_T5_T6_T7_T9_mT8_P12ihipStream_tbDpT10_ENKUlT_T0_E_clISt17integral_constantIbLb1EES15_IbLb0EEEEDaS11_S12_EUlS11_E_NS1_11comp_targetILNS1_3genE10ELNS1_11target_archE1200ELNS1_3gpuE4ELNS1_3repE0EEENS1_30default_config_static_selectorELNS0_4arch9wavefront6targetE0EEEvT1_
	.p2align	8
	.type	_ZN7rocprim17ROCPRIM_400000_NS6detail17trampoline_kernelINS0_14default_configENS1_25partition_config_selectorILNS1_17partition_subalgoE6EtNS0_10empty_typeEbEEZZNS1_14partition_implILS5_6ELb0ES3_mN6thrust23THRUST_200600_302600_NS6detail15normal_iteratorINSA_10device_ptrItEEEEPS6_SG_NS0_5tupleIJSF_S6_EEENSH_IJSG_SG_EEES6_PlJ5mod_3ItEEEE10hipError_tPvRmT3_T4_T5_T6_T7_T9_mT8_P12ihipStream_tbDpT10_ENKUlT_T0_E_clISt17integral_constantIbLb1EES15_IbLb0EEEEDaS11_S12_EUlS11_E_NS1_11comp_targetILNS1_3genE10ELNS1_11target_archE1200ELNS1_3gpuE4ELNS1_3repE0EEENS1_30default_config_static_selectorELNS0_4arch9wavefront6targetE0EEEvT1_,@function
_ZN7rocprim17ROCPRIM_400000_NS6detail17trampoline_kernelINS0_14default_configENS1_25partition_config_selectorILNS1_17partition_subalgoE6EtNS0_10empty_typeEbEEZZNS1_14partition_implILS5_6ELb0ES3_mN6thrust23THRUST_200600_302600_NS6detail15normal_iteratorINSA_10device_ptrItEEEEPS6_SG_NS0_5tupleIJSF_S6_EEENSH_IJSG_SG_EEES6_PlJ5mod_3ItEEEE10hipError_tPvRmT3_T4_T5_T6_T7_T9_mT8_P12ihipStream_tbDpT10_ENKUlT_T0_E_clISt17integral_constantIbLb1EES15_IbLb0EEEEDaS11_S12_EUlS11_E_NS1_11comp_targetILNS1_3genE10ELNS1_11target_archE1200ELNS1_3gpuE4ELNS1_3repE0EEENS1_30default_config_static_selectorELNS0_4arch9wavefront6targetE0EEEvT1_: ; @_ZN7rocprim17ROCPRIM_400000_NS6detail17trampoline_kernelINS0_14default_configENS1_25partition_config_selectorILNS1_17partition_subalgoE6EtNS0_10empty_typeEbEEZZNS1_14partition_implILS5_6ELb0ES3_mN6thrust23THRUST_200600_302600_NS6detail15normal_iteratorINSA_10device_ptrItEEEEPS6_SG_NS0_5tupleIJSF_S6_EEENSH_IJSG_SG_EEES6_PlJ5mod_3ItEEEE10hipError_tPvRmT3_T4_T5_T6_T7_T9_mT8_P12ihipStream_tbDpT10_ENKUlT_T0_E_clISt17integral_constantIbLb1EES15_IbLb0EEEEDaS11_S12_EUlS11_E_NS1_11comp_targetILNS1_3genE10ELNS1_11target_archE1200ELNS1_3gpuE4ELNS1_3repE0EEENS1_30default_config_static_selectorELNS0_4arch9wavefront6targetE0EEEvT1_
; %bb.0:
	.section	.rodata,"a",@progbits
	.p2align	6, 0x0
	.amdhsa_kernel _ZN7rocprim17ROCPRIM_400000_NS6detail17trampoline_kernelINS0_14default_configENS1_25partition_config_selectorILNS1_17partition_subalgoE6EtNS0_10empty_typeEbEEZZNS1_14partition_implILS5_6ELb0ES3_mN6thrust23THRUST_200600_302600_NS6detail15normal_iteratorINSA_10device_ptrItEEEEPS6_SG_NS0_5tupleIJSF_S6_EEENSH_IJSG_SG_EEES6_PlJ5mod_3ItEEEE10hipError_tPvRmT3_T4_T5_T6_T7_T9_mT8_P12ihipStream_tbDpT10_ENKUlT_T0_E_clISt17integral_constantIbLb1EES15_IbLb0EEEEDaS11_S12_EUlS11_E_NS1_11comp_targetILNS1_3genE10ELNS1_11target_archE1200ELNS1_3gpuE4ELNS1_3repE0EEENS1_30default_config_static_selectorELNS0_4arch9wavefront6targetE0EEEvT1_
		.amdhsa_group_segment_fixed_size 0
		.amdhsa_private_segment_fixed_size 0
		.amdhsa_kernarg_size 112
		.amdhsa_user_sgpr_count 15
		.amdhsa_user_sgpr_dispatch_ptr 0
		.amdhsa_user_sgpr_queue_ptr 0
		.amdhsa_user_sgpr_kernarg_segment_ptr 1
		.amdhsa_user_sgpr_dispatch_id 0
		.amdhsa_user_sgpr_private_segment_size 0
		.amdhsa_wavefront_size32 1
		.amdhsa_uses_dynamic_stack 0
		.amdhsa_enable_private_segment 0
		.amdhsa_system_sgpr_workgroup_id_x 1
		.amdhsa_system_sgpr_workgroup_id_y 0
		.amdhsa_system_sgpr_workgroup_id_z 0
		.amdhsa_system_sgpr_workgroup_info 0
		.amdhsa_system_vgpr_workitem_id 0
		.amdhsa_next_free_vgpr 1
		.amdhsa_next_free_sgpr 1
		.amdhsa_reserve_vcc 0
		.amdhsa_float_round_mode_32 0
		.amdhsa_float_round_mode_16_64 0
		.amdhsa_float_denorm_mode_32 3
		.amdhsa_float_denorm_mode_16_64 3
		.amdhsa_dx10_clamp 1
		.amdhsa_ieee_mode 1
		.amdhsa_fp16_overflow 0
		.amdhsa_workgroup_processor_mode 1
		.amdhsa_memory_ordered 1
		.amdhsa_forward_progress 0
		.amdhsa_shared_vgpr_count 0
		.amdhsa_exception_fp_ieee_invalid_op 0
		.amdhsa_exception_fp_denorm_src 0
		.amdhsa_exception_fp_ieee_div_zero 0
		.amdhsa_exception_fp_ieee_overflow 0
		.amdhsa_exception_fp_ieee_underflow 0
		.amdhsa_exception_fp_ieee_inexact 0
		.amdhsa_exception_int_div_zero 0
	.end_amdhsa_kernel
	.section	.text._ZN7rocprim17ROCPRIM_400000_NS6detail17trampoline_kernelINS0_14default_configENS1_25partition_config_selectorILNS1_17partition_subalgoE6EtNS0_10empty_typeEbEEZZNS1_14partition_implILS5_6ELb0ES3_mN6thrust23THRUST_200600_302600_NS6detail15normal_iteratorINSA_10device_ptrItEEEEPS6_SG_NS0_5tupleIJSF_S6_EEENSH_IJSG_SG_EEES6_PlJ5mod_3ItEEEE10hipError_tPvRmT3_T4_T5_T6_T7_T9_mT8_P12ihipStream_tbDpT10_ENKUlT_T0_E_clISt17integral_constantIbLb1EES15_IbLb0EEEEDaS11_S12_EUlS11_E_NS1_11comp_targetILNS1_3genE10ELNS1_11target_archE1200ELNS1_3gpuE4ELNS1_3repE0EEENS1_30default_config_static_selectorELNS0_4arch9wavefront6targetE0EEEvT1_,"axG",@progbits,_ZN7rocprim17ROCPRIM_400000_NS6detail17trampoline_kernelINS0_14default_configENS1_25partition_config_selectorILNS1_17partition_subalgoE6EtNS0_10empty_typeEbEEZZNS1_14partition_implILS5_6ELb0ES3_mN6thrust23THRUST_200600_302600_NS6detail15normal_iteratorINSA_10device_ptrItEEEEPS6_SG_NS0_5tupleIJSF_S6_EEENSH_IJSG_SG_EEES6_PlJ5mod_3ItEEEE10hipError_tPvRmT3_T4_T5_T6_T7_T9_mT8_P12ihipStream_tbDpT10_ENKUlT_T0_E_clISt17integral_constantIbLb1EES15_IbLb0EEEEDaS11_S12_EUlS11_E_NS1_11comp_targetILNS1_3genE10ELNS1_11target_archE1200ELNS1_3gpuE4ELNS1_3repE0EEENS1_30default_config_static_selectorELNS0_4arch9wavefront6targetE0EEEvT1_,comdat
.Lfunc_end541:
	.size	_ZN7rocprim17ROCPRIM_400000_NS6detail17trampoline_kernelINS0_14default_configENS1_25partition_config_selectorILNS1_17partition_subalgoE6EtNS0_10empty_typeEbEEZZNS1_14partition_implILS5_6ELb0ES3_mN6thrust23THRUST_200600_302600_NS6detail15normal_iteratorINSA_10device_ptrItEEEEPS6_SG_NS0_5tupleIJSF_S6_EEENSH_IJSG_SG_EEES6_PlJ5mod_3ItEEEE10hipError_tPvRmT3_T4_T5_T6_T7_T9_mT8_P12ihipStream_tbDpT10_ENKUlT_T0_E_clISt17integral_constantIbLb1EES15_IbLb0EEEEDaS11_S12_EUlS11_E_NS1_11comp_targetILNS1_3genE10ELNS1_11target_archE1200ELNS1_3gpuE4ELNS1_3repE0EEENS1_30default_config_static_selectorELNS0_4arch9wavefront6targetE0EEEvT1_, .Lfunc_end541-_ZN7rocprim17ROCPRIM_400000_NS6detail17trampoline_kernelINS0_14default_configENS1_25partition_config_selectorILNS1_17partition_subalgoE6EtNS0_10empty_typeEbEEZZNS1_14partition_implILS5_6ELb0ES3_mN6thrust23THRUST_200600_302600_NS6detail15normal_iteratorINSA_10device_ptrItEEEEPS6_SG_NS0_5tupleIJSF_S6_EEENSH_IJSG_SG_EEES6_PlJ5mod_3ItEEEE10hipError_tPvRmT3_T4_T5_T6_T7_T9_mT8_P12ihipStream_tbDpT10_ENKUlT_T0_E_clISt17integral_constantIbLb1EES15_IbLb0EEEEDaS11_S12_EUlS11_E_NS1_11comp_targetILNS1_3genE10ELNS1_11target_archE1200ELNS1_3gpuE4ELNS1_3repE0EEENS1_30default_config_static_selectorELNS0_4arch9wavefront6targetE0EEEvT1_
                                        ; -- End function
	.section	.AMDGPU.csdata,"",@progbits
; Kernel info:
; codeLenInByte = 0
; NumSgprs: 0
; NumVgprs: 0
; ScratchSize: 0
; MemoryBound: 0
; FloatMode: 240
; IeeeMode: 1
; LDSByteSize: 0 bytes/workgroup (compile time only)
; SGPRBlocks: 0
; VGPRBlocks: 0
; NumSGPRsForWavesPerEU: 1
; NumVGPRsForWavesPerEU: 1
; Occupancy: 15
; WaveLimiterHint : 0
; COMPUTE_PGM_RSRC2:SCRATCH_EN: 0
; COMPUTE_PGM_RSRC2:USER_SGPR: 15
; COMPUTE_PGM_RSRC2:TRAP_HANDLER: 0
; COMPUTE_PGM_RSRC2:TGID_X_EN: 1
; COMPUTE_PGM_RSRC2:TGID_Y_EN: 0
; COMPUTE_PGM_RSRC2:TGID_Z_EN: 0
; COMPUTE_PGM_RSRC2:TIDIG_COMP_CNT: 0
	.section	.text._ZN7rocprim17ROCPRIM_400000_NS6detail17trampoline_kernelINS0_14default_configENS1_25partition_config_selectorILNS1_17partition_subalgoE6EtNS0_10empty_typeEbEEZZNS1_14partition_implILS5_6ELb0ES3_mN6thrust23THRUST_200600_302600_NS6detail15normal_iteratorINSA_10device_ptrItEEEEPS6_SG_NS0_5tupleIJSF_S6_EEENSH_IJSG_SG_EEES6_PlJ5mod_3ItEEEE10hipError_tPvRmT3_T4_T5_T6_T7_T9_mT8_P12ihipStream_tbDpT10_ENKUlT_T0_E_clISt17integral_constantIbLb1EES15_IbLb0EEEEDaS11_S12_EUlS11_E_NS1_11comp_targetILNS1_3genE9ELNS1_11target_archE1100ELNS1_3gpuE3ELNS1_3repE0EEENS1_30default_config_static_selectorELNS0_4arch9wavefront6targetE0EEEvT1_,"axG",@progbits,_ZN7rocprim17ROCPRIM_400000_NS6detail17trampoline_kernelINS0_14default_configENS1_25partition_config_selectorILNS1_17partition_subalgoE6EtNS0_10empty_typeEbEEZZNS1_14partition_implILS5_6ELb0ES3_mN6thrust23THRUST_200600_302600_NS6detail15normal_iteratorINSA_10device_ptrItEEEEPS6_SG_NS0_5tupleIJSF_S6_EEENSH_IJSG_SG_EEES6_PlJ5mod_3ItEEEE10hipError_tPvRmT3_T4_T5_T6_T7_T9_mT8_P12ihipStream_tbDpT10_ENKUlT_T0_E_clISt17integral_constantIbLb1EES15_IbLb0EEEEDaS11_S12_EUlS11_E_NS1_11comp_targetILNS1_3genE9ELNS1_11target_archE1100ELNS1_3gpuE3ELNS1_3repE0EEENS1_30default_config_static_selectorELNS0_4arch9wavefront6targetE0EEEvT1_,comdat
	.protected	_ZN7rocprim17ROCPRIM_400000_NS6detail17trampoline_kernelINS0_14default_configENS1_25partition_config_selectorILNS1_17partition_subalgoE6EtNS0_10empty_typeEbEEZZNS1_14partition_implILS5_6ELb0ES3_mN6thrust23THRUST_200600_302600_NS6detail15normal_iteratorINSA_10device_ptrItEEEEPS6_SG_NS0_5tupleIJSF_S6_EEENSH_IJSG_SG_EEES6_PlJ5mod_3ItEEEE10hipError_tPvRmT3_T4_T5_T6_T7_T9_mT8_P12ihipStream_tbDpT10_ENKUlT_T0_E_clISt17integral_constantIbLb1EES15_IbLb0EEEEDaS11_S12_EUlS11_E_NS1_11comp_targetILNS1_3genE9ELNS1_11target_archE1100ELNS1_3gpuE3ELNS1_3repE0EEENS1_30default_config_static_selectorELNS0_4arch9wavefront6targetE0EEEvT1_ ; -- Begin function _ZN7rocprim17ROCPRIM_400000_NS6detail17trampoline_kernelINS0_14default_configENS1_25partition_config_selectorILNS1_17partition_subalgoE6EtNS0_10empty_typeEbEEZZNS1_14partition_implILS5_6ELb0ES3_mN6thrust23THRUST_200600_302600_NS6detail15normal_iteratorINSA_10device_ptrItEEEEPS6_SG_NS0_5tupleIJSF_S6_EEENSH_IJSG_SG_EEES6_PlJ5mod_3ItEEEE10hipError_tPvRmT3_T4_T5_T6_T7_T9_mT8_P12ihipStream_tbDpT10_ENKUlT_T0_E_clISt17integral_constantIbLb1EES15_IbLb0EEEEDaS11_S12_EUlS11_E_NS1_11comp_targetILNS1_3genE9ELNS1_11target_archE1100ELNS1_3gpuE3ELNS1_3repE0EEENS1_30default_config_static_selectorELNS0_4arch9wavefront6targetE0EEEvT1_
	.globl	_ZN7rocprim17ROCPRIM_400000_NS6detail17trampoline_kernelINS0_14default_configENS1_25partition_config_selectorILNS1_17partition_subalgoE6EtNS0_10empty_typeEbEEZZNS1_14partition_implILS5_6ELb0ES3_mN6thrust23THRUST_200600_302600_NS6detail15normal_iteratorINSA_10device_ptrItEEEEPS6_SG_NS0_5tupleIJSF_S6_EEENSH_IJSG_SG_EEES6_PlJ5mod_3ItEEEE10hipError_tPvRmT3_T4_T5_T6_T7_T9_mT8_P12ihipStream_tbDpT10_ENKUlT_T0_E_clISt17integral_constantIbLb1EES15_IbLb0EEEEDaS11_S12_EUlS11_E_NS1_11comp_targetILNS1_3genE9ELNS1_11target_archE1100ELNS1_3gpuE3ELNS1_3repE0EEENS1_30default_config_static_selectorELNS0_4arch9wavefront6targetE0EEEvT1_
	.p2align	8
	.type	_ZN7rocprim17ROCPRIM_400000_NS6detail17trampoline_kernelINS0_14default_configENS1_25partition_config_selectorILNS1_17partition_subalgoE6EtNS0_10empty_typeEbEEZZNS1_14partition_implILS5_6ELb0ES3_mN6thrust23THRUST_200600_302600_NS6detail15normal_iteratorINSA_10device_ptrItEEEEPS6_SG_NS0_5tupleIJSF_S6_EEENSH_IJSG_SG_EEES6_PlJ5mod_3ItEEEE10hipError_tPvRmT3_T4_T5_T6_T7_T9_mT8_P12ihipStream_tbDpT10_ENKUlT_T0_E_clISt17integral_constantIbLb1EES15_IbLb0EEEEDaS11_S12_EUlS11_E_NS1_11comp_targetILNS1_3genE9ELNS1_11target_archE1100ELNS1_3gpuE3ELNS1_3repE0EEENS1_30default_config_static_selectorELNS0_4arch9wavefront6targetE0EEEvT1_,@function
_ZN7rocprim17ROCPRIM_400000_NS6detail17trampoline_kernelINS0_14default_configENS1_25partition_config_selectorILNS1_17partition_subalgoE6EtNS0_10empty_typeEbEEZZNS1_14partition_implILS5_6ELb0ES3_mN6thrust23THRUST_200600_302600_NS6detail15normal_iteratorINSA_10device_ptrItEEEEPS6_SG_NS0_5tupleIJSF_S6_EEENSH_IJSG_SG_EEES6_PlJ5mod_3ItEEEE10hipError_tPvRmT3_T4_T5_T6_T7_T9_mT8_P12ihipStream_tbDpT10_ENKUlT_T0_E_clISt17integral_constantIbLb1EES15_IbLb0EEEEDaS11_S12_EUlS11_E_NS1_11comp_targetILNS1_3genE9ELNS1_11target_archE1100ELNS1_3gpuE3ELNS1_3repE0EEENS1_30default_config_static_selectorELNS0_4arch9wavefront6targetE0EEEvT1_: ; @_ZN7rocprim17ROCPRIM_400000_NS6detail17trampoline_kernelINS0_14default_configENS1_25partition_config_selectorILNS1_17partition_subalgoE6EtNS0_10empty_typeEbEEZZNS1_14partition_implILS5_6ELb0ES3_mN6thrust23THRUST_200600_302600_NS6detail15normal_iteratorINSA_10device_ptrItEEEEPS6_SG_NS0_5tupleIJSF_S6_EEENSH_IJSG_SG_EEES6_PlJ5mod_3ItEEEE10hipError_tPvRmT3_T4_T5_T6_T7_T9_mT8_P12ihipStream_tbDpT10_ENKUlT_T0_E_clISt17integral_constantIbLb1EES15_IbLb0EEEEDaS11_S12_EUlS11_E_NS1_11comp_targetILNS1_3genE9ELNS1_11target_archE1100ELNS1_3gpuE3ELNS1_3repE0EEENS1_30default_config_static_selectorELNS0_4arch9wavefront6targetE0EEEvT1_
; %bb.0:
	s_clause 0x3
	s_load_b128 s[16:19], s[0:1], 0x8
	s_load_b128 s[4:7], s[0:1], 0x40
	s_load_b32 s10, s[0:1], 0x68
	s_load_b64 s[2:3], s[0:1], 0x50
	v_lshlrev_b32_e32 v1, 1, v0
	s_waitcnt lgkmcnt(0)
	s_lshl_b64 s[8:9], s[18:19], 1
	s_load_b64 s[6:7], s[6:7], 0x0
	s_mul_i32 s11, s10, 0xf00
	s_add_u32 s16, s16, s8
	s_addc_u32 s17, s17, s9
	s_add_i32 s8, s11, s18
	s_add_i32 s12, s10, -1
	s_sub_i32 s10, s2, s8
	s_add_u32 s8, s18, s11
	s_addc_u32 s9, s19, 0
	s_cmp_eq_u32 s15, s12
	v_cmp_ge_u64_e64 s8, s[8:9], s[2:3]
	s_cselect_b32 s14, -1, 0
	s_mov_b32 s3, 0
	s_mul_i32 s2, s15, 0xf00
	s_delay_alu instid0(SALU_CYCLE_1) | instskip(NEXT) | instid1(VALU_DEP_1)
	s_lshl_b64 s[2:3], s[2:3], 1
	s_and_b32 s12, s14, s8
	s_mov_b32 s8, -1
	s_xor_b32 s13, s12, -1
	s_add_u32 s2, s16, s2
	s_addc_u32 s3, s17, s3
	s_and_b32 vcc_lo, exec_lo, s13
	s_cbranch_vccz .LBB542_2
; %bb.1:
	v_add_co_u32 v2, s8, s2, v1
	s_delay_alu instid0(VALU_DEP_1) | instskip(SKIP_1) | instid1(VALU_DEP_2)
	v_add_co_ci_u32_e64 v3, null, s3, 0, s8
	s_mov_b32 s8, 0
	v_add_co_u32 v4, vcc_lo, 0x1000, v2
	s_clause 0x7
	flat_load_u16 v6, v[2:3]
	flat_load_u16 v7, v[2:3] offset:256
	flat_load_u16 v8, v[2:3] offset:512
	;; [unrolled: 1-line block ×7, first 2 shown]
	v_add_co_ci_u32_e32 v5, vcc_lo, 0, v3, vcc_lo
	s_clause 0x15
	flat_load_u16 v14, v[2:3] offset:2048
	flat_load_u16 v15, v[2:3] offset:2304
	;; [unrolled: 1-line block ×8, first 2 shown]
	flat_load_u16 v3, v[4:5]
	flat_load_u16 v21, v[4:5] offset:256
	flat_load_u16 v22, v[4:5] offset:512
	;; [unrolled: 1-line block ×13, first 2 shown]
	s_waitcnt vmcnt(29) lgkmcnt(0)
	ds_store_b16 v1, v6
	s_waitcnt vmcnt(28)
	ds_store_b16 v1, v7 offset:256
	s_waitcnt vmcnt(27)
	ds_store_b16 v1, v8 offset:512
	s_waitcnt vmcnt(26)
	ds_store_b16 v1, v9 offset:768
	s_waitcnt vmcnt(25)
	ds_store_b16 v1, v10 offset:1024
	s_waitcnt vmcnt(24)
	ds_store_b16 v1, v11 offset:1280
	s_waitcnt vmcnt(23)
	ds_store_b16 v1, v12 offset:1536
	s_waitcnt vmcnt(22)
	ds_store_b16 v1, v13 offset:1792
	s_waitcnt vmcnt(21)
	ds_store_b16 v1, v14 offset:2048
	s_waitcnt vmcnt(20)
	ds_store_b16 v1, v15 offset:2304
	s_waitcnt vmcnt(19)
	ds_store_b16 v1, v16 offset:2560
	s_waitcnt vmcnt(18)
	ds_store_b16 v1, v17 offset:2816
	s_waitcnt vmcnt(17)
	ds_store_b16 v1, v18 offset:3072
	s_waitcnt vmcnt(16)
	ds_store_b16 v1, v19 offset:3328
	s_waitcnt vmcnt(15)
	ds_store_b16 v1, v20 offset:3584
	s_waitcnt vmcnt(14)
	ds_store_b16 v1, v2 offset:3840
	s_waitcnt vmcnt(13)
	ds_store_b16 v1, v3 offset:4096
	s_waitcnt vmcnt(12)
	ds_store_b16 v1, v21 offset:4352
	s_waitcnt vmcnt(11)
	ds_store_b16 v1, v22 offset:4608
	s_waitcnt vmcnt(10)
	ds_store_b16 v1, v23 offset:4864
	s_waitcnt vmcnt(9)
	ds_store_b16 v1, v24 offset:5120
	s_waitcnt vmcnt(8)
	ds_store_b16 v1, v25 offset:5376
	s_waitcnt vmcnt(7)
	ds_store_b16 v1, v26 offset:5632
	s_waitcnt vmcnt(6)
	ds_store_b16 v1, v27 offset:5888
	s_waitcnt vmcnt(5)
	ds_store_b16 v1, v28 offset:6144
	s_waitcnt vmcnt(4)
	ds_store_b16 v1, v29 offset:6400
	s_waitcnt vmcnt(3)
	ds_store_b16 v1, v30 offset:6656
	s_waitcnt vmcnt(2)
	ds_store_b16 v1, v31 offset:6912
	s_waitcnt vmcnt(1)
	ds_store_b16 v1, v32 offset:7168
	s_waitcnt vmcnt(0)
	ds_store_b16 v1, v4 offset:7424
	s_waitcnt lgkmcnt(0)
	s_barrier
.LBB542_2:
	s_and_not1_b32 vcc_lo, exec_lo, s8
	s_addk_i32 s10, 0xf00
	s_cbranch_vccnz .LBB542_64
; %bb.3:
	s_mov_b32 s8, exec_lo
                                        ; implicit-def: $vgpr2
	v_cmpx_gt_u32_e64 s10, v0
	s_cbranch_execz .LBB542_5
; %bb.4:
	v_add_co_u32 v2, s9, s2, v1
	s_delay_alu instid0(VALU_DEP_1)
	v_add_co_ci_u32_e64 v3, null, s3, 0, s9
	flat_load_u16 v2, v[2:3]
.LBB542_5:
	s_or_b32 exec_lo, exec_lo, s8
	v_or_b32_e32 v3, 0x80, v0
	s_delay_alu instid0(VALU_DEP_1)
	v_cmp_gt_u32_e32 vcc_lo, s10, v3
                                        ; implicit-def: $vgpr3
	s_and_saveexec_b32 s8, vcc_lo
	s_cbranch_execz .LBB542_7
; %bb.6:
	v_add_co_u32 v3, s9, s2, v1
	s_delay_alu instid0(VALU_DEP_1)
	v_add_co_ci_u32_e64 v4, null, s3, 0, s9
	flat_load_u16 v3, v[3:4] offset:256
.LBB542_7:
	s_or_b32 exec_lo, exec_lo, s8
	v_or_b32_e32 v4, 0x100, v0
	s_delay_alu instid0(VALU_DEP_1)
	v_cmp_gt_u32_e32 vcc_lo, s10, v4
                                        ; implicit-def: $vgpr4
	s_and_saveexec_b32 s8, vcc_lo
	s_cbranch_execz .LBB542_9
; %bb.8:
	v_add_co_u32 v4, s9, s2, v1
	s_delay_alu instid0(VALU_DEP_1)
	v_add_co_ci_u32_e64 v5, null, s3, 0, s9
	flat_load_u16 v4, v[4:5] offset:512
.LBB542_9:
	s_or_b32 exec_lo, exec_lo, s8
	v_or_b32_e32 v5, 0x180, v0
	s_delay_alu instid0(VALU_DEP_1)
	v_cmp_gt_u32_e32 vcc_lo, s10, v5
                                        ; implicit-def: $vgpr5
	s_and_saveexec_b32 s8, vcc_lo
	s_cbranch_execz .LBB542_11
; %bb.10:
	v_add_co_u32 v5, s9, s2, v1
	s_delay_alu instid0(VALU_DEP_1)
	v_add_co_ci_u32_e64 v6, null, s3, 0, s9
	flat_load_u16 v5, v[5:6] offset:768
.LBB542_11:
	s_or_b32 exec_lo, exec_lo, s8
	v_or_b32_e32 v6, 0x200, v0
	s_delay_alu instid0(VALU_DEP_1)
	v_cmp_gt_u32_e32 vcc_lo, s10, v6
                                        ; implicit-def: $vgpr6
	s_and_saveexec_b32 s8, vcc_lo
	s_cbranch_execz .LBB542_13
; %bb.12:
	v_add_co_u32 v6, s9, s2, v1
	s_delay_alu instid0(VALU_DEP_1)
	v_add_co_ci_u32_e64 v7, null, s3, 0, s9
	flat_load_u16 v6, v[6:7] offset:1024
.LBB542_13:
	s_or_b32 exec_lo, exec_lo, s8
	v_or_b32_e32 v7, 0x280, v0
	s_delay_alu instid0(VALU_DEP_1)
	v_cmp_gt_u32_e32 vcc_lo, s10, v7
                                        ; implicit-def: $vgpr7
	s_and_saveexec_b32 s8, vcc_lo
	s_cbranch_execz .LBB542_15
; %bb.14:
	v_add_co_u32 v7, s9, s2, v1
	s_delay_alu instid0(VALU_DEP_1)
	v_add_co_ci_u32_e64 v8, null, s3, 0, s9
	flat_load_u16 v7, v[7:8] offset:1280
.LBB542_15:
	s_or_b32 exec_lo, exec_lo, s8
	v_or_b32_e32 v8, 0x300, v0
	s_delay_alu instid0(VALU_DEP_1)
	v_cmp_gt_u32_e32 vcc_lo, s10, v8
                                        ; implicit-def: $vgpr8
	s_and_saveexec_b32 s8, vcc_lo
	s_cbranch_execz .LBB542_17
; %bb.16:
	v_add_co_u32 v8, s9, s2, v1
	s_delay_alu instid0(VALU_DEP_1)
	v_add_co_ci_u32_e64 v9, null, s3, 0, s9
	flat_load_u16 v8, v[8:9] offset:1536
.LBB542_17:
	s_or_b32 exec_lo, exec_lo, s8
	v_or_b32_e32 v9, 0x380, v0
	s_delay_alu instid0(VALU_DEP_1)
	v_cmp_gt_u32_e32 vcc_lo, s10, v9
                                        ; implicit-def: $vgpr9
	s_and_saveexec_b32 s8, vcc_lo
	s_cbranch_execz .LBB542_19
; %bb.18:
	v_add_co_u32 v9, s9, s2, v1
	s_delay_alu instid0(VALU_DEP_1)
	v_add_co_ci_u32_e64 v10, null, s3, 0, s9
	flat_load_u16 v9, v[9:10] offset:1792
.LBB542_19:
	s_or_b32 exec_lo, exec_lo, s8
	v_or_b32_e32 v10, 0x400, v0
	s_delay_alu instid0(VALU_DEP_1)
	v_cmp_gt_u32_e32 vcc_lo, s10, v10
                                        ; implicit-def: $vgpr10
	s_and_saveexec_b32 s8, vcc_lo
	s_cbranch_execz .LBB542_21
; %bb.20:
	v_add_co_u32 v10, s9, s2, v1
	s_delay_alu instid0(VALU_DEP_1)
	v_add_co_ci_u32_e64 v11, null, s3, 0, s9
	flat_load_u16 v10, v[10:11] offset:2048
.LBB542_21:
	s_or_b32 exec_lo, exec_lo, s8
	v_or_b32_e32 v11, 0x480, v0
	s_delay_alu instid0(VALU_DEP_1)
	v_cmp_gt_u32_e32 vcc_lo, s10, v11
                                        ; implicit-def: $vgpr11
	s_and_saveexec_b32 s8, vcc_lo
	s_cbranch_execz .LBB542_23
; %bb.22:
	v_add_co_u32 v11, s9, s2, v1
	s_delay_alu instid0(VALU_DEP_1)
	v_add_co_ci_u32_e64 v12, null, s3, 0, s9
	flat_load_u16 v11, v[11:12] offset:2304
.LBB542_23:
	s_or_b32 exec_lo, exec_lo, s8
	v_or_b32_e32 v12, 0x500, v0
	s_delay_alu instid0(VALU_DEP_1)
	v_cmp_gt_u32_e32 vcc_lo, s10, v12
                                        ; implicit-def: $vgpr12
	s_and_saveexec_b32 s8, vcc_lo
	s_cbranch_execz .LBB542_25
; %bb.24:
	v_add_co_u32 v12, s9, s2, v1
	s_delay_alu instid0(VALU_DEP_1)
	v_add_co_ci_u32_e64 v13, null, s3, 0, s9
	flat_load_u16 v12, v[12:13] offset:2560
.LBB542_25:
	s_or_b32 exec_lo, exec_lo, s8
	v_or_b32_e32 v13, 0x580, v0
	s_delay_alu instid0(VALU_DEP_1)
	v_cmp_gt_u32_e32 vcc_lo, s10, v13
                                        ; implicit-def: $vgpr13
	s_and_saveexec_b32 s8, vcc_lo
	s_cbranch_execz .LBB542_27
; %bb.26:
	v_add_co_u32 v13, s9, s2, v1
	s_delay_alu instid0(VALU_DEP_1)
	v_add_co_ci_u32_e64 v14, null, s3, 0, s9
	flat_load_u16 v13, v[13:14] offset:2816
.LBB542_27:
	s_or_b32 exec_lo, exec_lo, s8
	v_or_b32_e32 v14, 0x600, v0
	s_delay_alu instid0(VALU_DEP_1)
	v_cmp_gt_u32_e32 vcc_lo, s10, v14
                                        ; implicit-def: $vgpr14
	s_and_saveexec_b32 s8, vcc_lo
	s_cbranch_execz .LBB542_29
; %bb.28:
	v_add_co_u32 v14, s9, s2, v1
	s_delay_alu instid0(VALU_DEP_1)
	v_add_co_ci_u32_e64 v15, null, s3, 0, s9
	flat_load_u16 v14, v[14:15] offset:3072
.LBB542_29:
	s_or_b32 exec_lo, exec_lo, s8
	v_or_b32_e32 v15, 0x680, v0
	s_delay_alu instid0(VALU_DEP_1)
	v_cmp_gt_u32_e32 vcc_lo, s10, v15
                                        ; implicit-def: $vgpr15
	s_and_saveexec_b32 s8, vcc_lo
	s_cbranch_execz .LBB542_31
; %bb.30:
	v_add_co_u32 v15, s9, s2, v1
	s_delay_alu instid0(VALU_DEP_1)
	v_add_co_ci_u32_e64 v16, null, s3, 0, s9
	flat_load_u16 v15, v[15:16] offset:3328
.LBB542_31:
	s_or_b32 exec_lo, exec_lo, s8
	v_or_b32_e32 v16, 0x700, v0
	s_delay_alu instid0(VALU_DEP_1)
	v_cmp_gt_u32_e32 vcc_lo, s10, v16
                                        ; implicit-def: $vgpr16
	s_and_saveexec_b32 s8, vcc_lo
	s_cbranch_execz .LBB542_33
; %bb.32:
	v_add_co_u32 v16, s9, s2, v1
	s_delay_alu instid0(VALU_DEP_1)
	v_add_co_ci_u32_e64 v17, null, s3, 0, s9
	flat_load_u16 v16, v[16:17] offset:3584
.LBB542_33:
	s_or_b32 exec_lo, exec_lo, s8
	v_or_b32_e32 v17, 0x780, v0
	s_delay_alu instid0(VALU_DEP_1)
	v_cmp_gt_u32_e32 vcc_lo, s10, v17
                                        ; implicit-def: $vgpr17
	s_and_saveexec_b32 s8, vcc_lo
	s_cbranch_execz .LBB542_35
; %bb.34:
	v_add_co_u32 v17, s9, s2, v1
	s_delay_alu instid0(VALU_DEP_1)
	v_add_co_ci_u32_e64 v18, null, s3, 0, s9
	flat_load_u16 v17, v[17:18] offset:3840
.LBB542_35:
	s_or_b32 exec_lo, exec_lo, s8
	v_or_b32_e32 v19, 0x800, v0
	s_mov_b32 s8, exec_lo
                                        ; implicit-def: $vgpr18
	s_delay_alu instid0(VALU_DEP_1)
	v_cmpx_gt_u32_e64 s10, v19
	s_cbranch_execz .LBB542_37
; %bb.36:
	v_lshlrev_b32_e32 v18, 1, v19
	s_delay_alu instid0(VALU_DEP_1) | instskip(NEXT) | instid1(VALU_DEP_1)
	v_add_co_u32 v18, s9, s2, v18
	v_add_co_ci_u32_e64 v19, null, s3, 0, s9
	flat_load_u16 v18, v[18:19]
.LBB542_37:
	s_or_b32 exec_lo, exec_lo, s8
	v_or_b32_e32 v20, 0x880, v0
	s_mov_b32 s8, exec_lo
                                        ; implicit-def: $vgpr19
	s_delay_alu instid0(VALU_DEP_1)
	v_cmpx_gt_u32_e64 s10, v20
	s_cbranch_execz .LBB542_39
; %bb.38:
	v_lshlrev_b32_e32 v19, 1, v20
	s_delay_alu instid0(VALU_DEP_1) | instskip(NEXT) | instid1(VALU_DEP_1)
	v_add_co_u32 v19, s9, s2, v19
	v_add_co_ci_u32_e64 v20, null, s3, 0, s9
	flat_load_u16 v19, v[19:20]
.LBB542_39:
	s_or_b32 exec_lo, exec_lo, s8
	v_or_b32_e32 v21, 0x900, v0
	s_mov_b32 s8, exec_lo
                                        ; implicit-def: $vgpr20
	s_delay_alu instid0(VALU_DEP_1)
	v_cmpx_gt_u32_e64 s10, v21
	s_cbranch_execz .LBB542_41
; %bb.40:
	v_lshlrev_b32_e32 v20, 1, v21
	s_delay_alu instid0(VALU_DEP_1) | instskip(NEXT) | instid1(VALU_DEP_1)
	v_add_co_u32 v20, s9, s2, v20
	v_add_co_ci_u32_e64 v21, null, s3, 0, s9
	flat_load_u16 v20, v[20:21]
.LBB542_41:
	s_or_b32 exec_lo, exec_lo, s8
	v_or_b32_e32 v22, 0x980, v0
	s_mov_b32 s8, exec_lo
                                        ; implicit-def: $vgpr21
	s_delay_alu instid0(VALU_DEP_1)
	v_cmpx_gt_u32_e64 s10, v22
	s_cbranch_execz .LBB542_43
; %bb.42:
	v_lshlrev_b32_e32 v21, 1, v22
	s_delay_alu instid0(VALU_DEP_1) | instskip(NEXT) | instid1(VALU_DEP_1)
	v_add_co_u32 v21, s9, s2, v21
	v_add_co_ci_u32_e64 v22, null, s3, 0, s9
	flat_load_u16 v21, v[21:22]
.LBB542_43:
	s_or_b32 exec_lo, exec_lo, s8
	v_or_b32_e32 v23, 0xa00, v0
	s_mov_b32 s8, exec_lo
                                        ; implicit-def: $vgpr22
	s_delay_alu instid0(VALU_DEP_1)
	v_cmpx_gt_u32_e64 s10, v23
	s_cbranch_execz .LBB542_45
; %bb.44:
	v_lshlrev_b32_e32 v22, 1, v23
	s_delay_alu instid0(VALU_DEP_1) | instskip(NEXT) | instid1(VALU_DEP_1)
	v_add_co_u32 v22, s9, s2, v22
	v_add_co_ci_u32_e64 v23, null, s3, 0, s9
	flat_load_u16 v22, v[22:23]
.LBB542_45:
	s_or_b32 exec_lo, exec_lo, s8
	v_or_b32_e32 v24, 0xa80, v0
	s_mov_b32 s8, exec_lo
                                        ; implicit-def: $vgpr23
	s_delay_alu instid0(VALU_DEP_1)
	v_cmpx_gt_u32_e64 s10, v24
	s_cbranch_execz .LBB542_47
; %bb.46:
	v_lshlrev_b32_e32 v23, 1, v24
	s_delay_alu instid0(VALU_DEP_1) | instskip(NEXT) | instid1(VALU_DEP_1)
	v_add_co_u32 v23, s9, s2, v23
	v_add_co_ci_u32_e64 v24, null, s3, 0, s9
	flat_load_u16 v23, v[23:24]
.LBB542_47:
	s_or_b32 exec_lo, exec_lo, s8
	v_or_b32_e32 v25, 0xb00, v0
	s_mov_b32 s8, exec_lo
                                        ; implicit-def: $vgpr24
	s_delay_alu instid0(VALU_DEP_1)
	v_cmpx_gt_u32_e64 s10, v25
	s_cbranch_execz .LBB542_49
; %bb.48:
	v_lshlrev_b32_e32 v24, 1, v25
	s_delay_alu instid0(VALU_DEP_1) | instskip(NEXT) | instid1(VALU_DEP_1)
	v_add_co_u32 v24, s9, s2, v24
	v_add_co_ci_u32_e64 v25, null, s3, 0, s9
	flat_load_u16 v24, v[24:25]
.LBB542_49:
	s_or_b32 exec_lo, exec_lo, s8
	v_or_b32_e32 v26, 0xb80, v0
	s_mov_b32 s8, exec_lo
                                        ; implicit-def: $vgpr25
	s_delay_alu instid0(VALU_DEP_1)
	v_cmpx_gt_u32_e64 s10, v26
	s_cbranch_execz .LBB542_51
; %bb.50:
	v_lshlrev_b32_e32 v25, 1, v26
	s_delay_alu instid0(VALU_DEP_1) | instskip(NEXT) | instid1(VALU_DEP_1)
	v_add_co_u32 v25, s9, s2, v25
	v_add_co_ci_u32_e64 v26, null, s3, 0, s9
	flat_load_u16 v25, v[25:26]
.LBB542_51:
	s_or_b32 exec_lo, exec_lo, s8
	v_or_b32_e32 v27, 0xc00, v0
	s_mov_b32 s8, exec_lo
                                        ; implicit-def: $vgpr26
	s_delay_alu instid0(VALU_DEP_1)
	v_cmpx_gt_u32_e64 s10, v27
	s_cbranch_execz .LBB542_53
; %bb.52:
	v_lshlrev_b32_e32 v26, 1, v27
	s_delay_alu instid0(VALU_DEP_1) | instskip(NEXT) | instid1(VALU_DEP_1)
	v_add_co_u32 v26, s9, s2, v26
	v_add_co_ci_u32_e64 v27, null, s3, 0, s9
	flat_load_u16 v26, v[26:27]
.LBB542_53:
	s_or_b32 exec_lo, exec_lo, s8
	v_or_b32_e32 v28, 0xc80, v0
	s_mov_b32 s8, exec_lo
                                        ; implicit-def: $vgpr27
	s_delay_alu instid0(VALU_DEP_1)
	v_cmpx_gt_u32_e64 s10, v28
	s_cbranch_execz .LBB542_55
; %bb.54:
	v_lshlrev_b32_e32 v27, 1, v28
	s_delay_alu instid0(VALU_DEP_1) | instskip(NEXT) | instid1(VALU_DEP_1)
	v_add_co_u32 v27, s9, s2, v27
	v_add_co_ci_u32_e64 v28, null, s3, 0, s9
	flat_load_u16 v27, v[27:28]
.LBB542_55:
	s_or_b32 exec_lo, exec_lo, s8
	v_or_b32_e32 v29, 0xd00, v0
	s_mov_b32 s8, exec_lo
                                        ; implicit-def: $vgpr28
	s_delay_alu instid0(VALU_DEP_1)
	v_cmpx_gt_u32_e64 s10, v29
	s_cbranch_execz .LBB542_57
; %bb.56:
	v_lshlrev_b32_e32 v28, 1, v29
	s_delay_alu instid0(VALU_DEP_1) | instskip(NEXT) | instid1(VALU_DEP_1)
	v_add_co_u32 v28, s9, s2, v28
	v_add_co_ci_u32_e64 v29, null, s3, 0, s9
	flat_load_u16 v28, v[28:29]
.LBB542_57:
	s_or_b32 exec_lo, exec_lo, s8
	v_or_b32_e32 v30, 0xd80, v0
	s_mov_b32 s8, exec_lo
                                        ; implicit-def: $vgpr29
	s_delay_alu instid0(VALU_DEP_1)
	v_cmpx_gt_u32_e64 s10, v30
	s_cbranch_execz .LBB542_59
; %bb.58:
	v_lshlrev_b32_e32 v29, 1, v30
	s_delay_alu instid0(VALU_DEP_1) | instskip(NEXT) | instid1(VALU_DEP_1)
	v_add_co_u32 v29, s9, s2, v29
	v_add_co_ci_u32_e64 v30, null, s3, 0, s9
	flat_load_u16 v29, v[29:30]
.LBB542_59:
	s_or_b32 exec_lo, exec_lo, s8
	v_or_b32_e32 v31, 0xe00, v0
	s_mov_b32 s8, exec_lo
                                        ; implicit-def: $vgpr30
	s_delay_alu instid0(VALU_DEP_1)
	v_cmpx_gt_u32_e64 s10, v31
	s_cbranch_execz .LBB542_61
; %bb.60:
	v_lshlrev_b32_e32 v30, 1, v31
	s_delay_alu instid0(VALU_DEP_1) | instskip(NEXT) | instid1(VALU_DEP_1)
	v_add_co_u32 v30, s9, s2, v30
	v_add_co_ci_u32_e64 v31, null, s3, 0, s9
	flat_load_u16 v30, v[30:31]
.LBB542_61:
	s_or_b32 exec_lo, exec_lo, s8
	v_or_b32_e32 v32, 0xe80, v0
	s_mov_b32 s8, exec_lo
                                        ; implicit-def: $vgpr31
	s_delay_alu instid0(VALU_DEP_1)
	v_cmpx_gt_u32_e64 s10, v32
	s_cbranch_execz .LBB542_63
; %bb.62:
	v_lshlrev_b32_e32 v31, 1, v32
	s_delay_alu instid0(VALU_DEP_1) | instskip(NEXT) | instid1(VALU_DEP_1)
	v_add_co_u32 v31, s2, s2, v31
	v_add_co_ci_u32_e64 v32, null, s3, 0, s2
	flat_load_u16 v31, v[31:32]
.LBB542_63:
	s_or_b32 exec_lo, exec_lo, s8
	s_waitcnt vmcnt(0) lgkmcnt(0)
	ds_store_b16 v1, v2
	ds_store_b16 v1, v3 offset:256
	ds_store_b16 v1, v4 offset:512
	;; [unrolled: 1-line block ×29, first 2 shown]
	s_waitcnt lgkmcnt(0)
	s_barrier
.LBB542_64:
	v_mul_u32_u24_e32 v1, 30, v0
	s_waitcnt lgkmcnt(0)
	buffer_gl0_inv
	s_and_not1_b32 vcc_lo, exec_lo, s13
	v_lshlrev_b32_e32 v2, 1, v1
	ds_load_b32 v81, v2 offset:56
	ds_load_2addr_b32 v[9:10], v2 offset0:12 offset1:13
	ds_load_2addr_b32 v[11:12], v2 offset0:10 offset1:11
	ds_load_2addr_b32 v[21:22], v2 offset1:1
	ds_load_2addr_b32 v[19:20], v2 offset0:2 offset1:3
	ds_load_2addr_b32 v[17:18], v2 offset0:4 offset1:5
	;; [unrolled: 1-line block ×4, first 2 shown]
	s_waitcnt lgkmcnt(0)
	s_barrier
	buffer_gl0_inv
	v_lshrrev_b32_e32 v82, 16, v81
	v_lshrrev_b32_e32 v84, 16, v9
	;; [unrolled: 1-line block ×15, first 2 shown]
	s_cbranch_vccnz .LBB542_66
; %bb.65:
	v_mul_lo_u16 v2, 0xaaab, v21
	v_mul_lo_u16 v3, 0xaaab, v96
	;; [unrolled: 1-line block ×4, first 2 shown]
	s_delay_alu instid0(VALU_DEP_4)
	v_cmp_lt_u16_e32 vcc_lo, 0x5555, v2
	v_mul_lo_u16 v2, 0xaaab, v95
	v_cndmask_b32_e64 v98, 0, 1, vcc_lo
	v_cmp_lt_u16_e32 vcc_lo, 0x5555, v3
	v_mul_lo_u16 v3, 0xaaab, v19
	v_cndmask_b32_e64 v97, 0, 1, vcc_lo
	;; [unrolled: 3-line block ×25, first 2 shown]
	v_cmp_lt_u16_e32 vcc_lo, 0x5555, v2
	v_mul_lo_u16 v2, 0xaaab, v83
	s_delay_alu instid0(VALU_DEP_4) | instskip(SKIP_2) | instid1(VALU_DEP_3)
	v_cmp_lt_u16_e64 s2, 0x5555, v4
	v_cndmask_b32_e64 v121, 0, 1, vcc_lo
	v_cmp_lt_u16_e32 vcc_lo, 0x5555, v3
	v_cndmask_b32_e64 v125, 0, 1, s2
	v_cndmask_b32_e64 v124, 0, 1, vcc_lo
	v_cmp_lt_u16_e32 vcc_lo, 0x5555, v2
	v_cndmask_b32_e64 v123, 0, 1, vcc_lo
	v_cmp_lt_u16_e32 vcc_lo, 0x5555, v5
	s_and_b32 s16, vcc_lo, exec_lo
	s_clause 0x1
	s_load_b64 s[8:9], s[0:1], 0x28
	s_load_b64 s[2:3], s[0:1], 0x60
	s_cbranch_execz .LBB542_67
	s_branch .LBB542_128
.LBB542_66:
                                        ; implicit-def: $sgpr16
                                        ; implicit-def: $vgpr98
                                        ; implicit-def: $vgpr97
                                        ; implicit-def: $vgpr100
                                        ; implicit-def: $vgpr99
                                        ; implicit-def: $vgpr102
                                        ; implicit-def: $vgpr101
                                        ; implicit-def: $vgpr104
                                        ; implicit-def: $vgpr103
                                        ; implicit-def: $vgpr106
                                        ; implicit-def: $vgpr105
                                        ; implicit-def: $vgpr108
                                        ; implicit-def: $vgpr107
                                        ; implicit-def: $vgpr110
                                        ; implicit-def: $vgpr109
                                        ; implicit-def: $vgpr112
                                        ; implicit-def: $vgpr111
                                        ; implicit-def: $vgpr114
                                        ; implicit-def: $vgpr113
                                        ; implicit-def: $vgpr116
                                        ; implicit-def: $vgpr115
                                        ; implicit-def: $vgpr118
                                        ; implicit-def: $vgpr117
                                        ; implicit-def: $vgpr120
                                        ; implicit-def: $vgpr119
                                        ; implicit-def: $vgpr122
                                        ; implicit-def: $vgpr121
                                        ; implicit-def: $vgpr124
                                        ; implicit-def: $vgpr123
                                        ; implicit-def: $vgpr125
	s_clause 0x1
	s_load_b64 s[8:9], s[0:1], 0x28
	s_load_b64 s[2:3], s[0:1], 0x60
.LBB542_67:
	v_dual_mov_b32 v97, 0 :: v_dual_mov_b32 v98, 0
	s_mov_b32 s0, exec_lo
	v_cmpx_gt_u32_e64 s10, v1
; %bb.68:
	v_mul_lo_u16 v2, 0xaaab, v21
	s_delay_alu instid0(VALU_DEP_1)
	v_cmp_lt_u16_e32 vcc_lo, 0x5555, v2
	v_cndmask_b32_e64 v98, 0, 1, vcc_lo
; %bb.69:
	s_or_b32 exec_lo, exec_lo, s0
	v_or_b32_e32 v2, 1, v1
	s_mov_b32 s0, exec_lo
	s_delay_alu instid0(VALU_DEP_1)
	v_cmpx_gt_u32_e64 s10, v2
; %bb.70:
	v_mul_lo_u16 v2, 0xaaab, v96
	s_delay_alu instid0(VALU_DEP_1)
	v_cmp_lt_u16_e32 vcc_lo, 0x5555, v2
	v_cndmask_b32_e64 v97, 0, 1, vcc_lo
; %bb.71:
	s_or_b32 exec_lo, exec_lo, s0
	v_dual_mov_b32 v99, 0 :: v_dual_add_nc_u32 v2, 2, v1
	v_mov_b32_e32 v100, 0
	s_mov_b32 s0, exec_lo
	s_delay_alu instid0(VALU_DEP_2)
	v_cmpx_gt_u32_e64 s10, v2
; %bb.72:
	v_mul_lo_u16 v2, 0xaaab, v22
	s_delay_alu instid0(VALU_DEP_1)
	v_cmp_lt_u16_e32 vcc_lo, 0x5555, v2
	v_cndmask_b32_e64 v100, 0, 1, vcc_lo
; %bb.73:
	s_or_b32 exec_lo, exec_lo, s0
	v_add_nc_u32_e32 v2, 3, v1
	s_mov_b32 s0, exec_lo
	s_delay_alu instid0(VALU_DEP_1)
	v_cmpx_gt_u32_e64 s10, v2
; %bb.74:
	v_mul_lo_u16 v2, 0xaaab, v95
	s_delay_alu instid0(VALU_DEP_1)
	v_cmp_lt_u16_e32 vcc_lo, 0x5555, v2
	v_cndmask_b32_e64 v99, 0, 1, vcc_lo
; %bb.75:
	s_or_b32 exec_lo, exec_lo, s0
	v_dual_mov_b32 v101, 0 :: v_dual_add_nc_u32 v2, 4, v1
	v_mov_b32_e32 v102, 0
	s_mov_b32 s0, exec_lo
	s_delay_alu instid0(VALU_DEP_2)
	v_cmpx_gt_u32_e64 s10, v2
; %bb.76:
	v_mul_lo_u16 v2, 0xaaab, v19
	s_delay_alu instid0(VALU_DEP_1)
	v_cmp_lt_u16_e32 vcc_lo, 0x5555, v2
	v_cndmask_b32_e64 v102, 0, 1, vcc_lo
; %bb.77:
	s_or_b32 exec_lo, exec_lo, s0
	v_add_nc_u32_e32 v2, 5, v1
	;; [unrolled: 23-line block ×13, first 2 shown]
	s_mov_b32 s0, exec_lo
	s_delay_alu instid0(VALU_DEP_1)
	v_cmpx_gt_u32_e64 s10, v2
; %bb.122:
	v_mul_lo_u16 v2, 0xaaab, v83
	s_delay_alu instid0(VALU_DEP_1)
	v_cmp_lt_u16_e32 vcc_lo, 0x5555, v2
	v_cndmask_b32_e64 v123, 0, 1, vcc_lo
; %bb.123:
	s_or_b32 exec_lo, exec_lo, s0
	v_dual_mov_b32 v125, 0 :: v_dual_add_nc_u32 v2, 28, v1
	s_mov_b32 s0, exec_lo
	s_delay_alu instid0(VALU_DEP_1)
	v_cmpx_gt_u32_e64 s10, v2
; %bb.124:
	v_mul_lo_u16 v2, 0xaaab, v81
	s_delay_alu instid0(VALU_DEP_1)
	v_cmp_lt_u16_e32 vcc_lo, 0x5555, v2
	v_cndmask_b32_e64 v125, 0, 1, vcc_lo
; %bb.125:
	s_or_b32 exec_lo, exec_lo, s0
	v_add_nc_u32_e32 v1, 29, v1
	s_mov_b32 s16, 0
	s_mov_b32 s0, exec_lo
	s_delay_alu instid0(VALU_DEP_1)
	v_cmpx_gt_u32_e64 s10, v1
; %bb.126:
	v_mul_lo_u16 v1, 0xaaab, v82
	s_delay_alu instid0(VALU_DEP_1)
	v_cmp_lt_u16_e32 vcc_lo, 0x5555, v1
	s_and_b32 s16, vcc_lo, exec_lo
; %bb.127:
	s_or_b32 exec_lo, exec_lo, s0
.LBB542_128:
	v_dual_mov_b32 v2, 0 :: v_dual_and_b32 v79, 0xff, v125
	v_cndmask_b32_e64 v1, 0, 1, s16
	v_and_b32_e32 v80, 0xff, v123
	v_and_b32_e32 v126, 0xff, v124
	;; [unrolled: 1-line block ×4, first 2 shown]
	v_add_co_u32 v1, s0, v79, v1
	s_delay_alu instid0(VALU_DEP_1) | instskip(SKIP_1) | instid1(VALU_DEP_3)
	v_add_co_ci_u32_e64 v3, null, 0, 0, s0
	v_and_b32_e32 v129, 0xff, v119
	v_add_co_u32 v1, vcc_lo, v1, v80
	s_delay_alu instid0(VALU_DEP_3) | instskip(SKIP_1) | instid1(VALU_DEP_3)
	v_add_co_ci_u32_e32 v3, vcc_lo, 0, v3, vcc_lo
	v_and_b32_e32 v31, 0xff, v120
	v_add_co_u32 v1, vcc_lo, v1, v126
	s_delay_alu instid0(VALU_DEP_3) | instskip(SKIP_1) | instid1(VALU_DEP_3)
	v_add_co_ci_u32_e32 v3, vcc_lo, 0, v3, vcc_lo
	;; [unrolled: 4-line block ×23, first 2 shown]
	v_mbcnt_lo_u32_b32 v54, -1, 0
	v_add_co_u32 v1, vcc_lo, v1, v50
	s_delay_alu instid0(VALU_DEP_3) | instskip(SKIP_1) | instid1(VALU_DEP_3)
	v_add_co_ci_u32_e32 v3, vcc_lo, 0, v3, vcc_lo
	v_and_b32_e32 v42, 0xff, v98
	v_add_co_u32 v1, vcc_lo, v1, v51
	s_delay_alu instid0(VALU_DEP_3) | instskip(SKIP_1) | instid1(VALU_DEP_3)
	v_add_co_ci_u32_e32 v3, vcc_lo, 0, v3, vcc_lo
	v_and_b32_e32 v55, 15, v54
	v_add_co_u32 v1, vcc_lo, v1, v52
	s_delay_alu instid0(VALU_DEP_3) | instskip(NEXT) | instid1(VALU_DEP_3)
	v_add_co_ci_u32_e32 v3, vcc_lo, 0, v3, vcc_lo
	v_cmp_ne_u32_e64 s0, 0, v55
	s_delay_alu instid0(VALU_DEP_3) | instskip(NEXT) | instid1(VALU_DEP_3)
	v_add_co_u32 v1, vcc_lo, v1, v53
	v_add_co_ci_u32_e32 v3, vcc_lo, 0, v3, vcc_lo
	s_cmp_lg_u32 s15, 0
	s_delay_alu instid0(VALU_DEP_2) | instskip(NEXT) | instid1(VALU_DEP_2)
	v_add_co_u32 v23, vcc_lo, v1, v42
	v_add_co_ci_u32_e32 v24, vcc_lo, 0, v3, vcc_lo
	s_mov_b32 s1, -1
	s_cbranch_scc0 .LBB542_193
; %bb.129:
	s_delay_alu instid0(VALU_DEP_2)
	v_mov_b32_e32 v3, v23
	v_mov_b32_dpp v1, v23 row_shr:1 row_mask:0xf bank_mask:0xf
	v_mov_b32_dpp v6, v2 row_shr:1 row_mask:0xf bank_mask:0xf
	v_dual_mov_b32 v5, v23 :: v_dual_mov_b32 v4, v24
	s_and_saveexec_b32 s1, s0
; %bb.130:
	s_delay_alu instid0(VALU_DEP_3) | instskip(SKIP_1) | instid1(VALU_DEP_2)
	v_add_co_u32 v5, vcc_lo, v23, v1
	v_add_co_ci_u32_e32 v2, vcc_lo, 0, v24, vcc_lo
	v_add_co_u32 v1, vcc_lo, 0, v5
	s_delay_alu instid0(VALU_DEP_2) | instskip(NEXT) | instid1(VALU_DEP_1)
	v_add_co_ci_u32_e32 v2, vcc_lo, v6, v2, vcc_lo
	v_dual_mov_b32 v4, v2 :: v_dual_mov_b32 v3, v1
; %bb.131:
	s_or_b32 exec_lo, exec_lo, s1
	v_mov_b32_dpp v1, v5 row_shr:2 row_mask:0xf bank_mask:0xf
	v_mov_b32_dpp v6, v2 row_shr:2 row_mask:0xf bank_mask:0xf
	s_mov_b32 s1, exec_lo
	v_cmpx_lt_u32_e32 1, v55
; %bb.132:
	s_delay_alu instid0(VALU_DEP_3) | instskip(SKIP_1) | instid1(VALU_DEP_2)
	v_add_co_u32 v5, vcc_lo, v3, v1
	v_add_co_ci_u32_e32 v2, vcc_lo, 0, v4, vcc_lo
	v_add_co_u32 v1, vcc_lo, 0, v5
	s_delay_alu instid0(VALU_DEP_2) | instskip(NEXT) | instid1(VALU_DEP_1)
	v_add_co_ci_u32_e32 v2, vcc_lo, v6, v2, vcc_lo
	v_dual_mov_b32 v4, v2 :: v_dual_mov_b32 v3, v1
; %bb.133:
	s_or_b32 exec_lo, exec_lo, s1
	v_mov_b32_dpp v1, v5 row_shr:4 row_mask:0xf bank_mask:0xf
	v_mov_b32_dpp v6, v2 row_shr:4 row_mask:0xf bank_mask:0xf
	s_mov_b32 s1, exec_lo
	v_cmpx_lt_u32_e32 3, v55
	;; [unrolled: 14-line block ×3, first 2 shown]
; %bb.136:
	s_delay_alu instid0(VALU_DEP_3) | instskip(SKIP_1) | instid1(VALU_DEP_2)
	v_add_co_u32 v5, vcc_lo, v3, v6
	v_add_co_ci_u32_e32 v2, vcc_lo, 0, v4, vcc_lo
	v_add_co_u32 v3, vcc_lo, 0, v5
	s_delay_alu instid0(VALU_DEP_2) | instskip(NEXT) | instid1(VALU_DEP_1)
	v_add_co_ci_u32_e32 v4, vcc_lo, v1, v2, vcc_lo
	v_mov_b32_e32 v2, v4
; %bb.137:
	s_or_b32 exec_lo, exec_lo, s1
	ds_swizzle_b32 v1, v5 offset:swizzle(BROADCAST,32,15)
	ds_swizzle_b32 v6, v2 offset:swizzle(BROADCAST,32,15)
	v_and_b32_e32 v7, 16, v54
	s_mov_b32 s1, exec_lo
	s_delay_alu instid0(VALU_DEP_1)
	v_cmpx_ne_u32_e32 0, v7
	s_cbranch_execz .LBB542_139
; %bb.138:
	s_waitcnt lgkmcnt(0)
	v_add_co_u32 v5, vcc_lo, v3, v1
	v_add_co_ci_u32_e32 v2, vcc_lo, 0, v4, vcc_lo
	s_delay_alu instid0(VALU_DEP_2) | instskip(NEXT) | instid1(VALU_DEP_2)
	v_add_co_u32 v1, vcc_lo, 0, v5
	v_add_co_ci_u32_e32 v2, vcc_lo, v6, v2, vcc_lo
	s_delay_alu instid0(VALU_DEP_1)
	v_dual_mov_b32 v4, v2 :: v_dual_mov_b32 v3, v1
.LBB542_139:
	s_or_b32 exec_lo, exec_lo, s1
	s_waitcnt lgkmcnt(0)
	v_or_b32_e32 v6, 31, v0
	v_lshrrev_b32_e32 v1, 5, v0
	s_mov_b32 s1, exec_lo
	s_delay_alu instid0(VALU_DEP_2)
	v_cmpx_eq_u32_e64 v6, v0
	s_cbranch_execz .LBB542_141
; %bb.140:
	s_delay_alu instid0(VALU_DEP_2)
	v_lshlrev_b32_e32 v6, 3, v1
	ds_store_b64 v6, v[3:4]
.LBB542_141:
	s_or_b32 exec_lo, exec_lo, s1
	s_delay_alu instid0(SALU_CYCLE_1)
	s_mov_b32 s1, exec_lo
	s_waitcnt lgkmcnt(0)
	s_barrier
	buffer_gl0_inv
	v_cmpx_gt_u32_e32 4, v0
	s_cbranch_execz .LBB542_147
; %bb.142:
	v_lshlrev_b32_e32 v6, 3, v0
	s_mov_b32 s10, exec_lo
	ds_load_b64 v[3:4], v6
	s_waitcnt lgkmcnt(0)
	v_dual_mov_b32 v8, v3 :: v_dual_and_b32 v7, 3, v54
	v_mov_b32_dpp v26, v3 row_shr:1 row_mask:0xf bank_mask:0xf
	v_mov_b32_dpp v25, v4 row_shr:1 row_mask:0xf bank_mask:0xf
	s_delay_alu instid0(VALU_DEP_3)
	v_cmpx_ne_u32_e32 0, v7
; %bb.143:
	s_delay_alu instid0(VALU_DEP_3) | instskip(SKIP_1) | instid1(VALU_DEP_2)
	v_add_co_u32 v8, vcc_lo, v3, v26
	v_add_co_ci_u32_e32 v4, vcc_lo, 0, v4, vcc_lo
	v_add_co_u32 v3, vcc_lo, 0, v8
	s_delay_alu instid0(VALU_DEP_2)
	v_add_co_ci_u32_e32 v4, vcc_lo, v25, v4, vcc_lo
; %bb.144:
	s_or_b32 exec_lo, exec_lo, s10
	v_mov_b32_dpp v25, v8 row_shr:2 row_mask:0xf bank_mask:0xf
	s_delay_alu instid0(VALU_DEP_2)
	v_mov_b32_dpp v8, v4 row_shr:2 row_mask:0xf bank_mask:0xf
	s_mov_b32 s10, exec_lo
	v_cmpx_lt_u32_e32 1, v7
; %bb.145:
	s_delay_alu instid0(VALU_DEP_3) | instskip(SKIP_1) | instid1(VALU_DEP_2)
	v_add_co_u32 v3, vcc_lo, v3, v25
	v_add_co_ci_u32_e32 v4, vcc_lo, 0, v4, vcc_lo
	v_add_co_u32 v3, vcc_lo, v3, 0
	s_delay_alu instid0(VALU_DEP_2)
	v_add_co_ci_u32_e32 v4, vcc_lo, v4, v8, vcc_lo
; %bb.146:
	s_or_b32 exec_lo, exec_lo, s10
	ds_store_b64 v6, v[3:4]
.LBB542_147:
	s_or_b32 exec_lo, exec_lo, s1
	v_cmp_gt_u32_e32 vcc_lo, 32, v0
	s_mov_b32 s10, exec_lo
	s_waitcnt lgkmcnt(0)
	s_barrier
	buffer_gl0_inv
                                        ; implicit-def: $vgpr25_vgpr26
	v_cmpx_lt_u32_e32 31, v0
	s_cbranch_execz .LBB542_149
; %bb.148:
	v_lshl_add_u32 v1, v1, 3, -8
	ds_load_b64 v[25:26], v1
	s_waitcnt lgkmcnt(0)
	v_add_co_u32 v5, s1, v5, v25
	s_delay_alu instid0(VALU_DEP_1)
	v_add_co_ci_u32_e64 v2, s1, v2, v26, s1
.LBB542_149:
	s_or_b32 exec_lo, exec_lo, s10
	v_add_nc_u32_e32 v1, -1, v54
	s_delay_alu instid0(VALU_DEP_1) | instskip(NEXT) | instid1(VALU_DEP_1)
	v_cmp_gt_i32_e64 s1, 0, v1
	v_cndmask_b32_e64 v1, v1, v54, s1
	v_cmp_eq_u32_e64 s1, 0, v54
	s_delay_alu instid0(VALU_DEP_2)
	v_lshlrev_b32_e32 v1, 2, v1
	ds_bpermute_b32 v56, v1, v5
	ds_bpermute_b32 v57, v1, v2
	s_and_saveexec_b32 s10, vcc_lo
	s_cbranch_execz .LBB542_192
; %bb.150:
	v_mov_b32_e32 v4, 0
	ds_load_b64 v[1:2], v4 offset:24
	s_and_saveexec_b32 s11, s1
	s_cbranch_execz .LBB542_152
; %bb.151:
	s_add_i32 s18, s15, 32
	s_mov_b32 s19, 0
	s_delay_alu instid0(SALU_CYCLE_1) | instskip(NEXT) | instid1(SALU_CYCLE_1)
	s_lshl_b64 s[18:19], s[18:19], 4
	s_add_u32 s18, s2, s18
	s_addc_u32 s19, s3, s19
	v_mov_b32_e32 v5, s18
	v_dual_mov_b32 v3, 1 :: v_dual_mov_b32 v6, s19
	s_waitcnt lgkmcnt(0)
	;;#ASMSTART
	global_store_dwordx4 v[5:6], v[1:4] off	
s_waitcnt vmcnt(0)
	;;#ASMEND
.LBB542_152:
	s_or_b32 exec_lo, exec_lo, s11
	v_xad_u32 v27, v54, -1, s15
	s_mov_b32 s17, 0
	s_mov_b32 s11, exec_lo
	s_delay_alu instid0(VALU_DEP_1) | instskip(NEXT) | instid1(VALU_DEP_1)
	v_add_nc_u32_e32 v3, 32, v27
	v_lshlrev_b64 v[3:4], 4, v[3:4]
	s_delay_alu instid0(VALU_DEP_1) | instskip(NEXT) | instid1(VALU_DEP_2)
	v_add_co_u32 v3, vcc_lo, s2, v3
	v_add_co_ci_u32_e32 v4, vcc_lo, s3, v4, vcc_lo
	;;#ASMSTART
	global_load_dwordx4 v[5:8], v[3:4] off glc	
s_waitcnt vmcnt(0)
	;;#ASMEND
	v_and_b32_e32 v8, 0xff, v6
	v_and_b32_e32 v28, 0xff00, v6
	v_or3_b32 v5, v5, 0, 0
	v_and_b32_e32 v29, 0xff000000, v6
	v_and_b32_e32 v6, 0xff0000, v6
	s_delay_alu instid0(VALU_DEP_4) | instskip(SKIP_2) | instid1(VALU_DEP_3)
	v_or3_b32 v8, 0, v8, v28
	v_and_b32_e32 v28, 0xff, v7
	v_or3_b32 v5, v5, 0, 0
	v_or3_b32 v6, v8, v6, v29
	s_delay_alu instid0(VALU_DEP_3)
	v_cmpx_eq_u16_e32 0, v28
	s_cbranch_execz .LBB542_158
; %bb.153:
	s_mov_b32 s18, 1
	.p2align	6
.LBB542_154:                            ; =>This Loop Header: Depth=1
                                        ;     Child Loop BB542_155 Depth 2
	s_delay_alu instid0(SALU_CYCLE_1)
	s_max_u32 s19, s18, 1
.LBB542_155:                            ;   Parent Loop BB542_154 Depth=1
                                        ; =>  This Inner Loop Header: Depth=2
	s_delay_alu instid0(SALU_CYCLE_1)
	s_add_i32 s19, s19, -1
	s_sleep 1
	s_cmp_eq_u32 s19, 0
	s_cbranch_scc0 .LBB542_155
; %bb.156:                              ;   in Loop: Header=BB542_154 Depth=1
	;;#ASMSTART
	global_load_dwordx4 v[5:8], v[3:4] off glc	
s_waitcnt vmcnt(0)
	;;#ASMEND
	v_and_b32_e32 v8, 0xff, v7
	s_cmp_lt_u32 s18, 32
	s_cselect_b32 s19, -1, 0
	s_delay_alu instid0(SALU_CYCLE_1) | instskip(NEXT) | instid1(VALU_DEP_1)
	s_cmp_lg_u32 s19, 0
	v_cmp_ne_u16_e32 vcc_lo, 0, v8
	s_addc_u32 s18, s18, 0
	s_or_b32 s17, vcc_lo, s17
	s_delay_alu instid0(SALU_CYCLE_1)
	s_and_not1_b32 exec_lo, exec_lo, s17
	s_cbranch_execnz .LBB542_154
; %bb.157:
	s_or_b32 exec_lo, exec_lo, s17
.LBB542_158:
	s_delay_alu instid0(SALU_CYCLE_1)
	s_or_b32 exec_lo, exec_lo, s11
	v_cmp_ne_u32_e32 vcc_lo, 31, v54
	v_and_b32_e32 v4, 0xff, v7
	v_lshlrev_b32_e64 v59, v54, -1
	s_mov_b32 s11, exec_lo
	v_add_co_ci_u32_e32 v3, vcc_lo, 0, v54, vcc_lo
	s_delay_alu instid0(VALU_DEP_3) | instskip(SKIP_1) | instid1(VALU_DEP_3)
	v_cmp_eq_u16_e32 vcc_lo, 2, v4
	v_mov_b32_e32 v4, v5
	v_lshlrev_b32_e32 v58, 2, v3
	v_and_or_b32 v3, vcc_lo, v59, 0x80000000
	ds_bpermute_b32 v28, v58, v5
	ds_bpermute_b32 v8, v58, v6
	v_ctz_i32_b32_e32 v3, v3
	s_delay_alu instid0(VALU_DEP_1)
	v_cmpx_lt_u32_e64 v54, v3
	s_cbranch_execz .LBB542_160
; %bb.159:
	s_waitcnt lgkmcnt(1)
	v_add_co_u32 v4, vcc_lo, v5, v28
	v_add_co_ci_u32_e32 v6, vcc_lo, 0, v6, vcc_lo
	s_delay_alu instid0(VALU_DEP_2) | instskip(SKIP_1) | instid1(VALU_DEP_2)
	v_add_co_u32 v5, vcc_lo, 0, v4
	s_waitcnt lgkmcnt(0)
	v_add_co_ci_u32_e32 v6, vcc_lo, v8, v6, vcc_lo
.LBB542_160:
	s_or_b32 exec_lo, exec_lo, s11
	v_cmp_gt_u32_e32 vcc_lo, 30, v54
	v_add_nc_u32_e32 v61, 2, v54
	s_mov_b32 s11, exec_lo
	s_waitcnt lgkmcnt(0)
	v_cndmask_b32_e64 v8, 0, 1, vcc_lo
	s_delay_alu instid0(VALU_DEP_1) | instskip(NEXT) | instid1(VALU_DEP_1)
	v_lshlrev_b32_e32 v8, 1, v8
	v_add_lshl_u32 v60, v8, v54, 2
	ds_bpermute_b32 v28, v60, v4
	ds_bpermute_b32 v8, v60, v6
	v_cmpx_le_u32_e64 v61, v3
	s_cbranch_execz .LBB542_162
; %bb.161:
	s_waitcnt lgkmcnt(1)
	v_add_co_u32 v4, vcc_lo, v5, v28
	v_add_co_ci_u32_e32 v6, vcc_lo, 0, v6, vcc_lo
	s_delay_alu instid0(VALU_DEP_2) | instskip(SKIP_1) | instid1(VALU_DEP_2)
	v_add_co_u32 v5, vcc_lo, 0, v4
	s_waitcnt lgkmcnt(0)
	v_add_co_ci_u32_e32 v6, vcc_lo, v8, v6, vcc_lo
.LBB542_162:
	s_or_b32 exec_lo, exec_lo, s11
	v_cmp_gt_u32_e32 vcc_lo, 28, v54
	v_add_nc_u32_e32 v63, 4, v54
	s_mov_b32 s11, exec_lo
	s_waitcnt lgkmcnt(0)
	v_cndmask_b32_e64 v8, 0, 1, vcc_lo
	s_delay_alu instid0(VALU_DEP_1) | instskip(NEXT) | instid1(VALU_DEP_1)
	v_lshlrev_b32_e32 v8, 2, v8
	v_add_lshl_u32 v62, v8, v54, 2
	ds_bpermute_b32 v28, v62, v4
	ds_bpermute_b32 v8, v62, v6
	v_cmpx_le_u32_e64 v63, v3
	;; [unrolled: 22-line block ×4, first 2 shown]
	s_cbranch_execz .LBB542_168
; %bb.167:
	s_waitcnt lgkmcnt(1)
	v_add_co_u32 v3, vcc_lo, v5, v8
	v_add_co_ci_u32_e32 v6, vcc_lo, 0, v6, vcc_lo
	s_delay_alu instid0(VALU_DEP_2) | instskip(SKIP_1) | instid1(VALU_DEP_2)
	v_add_co_u32 v5, vcc_lo, v3, 0
	s_waitcnt lgkmcnt(0)
	v_add_co_ci_u32_e32 v6, vcc_lo, v6, v4, vcc_lo
.LBB542_168:
	s_or_b32 exec_lo, exec_lo, s11
	v_mov_b32_e32 v28, 0
	s_branch .LBB542_170
.LBB542_169:                            ;   in Loop: Header=BB542_170 Depth=1
	s_or_b32 exec_lo, exec_lo, s11
	v_add_co_u32 v5, vcc_lo, v5, v3
	v_subrev_nc_u32_e32 v27, 32, v27
	v_add_co_ci_u32_e32 v6, vcc_lo, v6, v4, vcc_lo
.LBB542_170:                            ; =>This Loop Header: Depth=1
                                        ;     Child Loop BB542_173 Depth 2
                                        ;       Child Loop BB542_174 Depth 3
	v_and_b32_e32 v3, 0xff, v7
	s_delay_alu instid0(VALU_DEP_1) | instskip(SKIP_2) | instid1(VALU_DEP_1)
	v_cmp_ne_u16_e32 vcc_lo, 2, v3
	v_cndmask_b32_e64 v3, 0, 1, vcc_lo
	;;#ASMSTART
	;;#ASMEND
	v_cmp_ne_u32_e32 vcc_lo, 0, v3
	s_waitcnt lgkmcnt(0)
	v_dual_mov_b32 v3, v5 :: v_dual_mov_b32 v4, v6
	s_cmp_lg_u32 vcc_lo, exec_lo
	s_cbranch_scc1 .LBB542_187
; %bb.171:                              ;   in Loop: Header=BB542_170 Depth=1
	v_lshlrev_b64 v[5:6], 4, v[27:28]
	s_mov_b32 s11, exec_lo
	s_delay_alu instid0(VALU_DEP_1) | instskip(NEXT) | instid1(VALU_DEP_2)
	v_add_co_u32 v29, vcc_lo, s2, v5
	v_add_co_ci_u32_e32 v30, vcc_lo, s3, v6, vcc_lo
	;;#ASMSTART
	global_load_dwordx4 v[5:8], v[29:30] off glc	
s_waitcnt vmcnt(0)
	;;#ASMEND
	v_and_b32_e32 v8, 0xff, v6
	v_and_b32_e32 v68, 0xff00, v6
	v_or3_b32 v5, v5, 0, 0
	v_and_b32_e32 v69, 0xff000000, v6
	v_and_b32_e32 v6, 0xff0000, v6
	s_delay_alu instid0(VALU_DEP_4) | instskip(SKIP_2) | instid1(VALU_DEP_3)
	v_or3_b32 v8, 0, v8, v68
	v_and_b32_e32 v68, 0xff, v7
	v_or3_b32 v5, v5, 0, 0
	v_or3_b32 v6, v8, v6, v69
	s_delay_alu instid0(VALU_DEP_3)
	v_cmpx_eq_u16_e32 0, v68
	s_cbranch_execz .LBB542_177
; %bb.172:                              ;   in Loop: Header=BB542_170 Depth=1
	s_mov_b32 s18, 1
	s_mov_b32 s17, 0
	.p2align	6
.LBB542_173:                            ;   Parent Loop BB542_170 Depth=1
                                        ; =>  This Loop Header: Depth=2
                                        ;       Child Loop BB542_174 Depth 3
	s_max_u32 s19, s18, 1
.LBB542_174:                            ;   Parent Loop BB542_170 Depth=1
                                        ;     Parent Loop BB542_173 Depth=2
                                        ; =>    This Inner Loop Header: Depth=3
	s_delay_alu instid0(SALU_CYCLE_1)
	s_add_i32 s19, s19, -1
	s_sleep 1
	s_cmp_eq_u32 s19, 0
	s_cbranch_scc0 .LBB542_174
; %bb.175:                              ;   in Loop: Header=BB542_173 Depth=2
	;;#ASMSTART
	global_load_dwordx4 v[5:8], v[29:30] off glc	
s_waitcnt vmcnt(0)
	;;#ASMEND
	v_and_b32_e32 v8, 0xff, v7
	s_cmp_lt_u32 s18, 32
	s_cselect_b32 s19, -1, 0
	s_delay_alu instid0(SALU_CYCLE_1) | instskip(NEXT) | instid1(VALU_DEP_1)
	s_cmp_lg_u32 s19, 0
	v_cmp_ne_u16_e32 vcc_lo, 0, v8
	s_addc_u32 s18, s18, 0
	s_or_b32 s17, vcc_lo, s17
	s_delay_alu instid0(SALU_CYCLE_1)
	s_and_not1_b32 exec_lo, exec_lo, s17
	s_cbranch_execnz .LBB542_173
; %bb.176:                              ;   in Loop: Header=BB542_170 Depth=1
	s_or_b32 exec_lo, exec_lo, s17
.LBB542_177:                            ;   in Loop: Header=BB542_170 Depth=1
	s_delay_alu instid0(SALU_CYCLE_1)
	s_or_b32 exec_lo, exec_lo, s11
	v_dual_mov_b32 v29, v5 :: v_dual_and_b32 v8, 0xff, v7
	ds_bpermute_b32 v68, v58, v5
	ds_bpermute_b32 v30, v58, v6
	s_mov_b32 s11, exec_lo
	v_cmp_eq_u16_e32 vcc_lo, 2, v8
	v_and_or_b32 v8, vcc_lo, v59, 0x80000000
	s_delay_alu instid0(VALU_DEP_1) | instskip(NEXT) | instid1(VALU_DEP_1)
	v_ctz_i32_b32_e32 v8, v8
	v_cmpx_lt_u32_e64 v54, v8
	s_cbranch_execz .LBB542_179
; %bb.178:                              ;   in Loop: Header=BB542_170 Depth=1
	s_waitcnt lgkmcnt(1)
	v_add_co_u32 v29, vcc_lo, v5, v68
	v_add_co_ci_u32_e32 v6, vcc_lo, 0, v6, vcc_lo
	s_delay_alu instid0(VALU_DEP_2) | instskip(SKIP_1) | instid1(VALU_DEP_2)
	v_add_co_u32 v5, vcc_lo, 0, v29
	s_waitcnt lgkmcnt(0)
	v_add_co_ci_u32_e32 v6, vcc_lo, v30, v6, vcc_lo
.LBB542_179:                            ;   in Loop: Header=BB542_170 Depth=1
	s_or_b32 exec_lo, exec_lo, s11
	s_waitcnt lgkmcnt(1)
	ds_bpermute_b32 v68, v60, v29
	s_waitcnt lgkmcnt(1)
	ds_bpermute_b32 v30, v60, v6
	s_mov_b32 s11, exec_lo
	v_cmpx_le_u32_e64 v61, v8
	s_cbranch_execz .LBB542_181
; %bb.180:                              ;   in Loop: Header=BB542_170 Depth=1
	s_waitcnt lgkmcnt(1)
	v_add_co_u32 v29, vcc_lo, v5, v68
	v_add_co_ci_u32_e32 v6, vcc_lo, 0, v6, vcc_lo
	s_delay_alu instid0(VALU_DEP_2) | instskip(SKIP_1) | instid1(VALU_DEP_2)
	v_add_co_u32 v5, vcc_lo, 0, v29
	s_waitcnt lgkmcnt(0)
	v_add_co_ci_u32_e32 v6, vcc_lo, v30, v6, vcc_lo
.LBB542_181:                            ;   in Loop: Header=BB542_170 Depth=1
	s_or_b32 exec_lo, exec_lo, s11
	s_waitcnt lgkmcnt(1)
	ds_bpermute_b32 v68, v62, v29
	s_waitcnt lgkmcnt(1)
	ds_bpermute_b32 v30, v62, v6
	s_mov_b32 s11, exec_lo
	v_cmpx_le_u32_e64 v63, v8
	;; [unrolled: 17-line block ×3, first 2 shown]
	s_cbranch_execz .LBB542_185
; %bb.184:                              ;   in Loop: Header=BB542_170 Depth=1
	s_waitcnt lgkmcnt(1)
	v_add_co_u32 v29, vcc_lo, v5, v68
	v_add_co_ci_u32_e32 v6, vcc_lo, 0, v6, vcc_lo
	s_delay_alu instid0(VALU_DEP_2) | instskip(SKIP_1) | instid1(VALU_DEP_2)
	v_add_co_u32 v5, vcc_lo, 0, v29
	s_waitcnt lgkmcnt(0)
	v_add_co_ci_u32_e32 v6, vcc_lo, v30, v6, vcc_lo
.LBB542_185:                            ;   in Loop: Header=BB542_170 Depth=1
	s_or_b32 exec_lo, exec_lo, s11
	s_waitcnt lgkmcnt(0)
	ds_bpermute_b32 v30, v66, v29
	ds_bpermute_b32 v29, v66, v6
	s_mov_b32 s11, exec_lo
	v_cmpx_le_u32_e64 v67, v8
	s_cbranch_execz .LBB542_169
; %bb.186:                              ;   in Loop: Header=BB542_170 Depth=1
	s_waitcnt lgkmcnt(1)
	v_add_co_u32 v5, vcc_lo, v5, v30
	v_add_co_ci_u32_e32 v6, vcc_lo, 0, v6, vcc_lo
	s_delay_alu instid0(VALU_DEP_2) | instskip(SKIP_1) | instid1(VALU_DEP_2)
	v_add_co_u32 v5, vcc_lo, v5, 0
	s_waitcnt lgkmcnt(0)
	v_add_co_ci_u32_e32 v6, vcc_lo, v6, v29, vcc_lo
	s_branch .LBB542_169
.LBB542_187:                            ;   in Loop: Header=BB542_170 Depth=1
                                        ; implicit-def: $vgpr5_vgpr6
	s_cbranch_execz .LBB542_170
; %bb.188:
	s_and_saveexec_b32 s11, s1
	s_cbranch_execz .LBB542_190
; %bb.189:
	s_add_i32 s18, s15, 32
	s_mov_b32 s19, 0
	v_add_co_u32 v5, vcc_lo, v3, v1
	s_lshl_b64 s[18:19], s[18:19], 4
	v_dual_mov_b32 v7, 2 :: v_dual_mov_b32 v8, 0
	s_add_u32 s18, s2, s18
	s_addc_u32 s19, s3, s19
	v_add_co_ci_u32_e32 v6, vcc_lo, v4, v2, vcc_lo
	v_dual_mov_b32 v28, s19 :: v_dual_mov_b32 v27, s18
	;;#ASMSTART
	global_store_dwordx4 v[27:28], v[5:8] off	
s_waitcnt vmcnt(0)
	;;#ASMEND
	ds_store_b128 v8, v[1:4] offset:7680
.LBB542_190:
	s_or_b32 exec_lo, exec_lo, s11
	v_cmp_eq_u32_e32 vcc_lo, 0, v0
	s_and_b32 exec_lo, exec_lo, vcc_lo
	s_cbranch_execz .LBB542_192
; %bb.191:
	v_mov_b32_e32 v1, 0
	ds_store_b64 v1, v[3:4] offset:24
.LBB542_192:
	s_or_b32 exec_lo, exec_lo, s10
	s_waitcnt lgkmcnt(0)
	v_cndmask_b32_e64 v8, v57, v26, s1
	v_cmp_ne_u32_e32 vcc_lo, 0, v0
	v_mov_b32_e32 v3, 0
	s_barrier
	buffer_gl0_inv
	v_cndmask_b32_e32 v8, 0, v8, vcc_lo
	ds_load_b64 v[1:2], v3 offset:24
	s_waitcnt lgkmcnt(0)
	s_barrier
	buffer_gl0_inv
	ds_load_b128 v[4:7], v3 offset:7680
	v_cndmask_b32_e64 v3, v56, v25, s1
	s_delay_alu instid0(VALU_DEP_1) | instskip(NEXT) | instid1(VALU_DEP_1)
	v_cndmask_b32_e32 v3, 0, v3, vcc_lo
	v_add_co_u32 v67, vcc_lo, v1, v3
	v_add_co_ci_u32_e32 v68, vcc_lo, v2, v8, vcc_lo
	s_waitcnt lgkmcnt(0)
	v_readfirstlane_b32 s11, v7
	v_readfirstlane_b32 s10, v6
	s_branch .LBB542_217
.LBB542_193:
                                        ; implicit-def: $sgpr10_sgpr11
                                        ; implicit-def: $vgpr4_vgpr5
                                        ; implicit-def: $vgpr67_vgpr68
	s_and_b32 vcc_lo, exec_lo, s1
	s_cbranch_vccz .LBB542_217
; %bb.194:
	v_dual_mov_b32 v2, 0 :: v_dual_mov_b32 v3, v23
	v_mov_b32_dpp v4, v23 row_shr:1 row_mask:0xf bank_mask:0xf
	s_delay_alu instid0(VALU_DEP_2)
	v_mov_b32_dpp v1, v2 row_shr:1 row_mask:0xf bank_mask:0xf
	s_and_saveexec_b32 s1, s0
; %bb.195:
	s_delay_alu instid0(VALU_DEP_2) | instskip(SKIP_1) | instid1(VALU_DEP_2)
	v_add_co_u32 v3, vcc_lo, v23, v4
	v_add_co_ci_u32_e32 v2, vcc_lo, 0, v24, vcc_lo
	v_add_co_u32 v23, vcc_lo, 0, v3
	s_delay_alu instid0(VALU_DEP_2) | instskip(NEXT) | instid1(VALU_DEP_1)
	v_add_co_ci_u32_e32 v24, vcc_lo, v1, v2, vcc_lo
	v_mov_b32_e32 v2, v24
; %bb.196:
	s_or_b32 exec_lo, exec_lo, s1
	v_mov_b32_dpp v1, v3 row_shr:2 row_mask:0xf bank_mask:0xf
	s_delay_alu instid0(VALU_DEP_2)
	v_mov_b32_dpp v4, v2 row_shr:2 row_mask:0xf bank_mask:0xf
	s_mov_b32 s0, exec_lo
	v_cmpx_lt_u32_e32 1, v55
; %bb.197:
	s_delay_alu instid0(VALU_DEP_3) | instskip(SKIP_1) | instid1(VALU_DEP_2)
	v_add_co_u32 v3, vcc_lo, v23, v1
	v_add_co_ci_u32_e32 v2, vcc_lo, 0, v24, vcc_lo
	v_add_co_u32 v1, vcc_lo, 0, v3
	s_delay_alu instid0(VALU_DEP_2) | instskip(NEXT) | instid1(VALU_DEP_1)
	v_add_co_ci_u32_e32 v2, vcc_lo, v4, v2, vcc_lo
	v_dual_mov_b32 v24, v2 :: v_dual_mov_b32 v23, v1
; %bb.198:
	s_or_b32 exec_lo, exec_lo, s0
	v_mov_b32_dpp v1, v3 row_shr:4 row_mask:0xf bank_mask:0xf
	v_mov_b32_dpp v4, v2 row_shr:4 row_mask:0xf bank_mask:0xf
	s_mov_b32 s0, exec_lo
	v_cmpx_lt_u32_e32 3, v55
; %bb.199:
	s_delay_alu instid0(VALU_DEP_3) | instskip(SKIP_1) | instid1(VALU_DEP_2)
	v_add_co_u32 v3, vcc_lo, v23, v1
	v_add_co_ci_u32_e32 v2, vcc_lo, 0, v24, vcc_lo
	v_add_co_u32 v1, vcc_lo, 0, v3
	s_delay_alu instid0(VALU_DEP_2) | instskip(NEXT) | instid1(VALU_DEP_1)
	v_add_co_ci_u32_e32 v2, vcc_lo, v4, v2, vcc_lo
	v_dual_mov_b32 v24, v2 :: v_dual_mov_b32 v23, v1
; %bb.200:
	s_or_b32 exec_lo, exec_lo, s0
	v_mov_b32_dpp v4, v3 row_shr:8 row_mask:0xf bank_mask:0xf
	v_mov_b32_dpp v1, v2 row_shr:8 row_mask:0xf bank_mask:0xf
	s_mov_b32 s0, exec_lo
	v_cmpx_lt_u32_e32 7, v55
; %bb.201:
	s_delay_alu instid0(VALU_DEP_3) | instskip(SKIP_1) | instid1(VALU_DEP_2)
	v_add_co_u32 v3, vcc_lo, v23, v4
	v_add_co_ci_u32_e32 v2, vcc_lo, 0, v24, vcc_lo
	v_add_co_u32 v23, vcc_lo, 0, v3
	s_delay_alu instid0(VALU_DEP_2) | instskip(NEXT) | instid1(VALU_DEP_1)
	v_add_co_ci_u32_e32 v24, vcc_lo, v1, v2, vcc_lo
	v_mov_b32_e32 v2, v24
; %bb.202:
	s_or_b32 exec_lo, exec_lo, s0
	ds_swizzle_b32 v3, v3 offset:swizzle(BROADCAST,32,15)
	ds_swizzle_b32 v1, v2 offset:swizzle(BROADCAST,32,15)
	v_and_b32_e32 v2, 16, v54
	s_mov_b32 s0, exec_lo
	s_delay_alu instid0(VALU_DEP_1)
	v_cmpx_ne_u32_e32 0, v2
	s_cbranch_execz .LBB542_204
; %bb.203:
	s_waitcnt lgkmcnt(0)
	v_add_co_u32 v2, vcc_lo, v23, v3
	v_add_co_ci_u32_e32 v3, vcc_lo, 0, v24, vcc_lo
	s_delay_alu instid0(VALU_DEP_2) | instskip(NEXT) | instid1(VALU_DEP_2)
	v_add_co_u32 v23, vcc_lo, v2, 0
	v_add_co_ci_u32_e32 v24, vcc_lo, v3, v1, vcc_lo
.LBB542_204:
	s_or_b32 exec_lo, exec_lo, s0
	s_waitcnt lgkmcnt(0)
	v_or_b32_e32 v1, 31, v0
	v_lshrrev_b32_e32 v3, 5, v0
	s_mov_b32 s0, exec_lo
	s_delay_alu instid0(VALU_DEP_2)
	v_cmpx_eq_u32_e64 v1, v0
	s_cbranch_execz .LBB542_206
; %bb.205:
	s_delay_alu instid0(VALU_DEP_2)
	v_lshlrev_b32_e32 v1, 3, v3
	ds_store_b64 v1, v[23:24]
.LBB542_206:
	s_or_b32 exec_lo, exec_lo, s0
	s_delay_alu instid0(SALU_CYCLE_1)
	s_mov_b32 s0, exec_lo
	s_waitcnt lgkmcnt(0)
	s_barrier
	buffer_gl0_inv
	v_cmpx_gt_u32_e32 4, v0
	s_cbranch_execz .LBB542_212
; %bb.207:
	v_lshlrev_b32_e32 v4, 3, v0
	s_mov_b32 s1, exec_lo
	ds_load_b64 v[1:2], v4
	s_waitcnt lgkmcnt(0)
	v_dual_mov_b32 v6, v1 :: v_dual_and_b32 v5, 3, v54
	v_mov_b32_dpp v8, v1 row_shr:1 row_mask:0xf bank_mask:0xf
	v_mov_b32_dpp v7, v2 row_shr:1 row_mask:0xf bank_mask:0xf
	s_delay_alu instid0(VALU_DEP_3)
	v_cmpx_ne_u32_e32 0, v5
; %bb.208:
	s_delay_alu instid0(VALU_DEP_3) | instskip(SKIP_1) | instid1(VALU_DEP_2)
	v_add_co_u32 v6, vcc_lo, v1, v8
	v_add_co_ci_u32_e32 v2, vcc_lo, 0, v2, vcc_lo
	v_add_co_u32 v1, vcc_lo, 0, v6
	s_delay_alu instid0(VALU_DEP_2)
	v_add_co_ci_u32_e32 v2, vcc_lo, v7, v2, vcc_lo
; %bb.209:
	s_or_b32 exec_lo, exec_lo, s1
	v_mov_b32_dpp v7, v6 row_shr:2 row_mask:0xf bank_mask:0xf
	s_delay_alu instid0(VALU_DEP_2)
	v_mov_b32_dpp v6, v2 row_shr:2 row_mask:0xf bank_mask:0xf
	s_mov_b32 s1, exec_lo
	v_cmpx_lt_u32_e32 1, v5
; %bb.210:
	s_delay_alu instid0(VALU_DEP_3) | instskip(SKIP_1) | instid1(VALU_DEP_2)
	v_add_co_u32 v1, vcc_lo, v1, v7
	v_add_co_ci_u32_e32 v2, vcc_lo, 0, v2, vcc_lo
	v_add_co_u32 v1, vcc_lo, v1, 0
	s_delay_alu instid0(VALU_DEP_2)
	v_add_co_ci_u32_e32 v2, vcc_lo, v2, v6, vcc_lo
; %bb.211:
	s_or_b32 exec_lo, exec_lo, s1
	ds_store_b64 v4, v[1:2]
.LBB542_212:
	s_or_b32 exec_lo, exec_lo, s0
	v_mov_b32_e32 v1, 0
	v_mov_b32_e32 v2, 0
	s_mov_b32 s0, exec_lo
	s_waitcnt lgkmcnt(0)
	s_barrier
	buffer_gl0_inv
	v_cmpx_lt_u32_e32 31, v0
	s_cbranch_execz .LBB542_214
; %bb.213:
	v_lshl_add_u32 v1, v3, 3, -8
	ds_load_b64 v[1:2], v1
.LBB542_214:
	s_or_b32 exec_lo, exec_lo, s0
	v_add_nc_u32_e32 v3, -1, v54
	v_mov_b32_e32 v7, 0
	s_delay_alu instid0(VALU_DEP_2) | instskip(SKIP_1) | instid1(VALU_DEP_1)
	v_cmp_gt_i32_e32 vcc_lo, 0, v3
	v_cndmask_b32_e32 v3, v3, v54, vcc_lo
	v_lshlrev_b32_e32 v4, 2, v3
	s_waitcnt lgkmcnt(0)
	v_add_co_u32 v3, vcc_lo, v1, v23
	v_add_co_ci_u32_e32 v5, vcc_lo, v2, v24, vcc_lo
	v_cmp_eq_u32_e32 vcc_lo, 0, v0
	ds_bpermute_b32 v3, v4, v3
	ds_bpermute_b32 v8, v4, v5
	ds_load_b64 v[4:5], v7 offset:24
	s_and_saveexec_b32 s0, vcc_lo
	s_cbranch_execz .LBB542_216
; %bb.215:
	s_add_u32 s2, s2, 0x200
	s_addc_u32 s3, s3, 0
	v_mov_b32_e32 v6, 2
	v_dual_mov_b32 v24, s3 :: v_dual_mov_b32 v23, s2
	s_waitcnt lgkmcnt(0)
	;;#ASMSTART
	global_store_dwordx4 v[23:24], v[4:7] off	
s_waitcnt vmcnt(0)
	;;#ASMEND
.LBB542_216:
	s_or_b32 exec_lo, exec_lo, s0
	v_cmp_eq_u32_e64 s0, 0, v54
	s_waitcnt lgkmcnt(0)
	s_barrier
	s_mov_b64 s[10:11], 0
	buffer_gl0_inv
	v_cndmask_b32_e64 v1, v3, v1, s0
	v_cndmask_b32_e64 v2, v8, v2, s0
	s_delay_alu instid0(VALU_DEP_2) | instskip(NEXT) | instid1(VALU_DEP_2)
	v_cndmask_b32_e64 v67, v1, 0, vcc_lo
	v_cndmask_b32_e64 v68, v2, 0, vcc_lo
.LBB542_217:
	s_delay_alu instid0(VALU_DEP_2) | instskip(NEXT) | instid1(VALU_DEP_2)
	v_add_co_u32 v77, vcc_lo, v67, v42
	v_add_co_ci_u32_e32 v78, vcc_lo, 0, v68, vcc_lo
	s_delay_alu instid0(VALU_DEP_2) | instskip(NEXT) | instid1(VALU_DEP_2)
	v_add_co_u32 v75, vcc_lo, v77, v53
	v_add_co_ci_u32_e32 v76, vcc_lo, 0, v78, vcc_lo
	;; [unrolled: 3-line block ×27, first 2 shown]
	v_cmp_gt_u64_e32 vcc_lo, 0x81, v[4:5]
	s_delay_alu instid0(VALU_DEP_3) | instskip(NEXT) | instid1(VALU_DEP_1)
	v_add_co_u32 v23, s0, v6, v80
	v_add_co_ci_u32_e64 v24, s0, 0, v7, s0
	s_delay_alu instid0(VALU_DEP_2) | instskip(NEXT) | instid1(VALU_DEP_1)
	v_add_co_u32 v1, s0, v23, v79
	v_add_co_ci_u32_e64 v2, s0, 0, v24, s0
	s_mov_b32 s0, -1
	s_cbranch_vccnz .LBB542_221
; %bb.218:
	s_and_b32 vcc_lo, exec_lo, s0
	s_cbranch_vccnz .LBB542_311
.LBB542_219:
	v_cmp_eq_u32_e32 vcc_lo, 0, v0
	s_and_b32 s0, vcc_lo, s14
	s_delay_alu instid0(SALU_CYCLE_1)
	s_and_saveexec_b32 s1, s0
	s_cbranch_execnz .LBB542_382
.LBB542_220:
	s_nop 0
	s_sendmsg sendmsg(MSG_DEALLOC_VGPRS)
	s_endpgm
.LBB542_221:
	v_add_co_u32 v79, vcc_lo, s10, v4
	v_add_co_ci_u32_e32 v80, vcc_lo, s11, v5, vcc_lo
	s_lshl_b64 s[0:1], s[6:7], 1
	s_waitcnt lgkmcnt(0)
	s_add_u32 s0, s8, s0
	s_delay_alu instid0(VALU_DEP_1) | instskip(SKIP_2) | instid1(SALU_CYCLE_1)
	v_cmp_lt_u64_e32 vcc_lo, v[67:68], v[79:80]
	s_addc_u32 s1, s9, s1
	s_or_b32 s3, s13, vcc_lo
	s_and_saveexec_b32 s2, s3
	s_cbranch_execz .LBB542_224
; %bb.222:
	v_and_b32_e32 v3, 1, v98
	s_delay_alu instid0(VALU_DEP_1)
	v_cmp_eq_u32_e32 vcc_lo, 1, v3
	s_and_b32 exec_lo, exec_lo, vcc_lo
	s_cbranch_execz .LBB542_224
; %bb.223:
	v_lshlrev_b64 v[126:127], 1, v[67:68]
	s_delay_alu instid0(VALU_DEP_1) | instskip(NEXT) | instid1(VALU_DEP_2)
	v_add_co_u32 v126, vcc_lo, s0, v126
	v_add_co_ci_u32_e32 v127, vcc_lo, s1, v127, vcc_lo
	global_store_b16 v[126:127], v21, off
.LBB542_224:
	s_or_b32 exec_lo, exec_lo, s2
	v_cmp_lt_u64_e32 vcc_lo, v[77:78], v[79:80]
	s_or_b32 s3, s13, vcc_lo
	s_delay_alu instid0(SALU_CYCLE_1)
	s_and_saveexec_b32 s2, s3
	s_cbranch_execz .LBB542_227
; %bb.225:
	v_and_b32_e32 v3, 1, v97
	s_delay_alu instid0(VALU_DEP_1)
	v_cmp_eq_u32_e32 vcc_lo, 1, v3
	s_and_b32 exec_lo, exec_lo, vcc_lo
	s_cbranch_execz .LBB542_227
; %bb.226:
	v_lshlrev_b64 v[126:127], 1, v[77:78]
	s_delay_alu instid0(VALU_DEP_1) | instskip(NEXT) | instid1(VALU_DEP_2)
	v_add_co_u32 v126, vcc_lo, s0, v126
	v_add_co_ci_u32_e32 v127, vcc_lo, s1, v127, vcc_lo
	global_store_b16 v[126:127], v96, off
.LBB542_227:
	s_or_b32 exec_lo, exec_lo, s2
	v_cmp_lt_u64_e32 vcc_lo, v[75:76], v[79:80]
	s_or_b32 s3, s13, vcc_lo
	s_delay_alu instid0(SALU_CYCLE_1)
	;; [unrolled: 19-line block ×28, first 2 shown]
	s_and_saveexec_b32 s2, s3
	s_cbranch_execz .LBB542_308
; %bb.306:
	v_and_b32_e32 v3, 1, v125
	s_delay_alu instid0(VALU_DEP_1)
	v_cmp_eq_u32_e32 vcc_lo, 1, v3
	s_and_b32 exec_lo, exec_lo, vcc_lo
	s_cbranch_execz .LBB542_308
; %bb.307:
	v_lshlrev_b64 v[7:8], 1, v[23:24]
	s_delay_alu instid0(VALU_DEP_1) | instskip(NEXT) | instid1(VALU_DEP_2)
	v_add_co_u32 v7, vcc_lo, s0, v7
	v_add_co_ci_u32_e32 v8, vcc_lo, s1, v8, vcc_lo
	global_store_b16 v[7:8], v81, off
.LBB542_308:
	s_or_b32 exec_lo, exec_lo, s2
	v_cmp_ge_u64_e32 vcc_lo, v[1:2], v[79:80]
	s_xor_b32 s3, s16, -1
	s_and_b32 s2, s12, vcc_lo
	s_delay_alu instid0(SALU_CYCLE_1) | instskip(NEXT) | instid1(SALU_CYCLE_1)
	s_or_b32 s2, s2, s3
	s_xor_b32 s3, s2, -1
	s_delay_alu instid0(SALU_CYCLE_1)
	s_and_saveexec_b32 s2, s3
	s_cbranch_execz .LBB542_310
; %bb.309:
	v_lshlrev_b64 v[2:3], 1, v[1:2]
	s_delay_alu instid0(VALU_DEP_1) | instskip(NEXT) | instid1(VALU_DEP_2)
	v_add_co_u32 v2, vcc_lo, s0, v2
	v_add_co_ci_u32_e32 v3, vcc_lo, s1, v3, vcc_lo
	global_store_b16 v[2:3], v82, off
.LBB542_310:
	s_or_b32 exec_lo, exec_lo, s2
	s_branch .LBB542_219
.LBB542_311:
	v_and_b32_e32 v2, 1, v98
	s_mov_b32 s0, exec_lo
	s_delay_alu instid0(VALU_DEP_1)
	v_cmpx_eq_u32_e32 1, v2
	s_cbranch_execz .LBB542_313
; %bb.312:
	v_subrev_nc_u32_e32 v2, s10, v67
	s_delay_alu instid0(VALU_DEP_1)
	v_lshlrev_b32_e32 v2, 1, v2
	ds_store_b16 v2, v21
.LBB542_313:
	s_or_b32 exec_lo, exec_lo, s0
	v_and_b32_e32 v2, 1, v97
	s_mov_b32 s0, exec_lo
	s_delay_alu instid0(VALU_DEP_1)
	v_cmpx_eq_u32_e32 1, v2
	s_cbranch_execz .LBB542_315
; %bb.314:
	v_subrev_nc_u32_e32 v2, s10, v77
	s_delay_alu instid0(VALU_DEP_1)
	v_lshlrev_b32_e32 v2, 1, v2
	ds_store_b16 v2, v96
.LBB542_315:
	s_or_b32 exec_lo, exec_lo, s0
	;; [unrolled: 12-line block ×29, first 2 shown]
	s_and_saveexec_b32 s0, s16
	s_cbranch_execz .LBB542_371
; %bb.370:
	v_subrev_nc_u32_e32 v1, s10, v1
	s_delay_alu instid0(VALU_DEP_1)
	v_lshlrev_b32_e32 v1, 1, v1
	ds_store_b16 v1, v82
.LBB542_371:
	s_or_b32 exec_lo, exec_lo, s0
	v_mov_b32_e32 v1, 0
	s_mov_b32 s15, exec_lo
	s_waitcnt lgkmcnt(0)
	s_waitcnt_vscnt null, 0x0
	s_barrier
	buffer_gl0_inv
	v_cmpx_gt_u64_e64 v[4:5], v[0:1]
	s_cbranch_execz .LBB542_381
; %bb.372:
	v_not_b32_e32 v2, v0
	v_not_b32_e32 v3, 0
	v_mov_b32_e32 v8, v0
	s_mov_b32 s16, exec_lo
	s_delay_alu instid0(VALU_DEP_3) | instskip(NEXT) | instid1(VALU_DEP_3)
	v_add_co_u32 v6, vcc_lo, v4, v2
	v_add_co_ci_u32_e32 v7, vcc_lo, v5, v3, vcc_lo
	v_dual_mov_b32 v3, v1 :: v_dual_mov_b32 v2, v0
	s_delay_alu instid0(VALU_DEP_2)
	v_cmp_gt_u64_e32 vcc_lo, 0x1a80, v[6:7]
	v_cmpx_lt_u64_e32 0x1a7f, v[6:7]
	s_cbranch_execz .LBB542_378
; %bb.373:
	v_alignbit_b32 v2, v7, v6, 7
	v_not_b32_e32 v3, v0
	v_xor_b32_e32 v8, 0xffffff7f, v0
	s_movk_i32 s13, 0x7f
	s_mov_b32 s12, -1
	v_lshlrev_b32_e32 v9, 7, v2
	v_cmp_lt_u64_e64 s0, s[12:13], v[6:7]
	v_cmp_lt_u32_e64 s1, 0x1ffffff, v2
	s_delay_alu instid0(VALU_DEP_3) | instskip(SKIP_2) | instid1(VALU_DEP_4)
	v_cmp_lt_u32_e64 s3, v8, v9
	v_mov_b32_e32 v8, v0
	v_cmp_gt_u32_e64 s2, v9, v3
	s_or_b32 s0, s1, s0
	v_dual_mov_b32 v3, v1 :: v_dual_mov_b32 v2, v0
	s_or_b32 s0, s0, s3
	s_delay_alu instid0(VALU_DEP_2) | instskip(NEXT) | instid1(SALU_CYCLE_1)
	s_or_b32 s1, s2, s1
	s_or_b32 s0, s1, s0
	s_delay_alu instid0(SALU_CYCLE_1) | instskip(NEXT) | instid1(SALU_CYCLE_1)
	s_xor_b32 s0, s0, -1
	s_and_saveexec_b32 s2, s0
	s_cbranch_execz .LBB542_377
; %bb.374:
	v_lshrrev_b64 v[6:7], 7, v[6:7]
	s_lshl_b64 s[12:13], s[10:11], 1
	v_or_b32_e32 v2, 0x80, v0
	s_mov_b32 s3, 0
	s_delay_alu instid0(VALU_DEP_2) | instskip(NEXT) | instid1(VALU_DEP_1)
	v_add_co_u32 v10, s0, v6, 1
	v_add_co_ci_u32_e64 v11, s0, 0, v7, s0
	s_lshl_b64 s[0:1], s[6:7], 1
	s_delay_alu instid0(VALU_DEP_2) | instskip(SKIP_1) | instid1(VALU_DEP_2)
	v_and_b32_e32 v12, -2, v10
	s_add_u32 s0, s12, s0
	v_mov_b32_e32 v13, v11
	v_lshlrev_b32_e32 v3, 1, v0
	s_addc_u32 s1, s13, s1
	s_add_u32 s0, s8, s0
	s_addc_u32 s1, s9, s1
	v_dual_mov_b32 v17, v13 :: v_dual_mov_b32 v16, v12
	v_add_co_u32 v6, s0, s0, v3
	s_delay_alu instid0(VALU_DEP_1) | instskip(SKIP_1) | instid1(VALU_DEP_3)
	v_add_co_ci_u32_e64 v7, null, s1, 0, s0
	v_mov_b32_e32 v3, v1
	v_add_co_u32 v14, s0, 0x100, v6
	s_delay_alu instid0(VALU_DEP_1) | instskip(NEXT) | instid1(VALU_DEP_3)
	v_add_co_ci_u32_e64 v15, s0, 0, v7, s0
	v_dual_mov_b32 v9, v3 :: v_dual_mov_b32 v6, v0
	v_dual_mov_b32 v8, v2 :: v_dual_mov_b32 v7, v1
	s_set_inst_prefetch_distance 0x1
	.p2align	6
.LBB542_375:                            ; =>This Inner Loop Header: Depth=1
	s_delay_alu instid0(VALU_DEP_2) | instskip(NEXT) | instid1(VALU_DEP_2)
	v_lshlrev_b32_e32 v1, 1, v6
	v_lshlrev_b32_e32 v2, 1, v8
	v_add_co_u32 v8, s0, 0x100, v8
	s_delay_alu instid0(VALU_DEP_1) | instskip(SKIP_3) | instid1(VALU_DEP_1)
	v_add_co_ci_u32_e64 v9, s0, 0, v9, s0
	ds_load_u16 v1, v1
	ds_load_u16 v2, v2
	v_add_co_u32 v16, s0, v16, -2
	v_add_co_ci_u32_e64 v17, s0, -1, v17, s0
	v_add_co_u32 v6, s0, 0x100, v6
	s_delay_alu instid0(VALU_DEP_1) | instskip(NEXT) | instid1(VALU_DEP_3)
	v_add_co_ci_u32_e64 v7, s0, 0, v7, s0
	v_cmp_eq_u64_e64 s0, 0, v[16:17]
	s_waitcnt lgkmcnt(1)
	global_store_b16 v[14:15], v1, off offset:-256
	s_waitcnt lgkmcnt(0)
	global_store_b16 v[14:15], v2, off
	v_add_co_u32 v14, s1, 0x200, v14
	s_delay_alu instid0(VALU_DEP_1) | instskip(SKIP_1) | instid1(SALU_CYCLE_1)
	v_add_co_ci_u32_e64 v15, s1, 0, v15, s1
	s_or_b32 s3, s0, s3
	s_and_not1_b32 exec_lo, exec_lo, s3
	s_cbranch_execnz .LBB542_375
; %bb.376:
	s_set_inst_prefetch_distance 0x2
	s_or_b32 exec_lo, exec_lo, s3
	v_lshlrev_b64 v[1:2], 7, v[12:13]
	v_cmp_ne_u64_e64 s0, v[10:11], v[12:13]
	v_lshl_or_b32 v8, v12, 7, v0
	s_delay_alu instid0(VALU_DEP_3) | instskip(NEXT) | instid1(VALU_DEP_4)
	v_or_b32_e32 v3, 0, v2
	v_or_b32_e32 v2, v1, v0
	s_delay_alu instid0(VALU_DEP_4)
	s_or_not1_b32 s12, s0, exec_lo
.LBB542_377:
	s_or_b32 exec_lo, exec_lo, s2
	s_delay_alu instid0(SALU_CYCLE_1) | instskip(SKIP_1) | instid1(SALU_CYCLE_1)
	s_and_not1_b32 s0, vcc_lo, exec_lo
	s_and_b32 s1, s12, exec_lo
	s_or_b32 vcc_lo, s0, s1
.LBB542_378:
	s_or_b32 exec_lo, exec_lo, s16
	s_delay_alu instid0(SALU_CYCLE_1)
	s_and_b32 exec_lo, exec_lo, vcc_lo
	s_cbranch_execz .LBB542_381
; %bb.379:
	s_lshl_b64 s[0:1], s[10:11], 1
	v_dual_mov_b32 v7, 0 :: v_dual_add_nc_u32 v6, 0x80, v8
	s_add_u32 s0, s8, s0
	s_addc_u32 s8, s9, s1
	s_lshl_b64 s[2:3], s[6:7], 1
	s_delay_alu instid0(SALU_CYCLE_1)
	s_add_u32 s1, s0, s2
	s_addc_u32 s2, s8, s3
	s_mov_b32 s3, 0
	.p2align	6
.LBB542_380:                            ; =>This Inner Loop Header: Depth=1
	v_lshlrev_b32_e32 v1, 1, v2
	v_lshlrev_b64 v[8:9], 1, v[2:3]
	v_mov_b32_e32 v2, v6
	v_cmp_le_u64_e32 vcc_lo, v[4:5], v[6:7]
	v_dual_mov_b32 v3, v7 :: v_dual_add_nc_u32 v6, 0x80, v6
	ds_load_u16 v1, v1
	v_add_co_u32 v8, s0, s1, v8
	s_delay_alu instid0(VALU_DEP_1)
	v_add_co_ci_u32_e64 v9, s0, s2, v9, s0
	s_or_b32 s3, vcc_lo, s3
	s_waitcnt lgkmcnt(0)
	global_store_b16 v[8:9], v1, off
	s_and_not1_b32 exec_lo, exec_lo, s3
	s_cbranch_execnz .LBB542_380
.LBB542_381:
	s_or_b32 exec_lo, exec_lo, s15
	v_cmp_eq_u32_e32 vcc_lo, 0, v0
	s_and_b32 s0, vcc_lo, s14
	s_delay_alu instid0(SALU_CYCLE_1)
	s_and_saveexec_b32 s1, s0
	s_cbranch_execz .LBB542_220
.LBB542_382:
	v_add_co_u32 v0, vcc_lo, s10, v4
	v_add_co_ci_u32_e32 v1, vcc_lo, s11, v5, vcc_lo
	v_mov_b32_e32 v2, 0
	s_delay_alu instid0(VALU_DEP_3) | instskip(NEXT) | instid1(VALU_DEP_3)
	v_add_co_u32 v0, vcc_lo, v0, s6
	v_add_co_ci_u32_e32 v1, vcc_lo, s7, v1, vcc_lo
	global_store_b64 v2, v[0:1], s[4:5]
	s_nop 0
	s_sendmsg sendmsg(MSG_DEALLOC_VGPRS)
	s_endpgm
	.section	.rodata,"a",@progbits
	.p2align	6, 0x0
	.amdhsa_kernel _ZN7rocprim17ROCPRIM_400000_NS6detail17trampoline_kernelINS0_14default_configENS1_25partition_config_selectorILNS1_17partition_subalgoE6EtNS0_10empty_typeEbEEZZNS1_14partition_implILS5_6ELb0ES3_mN6thrust23THRUST_200600_302600_NS6detail15normal_iteratorINSA_10device_ptrItEEEEPS6_SG_NS0_5tupleIJSF_S6_EEENSH_IJSG_SG_EEES6_PlJ5mod_3ItEEEE10hipError_tPvRmT3_T4_T5_T6_T7_T9_mT8_P12ihipStream_tbDpT10_ENKUlT_T0_E_clISt17integral_constantIbLb1EES15_IbLb0EEEEDaS11_S12_EUlS11_E_NS1_11comp_targetILNS1_3genE9ELNS1_11target_archE1100ELNS1_3gpuE3ELNS1_3repE0EEENS1_30default_config_static_selectorELNS0_4arch9wavefront6targetE0EEEvT1_
		.amdhsa_group_segment_fixed_size 7696
		.amdhsa_private_segment_fixed_size 0
		.amdhsa_kernarg_size 112
		.amdhsa_user_sgpr_count 15
		.amdhsa_user_sgpr_dispatch_ptr 0
		.amdhsa_user_sgpr_queue_ptr 0
		.amdhsa_user_sgpr_kernarg_segment_ptr 1
		.amdhsa_user_sgpr_dispatch_id 0
		.amdhsa_user_sgpr_private_segment_size 0
		.amdhsa_wavefront_size32 1
		.amdhsa_uses_dynamic_stack 0
		.amdhsa_enable_private_segment 0
		.amdhsa_system_sgpr_workgroup_id_x 1
		.amdhsa_system_sgpr_workgroup_id_y 0
		.amdhsa_system_sgpr_workgroup_id_z 0
		.amdhsa_system_sgpr_workgroup_info 0
		.amdhsa_system_vgpr_workitem_id 0
		.amdhsa_next_free_vgpr 130
		.amdhsa_next_free_sgpr 20
		.amdhsa_reserve_vcc 1
		.amdhsa_float_round_mode_32 0
		.amdhsa_float_round_mode_16_64 0
		.amdhsa_float_denorm_mode_32 3
		.amdhsa_float_denorm_mode_16_64 3
		.amdhsa_dx10_clamp 1
		.amdhsa_ieee_mode 1
		.amdhsa_fp16_overflow 0
		.amdhsa_workgroup_processor_mode 1
		.amdhsa_memory_ordered 1
		.amdhsa_forward_progress 0
		.amdhsa_shared_vgpr_count 0
		.amdhsa_exception_fp_ieee_invalid_op 0
		.amdhsa_exception_fp_denorm_src 0
		.amdhsa_exception_fp_ieee_div_zero 0
		.amdhsa_exception_fp_ieee_overflow 0
		.amdhsa_exception_fp_ieee_underflow 0
		.amdhsa_exception_fp_ieee_inexact 0
		.amdhsa_exception_int_div_zero 0
	.end_amdhsa_kernel
	.section	.text._ZN7rocprim17ROCPRIM_400000_NS6detail17trampoline_kernelINS0_14default_configENS1_25partition_config_selectorILNS1_17partition_subalgoE6EtNS0_10empty_typeEbEEZZNS1_14partition_implILS5_6ELb0ES3_mN6thrust23THRUST_200600_302600_NS6detail15normal_iteratorINSA_10device_ptrItEEEEPS6_SG_NS0_5tupleIJSF_S6_EEENSH_IJSG_SG_EEES6_PlJ5mod_3ItEEEE10hipError_tPvRmT3_T4_T5_T6_T7_T9_mT8_P12ihipStream_tbDpT10_ENKUlT_T0_E_clISt17integral_constantIbLb1EES15_IbLb0EEEEDaS11_S12_EUlS11_E_NS1_11comp_targetILNS1_3genE9ELNS1_11target_archE1100ELNS1_3gpuE3ELNS1_3repE0EEENS1_30default_config_static_selectorELNS0_4arch9wavefront6targetE0EEEvT1_,"axG",@progbits,_ZN7rocprim17ROCPRIM_400000_NS6detail17trampoline_kernelINS0_14default_configENS1_25partition_config_selectorILNS1_17partition_subalgoE6EtNS0_10empty_typeEbEEZZNS1_14partition_implILS5_6ELb0ES3_mN6thrust23THRUST_200600_302600_NS6detail15normal_iteratorINSA_10device_ptrItEEEEPS6_SG_NS0_5tupleIJSF_S6_EEENSH_IJSG_SG_EEES6_PlJ5mod_3ItEEEE10hipError_tPvRmT3_T4_T5_T6_T7_T9_mT8_P12ihipStream_tbDpT10_ENKUlT_T0_E_clISt17integral_constantIbLb1EES15_IbLb0EEEEDaS11_S12_EUlS11_E_NS1_11comp_targetILNS1_3genE9ELNS1_11target_archE1100ELNS1_3gpuE3ELNS1_3repE0EEENS1_30default_config_static_selectorELNS0_4arch9wavefront6targetE0EEEvT1_,comdat
.Lfunc_end542:
	.size	_ZN7rocprim17ROCPRIM_400000_NS6detail17trampoline_kernelINS0_14default_configENS1_25partition_config_selectorILNS1_17partition_subalgoE6EtNS0_10empty_typeEbEEZZNS1_14partition_implILS5_6ELb0ES3_mN6thrust23THRUST_200600_302600_NS6detail15normal_iteratorINSA_10device_ptrItEEEEPS6_SG_NS0_5tupleIJSF_S6_EEENSH_IJSG_SG_EEES6_PlJ5mod_3ItEEEE10hipError_tPvRmT3_T4_T5_T6_T7_T9_mT8_P12ihipStream_tbDpT10_ENKUlT_T0_E_clISt17integral_constantIbLb1EES15_IbLb0EEEEDaS11_S12_EUlS11_E_NS1_11comp_targetILNS1_3genE9ELNS1_11target_archE1100ELNS1_3gpuE3ELNS1_3repE0EEENS1_30default_config_static_selectorELNS0_4arch9wavefront6targetE0EEEvT1_, .Lfunc_end542-_ZN7rocprim17ROCPRIM_400000_NS6detail17trampoline_kernelINS0_14default_configENS1_25partition_config_selectorILNS1_17partition_subalgoE6EtNS0_10empty_typeEbEEZZNS1_14partition_implILS5_6ELb0ES3_mN6thrust23THRUST_200600_302600_NS6detail15normal_iteratorINSA_10device_ptrItEEEEPS6_SG_NS0_5tupleIJSF_S6_EEENSH_IJSG_SG_EEES6_PlJ5mod_3ItEEEE10hipError_tPvRmT3_T4_T5_T6_T7_T9_mT8_P12ihipStream_tbDpT10_ENKUlT_T0_E_clISt17integral_constantIbLb1EES15_IbLb0EEEEDaS11_S12_EUlS11_E_NS1_11comp_targetILNS1_3genE9ELNS1_11target_archE1100ELNS1_3gpuE3ELNS1_3repE0EEENS1_30default_config_static_selectorELNS0_4arch9wavefront6targetE0EEEvT1_
                                        ; -- End function
	.section	.AMDGPU.csdata,"",@progbits
; Kernel info:
; codeLenInByte = 15072
; NumSgprs: 22
; NumVgprs: 130
; ScratchSize: 0
; MemoryBound: 0
; FloatMode: 240
; IeeeMode: 1
; LDSByteSize: 7696 bytes/workgroup (compile time only)
; SGPRBlocks: 2
; VGPRBlocks: 16
; NumSGPRsForWavesPerEU: 22
; NumVGPRsForWavesPerEU: 130
; Occupancy: 10
; WaveLimiterHint : 1
; COMPUTE_PGM_RSRC2:SCRATCH_EN: 0
; COMPUTE_PGM_RSRC2:USER_SGPR: 15
; COMPUTE_PGM_RSRC2:TRAP_HANDLER: 0
; COMPUTE_PGM_RSRC2:TGID_X_EN: 1
; COMPUTE_PGM_RSRC2:TGID_Y_EN: 0
; COMPUTE_PGM_RSRC2:TGID_Z_EN: 0
; COMPUTE_PGM_RSRC2:TIDIG_COMP_CNT: 0
	.section	.text._ZN7rocprim17ROCPRIM_400000_NS6detail17trampoline_kernelINS0_14default_configENS1_25partition_config_selectorILNS1_17partition_subalgoE6EtNS0_10empty_typeEbEEZZNS1_14partition_implILS5_6ELb0ES3_mN6thrust23THRUST_200600_302600_NS6detail15normal_iteratorINSA_10device_ptrItEEEEPS6_SG_NS0_5tupleIJSF_S6_EEENSH_IJSG_SG_EEES6_PlJ5mod_3ItEEEE10hipError_tPvRmT3_T4_T5_T6_T7_T9_mT8_P12ihipStream_tbDpT10_ENKUlT_T0_E_clISt17integral_constantIbLb1EES15_IbLb0EEEEDaS11_S12_EUlS11_E_NS1_11comp_targetILNS1_3genE8ELNS1_11target_archE1030ELNS1_3gpuE2ELNS1_3repE0EEENS1_30default_config_static_selectorELNS0_4arch9wavefront6targetE0EEEvT1_,"axG",@progbits,_ZN7rocprim17ROCPRIM_400000_NS6detail17trampoline_kernelINS0_14default_configENS1_25partition_config_selectorILNS1_17partition_subalgoE6EtNS0_10empty_typeEbEEZZNS1_14partition_implILS5_6ELb0ES3_mN6thrust23THRUST_200600_302600_NS6detail15normal_iteratorINSA_10device_ptrItEEEEPS6_SG_NS0_5tupleIJSF_S6_EEENSH_IJSG_SG_EEES6_PlJ5mod_3ItEEEE10hipError_tPvRmT3_T4_T5_T6_T7_T9_mT8_P12ihipStream_tbDpT10_ENKUlT_T0_E_clISt17integral_constantIbLb1EES15_IbLb0EEEEDaS11_S12_EUlS11_E_NS1_11comp_targetILNS1_3genE8ELNS1_11target_archE1030ELNS1_3gpuE2ELNS1_3repE0EEENS1_30default_config_static_selectorELNS0_4arch9wavefront6targetE0EEEvT1_,comdat
	.protected	_ZN7rocprim17ROCPRIM_400000_NS6detail17trampoline_kernelINS0_14default_configENS1_25partition_config_selectorILNS1_17partition_subalgoE6EtNS0_10empty_typeEbEEZZNS1_14partition_implILS5_6ELb0ES3_mN6thrust23THRUST_200600_302600_NS6detail15normal_iteratorINSA_10device_ptrItEEEEPS6_SG_NS0_5tupleIJSF_S6_EEENSH_IJSG_SG_EEES6_PlJ5mod_3ItEEEE10hipError_tPvRmT3_T4_T5_T6_T7_T9_mT8_P12ihipStream_tbDpT10_ENKUlT_T0_E_clISt17integral_constantIbLb1EES15_IbLb0EEEEDaS11_S12_EUlS11_E_NS1_11comp_targetILNS1_3genE8ELNS1_11target_archE1030ELNS1_3gpuE2ELNS1_3repE0EEENS1_30default_config_static_selectorELNS0_4arch9wavefront6targetE0EEEvT1_ ; -- Begin function _ZN7rocprim17ROCPRIM_400000_NS6detail17trampoline_kernelINS0_14default_configENS1_25partition_config_selectorILNS1_17partition_subalgoE6EtNS0_10empty_typeEbEEZZNS1_14partition_implILS5_6ELb0ES3_mN6thrust23THRUST_200600_302600_NS6detail15normal_iteratorINSA_10device_ptrItEEEEPS6_SG_NS0_5tupleIJSF_S6_EEENSH_IJSG_SG_EEES6_PlJ5mod_3ItEEEE10hipError_tPvRmT3_T4_T5_T6_T7_T9_mT8_P12ihipStream_tbDpT10_ENKUlT_T0_E_clISt17integral_constantIbLb1EES15_IbLb0EEEEDaS11_S12_EUlS11_E_NS1_11comp_targetILNS1_3genE8ELNS1_11target_archE1030ELNS1_3gpuE2ELNS1_3repE0EEENS1_30default_config_static_selectorELNS0_4arch9wavefront6targetE0EEEvT1_
	.globl	_ZN7rocprim17ROCPRIM_400000_NS6detail17trampoline_kernelINS0_14default_configENS1_25partition_config_selectorILNS1_17partition_subalgoE6EtNS0_10empty_typeEbEEZZNS1_14partition_implILS5_6ELb0ES3_mN6thrust23THRUST_200600_302600_NS6detail15normal_iteratorINSA_10device_ptrItEEEEPS6_SG_NS0_5tupleIJSF_S6_EEENSH_IJSG_SG_EEES6_PlJ5mod_3ItEEEE10hipError_tPvRmT3_T4_T5_T6_T7_T9_mT8_P12ihipStream_tbDpT10_ENKUlT_T0_E_clISt17integral_constantIbLb1EES15_IbLb0EEEEDaS11_S12_EUlS11_E_NS1_11comp_targetILNS1_3genE8ELNS1_11target_archE1030ELNS1_3gpuE2ELNS1_3repE0EEENS1_30default_config_static_selectorELNS0_4arch9wavefront6targetE0EEEvT1_
	.p2align	8
	.type	_ZN7rocprim17ROCPRIM_400000_NS6detail17trampoline_kernelINS0_14default_configENS1_25partition_config_selectorILNS1_17partition_subalgoE6EtNS0_10empty_typeEbEEZZNS1_14partition_implILS5_6ELb0ES3_mN6thrust23THRUST_200600_302600_NS6detail15normal_iteratorINSA_10device_ptrItEEEEPS6_SG_NS0_5tupleIJSF_S6_EEENSH_IJSG_SG_EEES6_PlJ5mod_3ItEEEE10hipError_tPvRmT3_T4_T5_T6_T7_T9_mT8_P12ihipStream_tbDpT10_ENKUlT_T0_E_clISt17integral_constantIbLb1EES15_IbLb0EEEEDaS11_S12_EUlS11_E_NS1_11comp_targetILNS1_3genE8ELNS1_11target_archE1030ELNS1_3gpuE2ELNS1_3repE0EEENS1_30default_config_static_selectorELNS0_4arch9wavefront6targetE0EEEvT1_,@function
_ZN7rocprim17ROCPRIM_400000_NS6detail17trampoline_kernelINS0_14default_configENS1_25partition_config_selectorILNS1_17partition_subalgoE6EtNS0_10empty_typeEbEEZZNS1_14partition_implILS5_6ELb0ES3_mN6thrust23THRUST_200600_302600_NS6detail15normal_iteratorINSA_10device_ptrItEEEEPS6_SG_NS0_5tupleIJSF_S6_EEENSH_IJSG_SG_EEES6_PlJ5mod_3ItEEEE10hipError_tPvRmT3_T4_T5_T6_T7_T9_mT8_P12ihipStream_tbDpT10_ENKUlT_T0_E_clISt17integral_constantIbLb1EES15_IbLb0EEEEDaS11_S12_EUlS11_E_NS1_11comp_targetILNS1_3genE8ELNS1_11target_archE1030ELNS1_3gpuE2ELNS1_3repE0EEENS1_30default_config_static_selectorELNS0_4arch9wavefront6targetE0EEEvT1_: ; @_ZN7rocprim17ROCPRIM_400000_NS6detail17trampoline_kernelINS0_14default_configENS1_25partition_config_selectorILNS1_17partition_subalgoE6EtNS0_10empty_typeEbEEZZNS1_14partition_implILS5_6ELb0ES3_mN6thrust23THRUST_200600_302600_NS6detail15normal_iteratorINSA_10device_ptrItEEEEPS6_SG_NS0_5tupleIJSF_S6_EEENSH_IJSG_SG_EEES6_PlJ5mod_3ItEEEE10hipError_tPvRmT3_T4_T5_T6_T7_T9_mT8_P12ihipStream_tbDpT10_ENKUlT_T0_E_clISt17integral_constantIbLb1EES15_IbLb0EEEEDaS11_S12_EUlS11_E_NS1_11comp_targetILNS1_3genE8ELNS1_11target_archE1030ELNS1_3gpuE2ELNS1_3repE0EEENS1_30default_config_static_selectorELNS0_4arch9wavefront6targetE0EEEvT1_
; %bb.0:
	.section	.rodata,"a",@progbits
	.p2align	6, 0x0
	.amdhsa_kernel _ZN7rocprim17ROCPRIM_400000_NS6detail17trampoline_kernelINS0_14default_configENS1_25partition_config_selectorILNS1_17partition_subalgoE6EtNS0_10empty_typeEbEEZZNS1_14partition_implILS5_6ELb0ES3_mN6thrust23THRUST_200600_302600_NS6detail15normal_iteratorINSA_10device_ptrItEEEEPS6_SG_NS0_5tupleIJSF_S6_EEENSH_IJSG_SG_EEES6_PlJ5mod_3ItEEEE10hipError_tPvRmT3_T4_T5_T6_T7_T9_mT8_P12ihipStream_tbDpT10_ENKUlT_T0_E_clISt17integral_constantIbLb1EES15_IbLb0EEEEDaS11_S12_EUlS11_E_NS1_11comp_targetILNS1_3genE8ELNS1_11target_archE1030ELNS1_3gpuE2ELNS1_3repE0EEENS1_30default_config_static_selectorELNS0_4arch9wavefront6targetE0EEEvT1_
		.amdhsa_group_segment_fixed_size 0
		.amdhsa_private_segment_fixed_size 0
		.amdhsa_kernarg_size 112
		.amdhsa_user_sgpr_count 15
		.amdhsa_user_sgpr_dispatch_ptr 0
		.amdhsa_user_sgpr_queue_ptr 0
		.amdhsa_user_sgpr_kernarg_segment_ptr 1
		.amdhsa_user_sgpr_dispatch_id 0
		.amdhsa_user_sgpr_private_segment_size 0
		.amdhsa_wavefront_size32 1
		.amdhsa_uses_dynamic_stack 0
		.amdhsa_enable_private_segment 0
		.amdhsa_system_sgpr_workgroup_id_x 1
		.amdhsa_system_sgpr_workgroup_id_y 0
		.amdhsa_system_sgpr_workgroup_id_z 0
		.amdhsa_system_sgpr_workgroup_info 0
		.amdhsa_system_vgpr_workitem_id 0
		.amdhsa_next_free_vgpr 1
		.amdhsa_next_free_sgpr 1
		.amdhsa_reserve_vcc 0
		.amdhsa_float_round_mode_32 0
		.amdhsa_float_round_mode_16_64 0
		.amdhsa_float_denorm_mode_32 3
		.amdhsa_float_denorm_mode_16_64 3
		.amdhsa_dx10_clamp 1
		.amdhsa_ieee_mode 1
		.amdhsa_fp16_overflow 0
		.amdhsa_workgroup_processor_mode 1
		.amdhsa_memory_ordered 1
		.amdhsa_forward_progress 0
		.amdhsa_shared_vgpr_count 0
		.amdhsa_exception_fp_ieee_invalid_op 0
		.amdhsa_exception_fp_denorm_src 0
		.amdhsa_exception_fp_ieee_div_zero 0
		.amdhsa_exception_fp_ieee_overflow 0
		.amdhsa_exception_fp_ieee_underflow 0
		.amdhsa_exception_fp_ieee_inexact 0
		.amdhsa_exception_int_div_zero 0
	.end_amdhsa_kernel
	.section	.text._ZN7rocprim17ROCPRIM_400000_NS6detail17trampoline_kernelINS0_14default_configENS1_25partition_config_selectorILNS1_17partition_subalgoE6EtNS0_10empty_typeEbEEZZNS1_14partition_implILS5_6ELb0ES3_mN6thrust23THRUST_200600_302600_NS6detail15normal_iteratorINSA_10device_ptrItEEEEPS6_SG_NS0_5tupleIJSF_S6_EEENSH_IJSG_SG_EEES6_PlJ5mod_3ItEEEE10hipError_tPvRmT3_T4_T5_T6_T7_T9_mT8_P12ihipStream_tbDpT10_ENKUlT_T0_E_clISt17integral_constantIbLb1EES15_IbLb0EEEEDaS11_S12_EUlS11_E_NS1_11comp_targetILNS1_3genE8ELNS1_11target_archE1030ELNS1_3gpuE2ELNS1_3repE0EEENS1_30default_config_static_selectorELNS0_4arch9wavefront6targetE0EEEvT1_,"axG",@progbits,_ZN7rocprim17ROCPRIM_400000_NS6detail17trampoline_kernelINS0_14default_configENS1_25partition_config_selectorILNS1_17partition_subalgoE6EtNS0_10empty_typeEbEEZZNS1_14partition_implILS5_6ELb0ES3_mN6thrust23THRUST_200600_302600_NS6detail15normal_iteratorINSA_10device_ptrItEEEEPS6_SG_NS0_5tupleIJSF_S6_EEENSH_IJSG_SG_EEES6_PlJ5mod_3ItEEEE10hipError_tPvRmT3_T4_T5_T6_T7_T9_mT8_P12ihipStream_tbDpT10_ENKUlT_T0_E_clISt17integral_constantIbLb1EES15_IbLb0EEEEDaS11_S12_EUlS11_E_NS1_11comp_targetILNS1_3genE8ELNS1_11target_archE1030ELNS1_3gpuE2ELNS1_3repE0EEENS1_30default_config_static_selectorELNS0_4arch9wavefront6targetE0EEEvT1_,comdat
.Lfunc_end543:
	.size	_ZN7rocprim17ROCPRIM_400000_NS6detail17trampoline_kernelINS0_14default_configENS1_25partition_config_selectorILNS1_17partition_subalgoE6EtNS0_10empty_typeEbEEZZNS1_14partition_implILS5_6ELb0ES3_mN6thrust23THRUST_200600_302600_NS6detail15normal_iteratorINSA_10device_ptrItEEEEPS6_SG_NS0_5tupleIJSF_S6_EEENSH_IJSG_SG_EEES6_PlJ5mod_3ItEEEE10hipError_tPvRmT3_T4_T5_T6_T7_T9_mT8_P12ihipStream_tbDpT10_ENKUlT_T0_E_clISt17integral_constantIbLb1EES15_IbLb0EEEEDaS11_S12_EUlS11_E_NS1_11comp_targetILNS1_3genE8ELNS1_11target_archE1030ELNS1_3gpuE2ELNS1_3repE0EEENS1_30default_config_static_selectorELNS0_4arch9wavefront6targetE0EEEvT1_, .Lfunc_end543-_ZN7rocprim17ROCPRIM_400000_NS6detail17trampoline_kernelINS0_14default_configENS1_25partition_config_selectorILNS1_17partition_subalgoE6EtNS0_10empty_typeEbEEZZNS1_14partition_implILS5_6ELb0ES3_mN6thrust23THRUST_200600_302600_NS6detail15normal_iteratorINSA_10device_ptrItEEEEPS6_SG_NS0_5tupleIJSF_S6_EEENSH_IJSG_SG_EEES6_PlJ5mod_3ItEEEE10hipError_tPvRmT3_T4_T5_T6_T7_T9_mT8_P12ihipStream_tbDpT10_ENKUlT_T0_E_clISt17integral_constantIbLb1EES15_IbLb0EEEEDaS11_S12_EUlS11_E_NS1_11comp_targetILNS1_3genE8ELNS1_11target_archE1030ELNS1_3gpuE2ELNS1_3repE0EEENS1_30default_config_static_selectorELNS0_4arch9wavefront6targetE0EEEvT1_
                                        ; -- End function
	.section	.AMDGPU.csdata,"",@progbits
; Kernel info:
; codeLenInByte = 0
; NumSgprs: 0
; NumVgprs: 0
; ScratchSize: 0
; MemoryBound: 0
; FloatMode: 240
; IeeeMode: 1
; LDSByteSize: 0 bytes/workgroup (compile time only)
; SGPRBlocks: 0
; VGPRBlocks: 0
; NumSGPRsForWavesPerEU: 1
; NumVGPRsForWavesPerEU: 1
; Occupancy: 16
; WaveLimiterHint : 0
; COMPUTE_PGM_RSRC2:SCRATCH_EN: 0
; COMPUTE_PGM_RSRC2:USER_SGPR: 15
; COMPUTE_PGM_RSRC2:TRAP_HANDLER: 0
; COMPUTE_PGM_RSRC2:TGID_X_EN: 1
; COMPUTE_PGM_RSRC2:TGID_Y_EN: 0
; COMPUTE_PGM_RSRC2:TGID_Z_EN: 0
; COMPUTE_PGM_RSRC2:TIDIG_COMP_CNT: 0
	.section	.text._ZN7rocprim17ROCPRIM_400000_NS6detail17trampoline_kernelINS0_14default_configENS1_25partition_config_selectorILNS1_17partition_subalgoE6EtNS0_10empty_typeEbEEZZNS1_14partition_implILS5_6ELb0ES3_mN6thrust23THRUST_200600_302600_NS6detail15normal_iteratorINSA_10device_ptrItEEEEPS6_SG_NS0_5tupleIJSF_S6_EEENSH_IJSG_SG_EEES6_PlJ5mod_3ItEEEE10hipError_tPvRmT3_T4_T5_T6_T7_T9_mT8_P12ihipStream_tbDpT10_ENKUlT_T0_E_clISt17integral_constantIbLb0EES15_IbLb1EEEEDaS11_S12_EUlS11_E_NS1_11comp_targetILNS1_3genE0ELNS1_11target_archE4294967295ELNS1_3gpuE0ELNS1_3repE0EEENS1_30default_config_static_selectorELNS0_4arch9wavefront6targetE0EEEvT1_,"axG",@progbits,_ZN7rocprim17ROCPRIM_400000_NS6detail17trampoline_kernelINS0_14default_configENS1_25partition_config_selectorILNS1_17partition_subalgoE6EtNS0_10empty_typeEbEEZZNS1_14partition_implILS5_6ELb0ES3_mN6thrust23THRUST_200600_302600_NS6detail15normal_iteratorINSA_10device_ptrItEEEEPS6_SG_NS0_5tupleIJSF_S6_EEENSH_IJSG_SG_EEES6_PlJ5mod_3ItEEEE10hipError_tPvRmT3_T4_T5_T6_T7_T9_mT8_P12ihipStream_tbDpT10_ENKUlT_T0_E_clISt17integral_constantIbLb0EES15_IbLb1EEEEDaS11_S12_EUlS11_E_NS1_11comp_targetILNS1_3genE0ELNS1_11target_archE4294967295ELNS1_3gpuE0ELNS1_3repE0EEENS1_30default_config_static_selectorELNS0_4arch9wavefront6targetE0EEEvT1_,comdat
	.protected	_ZN7rocprim17ROCPRIM_400000_NS6detail17trampoline_kernelINS0_14default_configENS1_25partition_config_selectorILNS1_17partition_subalgoE6EtNS0_10empty_typeEbEEZZNS1_14partition_implILS5_6ELb0ES3_mN6thrust23THRUST_200600_302600_NS6detail15normal_iteratorINSA_10device_ptrItEEEEPS6_SG_NS0_5tupleIJSF_S6_EEENSH_IJSG_SG_EEES6_PlJ5mod_3ItEEEE10hipError_tPvRmT3_T4_T5_T6_T7_T9_mT8_P12ihipStream_tbDpT10_ENKUlT_T0_E_clISt17integral_constantIbLb0EES15_IbLb1EEEEDaS11_S12_EUlS11_E_NS1_11comp_targetILNS1_3genE0ELNS1_11target_archE4294967295ELNS1_3gpuE0ELNS1_3repE0EEENS1_30default_config_static_selectorELNS0_4arch9wavefront6targetE0EEEvT1_ ; -- Begin function _ZN7rocprim17ROCPRIM_400000_NS6detail17trampoline_kernelINS0_14default_configENS1_25partition_config_selectorILNS1_17partition_subalgoE6EtNS0_10empty_typeEbEEZZNS1_14partition_implILS5_6ELb0ES3_mN6thrust23THRUST_200600_302600_NS6detail15normal_iteratorINSA_10device_ptrItEEEEPS6_SG_NS0_5tupleIJSF_S6_EEENSH_IJSG_SG_EEES6_PlJ5mod_3ItEEEE10hipError_tPvRmT3_T4_T5_T6_T7_T9_mT8_P12ihipStream_tbDpT10_ENKUlT_T0_E_clISt17integral_constantIbLb0EES15_IbLb1EEEEDaS11_S12_EUlS11_E_NS1_11comp_targetILNS1_3genE0ELNS1_11target_archE4294967295ELNS1_3gpuE0ELNS1_3repE0EEENS1_30default_config_static_selectorELNS0_4arch9wavefront6targetE0EEEvT1_
	.globl	_ZN7rocprim17ROCPRIM_400000_NS6detail17trampoline_kernelINS0_14default_configENS1_25partition_config_selectorILNS1_17partition_subalgoE6EtNS0_10empty_typeEbEEZZNS1_14partition_implILS5_6ELb0ES3_mN6thrust23THRUST_200600_302600_NS6detail15normal_iteratorINSA_10device_ptrItEEEEPS6_SG_NS0_5tupleIJSF_S6_EEENSH_IJSG_SG_EEES6_PlJ5mod_3ItEEEE10hipError_tPvRmT3_T4_T5_T6_T7_T9_mT8_P12ihipStream_tbDpT10_ENKUlT_T0_E_clISt17integral_constantIbLb0EES15_IbLb1EEEEDaS11_S12_EUlS11_E_NS1_11comp_targetILNS1_3genE0ELNS1_11target_archE4294967295ELNS1_3gpuE0ELNS1_3repE0EEENS1_30default_config_static_selectorELNS0_4arch9wavefront6targetE0EEEvT1_
	.p2align	8
	.type	_ZN7rocprim17ROCPRIM_400000_NS6detail17trampoline_kernelINS0_14default_configENS1_25partition_config_selectorILNS1_17partition_subalgoE6EtNS0_10empty_typeEbEEZZNS1_14partition_implILS5_6ELb0ES3_mN6thrust23THRUST_200600_302600_NS6detail15normal_iteratorINSA_10device_ptrItEEEEPS6_SG_NS0_5tupleIJSF_S6_EEENSH_IJSG_SG_EEES6_PlJ5mod_3ItEEEE10hipError_tPvRmT3_T4_T5_T6_T7_T9_mT8_P12ihipStream_tbDpT10_ENKUlT_T0_E_clISt17integral_constantIbLb0EES15_IbLb1EEEEDaS11_S12_EUlS11_E_NS1_11comp_targetILNS1_3genE0ELNS1_11target_archE4294967295ELNS1_3gpuE0ELNS1_3repE0EEENS1_30default_config_static_selectorELNS0_4arch9wavefront6targetE0EEEvT1_,@function
_ZN7rocprim17ROCPRIM_400000_NS6detail17trampoline_kernelINS0_14default_configENS1_25partition_config_selectorILNS1_17partition_subalgoE6EtNS0_10empty_typeEbEEZZNS1_14partition_implILS5_6ELb0ES3_mN6thrust23THRUST_200600_302600_NS6detail15normal_iteratorINSA_10device_ptrItEEEEPS6_SG_NS0_5tupleIJSF_S6_EEENSH_IJSG_SG_EEES6_PlJ5mod_3ItEEEE10hipError_tPvRmT3_T4_T5_T6_T7_T9_mT8_P12ihipStream_tbDpT10_ENKUlT_T0_E_clISt17integral_constantIbLb0EES15_IbLb1EEEEDaS11_S12_EUlS11_E_NS1_11comp_targetILNS1_3genE0ELNS1_11target_archE4294967295ELNS1_3gpuE0ELNS1_3repE0EEENS1_30default_config_static_selectorELNS0_4arch9wavefront6targetE0EEEvT1_: ; @_ZN7rocprim17ROCPRIM_400000_NS6detail17trampoline_kernelINS0_14default_configENS1_25partition_config_selectorILNS1_17partition_subalgoE6EtNS0_10empty_typeEbEEZZNS1_14partition_implILS5_6ELb0ES3_mN6thrust23THRUST_200600_302600_NS6detail15normal_iteratorINSA_10device_ptrItEEEEPS6_SG_NS0_5tupleIJSF_S6_EEENSH_IJSG_SG_EEES6_PlJ5mod_3ItEEEE10hipError_tPvRmT3_T4_T5_T6_T7_T9_mT8_P12ihipStream_tbDpT10_ENKUlT_T0_E_clISt17integral_constantIbLb0EES15_IbLb1EEEEDaS11_S12_EUlS11_E_NS1_11comp_targetILNS1_3genE0ELNS1_11target_archE4294967295ELNS1_3gpuE0ELNS1_3repE0EEENS1_30default_config_static_selectorELNS0_4arch9wavefront6targetE0EEEvT1_
; %bb.0:
	.section	.rodata,"a",@progbits
	.p2align	6, 0x0
	.amdhsa_kernel _ZN7rocprim17ROCPRIM_400000_NS6detail17trampoline_kernelINS0_14default_configENS1_25partition_config_selectorILNS1_17partition_subalgoE6EtNS0_10empty_typeEbEEZZNS1_14partition_implILS5_6ELb0ES3_mN6thrust23THRUST_200600_302600_NS6detail15normal_iteratorINSA_10device_ptrItEEEEPS6_SG_NS0_5tupleIJSF_S6_EEENSH_IJSG_SG_EEES6_PlJ5mod_3ItEEEE10hipError_tPvRmT3_T4_T5_T6_T7_T9_mT8_P12ihipStream_tbDpT10_ENKUlT_T0_E_clISt17integral_constantIbLb0EES15_IbLb1EEEEDaS11_S12_EUlS11_E_NS1_11comp_targetILNS1_3genE0ELNS1_11target_archE4294967295ELNS1_3gpuE0ELNS1_3repE0EEENS1_30default_config_static_selectorELNS0_4arch9wavefront6targetE0EEEvT1_
		.amdhsa_group_segment_fixed_size 0
		.amdhsa_private_segment_fixed_size 0
		.amdhsa_kernarg_size 128
		.amdhsa_user_sgpr_count 15
		.amdhsa_user_sgpr_dispatch_ptr 0
		.amdhsa_user_sgpr_queue_ptr 0
		.amdhsa_user_sgpr_kernarg_segment_ptr 1
		.amdhsa_user_sgpr_dispatch_id 0
		.amdhsa_user_sgpr_private_segment_size 0
		.amdhsa_wavefront_size32 1
		.amdhsa_uses_dynamic_stack 0
		.amdhsa_enable_private_segment 0
		.amdhsa_system_sgpr_workgroup_id_x 1
		.amdhsa_system_sgpr_workgroup_id_y 0
		.amdhsa_system_sgpr_workgroup_id_z 0
		.amdhsa_system_sgpr_workgroup_info 0
		.amdhsa_system_vgpr_workitem_id 0
		.amdhsa_next_free_vgpr 1
		.amdhsa_next_free_sgpr 1
		.amdhsa_reserve_vcc 0
		.amdhsa_float_round_mode_32 0
		.amdhsa_float_round_mode_16_64 0
		.amdhsa_float_denorm_mode_32 3
		.amdhsa_float_denorm_mode_16_64 3
		.amdhsa_dx10_clamp 1
		.amdhsa_ieee_mode 1
		.amdhsa_fp16_overflow 0
		.amdhsa_workgroup_processor_mode 1
		.amdhsa_memory_ordered 1
		.amdhsa_forward_progress 0
		.amdhsa_shared_vgpr_count 0
		.amdhsa_exception_fp_ieee_invalid_op 0
		.amdhsa_exception_fp_denorm_src 0
		.amdhsa_exception_fp_ieee_div_zero 0
		.amdhsa_exception_fp_ieee_overflow 0
		.amdhsa_exception_fp_ieee_underflow 0
		.amdhsa_exception_fp_ieee_inexact 0
		.amdhsa_exception_int_div_zero 0
	.end_amdhsa_kernel
	.section	.text._ZN7rocprim17ROCPRIM_400000_NS6detail17trampoline_kernelINS0_14default_configENS1_25partition_config_selectorILNS1_17partition_subalgoE6EtNS0_10empty_typeEbEEZZNS1_14partition_implILS5_6ELb0ES3_mN6thrust23THRUST_200600_302600_NS6detail15normal_iteratorINSA_10device_ptrItEEEEPS6_SG_NS0_5tupleIJSF_S6_EEENSH_IJSG_SG_EEES6_PlJ5mod_3ItEEEE10hipError_tPvRmT3_T4_T5_T6_T7_T9_mT8_P12ihipStream_tbDpT10_ENKUlT_T0_E_clISt17integral_constantIbLb0EES15_IbLb1EEEEDaS11_S12_EUlS11_E_NS1_11comp_targetILNS1_3genE0ELNS1_11target_archE4294967295ELNS1_3gpuE0ELNS1_3repE0EEENS1_30default_config_static_selectorELNS0_4arch9wavefront6targetE0EEEvT1_,"axG",@progbits,_ZN7rocprim17ROCPRIM_400000_NS6detail17trampoline_kernelINS0_14default_configENS1_25partition_config_selectorILNS1_17partition_subalgoE6EtNS0_10empty_typeEbEEZZNS1_14partition_implILS5_6ELb0ES3_mN6thrust23THRUST_200600_302600_NS6detail15normal_iteratorINSA_10device_ptrItEEEEPS6_SG_NS0_5tupleIJSF_S6_EEENSH_IJSG_SG_EEES6_PlJ5mod_3ItEEEE10hipError_tPvRmT3_T4_T5_T6_T7_T9_mT8_P12ihipStream_tbDpT10_ENKUlT_T0_E_clISt17integral_constantIbLb0EES15_IbLb1EEEEDaS11_S12_EUlS11_E_NS1_11comp_targetILNS1_3genE0ELNS1_11target_archE4294967295ELNS1_3gpuE0ELNS1_3repE0EEENS1_30default_config_static_selectorELNS0_4arch9wavefront6targetE0EEEvT1_,comdat
.Lfunc_end544:
	.size	_ZN7rocprim17ROCPRIM_400000_NS6detail17trampoline_kernelINS0_14default_configENS1_25partition_config_selectorILNS1_17partition_subalgoE6EtNS0_10empty_typeEbEEZZNS1_14partition_implILS5_6ELb0ES3_mN6thrust23THRUST_200600_302600_NS6detail15normal_iteratorINSA_10device_ptrItEEEEPS6_SG_NS0_5tupleIJSF_S6_EEENSH_IJSG_SG_EEES6_PlJ5mod_3ItEEEE10hipError_tPvRmT3_T4_T5_T6_T7_T9_mT8_P12ihipStream_tbDpT10_ENKUlT_T0_E_clISt17integral_constantIbLb0EES15_IbLb1EEEEDaS11_S12_EUlS11_E_NS1_11comp_targetILNS1_3genE0ELNS1_11target_archE4294967295ELNS1_3gpuE0ELNS1_3repE0EEENS1_30default_config_static_selectorELNS0_4arch9wavefront6targetE0EEEvT1_, .Lfunc_end544-_ZN7rocprim17ROCPRIM_400000_NS6detail17trampoline_kernelINS0_14default_configENS1_25partition_config_selectorILNS1_17partition_subalgoE6EtNS0_10empty_typeEbEEZZNS1_14partition_implILS5_6ELb0ES3_mN6thrust23THRUST_200600_302600_NS6detail15normal_iteratorINSA_10device_ptrItEEEEPS6_SG_NS0_5tupleIJSF_S6_EEENSH_IJSG_SG_EEES6_PlJ5mod_3ItEEEE10hipError_tPvRmT3_T4_T5_T6_T7_T9_mT8_P12ihipStream_tbDpT10_ENKUlT_T0_E_clISt17integral_constantIbLb0EES15_IbLb1EEEEDaS11_S12_EUlS11_E_NS1_11comp_targetILNS1_3genE0ELNS1_11target_archE4294967295ELNS1_3gpuE0ELNS1_3repE0EEENS1_30default_config_static_selectorELNS0_4arch9wavefront6targetE0EEEvT1_
                                        ; -- End function
	.section	.AMDGPU.csdata,"",@progbits
; Kernel info:
; codeLenInByte = 0
; NumSgprs: 0
; NumVgprs: 0
; ScratchSize: 0
; MemoryBound: 0
; FloatMode: 240
; IeeeMode: 1
; LDSByteSize: 0 bytes/workgroup (compile time only)
; SGPRBlocks: 0
; VGPRBlocks: 0
; NumSGPRsForWavesPerEU: 1
; NumVGPRsForWavesPerEU: 1
; Occupancy: 16
; WaveLimiterHint : 0
; COMPUTE_PGM_RSRC2:SCRATCH_EN: 0
; COMPUTE_PGM_RSRC2:USER_SGPR: 15
; COMPUTE_PGM_RSRC2:TRAP_HANDLER: 0
; COMPUTE_PGM_RSRC2:TGID_X_EN: 1
; COMPUTE_PGM_RSRC2:TGID_Y_EN: 0
; COMPUTE_PGM_RSRC2:TGID_Z_EN: 0
; COMPUTE_PGM_RSRC2:TIDIG_COMP_CNT: 0
	.section	.text._ZN7rocprim17ROCPRIM_400000_NS6detail17trampoline_kernelINS0_14default_configENS1_25partition_config_selectorILNS1_17partition_subalgoE6EtNS0_10empty_typeEbEEZZNS1_14partition_implILS5_6ELb0ES3_mN6thrust23THRUST_200600_302600_NS6detail15normal_iteratorINSA_10device_ptrItEEEEPS6_SG_NS0_5tupleIJSF_S6_EEENSH_IJSG_SG_EEES6_PlJ5mod_3ItEEEE10hipError_tPvRmT3_T4_T5_T6_T7_T9_mT8_P12ihipStream_tbDpT10_ENKUlT_T0_E_clISt17integral_constantIbLb0EES15_IbLb1EEEEDaS11_S12_EUlS11_E_NS1_11comp_targetILNS1_3genE5ELNS1_11target_archE942ELNS1_3gpuE9ELNS1_3repE0EEENS1_30default_config_static_selectorELNS0_4arch9wavefront6targetE0EEEvT1_,"axG",@progbits,_ZN7rocprim17ROCPRIM_400000_NS6detail17trampoline_kernelINS0_14default_configENS1_25partition_config_selectorILNS1_17partition_subalgoE6EtNS0_10empty_typeEbEEZZNS1_14partition_implILS5_6ELb0ES3_mN6thrust23THRUST_200600_302600_NS6detail15normal_iteratorINSA_10device_ptrItEEEEPS6_SG_NS0_5tupleIJSF_S6_EEENSH_IJSG_SG_EEES6_PlJ5mod_3ItEEEE10hipError_tPvRmT3_T4_T5_T6_T7_T9_mT8_P12ihipStream_tbDpT10_ENKUlT_T0_E_clISt17integral_constantIbLb0EES15_IbLb1EEEEDaS11_S12_EUlS11_E_NS1_11comp_targetILNS1_3genE5ELNS1_11target_archE942ELNS1_3gpuE9ELNS1_3repE0EEENS1_30default_config_static_selectorELNS0_4arch9wavefront6targetE0EEEvT1_,comdat
	.protected	_ZN7rocprim17ROCPRIM_400000_NS6detail17trampoline_kernelINS0_14default_configENS1_25partition_config_selectorILNS1_17partition_subalgoE6EtNS0_10empty_typeEbEEZZNS1_14partition_implILS5_6ELb0ES3_mN6thrust23THRUST_200600_302600_NS6detail15normal_iteratorINSA_10device_ptrItEEEEPS6_SG_NS0_5tupleIJSF_S6_EEENSH_IJSG_SG_EEES6_PlJ5mod_3ItEEEE10hipError_tPvRmT3_T4_T5_T6_T7_T9_mT8_P12ihipStream_tbDpT10_ENKUlT_T0_E_clISt17integral_constantIbLb0EES15_IbLb1EEEEDaS11_S12_EUlS11_E_NS1_11comp_targetILNS1_3genE5ELNS1_11target_archE942ELNS1_3gpuE9ELNS1_3repE0EEENS1_30default_config_static_selectorELNS0_4arch9wavefront6targetE0EEEvT1_ ; -- Begin function _ZN7rocprim17ROCPRIM_400000_NS6detail17trampoline_kernelINS0_14default_configENS1_25partition_config_selectorILNS1_17partition_subalgoE6EtNS0_10empty_typeEbEEZZNS1_14partition_implILS5_6ELb0ES3_mN6thrust23THRUST_200600_302600_NS6detail15normal_iteratorINSA_10device_ptrItEEEEPS6_SG_NS0_5tupleIJSF_S6_EEENSH_IJSG_SG_EEES6_PlJ5mod_3ItEEEE10hipError_tPvRmT3_T4_T5_T6_T7_T9_mT8_P12ihipStream_tbDpT10_ENKUlT_T0_E_clISt17integral_constantIbLb0EES15_IbLb1EEEEDaS11_S12_EUlS11_E_NS1_11comp_targetILNS1_3genE5ELNS1_11target_archE942ELNS1_3gpuE9ELNS1_3repE0EEENS1_30default_config_static_selectorELNS0_4arch9wavefront6targetE0EEEvT1_
	.globl	_ZN7rocprim17ROCPRIM_400000_NS6detail17trampoline_kernelINS0_14default_configENS1_25partition_config_selectorILNS1_17partition_subalgoE6EtNS0_10empty_typeEbEEZZNS1_14partition_implILS5_6ELb0ES3_mN6thrust23THRUST_200600_302600_NS6detail15normal_iteratorINSA_10device_ptrItEEEEPS6_SG_NS0_5tupleIJSF_S6_EEENSH_IJSG_SG_EEES6_PlJ5mod_3ItEEEE10hipError_tPvRmT3_T4_T5_T6_T7_T9_mT8_P12ihipStream_tbDpT10_ENKUlT_T0_E_clISt17integral_constantIbLb0EES15_IbLb1EEEEDaS11_S12_EUlS11_E_NS1_11comp_targetILNS1_3genE5ELNS1_11target_archE942ELNS1_3gpuE9ELNS1_3repE0EEENS1_30default_config_static_selectorELNS0_4arch9wavefront6targetE0EEEvT1_
	.p2align	8
	.type	_ZN7rocprim17ROCPRIM_400000_NS6detail17trampoline_kernelINS0_14default_configENS1_25partition_config_selectorILNS1_17partition_subalgoE6EtNS0_10empty_typeEbEEZZNS1_14partition_implILS5_6ELb0ES3_mN6thrust23THRUST_200600_302600_NS6detail15normal_iteratorINSA_10device_ptrItEEEEPS6_SG_NS0_5tupleIJSF_S6_EEENSH_IJSG_SG_EEES6_PlJ5mod_3ItEEEE10hipError_tPvRmT3_T4_T5_T6_T7_T9_mT8_P12ihipStream_tbDpT10_ENKUlT_T0_E_clISt17integral_constantIbLb0EES15_IbLb1EEEEDaS11_S12_EUlS11_E_NS1_11comp_targetILNS1_3genE5ELNS1_11target_archE942ELNS1_3gpuE9ELNS1_3repE0EEENS1_30default_config_static_selectorELNS0_4arch9wavefront6targetE0EEEvT1_,@function
_ZN7rocprim17ROCPRIM_400000_NS6detail17trampoline_kernelINS0_14default_configENS1_25partition_config_selectorILNS1_17partition_subalgoE6EtNS0_10empty_typeEbEEZZNS1_14partition_implILS5_6ELb0ES3_mN6thrust23THRUST_200600_302600_NS6detail15normal_iteratorINSA_10device_ptrItEEEEPS6_SG_NS0_5tupleIJSF_S6_EEENSH_IJSG_SG_EEES6_PlJ5mod_3ItEEEE10hipError_tPvRmT3_T4_T5_T6_T7_T9_mT8_P12ihipStream_tbDpT10_ENKUlT_T0_E_clISt17integral_constantIbLb0EES15_IbLb1EEEEDaS11_S12_EUlS11_E_NS1_11comp_targetILNS1_3genE5ELNS1_11target_archE942ELNS1_3gpuE9ELNS1_3repE0EEENS1_30default_config_static_selectorELNS0_4arch9wavefront6targetE0EEEvT1_: ; @_ZN7rocprim17ROCPRIM_400000_NS6detail17trampoline_kernelINS0_14default_configENS1_25partition_config_selectorILNS1_17partition_subalgoE6EtNS0_10empty_typeEbEEZZNS1_14partition_implILS5_6ELb0ES3_mN6thrust23THRUST_200600_302600_NS6detail15normal_iteratorINSA_10device_ptrItEEEEPS6_SG_NS0_5tupleIJSF_S6_EEENSH_IJSG_SG_EEES6_PlJ5mod_3ItEEEE10hipError_tPvRmT3_T4_T5_T6_T7_T9_mT8_P12ihipStream_tbDpT10_ENKUlT_T0_E_clISt17integral_constantIbLb0EES15_IbLb1EEEEDaS11_S12_EUlS11_E_NS1_11comp_targetILNS1_3genE5ELNS1_11target_archE942ELNS1_3gpuE9ELNS1_3repE0EEENS1_30default_config_static_selectorELNS0_4arch9wavefront6targetE0EEEvT1_
; %bb.0:
	.section	.rodata,"a",@progbits
	.p2align	6, 0x0
	.amdhsa_kernel _ZN7rocprim17ROCPRIM_400000_NS6detail17trampoline_kernelINS0_14default_configENS1_25partition_config_selectorILNS1_17partition_subalgoE6EtNS0_10empty_typeEbEEZZNS1_14partition_implILS5_6ELb0ES3_mN6thrust23THRUST_200600_302600_NS6detail15normal_iteratorINSA_10device_ptrItEEEEPS6_SG_NS0_5tupleIJSF_S6_EEENSH_IJSG_SG_EEES6_PlJ5mod_3ItEEEE10hipError_tPvRmT3_T4_T5_T6_T7_T9_mT8_P12ihipStream_tbDpT10_ENKUlT_T0_E_clISt17integral_constantIbLb0EES15_IbLb1EEEEDaS11_S12_EUlS11_E_NS1_11comp_targetILNS1_3genE5ELNS1_11target_archE942ELNS1_3gpuE9ELNS1_3repE0EEENS1_30default_config_static_selectorELNS0_4arch9wavefront6targetE0EEEvT1_
		.amdhsa_group_segment_fixed_size 0
		.amdhsa_private_segment_fixed_size 0
		.amdhsa_kernarg_size 128
		.amdhsa_user_sgpr_count 15
		.amdhsa_user_sgpr_dispatch_ptr 0
		.amdhsa_user_sgpr_queue_ptr 0
		.amdhsa_user_sgpr_kernarg_segment_ptr 1
		.amdhsa_user_sgpr_dispatch_id 0
		.amdhsa_user_sgpr_private_segment_size 0
		.amdhsa_wavefront_size32 1
		.amdhsa_uses_dynamic_stack 0
		.amdhsa_enable_private_segment 0
		.amdhsa_system_sgpr_workgroup_id_x 1
		.amdhsa_system_sgpr_workgroup_id_y 0
		.amdhsa_system_sgpr_workgroup_id_z 0
		.amdhsa_system_sgpr_workgroup_info 0
		.amdhsa_system_vgpr_workitem_id 0
		.amdhsa_next_free_vgpr 1
		.amdhsa_next_free_sgpr 1
		.amdhsa_reserve_vcc 0
		.amdhsa_float_round_mode_32 0
		.amdhsa_float_round_mode_16_64 0
		.amdhsa_float_denorm_mode_32 3
		.amdhsa_float_denorm_mode_16_64 3
		.amdhsa_dx10_clamp 1
		.amdhsa_ieee_mode 1
		.amdhsa_fp16_overflow 0
		.amdhsa_workgroup_processor_mode 1
		.amdhsa_memory_ordered 1
		.amdhsa_forward_progress 0
		.amdhsa_shared_vgpr_count 0
		.amdhsa_exception_fp_ieee_invalid_op 0
		.amdhsa_exception_fp_denorm_src 0
		.amdhsa_exception_fp_ieee_div_zero 0
		.amdhsa_exception_fp_ieee_overflow 0
		.amdhsa_exception_fp_ieee_underflow 0
		.amdhsa_exception_fp_ieee_inexact 0
		.amdhsa_exception_int_div_zero 0
	.end_amdhsa_kernel
	.section	.text._ZN7rocprim17ROCPRIM_400000_NS6detail17trampoline_kernelINS0_14default_configENS1_25partition_config_selectorILNS1_17partition_subalgoE6EtNS0_10empty_typeEbEEZZNS1_14partition_implILS5_6ELb0ES3_mN6thrust23THRUST_200600_302600_NS6detail15normal_iteratorINSA_10device_ptrItEEEEPS6_SG_NS0_5tupleIJSF_S6_EEENSH_IJSG_SG_EEES6_PlJ5mod_3ItEEEE10hipError_tPvRmT3_T4_T5_T6_T7_T9_mT8_P12ihipStream_tbDpT10_ENKUlT_T0_E_clISt17integral_constantIbLb0EES15_IbLb1EEEEDaS11_S12_EUlS11_E_NS1_11comp_targetILNS1_3genE5ELNS1_11target_archE942ELNS1_3gpuE9ELNS1_3repE0EEENS1_30default_config_static_selectorELNS0_4arch9wavefront6targetE0EEEvT1_,"axG",@progbits,_ZN7rocprim17ROCPRIM_400000_NS6detail17trampoline_kernelINS0_14default_configENS1_25partition_config_selectorILNS1_17partition_subalgoE6EtNS0_10empty_typeEbEEZZNS1_14partition_implILS5_6ELb0ES3_mN6thrust23THRUST_200600_302600_NS6detail15normal_iteratorINSA_10device_ptrItEEEEPS6_SG_NS0_5tupleIJSF_S6_EEENSH_IJSG_SG_EEES6_PlJ5mod_3ItEEEE10hipError_tPvRmT3_T4_T5_T6_T7_T9_mT8_P12ihipStream_tbDpT10_ENKUlT_T0_E_clISt17integral_constantIbLb0EES15_IbLb1EEEEDaS11_S12_EUlS11_E_NS1_11comp_targetILNS1_3genE5ELNS1_11target_archE942ELNS1_3gpuE9ELNS1_3repE0EEENS1_30default_config_static_selectorELNS0_4arch9wavefront6targetE0EEEvT1_,comdat
.Lfunc_end545:
	.size	_ZN7rocprim17ROCPRIM_400000_NS6detail17trampoline_kernelINS0_14default_configENS1_25partition_config_selectorILNS1_17partition_subalgoE6EtNS0_10empty_typeEbEEZZNS1_14partition_implILS5_6ELb0ES3_mN6thrust23THRUST_200600_302600_NS6detail15normal_iteratorINSA_10device_ptrItEEEEPS6_SG_NS0_5tupleIJSF_S6_EEENSH_IJSG_SG_EEES6_PlJ5mod_3ItEEEE10hipError_tPvRmT3_T4_T5_T6_T7_T9_mT8_P12ihipStream_tbDpT10_ENKUlT_T0_E_clISt17integral_constantIbLb0EES15_IbLb1EEEEDaS11_S12_EUlS11_E_NS1_11comp_targetILNS1_3genE5ELNS1_11target_archE942ELNS1_3gpuE9ELNS1_3repE0EEENS1_30default_config_static_selectorELNS0_4arch9wavefront6targetE0EEEvT1_, .Lfunc_end545-_ZN7rocprim17ROCPRIM_400000_NS6detail17trampoline_kernelINS0_14default_configENS1_25partition_config_selectorILNS1_17partition_subalgoE6EtNS0_10empty_typeEbEEZZNS1_14partition_implILS5_6ELb0ES3_mN6thrust23THRUST_200600_302600_NS6detail15normal_iteratorINSA_10device_ptrItEEEEPS6_SG_NS0_5tupleIJSF_S6_EEENSH_IJSG_SG_EEES6_PlJ5mod_3ItEEEE10hipError_tPvRmT3_T4_T5_T6_T7_T9_mT8_P12ihipStream_tbDpT10_ENKUlT_T0_E_clISt17integral_constantIbLb0EES15_IbLb1EEEEDaS11_S12_EUlS11_E_NS1_11comp_targetILNS1_3genE5ELNS1_11target_archE942ELNS1_3gpuE9ELNS1_3repE0EEENS1_30default_config_static_selectorELNS0_4arch9wavefront6targetE0EEEvT1_
                                        ; -- End function
	.section	.AMDGPU.csdata,"",@progbits
; Kernel info:
; codeLenInByte = 0
; NumSgprs: 0
; NumVgprs: 0
; ScratchSize: 0
; MemoryBound: 0
; FloatMode: 240
; IeeeMode: 1
; LDSByteSize: 0 bytes/workgroup (compile time only)
; SGPRBlocks: 0
; VGPRBlocks: 0
; NumSGPRsForWavesPerEU: 1
; NumVGPRsForWavesPerEU: 1
; Occupancy: 16
; WaveLimiterHint : 0
; COMPUTE_PGM_RSRC2:SCRATCH_EN: 0
; COMPUTE_PGM_RSRC2:USER_SGPR: 15
; COMPUTE_PGM_RSRC2:TRAP_HANDLER: 0
; COMPUTE_PGM_RSRC2:TGID_X_EN: 1
; COMPUTE_PGM_RSRC2:TGID_Y_EN: 0
; COMPUTE_PGM_RSRC2:TGID_Z_EN: 0
; COMPUTE_PGM_RSRC2:TIDIG_COMP_CNT: 0
	.section	.text._ZN7rocprim17ROCPRIM_400000_NS6detail17trampoline_kernelINS0_14default_configENS1_25partition_config_selectorILNS1_17partition_subalgoE6EtNS0_10empty_typeEbEEZZNS1_14partition_implILS5_6ELb0ES3_mN6thrust23THRUST_200600_302600_NS6detail15normal_iteratorINSA_10device_ptrItEEEEPS6_SG_NS0_5tupleIJSF_S6_EEENSH_IJSG_SG_EEES6_PlJ5mod_3ItEEEE10hipError_tPvRmT3_T4_T5_T6_T7_T9_mT8_P12ihipStream_tbDpT10_ENKUlT_T0_E_clISt17integral_constantIbLb0EES15_IbLb1EEEEDaS11_S12_EUlS11_E_NS1_11comp_targetILNS1_3genE4ELNS1_11target_archE910ELNS1_3gpuE8ELNS1_3repE0EEENS1_30default_config_static_selectorELNS0_4arch9wavefront6targetE0EEEvT1_,"axG",@progbits,_ZN7rocprim17ROCPRIM_400000_NS6detail17trampoline_kernelINS0_14default_configENS1_25partition_config_selectorILNS1_17partition_subalgoE6EtNS0_10empty_typeEbEEZZNS1_14partition_implILS5_6ELb0ES3_mN6thrust23THRUST_200600_302600_NS6detail15normal_iteratorINSA_10device_ptrItEEEEPS6_SG_NS0_5tupleIJSF_S6_EEENSH_IJSG_SG_EEES6_PlJ5mod_3ItEEEE10hipError_tPvRmT3_T4_T5_T6_T7_T9_mT8_P12ihipStream_tbDpT10_ENKUlT_T0_E_clISt17integral_constantIbLb0EES15_IbLb1EEEEDaS11_S12_EUlS11_E_NS1_11comp_targetILNS1_3genE4ELNS1_11target_archE910ELNS1_3gpuE8ELNS1_3repE0EEENS1_30default_config_static_selectorELNS0_4arch9wavefront6targetE0EEEvT1_,comdat
	.protected	_ZN7rocprim17ROCPRIM_400000_NS6detail17trampoline_kernelINS0_14default_configENS1_25partition_config_selectorILNS1_17partition_subalgoE6EtNS0_10empty_typeEbEEZZNS1_14partition_implILS5_6ELb0ES3_mN6thrust23THRUST_200600_302600_NS6detail15normal_iteratorINSA_10device_ptrItEEEEPS6_SG_NS0_5tupleIJSF_S6_EEENSH_IJSG_SG_EEES6_PlJ5mod_3ItEEEE10hipError_tPvRmT3_T4_T5_T6_T7_T9_mT8_P12ihipStream_tbDpT10_ENKUlT_T0_E_clISt17integral_constantIbLb0EES15_IbLb1EEEEDaS11_S12_EUlS11_E_NS1_11comp_targetILNS1_3genE4ELNS1_11target_archE910ELNS1_3gpuE8ELNS1_3repE0EEENS1_30default_config_static_selectorELNS0_4arch9wavefront6targetE0EEEvT1_ ; -- Begin function _ZN7rocprim17ROCPRIM_400000_NS6detail17trampoline_kernelINS0_14default_configENS1_25partition_config_selectorILNS1_17partition_subalgoE6EtNS0_10empty_typeEbEEZZNS1_14partition_implILS5_6ELb0ES3_mN6thrust23THRUST_200600_302600_NS6detail15normal_iteratorINSA_10device_ptrItEEEEPS6_SG_NS0_5tupleIJSF_S6_EEENSH_IJSG_SG_EEES6_PlJ5mod_3ItEEEE10hipError_tPvRmT3_T4_T5_T6_T7_T9_mT8_P12ihipStream_tbDpT10_ENKUlT_T0_E_clISt17integral_constantIbLb0EES15_IbLb1EEEEDaS11_S12_EUlS11_E_NS1_11comp_targetILNS1_3genE4ELNS1_11target_archE910ELNS1_3gpuE8ELNS1_3repE0EEENS1_30default_config_static_selectorELNS0_4arch9wavefront6targetE0EEEvT1_
	.globl	_ZN7rocprim17ROCPRIM_400000_NS6detail17trampoline_kernelINS0_14default_configENS1_25partition_config_selectorILNS1_17partition_subalgoE6EtNS0_10empty_typeEbEEZZNS1_14partition_implILS5_6ELb0ES3_mN6thrust23THRUST_200600_302600_NS6detail15normal_iteratorINSA_10device_ptrItEEEEPS6_SG_NS0_5tupleIJSF_S6_EEENSH_IJSG_SG_EEES6_PlJ5mod_3ItEEEE10hipError_tPvRmT3_T4_T5_T6_T7_T9_mT8_P12ihipStream_tbDpT10_ENKUlT_T0_E_clISt17integral_constantIbLb0EES15_IbLb1EEEEDaS11_S12_EUlS11_E_NS1_11comp_targetILNS1_3genE4ELNS1_11target_archE910ELNS1_3gpuE8ELNS1_3repE0EEENS1_30default_config_static_selectorELNS0_4arch9wavefront6targetE0EEEvT1_
	.p2align	8
	.type	_ZN7rocprim17ROCPRIM_400000_NS6detail17trampoline_kernelINS0_14default_configENS1_25partition_config_selectorILNS1_17partition_subalgoE6EtNS0_10empty_typeEbEEZZNS1_14partition_implILS5_6ELb0ES3_mN6thrust23THRUST_200600_302600_NS6detail15normal_iteratorINSA_10device_ptrItEEEEPS6_SG_NS0_5tupleIJSF_S6_EEENSH_IJSG_SG_EEES6_PlJ5mod_3ItEEEE10hipError_tPvRmT3_T4_T5_T6_T7_T9_mT8_P12ihipStream_tbDpT10_ENKUlT_T0_E_clISt17integral_constantIbLb0EES15_IbLb1EEEEDaS11_S12_EUlS11_E_NS1_11comp_targetILNS1_3genE4ELNS1_11target_archE910ELNS1_3gpuE8ELNS1_3repE0EEENS1_30default_config_static_selectorELNS0_4arch9wavefront6targetE0EEEvT1_,@function
_ZN7rocprim17ROCPRIM_400000_NS6detail17trampoline_kernelINS0_14default_configENS1_25partition_config_selectorILNS1_17partition_subalgoE6EtNS0_10empty_typeEbEEZZNS1_14partition_implILS5_6ELb0ES3_mN6thrust23THRUST_200600_302600_NS6detail15normal_iteratorINSA_10device_ptrItEEEEPS6_SG_NS0_5tupleIJSF_S6_EEENSH_IJSG_SG_EEES6_PlJ5mod_3ItEEEE10hipError_tPvRmT3_T4_T5_T6_T7_T9_mT8_P12ihipStream_tbDpT10_ENKUlT_T0_E_clISt17integral_constantIbLb0EES15_IbLb1EEEEDaS11_S12_EUlS11_E_NS1_11comp_targetILNS1_3genE4ELNS1_11target_archE910ELNS1_3gpuE8ELNS1_3repE0EEENS1_30default_config_static_selectorELNS0_4arch9wavefront6targetE0EEEvT1_: ; @_ZN7rocprim17ROCPRIM_400000_NS6detail17trampoline_kernelINS0_14default_configENS1_25partition_config_selectorILNS1_17partition_subalgoE6EtNS0_10empty_typeEbEEZZNS1_14partition_implILS5_6ELb0ES3_mN6thrust23THRUST_200600_302600_NS6detail15normal_iteratorINSA_10device_ptrItEEEEPS6_SG_NS0_5tupleIJSF_S6_EEENSH_IJSG_SG_EEES6_PlJ5mod_3ItEEEE10hipError_tPvRmT3_T4_T5_T6_T7_T9_mT8_P12ihipStream_tbDpT10_ENKUlT_T0_E_clISt17integral_constantIbLb0EES15_IbLb1EEEEDaS11_S12_EUlS11_E_NS1_11comp_targetILNS1_3genE4ELNS1_11target_archE910ELNS1_3gpuE8ELNS1_3repE0EEENS1_30default_config_static_selectorELNS0_4arch9wavefront6targetE0EEEvT1_
; %bb.0:
	.section	.rodata,"a",@progbits
	.p2align	6, 0x0
	.amdhsa_kernel _ZN7rocprim17ROCPRIM_400000_NS6detail17trampoline_kernelINS0_14default_configENS1_25partition_config_selectorILNS1_17partition_subalgoE6EtNS0_10empty_typeEbEEZZNS1_14partition_implILS5_6ELb0ES3_mN6thrust23THRUST_200600_302600_NS6detail15normal_iteratorINSA_10device_ptrItEEEEPS6_SG_NS0_5tupleIJSF_S6_EEENSH_IJSG_SG_EEES6_PlJ5mod_3ItEEEE10hipError_tPvRmT3_T4_T5_T6_T7_T9_mT8_P12ihipStream_tbDpT10_ENKUlT_T0_E_clISt17integral_constantIbLb0EES15_IbLb1EEEEDaS11_S12_EUlS11_E_NS1_11comp_targetILNS1_3genE4ELNS1_11target_archE910ELNS1_3gpuE8ELNS1_3repE0EEENS1_30default_config_static_selectorELNS0_4arch9wavefront6targetE0EEEvT1_
		.amdhsa_group_segment_fixed_size 0
		.amdhsa_private_segment_fixed_size 0
		.amdhsa_kernarg_size 128
		.amdhsa_user_sgpr_count 15
		.amdhsa_user_sgpr_dispatch_ptr 0
		.amdhsa_user_sgpr_queue_ptr 0
		.amdhsa_user_sgpr_kernarg_segment_ptr 1
		.amdhsa_user_sgpr_dispatch_id 0
		.amdhsa_user_sgpr_private_segment_size 0
		.amdhsa_wavefront_size32 1
		.amdhsa_uses_dynamic_stack 0
		.amdhsa_enable_private_segment 0
		.amdhsa_system_sgpr_workgroup_id_x 1
		.amdhsa_system_sgpr_workgroup_id_y 0
		.amdhsa_system_sgpr_workgroup_id_z 0
		.amdhsa_system_sgpr_workgroup_info 0
		.amdhsa_system_vgpr_workitem_id 0
		.amdhsa_next_free_vgpr 1
		.amdhsa_next_free_sgpr 1
		.amdhsa_reserve_vcc 0
		.amdhsa_float_round_mode_32 0
		.amdhsa_float_round_mode_16_64 0
		.amdhsa_float_denorm_mode_32 3
		.amdhsa_float_denorm_mode_16_64 3
		.amdhsa_dx10_clamp 1
		.amdhsa_ieee_mode 1
		.amdhsa_fp16_overflow 0
		.amdhsa_workgroup_processor_mode 1
		.amdhsa_memory_ordered 1
		.amdhsa_forward_progress 0
		.amdhsa_shared_vgpr_count 0
		.amdhsa_exception_fp_ieee_invalid_op 0
		.amdhsa_exception_fp_denorm_src 0
		.amdhsa_exception_fp_ieee_div_zero 0
		.amdhsa_exception_fp_ieee_overflow 0
		.amdhsa_exception_fp_ieee_underflow 0
		.amdhsa_exception_fp_ieee_inexact 0
		.amdhsa_exception_int_div_zero 0
	.end_amdhsa_kernel
	.section	.text._ZN7rocprim17ROCPRIM_400000_NS6detail17trampoline_kernelINS0_14default_configENS1_25partition_config_selectorILNS1_17partition_subalgoE6EtNS0_10empty_typeEbEEZZNS1_14partition_implILS5_6ELb0ES3_mN6thrust23THRUST_200600_302600_NS6detail15normal_iteratorINSA_10device_ptrItEEEEPS6_SG_NS0_5tupleIJSF_S6_EEENSH_IJSG_SG_EEES6_PlJ5mod_3ItEEEE10hipError_tPvRmT3_T4_T5_T6_T7_T9_mT8_P12ihipStream_tbDpT10_ENKUlT_T0_E_clISt17integral_constantIbLb0EES15_IbLb1EEEEDaS11_S12_EUlS11_E_NS1_11comp_targetILNS1_3genE4ELNS1_11target_archE910ELNS1_3gpuE8ELNS1_3repE0EEENS1_30default_config_static_selectorELNS0_4arch9wavefront6targetE0EEEvT1_,"axG",@progbits,_ZN7rocprim17ROCPRIM_400000_NS6detail17trampoline_kernelINS0_14default_configENS1_25partition_config_selectorILNS1_17partition_subalgoE6EtNS0_10empty_typeEbEEZZNS1_14partition_implILS5_6ELb0ES3_mN6thrust23THRUST_200600_302600_NS6detail15normal_iteratorINSA_10device_ptrItEEEEPS6_SG_NS0_5tupleIJSF_S6_EEENSH_IJSG_SG_EEES6_PlJ5mod_3ItEEEE10hipError_tPvRmT3_T4_T5_T6_T7_T9_mT8_P12ihipStream_tbDpT10_ENKUlT_T0_E_clISt17integral_constantIbLb0EES15_IbLb1EEEEDaS11_S12_EUlS11_E_NS1_11comp_targetILNS1_3genE4ELNS1_11target_archE910ELNS1_3gpuE8ELNS1_3repE0EEENS1_30default_config_static_selectorELNS0_4arch9wavefront6targetE0EEEvT1_,comdat
.Lfunc_end546:
	.size	_ZN7rocprim17ROCPRIM_400000_NS6detail17trampoline_kernelINS0_14default_configENS1_25partition_config_selectorILNS1_17partition_subalgoE6EtNS0_10empty_typeEbEEZZNS1_14partition_implILS5_6ELb0ES3_mN6thrust23THRUST_200600_302600_NS6detail15normal_iteratorINSA_10device_ptrItEEEEPS6_SG_NS0_5tupleIJSF_S6_EEENSH_IJSG_SG_EEES6_PlJ5mod_3ItEEEE10hipError_tPvRmT3_T4_T5_T6_T7_T9_mT8_P12ihipStream_tbDpT10_ENKUlT_T0_E_clISt17integral_constantIbLb0EES15_IbLb1EEEEDaS11_S12_EUlS11_E_NS1_11comp_targetILNS1_3genE4ELNS1_11target_archE910ELNS1_3gpuE8ELNS1_3repE0EEENS1_30default_config_static_selectorELNS0_4arch9wavefront6targetE0EEEvT1_, .Lfunc_end546-_ZN7rocprim17ROCPRIM_400000_NS6detail17trampoline_kernelINS0_14default_configENS1_25partition_config_selectorILNS1_17partition_subalgoE6EtNS0_10empty_typeEbEEZZNS1_14partition_implILS5_6ELb0ES3_mN6thrust23THRUST_200600_302600_NS6detail15normal_iteratorINSA_10device_ptrItEEEEPS6_SG_NS0_5tupleIJSF_S6_EEENSH_IJSG_SG_EEES6_PlJ5mod_3ItEEEE10hipError_tPvRmT3_T4_T5_T6_T7_T9_mT8_P12ihipStream_tbDpT10_ENKUlT_T0_E_clISt17integral_constantIbLb0EES15_IbLb1EEEEDaS11_S12_EUlS11_E_NS1_11comp_targetILNS1_3genE4ELNS1_11target_archE910ELNS1_3gpuE8ELNS1_3repE0EEENS1_30default_config_static_selectorELNS0_4arch9wavefront6targetE0EEEvT1_
                                        ; -- End function
	.section	.AMDGPU.csdata,"",@progbits
; Kernel info:
; codeLenInByte = 0
; NumSgprs: 0
; NumVgprs: 0
; ScratchSize: 0
; MemoryBound: 0
; FloatMode: 240
; IeeeMode: 1
; LDSByteSize: 0 bytes/workgroup (compile time only)
; SGPRBlocks: 0
; VGPRBlocks: 0
; NumSGPRsForWavesPerEU: 1
; NumVGPRsForWavesPerEU: 1
; Occupancy: 16
; WaveLimiterHint : 0
; COMPUTE_PGM_RSRC2:SCRATCH_EN: 0
; COMPUTE_PGM_RSRC2:USER_SGPR: 15
; COMPUTE_PGM_RSRC2:TRAP_HANDLER: 0
; COMPUTE_PGM_RSRC2:TGID_X_EN: 1
; COMPUTE_PGM_RSRC2:TGID_Y_EN: 0
; COMPUTE_PGM_RSRC2:TGID_Z_EN: 0
; COMPUTE_PGM_RSRC2:TIDIG_COMP_CNT: 0
	.section	.text._ZN7rocprim17ROCPRIM_400000_NS6detail17trampoline_kernelINS0_14default_configENS1_25partition_config_selectorILNS1_17partition_subalgoE6EtNS0_10empty_typeEbEEZZNS1_14partition_implILS5_6ELb0ES3_mN6thrust23THRUST_200600_302600_NS6detail15normal_iteratorINSA_10device_ptrItEEEEPS6_SG_NS0_5tupleIJSF_S6_EEENSH_IJSG_SG_EEES6_PlJ5mod_3ItEEEE10hipError_tPvRmT3_T4_T5_T6_T7_T9_mT8_P12ihipStream_tbDpT10_ENKUlT_T0_E_clISt17integral_constantIbLb0EES15_IbLb1EEEEDaS11_S12_EUlS11_E_NS1_11comp_targetILNS1_3genE3ELNS1_11target_archE908ELNS1_3gpuE7ELNS1_3repE0EEENS1_30default_config_static_selectorELNS0_4arch9wavefront6targetE0EEEvT1_,"axG",@progbits,_ZN7rocprim17ROCPRIM_400000_NS6detail17trampoline_kernelINS0_14default_configENS1_25partition_config_selectorILNS1_17partition_subalgoE6EtNS0_10empty_typeEbEEZZNS1_14partition_implILS5_6ELb0ES3_mN6thrust23THRUST_200600_302600_NS6detail15normal_iteratorINSA_10device_ptrItEEEEPS6_SG_NS0_5tupleIJSF_S6_EEENSH_IJSG_SG_EEES6_PlJ5mod_3ItEEEE10hipError_tPvRmT3_T4_T5_T6_T7_T9_mT8_P12ihipStream_tbDpT10_ENKUlT_T0_E_clISt17integral_constantIbLb0EES15_IbLb1EEEEDaS11_S12_EUlS11_E_NS1_11comp_targetILNS1_3genE3ELNS1_11target_archE908ELNS1_3gpuE7ELNS1_3repE0EEENS1_30default_config_static_selectorELNS0_4arch9wavefront6targetE0EEEvT1_,comdat
	.protected	_ZN7rocprim17ROCPRIM_400000_NS6detail17trampoline_kernelINS0_14default_configENS1_25partition_config_selectorILNS1_17partition_subalgoE6EtNS0_10empty_typeEbEEZZNS1_14partition_implILS5_6ELb0ES3_mN6thrust23THRUST_200600_302600_NS6detail15normal_iteratorINSA_10device_ptrItEEEEPS6_SG_NS0_5tupleIJSF_S6_EEENSH_IJSG_SG_EEES6_PlJ5mod_3ItEEEE10hipError_tPvRmT3_T4_T5_T6_T7_T9_mT8_P12ihipStream_tbDpT10_ENKUlT_T0_E_clISt17integral_constantIbLb0EES15_IbLb1EEEEDaS11_S12_EUlS11_E_NS1_11comp_targetILNS1_3genE3ELNS1_11target_archE908ELNS1_3gpuE7ELNS1_3repE0EEENS1_30default_config_static_selectorELNS0_4arch9wavefront6targetE0EEEvT1_ ; -- Begin function _ZN7rocprim17ROCPRIM_400000_NS6detail17trampoline_kernelINS0_14default_configENS1_25partition_config_selectorILNS1_17partition_subalgoE6EtNS0_10empty_typeEbEEZZNS1_14partition_implILS5_6ELb0ES3_mN6thrust23THRUST_200600_302600_NS6detail15normal_iteratorINSA_10device_ptrItEEEEPS6_SG_NS0_5tupleIJSF_S6_EEENSH_IJSG_SG_EEES6_PlJ5mod_3ItEEEE10hipError_tPvRmT3_T4_T5_T6_T7_T9_mT8_P12ihipStream_tbDpT10_ENKUlT_T0_E_clISt17integral_constantIbLb0EES15_IbLb1EEEEDaS11_S12_EUlS11_E_NS1_11comp_targetILNS1_3genE3ELNS1_11target_archE908ELNS1_3gpuE7ELNS1_3repE0EEENS1_30default_config_static_selectorELNS0_4arch9wavefront6targetE0EEEvT1_
	.globl	_ZN7rocprim17ROCPRIM_400000_NS6detail17trampoline_kernelINS0_14default_configENS1_25partition_config_selectorILNS1_17partition_subalgoE6EtNS0_10empty_typeEbEEZZNS1_14partition_implILS5_6ELb0ES3_mN6thrust23THRUST_200600_302600_NS6detail15normal_iteratorINSA_10device_ptrItEEEEPS6_SG_NS0_5tupleIJSF_S6_EEENSH_IJSG_SG_EEES6_PlJ5mod_3ItEEEE10hipError_tPvRmT3_T4_T5_T6_T7_T9_mT8_P12ihipStream_tbDpT10_ENKUlT_T0_E_clISt17integral_constantIbLb0EES15_IbLb1EEEEDaS11_S12_EUlS11_E_NS1_11comp_targetILNS1_3genE3ELNS1_11target_archE908ELNS1_3gpuE7ELNS1_3repE0EEENS1_30default_config_static_selectorELNS0_4arch9wavefront6targetE0EEEvT1_
	.p2align	8
	.type	_ZN7rocprim17ROCPRIM_400000_NS6detail17trampoline_kernelINS0_14default_configENS1_25partition_config_selectorILNS1_17partition_subalgoE6EtNS0_10empty_typeEbEEZZNS1_14partition_implILS5_6ELb0ES3_mN6thrust23THRUST_200600_302600_NS6detail15normal_iteratorINSA_10device_ptrItEEEEPS6_SG_NS0_5tupleIJSF_S6_EEENSH_IJSG_SG_EEES6_PlJ5mod_3ItEEEE10hipError_tPvRmT3_T4_T5_T6_T7_T9_mT8_P12ihipStream_tbDpT10_ENKUlT_T0_E_clISt17integral_constantIbLb0EES15_IbLb1EEEEDaS11_S12_EUlS11_E_NS1_11comp_targetILNS1_3genE3ELNS1_11target_archE908ELNS1_3gpuE7ELNS1_3repE0EEENS1_30default_config_static_selectorELNS0_4arch9wavefront6targetE0EEEvT1_,@function
_ZN7rocprim17ROCPRIM_400000_NS6detail17trampoline_kernelINS0_14default_configENS1_25partition_config_selectorILNS1_17partition_subalgoE6EtNS0_10empty_typeEbEEZZNS1_14partition_implILS5_6ELb0ES3_mN6thrust23THRUST_200600_302600_NS6detail15normal_iteratorINSA_10device_ptrItEEEEPS6_SG_NS0_5tupleIJSF_S6_EEENSH_IJSG_SG_EEES6_PlJ5mod_3ItEEEE10hipError_tPvRmT3_T4_T5_T6_T7_T9_mT8_P12ihipStream_tbDpT10_ENKUlT_T0_E_clISt17integral_constantIbLb0EES15_IbLb1EEEEDaS11_S12_EUlS11_E_NS1_11comp_targetILNS1_3genE3ELNS1_11target_archE908ELNS1_3gpuE7ELNS1_3repE0EEENS1_30default_config_static_selectorELNS0_4arch9wavefront6targetE0EEEvT1_: ; @_ZN7rocprim17ROCPRIM_400000_NS6detail17trampoline_kernelINS0_14default_configENS1_25partition_config_selectorILNS1_17partition_subalgoE6EtNS0_10empty_typeEbEEZZNS1_14partition_implILS5_6ELb0ES3_mN6thrust23THRUST_200600_302600_NS6detail15normal_iteratorINSA_10device_ptrItEEEEPS6_SG_NS0_5tupleIJSF_S6_EEENSH_IJSG_SG_EEES6_PlJ5mod_3ItEEEE10hipError_tPvRmT3_T4_T5_T6_T7_T9_mT8_P12ihipStream_tbDpT10_ENKUlT_T0_E_clISt17integral_constantIbLb0EES15_IbLb1EEEEDaS11_S12_EUlS11_E_NS1_11comp_targetILNS1_3genE3ELNS1_11target_archE908ELNS1_3gpuE7ELNS1_3repE0EEENS1_30default_config_static_selectorELNS0_4arch9wavefront6targetE0EEEvT1_
; %bb.0:
	.section	.rodata,"a",@progbits
	.p2align	6, 0x0
	.amdhsa_kernel _ZN7rocprim17ROCPRIM_400000_NS6detail17trampoline_kernelINS0_14default_configENS1_25partition_config_selectorILNS1_17partition_subalgoE6EtNS0_10empty_typeEbEEZZNS1_14partition_implILS5_6ELb0ES3_mN6thrust23THRUST_200600_302600_NS6detail15normal_iteratorINSA_10device_ptrItEEEEPS6_SG_NS0_5tupleIJSF_S6_EEENSH_IJSG_SG_EEES6_PlJ5mod_3ItEEEE10hipError_tPvRmT3_T4_T5_T6_T7_T9_mT8_P12ihipStream_tbDpT10_ENKUlT_T0_E_clISt17integral_constantIbLb0EES15_IbLb1EEEEDaS11_S12_EUlS11_E_NS1_11comp_targetILNS1_3genE3ELNS1_11target_archE908ELNS1_3gpuE7ELNS1_3repE0EEENS1_30default_config_static_selectorELNS0_4arch9wavefront6targetE0EEEvT1_
		.amdhsa_group_segment_fixed_size 0
		.amdhsa_private_segment_fixed_size 0
		.amdhsa_kernarg_size 128
		.amdhsa_user_sgpr_count 15
		.amdhsa_user_sgpr_dispatch_ptr 0
		.amdhsa_user_sgpr_queue_ptr 0
		.amdhsa_user_sgpr_kernarg_segment_ptr 1
		.amdhsa_user_sgpr_dispatch_id 0
		.amdhsa_user_sgpr_private_segment_size 0
		.amdhsa_wavefront_size32 1
		.amdhsa_uses_dynamic_stack 0
		.amdhsa_enable_private_segment 0
		.amdhsa_system_sgpr_workgroup_id_x 1
		.amdhsa_system_sgpr_workgroup_id_y 0
		.amdhsa_system_sgpr_workgroup_id_z 0
		.amdhsa_system_sgpr_workgroup_info 0
		.amdhsa_system_vgpr_workitem_id 0
		.amdhsa_next_free_vgpr 1
		.amdhsa_next_free_sgpr 1
		.amdhsa_reserve_vcc 0
		.amdhsa_float_round_mode_32 0
		.amdhsa_float_round_mode_16_64 0
		.amdhsa_float_denorm_mode_32 3
		.amdhsa_float_denorm_mode_16_64 3
		.amdhsa_dx10_clamp 1
		.amdhsa_ieee_mode 1
		.amdhsa_fp16_overflow 0
		.amdhsa_workgroup_processor_mode 1
		.amdhsa_memory_ordered 1
		.amdhsa_forward_progress 0
		.amdhsa_shared_vgpr_count 0
		.amdhsa_exception_fp_ieee_invalid_op 0
		.amdhsa_exception_fp_denorm_src 0
		.amdhsa_exception_fp_ieee_div_zero 0
		.amdhsa_exception_fp_ieee_overflow 0
		.amdhsa_exception_fp_ieee_underflow 0
		.amdhsa_exception_fp_ieee_inexact 0
		.amdhsa_exception_int_div_zero 0
	.end_amdhsa_kernel
	.section	.text._ZN7rocprim17ROCPRIM_400000_NS6detail17trampoline_kernelINS0_14default_configENS1_25partition_config_selectorILNS1_17partition_subalgoE6EtNS0_10empty_typeEbEEZZNS1_14partition_implILS5_6ELb0ES3_mN6thrust23THRUST_200600_302600_NS6detail15normal_iteratorINSA_10device_ptrItEEEEPS6_SG_NS0_5tupleIJSF_S6_EEENSH_IJSG_SG_EEES6_PlJ5mod_3ItEEEE10hipError_tPvRmT3_T4_T5_T6_T7_T9_mT8_P12ihipStream_tbDpT10_ENKUlT_T0_E_clISt17integral_constantIbLb0EES15_IbLb1EEEEDaS11_S12_EUlS11_E_NS1_11comp_targetILNS1_3genE3ELNS1_11target_archE908ELNS1_3gpuE7ELNS1_3repE0EEENS1_30default_config_static_selectorELNS0_4arch9wavefront6targetE0EEEvT1_,"axG",@progbits,_ZN7rocprim17ROCPRIM_400000_NS6detail17trampoline_kernelINS0_14default_configENS1_25partition_config_selectorILNS1_17partition_subalgoE6EtNS0_10empty_typeEbEEZZNS1_14partition_implILS5_6ELb0ES3_mN6thrust23THRUST_200600_302600_NS6detail15normal_iteratorINSA_10device_ptrItEEEEPS6_SG_NS0_5tupleIJSF_S6_EEENSH_IJSG_SG_EEES6_PlJ5mod_3ItEEEE10hipError_tPvRmT3_T4_T5_T6_T7_T9_mT8_P12ihipStream_tbDpT10_ENKUlT_T0_E_clISt17integral_constantIbLb0EES15_IbLb1EEEEDaS11_S12_EUlS11_E_NS1_11comp_targetILNS1_3genE3ELNS1_11target_archE908ELNS1_3gpuE7ELNS1_3repE0EEENS1_30default_config_static_selectorELNS0_4arch9wavefront6targetE0EEEvT1_,comdat
.Lfunc_end547:
	.size	_ZN7rocprim17ROCPRIM_400000_NS6detail17trampoline_kernelINS0_14default_configENS1_25partition_config_selectorILNS1_17partition_subalgoE6EtNS0_10empty_typeEbEEZZNS1_14partition_implILS5_6ELb0ES3_mN6thrust23THRUST_200600_302600_NS6detail15normal_iteratorINSA_10device_ptrItEEEEPS6_SG_NS0_5tupleIJSF_S6_EEENSH_IJSG_SG_EEES6_PlJ5mod_3ItEEEE10hipError_tPvRmT3_T4_T5_T6_T7_T9_mT8_P12ihipStream_tbDpT10_ENKUlT_T0_E_clISt17integral_constantIbLb0EES15_IbLb1EEEEDaS11_S12_EUlS11_E_NS1_11comp_targetILNS1_3genE3ELNS1_11target_archE908ELNS1_3gpuE7ELNS1_3repE0EEENS1_30default_config_static_selectorELNS0_4arch9wavefront6targetE0EEEvT1_, .Lfunc_end547-_ZN7rocprim17ROCPRIM_400000_NS6detail17trampoline_kernelINS0_14default_configENS1_25partition_config_selectorILNS1_17partition_subalgoE6EtNS0_10empty_typeEbEEZZNS1_14partition_implILS5_6ELb0ES3_mN6thrust23THRUST_200600_302600_NS6detail15normal_iteratorINSA_10device_ptrItEEEEPS6_SG_NS0_5tupleIJSF_S6_EEENSH_IJSG_SG_EEES6_PlJ5mod_3ItEEEE10hipError_tPvRmT3_T4_T5_T6_T7_T9_mT8_P12ihipStream_tbDpT10_ENKUlT_T0_E_clISt17integral_constantIbLb0EES15_IbLb1EEEEDaS11_S12_EUlS11_E_NS1_11comp_targetILNS1_3genE3ELNS1_11target_archE908ELNS1_3gpuE7ELNS1_3repE0EEENS1_30default_config_static_selectorELNS0_4arch9wavefront6targetE0EEEvT1_
                                        ; -- End function
	.section	.AMDGPU.csdata,"",@progbits
; Kernel info:
; codeLenInByte = 0
; NumSgprs: 0
; NumVgprs: 0
; ScratchSize: 0
; MemoryBound: 0
; FloatMode: 240
; IeeeMode: 1
; LDSByteSize: 0 bytes/workgroup (compile time only)
; SGPRBlocks: 0
; VGPRBlocks: 0
; NumSGPRsForWavesPerEU: 1
; NumVGPRsForWavesPerEU: 1
; Occupancy: 16
; WaveLimiterHint : 0
; COMPUTE_PGM_RSRC2:SCRATCH_EN: 0
; COMPUTE_PGM_RSRC2:USER_SGPR: 15
; COMPUTE_PGM_RSRC2:TRAP_HANDLER: 0
; COMPUTE_PGM_RSRC2:TGID_X_EN: 1
; COMPUTE_PGM_RSRC2:TGID_Y_EN: 0
; COMPUTE_PGM_RSRC2:TGID_Z_EN: 0
; COMPUTE_PGM_RSRC2:TIDIG_COMP_CNT: 0
	.section	.text._ZN7rocprim17ROCPRIM_400000_NS6detail17trampoline_kernelINS0_14default_configENS1_25partition_config_selectorILNS1_17partition_subalgoE6EtNS0_10empty_typeEbEEZZNS1_14partition_implILS5_6ELb0ES3_mN6thrust23THRUST_200600_302600_NS6detail15normal_iteratorINSA_10device_ptrItEEEEPS6_SG_NS0_5tupleIJSF_S6_EEENSH_IJSG_SG_EEES6_PlJ5mod_3ItEEEE10hipError_tPvRmT3_T4_T5_T6_T7_T9_mT8_P12ihipStream_tbDpT10_ENKUlT_T0_E_clISt17integral_constantIbLb0EES15_IbLb1EEEEDaS11_S12_EUlS11_E_NS1_11comp_targetILNS1_3genE2ELNS1_11target_archE906ELNS1_3gpuE6ELNS1_3repE0EEENS1_30default_config_static_selectorELNS0_4arch9wavefront6targetE0EEEvT1_,"axG",@progbits,_ZN7rocprim17ROCPRIM_400000_NS6detail17trampoline_kernelINS0_14default_configENS1_25partition_config_selectorILNS1_17partition_subalgoE6EtNS0_10empty_typeEbEEZZNS1_14partition_implILS5_6ELb0ES3_mN6thrust23THRUST_200600_302600_NS6detail15normal_iteratorINSA_10device_ptrItEEEEPS6_SG_NS0_5tupleIJSF_S6_EEENSH_IJSG_SG_EEES6_PlJ5mod_3ItEEEE10hipError_tPvRmT3_T4_T5_T6_T7_T9_mT8_P12ihipStream_tbDpT10_ENKUlT_T0_E_clISt17integral_constantIbLb0EES15_IbLb1EEEEDaS11_S12_EUlS11_E_NS1_11comp_targetILNS1_3genE2ELNS1_11target_archE906ELNS1_3gpuE6ELNS1_3repE0EEENS1_30default_config_static_selectorELNS0_4arch9wavefront6targetE0EEEvT1_,comdat
	.protected	_ZN7rocprim17ROCPRIM_400000_NS6detail17trampoline_kernelINS0_14default_configENS1_25partition_config_selectorILNS1_17partition_subalgoE6EtNS0_10empty_typeEbEEZZNS1_14partition_implILS5_6ELb0ES3_mN6thrust23THRUST_200600_302600_NS6detail15normal_iteratorINSA_10device_ptrItEEEEPS6_SG_NS0_5tupleIJSF_S6_EEENSH_IJSG_SG_EEES6_PlJ5mod_3ItEEEE10hipError_tPvRmT3_T4_T5_T6_T7_T9_mT8_P12ihipStream_tbDpT10_ENKUlT_T0_E_clISt17integral_constantIbLb0EES15_IbLb1EEEEDaS11_S12_EUlS11_E_NS1_11comp_targetILNS1_3genE2ELNS1_11target_archE906ELNS1_3gpuE6ELNS1_3repE0EEENS1_30default_config_static_selectorELNS0_4arch9wavefront6targetE0EEEvT1_ ; -- Begin function _ZN7rocprim17ROCPRIM_400000_NS6detail17trampoline_kernelINS0_14default_configENS1_25partition_config_selectorILNS1_17partition_subalgoE6EtNS0_10empty_typeEbEEZZNS1_14partition_implILS5_6ELb0ES3_mN6thrust23THRUST_200600_302600_NS6detail15normal_iteratorINSA_10device_ptrItEEEEPS6_SG_NS0_5tupleIJSF_S6_EEENSH_IJSG_SG_EEES6_PlJ5mod_3ItEEEE10hipError_tPvRmT3_T4_T5_T6_T7_T9_mT8_P12ihipStream_tbDpT10_ENKUlT_T0_E_clISt17integral_constantIbLb0EES15_IbLb1EEEEDaS11_S12_EUlS11_E_NS1_11comp_targetILNS1_3genE2ELNS1_11target_archE906ELNS1_3gpuE6ELNS1_3repE0EEENS1_30default_config_static_selectorELNS0_4arch9wavefront6targetE0EEEvT1_
	.globl	_ZN7rocprim17ROCPRIM_400000_NS6detail17trampoline_kernelINS0_14default_configENS1_25partition_config_selectorILNS1_17partition_subalgoE6EtNS0_10empty_typeEbEEZZNS1_14partition_implILS5_6ELb0ES3_mN6thrust23THRUST_200600_302600_NS6detail15normal_iteratorINSA_10device_ptrItEEEEPS6_SG_NS0_5tupleIJSF_S6_EEENSH_IJSG_SG_EEES6_PlJ5mod_3ItEEEE10hipError_tPvRmT3_T4_T5_T6_T7_T9_mT8_P12ihipStream_tbDpT10_ENKUlT_T0_E_clISt17integral_constantIbLb0EES15_IbLb1EEEEDaS11_S12_EUlS11_E_NS1_11comp_targetILNS1_3genE2ELNS1_11target_archE906ELNS1_3gpuE6ELNS1_3repE0EEENS1_30default_config_static_selectorELNS0_4arch9wavefront6targetE0EEEvT1_
	.p2align	8
	.type	_ZN7rocprim17ROCPRIM_400000_NS6detail17trampoline_kernelINS0_14default_configENS1_25partition_config_selectorILNS1_17partition_subalgoE6EtNS0_10empty_typeEbEEZZNS1_14partition_implILS5_6ELb0ES3_mN6thrust23THRUST_200600_302600_NS6detail15normal_iteratorINSA_10device_ptrItEEEEPS6_SG_NS0_5tupleIJSF_S6_EEENSH_IJSG_SG_EEES6_PlJ5mod_3ItEEEE10hipError_tPvRmT3_T4_T5_T6_T7_T9_mT8_P12ihipStream_tbDpT10_ENKUlT_T0_E_clISt17integral_constantIbLb0EES15_IbLb1EEEEDaS11_S12_EUlS11_E_NS1_11comp_targetILNS1_3genE2ELNS1_11target_archE906ELNS1_3gpuE6ELNS1_3repE0EEENS1_30default_config_static_selectorELNS0_4arch9wavefront6targetE0EEEvT1_,@function
_ZN7rocprim17ROCPRIM_400000_NS6detail17trampoline_kernelINS0_14default_configENS1_25partition_config_selectorILNS1_17partition_subalgoE6EtNS0_10empty_typeEbEEZZNS1_14partition_implILS5_6ELb0ES3_mN6thrust23THRUST_200600_302600_NS6detail15normal_iteratorINSA_10device_ptrItEEEEPS6_SG_NS0_5tupleIJSF_S6_EEENSH_IJSG_SG_EEES6_PlJ5mod_3ItEEEE10hipError_tPvRmT3_T4_T5_T6_T7_T9_mT8_P12ihipStream_tbDpT10_ENKUlT_T0_E_clISt17integral_constantIbLb0EES15_IbLb1EEEEDaS11_S12_EUlS11_E_NS1_11comp_targetILNS1_3genE2ELNS1_11target_archE906ELNS1_3gpuE6ELNS1_3repE0EEENS1_30default_config_static_selectorELNS0_4arch9wavefront6targetE0EEEvT1_: ; @_ZN7rocprim17ROCPRIM_400000_NS6detail17trampoline_kernelINS0_14default_configENS1_25partition_config_selectorILNS1_17partition_subalgoE6EtNS0_10empty_typeEbEEZZNS1_14partition_implILS5_6ELb0ES3_mN6thrust23THRUST_200600_302600_NS6detail15normal_iteratorINSA_10device_ptrItEEEEPS6_SG_NS0_5tupleIJSF_S6_EEENSH_IJSG_SG_EEES6_PlJ5mod_3ItEEEE10hipError_tPvRmT3_T4_T5_T6_T7_T9_mT8_P12ihipStream_tbDpT10_ENKUlT_T0_E_clISt17integral_constantIbLb0EES15_IbLb1EEEEDaS11_S12_EUlS11_E_NS1_11comp_targetILNS1_3genE2ELNS1_11target_archE906ELNS1_3gpuE6ELNS1_3repE0EEENS1_30default_config_static_selectorELNS0_4arch9wavefront6targetE0EEEvT1_
; %bb.0:
	.section	.rodata,"a",@progbits
	.p2align	6, 0x0
	.amdhsa_kernel _ZN7rocprim17ROCPRIM_400000_NS6detail17trampoline_kernelINS0_14default_configENS1_25partition_config_selectorILNS1_17partition_subalgoE6EtNS0_10empty_typeEbEEZZNS1_14partition_implILS5_6ELb0ES3_mN6thrust23THRUST_200600_302600_NS6detail15normal_iteratorINSA_10device_ptrItEEEEPS6_SG_NS0_5tupleIJSF_S6_EEENSH_IJSG_SG_EEES6_PlJ5mod_3ItEEEE10hipError_tPvRmT3_T4_T5_T6_T7_T9_mT8_P12ihipStream_tbDpT10_ENKUlT_T0_E_clISt17integral_constantIbLb0EES15_IbLb1EEEEDaS11_S12_EUlS11_E_NS1_11comp_targetILNS1_3genE2ELNS1_11target_archE906ELNS1_3gpuE6ELNS1_3repE0EEENS1_30default_config_static_selectorELNS0_4arch9wavefront6targetE0EEEvT1_
		.amdhsa_group_segment_fixed_size 0
		.amdhsa_private_segment_fixed_size 0
		.amdhsa_kernarg_size 128
		.amdhsa_user_sgpr_count 15
		.amdhsa_user_sgpr_dispatch_ptr 0
		.amdhsa_user_sgpr_queue_ptr 0
		.amdhsa_user_sgpr_kernarg_segment_ptr 1
		.amdhsa_user_sgpr_dispatch_id 0
		.amdhsa_user_sgpr_private_segment_size 0
		.amdhsa_wavefront_size32 1
		.amdhsa_uses_dynamic_stack 0
		.amdhsa_enable_private_segment 0
		.amdhsa_system_sgpr_workgroup_id_x 1
		.amdhsa_system_sgpr_workgroup_id_y 0
		.amdhsa_system_sgpr_workgroup_id_z 0
		.amdhsa_system_sgpr_workgroup_info 0
		.amdhsa_system_vgpr_workitem_id 0
		.amdhsa_next_free_vgpr 1
		.amdhsa_next_free_sgpr 1
		.amdhsa_reserve_vcc 0
		.amdhsa_float_round_mode_32 0
		.amdhsa_float_round_mode_16_64 0
		.amdhsa_float_denorm_mode_32 3
		.amdhsa_float_denorm_mode_16_64 3
		.amdhsa_dx10_clamp 1
		.amdhsa_ieee_mode 1
		.amdhsa_fp16_overflow 0
		.amdhsa_workgroup_processor_mode 1
		.amdhsa_memory_ordered 1
		.amdhsa_forward_progress 0
		.amdhsa_shared_vgpr_count 0
		.amdhsa_exception_fp_ieee_invalid_op 0
		.amdhsa_exception_fp_denorm_src 0
		.amdhsa_exception_fp_ieee_div_zero 0
		.amdhsa_exception_fp_ieee_overflow 0
		.amdhsa_exception_fp_ieee_underflow 0
		.amdhsa_exception_fp_ieee_inexact 0
		.amdhsa_exception_int_div_zero 0
	.end_amdhsa_kernel
	.section	.text._ZN7rocprim17ROCPRIM_400000_NS6detail17trampoline_kernelINS0_14default_configENS1_25partition_config_selectorILNS1_17partition_subalgoE6EtNS0_10empty_typeEbEEZZNS1_14partition_implILS5_6ELb0ES3_mN6thrust23THRUST_200600_302600_NS6detail15normal_iteratorINSA_10device_ptrItEEEEPS6_SG_NS0_5tupleIJSF_S6_EEENSH_IJSG_SG_EEES6_PlJ5mod_3ItEEEE10hipError_tPvRmT3_T4_T5_T6_T7_T9_mT8_P12ihipStream_tbDpT10_ENKUlT_T0_E_clISt17integral_constantIbLb0EES15_IbLb1EEEEDaS11_S12_EUlS11_E_NS1_11comp_targetILNS1_3genE2ELNS1_11target_archE906ELNS1_3gpuE6ELNS1_3repE0EEENS1_30default_config_static_selectorELNS0_4arch9wavefront6targetE0EEEvT1_,"axG",@progbits,_ZN7rocprim17ROCPRIM_400000_NS6detail17trampoline_kernelINS0_14default_configENS1_25partition_config_selectorILNS1_17partition_subalgoE6EtNS0_10empty_typeEbEEZZNS1_14partition_implILS5_6ELb0ES3_mN6thrust23THRUST_200600_302600_NS6detail15normal_iteratorINSA_10device_ptrItEEEEPS6_SG_NS0_5tupleIJSF_S6_EEENSH_IJSG_SG_EEES6_PlJ5mod_3ItEEEE10hipError_tPvRmT3_T4_T5_T6_T7_T9_mT8_P12ihipStream_tbDpT10_ENKUlT_T0_E_clISt17integral_constantIbLb0EES15_IbLb1EEEEDaS11_S12_EUlS11_E_NS1_11comp_targetILNS1_3genE2ELNS1_11target_archE906ELNS1_3gpuE6ELNS1_3repE0EEENS1_30default_config_static_selectorELNS0_4arch9wavefront6targetE0EEEvT1_,comdat
.Lfunc_end548:
	.size	_ZN7rocprim17ROCPRIM_400000_NS6detail17trampoline_kernelINS0_14default_configENS1_25partition_config_selectorILNS1_17partition_subalgoE6EtNS0_10empty_typeEbEEZZNS1_14partition_implILS5_6ELb0ES3_mN6thrust23THRUST_200600_302600_NS6detail15normal_iteratorINSA_10device_ptrItEEEEPS6_SG_NS0_5tupleIJSF_S6_EEENSH_IJSG_SG_EEES6_PlJ5mod_3ItEEEE10hipError_tPvRmT3_T4_T5_T6_T7_T9_mT8_P12ihipStream_tbDpT10_ENKUlT_T0_E_clISt17integral_constantIbLb0EES15_IbLb1EEEEDaS11_S12_EUlS11_E_NS1_11comp_targetILNS1_3genE2ELNS1_11target_archE906ELNS1_3gpuE6ELNS1_3repE0EEENS1_30default_config_static_selectorELNS0_4arch9wavefront6targetE0EEEvT1_, .Lfunc_end548-_ZN7rocprim17ROCPRIM_400000_NS6detail17trampoline_kernelINS0_14default_configENS1_25partition_config_selectorILNS1_17partition_subalgoE6EtNS0_10empty_typeEbEEZZNS1_14partition_implILS5_6ELb0ES3_mN6thrust23THRUST_200600_302600_NS6detail15normal_iteratorINSA_10device_ptrItEEEEPS6_SG_NS0_5tupleIJSF_S6_EEENSH_IJSG_SG_EEES6_PlJ5mod_3ItEEEE10hipError_tPvRmT3_T4_T5_T6_T7_T9_mT8_P12ihipStream_tbDpT10_ENKUlT_T0_E_clISt17integral_constantIbLb0EES15_IbLb1EEEEDaS11_S12_EUlS11_E_NS1_11comp_targetILNS1_3genE2ELNS1_11target_archE906ELNS1_3gpuE6ELNS1_3repE0EEENS1_30default_config_static_selectorELNS0_4arch9wavefront6targetE0EEEvT1_
                                        ; -- End function
	.section	.AMDGPU.csdata,"",@progbits
; Kernel info:
; codeLenInByte = 0
; NumSgprs: 0
; NumVgprs: 0
; ScratchSize: 0
; MemoryBound: 0
; FloatMode: 240
; IeeeMode: 1
; LDSByteSize: 0 bytes/workgroup (compile time only)
; SGPRBlocks: 0
; VGPRBlocks: 0
; NumSGPRsForWavesPerEU: 1
; NumVGPRsForWavesPerEU: 1
; Occupancy: 16
; WaveLimiterHint : 0
; COMPUTE_PGM_RSRC2:SCRATCH_EN: 0
; COMPUTE_PGM_RSRC2:USER_SGPR: 15
; COMPUTE_PGM_RSRC2:TRAP_HANDLER: 0
; COMPUTE_PGM_RSRC2:TGID_X_EN: 1
; COMPUTE_PGM_RSRC2:TGID_Y_EN: 0
; COMPUTE_PGM_RSRC2:TGID_Z_EN: 0
; COMPUTE_PGM_RSRC2:TIDIG_COMP_CNT: 0
	.section	.text._ZN7rocprim17ROCPRIM_400000_NS6detail17trampoline_kernelINS0_14default_configENS1_25partition_config_selectorILNS1_17partition_subalgoE6EtNS0_10empty_typeEbEEZZNS1_14partition_implILS5_6ELb0ES3_mN6thrust23THRUST_200600_302600_NS6detail15normal_iteratorINSA_10device_ptrItEEEEPS6_SG_NS0_5tupleIJSF_S6_EEENSH_IJSG_SG_EEES6_PlJ5mod_3ItEEEE10hipError_tPvRmT3_T4_T5_T6_T7_T9_mT8_P12ihipStream_tbDpT10_ENKUlT_T0_E_clISt17integral_constantIbLb0EES15_IbLb1EEEEDaS11_S12_EUlS11_E_NS1_11comp_targetILNS1_3genE10ELNS1_11target_archE1200ELNS1_3gpuE4ELNS1_3repE0EEENS1_30default_config_static_selectorELNS0_4arch9wavefront6targetE0EEEvT1_,"axG",@progbits,_ZN7rocprim17ROCPRIM_400000_NS6detail17trampoline_kernelINS0_14default_configENS1_25partition_config_selectorILNS1_17partition_subalgoE6EtNS0_10empty_typeEbEEZZNS1_14partition_implILS5_6ELb0ES3_mN6thrust23THRUST_200600_302600_NS6detail15normal_iteratorINSA_10device_ptrItEEEEPS6_SG_NS0_5tupleIJSF_S6_EEENSH_IJSG_SG_EEES6_PlJ5mod_3ItEEEE10hipError_tPvRmT3_T4_T5_T6_T7_T9_mT8_P12ihipStream_tbDpT10_ENKUlT_T0_E_clISt17integral_constantIbLb0EES15_IbLb1EEEEDaS11_S12_EUlS11_E_NS1_11comp_targetILNS1_3genE10ELNS1_11target_archE1200ELNS1_3gpuE4ELNS1_3repE0EEENS1_30default_config_static_selectorELNS0_4arch9wavefront6targetE0EEEvT1_,comdat
	.protected	_ZN7rocprim17ROCPRIM_400000_NS6detail17trampoline_kernelINS0_14default_configENS1_25partition_config_selectorILNS1_17partition_subalgoE6EtNS0_10empty_typeEbEEZZNS1_14partition_implILS5_6ELb0ES3_mN6thrust23THRUST_200600_302600_NS6detail15normal_iteratorINSA_10device_ptrItEEEEPS6_SG_NS0_5tupleIJSF_S6_EEENSH_IJSG_SG_EEES6_PlJ5mod_3ItEEEE10hipError_tPvRmT3_T4_T5_T6_T7_T9_mT8_P12ihipStream_tbDpT10_ENKUlT_T0_E_clISt17integral_constantIbLb0EES15_IbLb1EEEEDaS11_S12_EUlS11_E_NS1_11comp_targetILNS1_3genE10ELNS1_11target_archE1200ELNS1_3gpuE4ELNS1_3repE0EEENS1_30default_config_static_selectorELNS0_4arch9wavefront6targetE0EEEvT1_ ; -- Begin function _ZN7rocprim17ROCPRIM_400000_NS6detail17trampoline_kernelINS0_14default_configENS1_25partition_config_selectorILNS1_17partition_subalgoE6EtNS0_10empty_typeEbEEZZNS1_14partition_implILS5_6ELb0ES3_mN6thrust23THRUST_200600_302600_NS6detail15normal_iteratorINSA_10device_ptrItEEEEPS6_SG_NS0_5tupleIJSF_S6_EEENSH_IJSG_SG_EEES6_PlJ5mod_3ItEEEE10hipError_tPvRmT3_T4_T5_T6_T7_T9_mT8_P12ihipStream_tbDpT10_ENKUlT_T0_E_clISt17integral_constantIbLb0EES15_IbLb1EEEEDaS11_S12_EUlS11_E_NS1_11comp_targetILNS1_3genE10ELNS1_11target_archE1200ELNS1_3gpuE4ELNS1_3repE0EEENS1_30default_config_static_selectorELNS0_4arch9wavefront6targetE0EEEvT1_
	.globl	_ZN7rocprim17ROCPRIM_400000_NS6detail17trampoline_kernelINS0_14default_configENS1_25partition_config_selectorILNS1_17partition_subalgoE6EtNS0_10empty_typeEbEEZZNS1_14partition_implILS5_6ELb0ES3_mN6thrust23THRUST_200600_302600_NS6detail15normal_iteratorINSA_10device_ptrItEEEEPS6_SG_NS0_5tupleIJSF_S6_EEENSH_IJSG_SG_EEES6_PlJ5mod_3ItEEEE10hipError_tPvRmT3_T4_T5_T6_T7_T9_mT8_P12ihipStream_tbDpT10_ENKUlT_T0_E_clISt17integral_constantIbLb0EES15_IbLb1EEEEDaS11_S12_EUlS11_E_NS1_11comp_targetILNS1_3genE10ELNS1_11target_archE1200ELNS1_3gpuE4ELNS1_3repE0EEENS1_30default_config_static_selectorELNS0_4arch9wavefront6targetE0EEEvT1_
	.p2align	8
	.type	_ZN7rocprim17ROCPRIM_400000_NS6detail17trampoline_kernelINS0_14default_configENS1_25partition_config_selectorILNS1_17partition_subalgoE6EtNS0_10empty_typeEbEEZZNS1_14partition_implILS5_6ELb0ES3_mN6thrust23THRUST_200600_302600_NS6detail15normal_iteratorINSA_10device_ptrItEEEEPS6_SG_NS0_5tupleIJSF_S6_EEENSH_IJSG_SG_EEES6_PlJ5mod_3ItEEEE10hipError_tPvRmT3_T4_T5_T6_T7_T9_mT8_P12ihipStream_tbDpT10_ENKUlT_T0_E_clISt17integral_constantIbLb0EES15_IbLb1EEEEDaS11_S12_EUlS11_E_NS1_11comp_targetILNS1_3genE10ELNS1_11target_archE1200ELNS1_3gpuE4ELNS1_3repE0EEENS1_30default_config_static_selectorELNS0_4arch9wavefront6targetE0EEEvT1_,@function
_ZN7rocprim17ROCPRIM_400000_NS6detail17trampoline_kernelINS0_14default_configENS1_25partition_config_selectorILNS1_17partition_subalgoE6EtNS0_10empty_typeEbEEZZNS1_14partition_implILS5_6ELb0ES3_mN6thrust23THRUST_200600_302600_NS6detail15normal_iteratorINSA_10device_ptrItEEEEPS6_SG_NS0_5tupleIJSF_S6_EEENSH_IJSG_SG_EEES6_PlJ5mod_3ItEEEE10hipError_tPvRmT3_T4_T5_T6_T7_T9_mT8_P12ihipStream_tbDpT10_ENKUlT_T0_E_clISt17integral_constantIbLb0EES15_IbLb1EEEEDaS11_S12_EUlS11_E_NS1_11comp_targetILNS1_3genE10ELNS1_11target_archE1200ELNS1_3gpuE4ELNS1_3repE0EEENS1_30default_config_static_selectorELNS0_4arch9wavefront6targetE0EEEvT1_: ; @_ZN7rocprim17ROCPRIM_400000_NS6detail17trampoline_kernelINS0_14default_configENS1_25partition_config_selectorILNS1_17partition_subalgoE6EtNS0_10empty_typeEbEEZZNS1_14partition_implILS5_6ELb0ES3_mN6thrust23THRUST_200600_302600_NS6detail15normal_iteratorINSA_10device_ptrItEEEEPS6_SG_NS0_5tupleIJSF_S6_EEENSH_IJSG_SG_EEES6_PlJ5mod_3ItEEEE10hipError_tPvRmT3_T4_T5_T6_T7_T9_mT8_P12ihipStream_tbDpT10_ENKUlT_T0_E_clISt17integral_constantIbLb0EES15_IbLb1EEEEDaS11_S12_EUlS11_E_NS1_11comp_targetILNS1_3genE10ELNS1_11target_archE1200ELNS1_3gpuE4ELNS1_3repE0EEENS1_30default_config_static_selectorELNS0_4arch9wavefront6targetE0EEEvT1_
; %bb.0:
	.section	.rodata,"a",@progbits
	.p2align	6, 0x0
	.amdhsa_kernel _ZN7rocprim17ROCPRIM_400000_NS6detail17trampoline_kernelINS0_14default_configENS1_25partition_config_selectorILNS1_17partition_subalgoE6EtNS0_10empty_typeEbEEZZNS1_14partition_implILS5_6ELb0ES3_mN6thrust23THRUST_200600_302600_NS6detail15normal_iteratorINSA_10device_ptrItEEEEPS6_SG_NS0_5tupleIJSF_S6_EEENSH_IJSG_SG_EEES6_PlJ5mod_3ItEEEE10hipError_tPvRmT3_T4_T5_T6_T7_T9_mT8_P12ihipStream_tbDpT10_ENKUlT_T0_E_clISt17integral_constantIbLb0EES15_IbLb1EEEEDaS11_S12_EUlS11_E_NS1_11comp_targetILNS1_3genE10ELNS1_11target_archE1200ELNS1_3gpuE4ELNS1_3repE0EEENS1_30default_config_static_selectorELNS0_4arch9wavefront6targetE0EEEvT1_
		.amdhsa_group_segment_fixed_size 0
		.amdhsa_private_segment_fixed_size 0
		.amdhsa_kernarg_size 128
		.amdhsa_user_sgpr_count 15
		.amdhsa_user_sgpr_dispatch_ptr 0
		.amdhsa_user_sgpr_queue_ptr 0
		.amdhsa_user_sgpr_kernarg_segment_ptr 1
		.amdhsa_user_sgpr_dispatch_id 0
		.amdhsa_user_sgpr_private_segment_size 0
		.amdhsa_wavefront_size32 1
		.amdhsa_uses_dynamic_stack 0
		.amdhsa_enable_private_segment 0
		.amdhsa_system_sgpr_workgroup_id_x 1
		.amdhsa_system_sgpr_workgroup_id_y 0
		.amdhsa_system_sgpr_workgroup_id_z 0
		.amdhsa_system_sgpr_workgroup_info 0
		.amdhsa_system_vgpr_workitem_id 0
		.amdhsa_next_free_vgpr 1
		.amdhsa_next_free_sgpr 1
		.amdhsa_reserve_vcc 0
		.amdhsa_float_round_mode_32 0
		.amdhsa_float_round_mode_16_64 0
		.amdhsa_float_denorm_mode_32 3
		.amdhsa_float_denorm_mode_16_64 3
		.amdhsa_dx10_clamp 1
		.amdhsa_ieee_mode 1
		.amdhsa_fp16_overflow 0
		.amdhsa_workgroup_processor_mode 1
		.amdhsa_memory_ordered 1
		.amdhsa_forward_progress 0
		.amdhsa_shared_vgpr_count 0
		.amdhsa_exception_fp_ieee_invalid_op 0
		.amdhsa_exception_fp_denorm_src 0
		.amdhsa_exception_fp_ieee_div_zero 0
		.amdhsa_exception_fp_ieee_overflow 0
		.amdhsa_exception_fp_ieee_underflow 0
		.amdhsa_exception_fp_ieee_inexact 0
		.amdhsa_exception_int_div_zero 0
	.end_amdhsa_kernel
	.section	.text._ZN7rocprim17ROCPRIM_400000_NS6detail17trampoline_kernelINS0_14default_configENS1_25partition_config_selectorILNS1_17partition_subalgoE6EtNS0_10empty_typeEbEEZZNS1_14partition_implILS5_6ELb0ES3_mN6thrust23THRUST_200600_302600_NS6detail15normal_iteratorINSA_10device_ptrItEEEEPS6_SG_NS0_5tupleIJSF_S6_EEENSH_IJSG_SG_EEES6_PlJ5mod_3ItEEEE10hipError_tPvRmT3_T4_T5_T6_T7_T9_mT8_P12ihipStream_tbDpT10_ENKUlT_T0_E_clISt17integral_constantIbLb0EES15_IbLb1EEEEDaS11_S12_EUlS11_E_NS1_11comp_targetILNS1_3genE10ELNS1_11target_archE1200ELNS1_3gpuE4ELNS1_3repE0EEENS1_30default_config_static_selectorELNS0_4arch9wavefront6targetE0EEEvT1_,"axG",@progbits,_ZN7rocprim17ROCPRIM_400000_NS6detail17trampoline_kernelINS0_14default_configENS1_25partition_config_selectorILNS1_17partition_subalgoE6EtNS0_10empty_typeEbEEZZNS1_14partition_implILS5_6ELb0ES3_mN6thrust23THRUST_200600_302600_NS6detail15normal_iteratorINSA_10device_ptrItEEEEPS6_SG_NS0_5tupleIJSF_S6_EEENSH_IJSG_SG_EEES6_PlJ5mod_3ItEEEE10hipError_tPvRmT3_T4_T5_T6_T7_T9_mT8_P12ihipStream_tbDpT10_ENKUlT_T0_E_clISt17integral_constantIbLb0EES15_IbLb1EEEEDaS11_S12_EUlS11_E_NS1_11comp_targetILNS1_3genE10ELNS1_11target_archE1200ELNS1_3gpuE4ELNS1_3repE0EEENS1_30default_config_static_selectorELNS0_4arch9wavefront6targetE0EEEvT1_,comdat
.Lfunc_end549:
	.size	_ZN7rocprim17ROCPRIM_400000_NS6detail17trampoline_kernelINS0_14default_configENS1_25partition_config_selectorILNS1_17partition_subalgoE6EtNS0_10empty_typeEbEEZZNS1_14partition_implILS5_6ELb0ES3_mN6thrust23THRUST_200600_302600_NS6detail15normal_iteratorINSA_10device_ptrItEEEEPS6_SG_NS0_5tupleIJSF_S6_EEENSH_IJSG_SG_EEES6_PlJ5mod_3ItEEEE10hipError_tPvRmT3_T4_T5_T6_T7_T9_mT8_P12ihipStream_tbDpT10_ENKUlT_T0_E_clISt17integral_constantIbLb0EES15_IbLb1EEEEDaS11_S12_EUlS11_E_NS1_11comp_targetILNS1_3genE10ELNS1_11target_archE1200ELNS1_3gpuE4ELNS1_3repE0EEENS1_30default_config_static_selectorELNS0_4arch9wavefront6targetE0EEEvT1_, .Lfunc_end549-_ZN7rocprim17ROCPRIM_400000_NS6detail17trampoline_kernelINS0_14default_configENS1_25partition_config_selectorILNS1_17partition_subalgoE6EtNS0_10empty_typeEbEEZZNS1_14partition_implILS5_6ELb0ES3_mN6thrust23THRUST_200600_302600_NS6detail15normal_iteratorINSA_10device_ptrItEEEEPS6_SG_NS0_5tupleIJSF_S6_EEENSH_IJSG_SG_EEES6_PlJ5mod_3ItEEEE10hipError_tPvRmT3_T4_T5_T6_T7_T9_mT8_P12ihipStream_tbDpT10_ENKUlT_T0_E_clISt17integral_constantIbLb0EES15_IbLb1EEEEDaS11_S12_EUlS11_E_NS1_11comp_targetILNS1_3genE10ELNS1_11target_archE1200ELNS1_3gpuE4ELNS1_3repE0EEENS1_30default_config_static_selectorELNS0_4arch9wavefront6targetE0EEEvT1_
                                        ; -- End function
	.section	.AMDGPU.csdata,"",@progbits
; Kernel info:
; codeLenInByte = 0
; NumSgprs: 0
; NumVgprs: 0
; ScratchSize: 0
; MemoryBound: 0
; FloatMode: 240
; IeeeMode: 1
; LDSByteSize: 0 bytes/workgroup (compile time only)
; SGPRBlocks: 0
; VGPRBlocks: 0
; NumSGPRsForWavesPerEU: 1
; NumVGPRsForWavesPerEU: 1
; Occupancy: 15
; WaveLimiterHint : 0
; COMPUTE_PGM_RSRC2:SCRATCH_EN: 0
; COMPUTE_PGM_RSRC2:USER_SGPR: 15
; COMPUTE_PGM_RSRC2:TRAP_HANDLER: 0
; COMPUTE_PGM_RSRC2:TGID_X_EN: 1
; COMPUTE_PGM_RSRC2:TGID_Y_EN: 0
; COMPUTE_PGM_RSRC2:TGID_Z_EN: 0
; COMPUTE_PGM_RSRC2:TIDIG_COMP_CNT: 0
	.section	.text._ZN7rocprim17ROCPRIM_400000_NS6detail17trampoline_kernelINS0_14default_configENS1_25partition_config_selectorILNS1_17partition_subalgoE6EtNS0_10empty_typeEbEEZZNS1_14partition_implILS5_6ELb0ES3_mN6thrust23THRUST_200600_302600_NS6detail15normal_iteratorINSA_10device_ptrItEEEEPS6_SG_NS0_5tupleIJSF_S6_EEENSH_IJSG_SG_EEES6_PlJ5mod_3ItEEEE10hipError_tPvRmT3_T4_T5_T6_T7_T9_mT8_P12ihipStream_tbDpT10_ENKUlT_T0_E_clISt17integral_constantIbLb0EES15_IbLb1EEEEDaS11_S12_EUlS11_E_NS1_11comp_targetILNS1_3genE9ELNS1_11target_archE1100ELNS1_3gpuE3ELNS1_3repE0EEENS1_30default_config_static_selectorELNS0_4arch9wavefront6targetE0EEEvT1_,"axG",@progbits,_ZN7rocprim17ROCPRIM_400000_NS6detail17trampoline_kernelINS0_14default_configENS1_25partition_config_selectorILNS1_17partition_subalgoE6EtNS0_10empty_typeEbEEZZNS1_14partition_implILS5_6ELb0ES3_mN6thrust23THRUST_200600_302600_NS6detail15normal_iteratorINSA_10device_ptrItEEEEPS6_SG_NS0_5tupleIJSF_S6_EEENSH_IJSG_SG_EEES6_PlJ5mod_3ItEEEE10hipError_tPvRmT3_T4_T5_T6_T7_T9_mT8_P12ihipStream_tbDpT10_ENKUlT_T0_E_clISt17integral_constantIbLb0EES15_IbLb1EEEEDaS11_S12_EUlS11_E_NS1_11comp_targetILNS1_3genE9ELNS1_11target_archE1100ELNS1_3gpuE3ELNS1_3repE0EEENS1_30default_config_static_selectorELNS0_4arch9wavefront6targetE0EEEvT1_,comdat
	.protected	_ZN7rocprim17ROCPRIM_400000_NS6detail17trampoline_kernelINS0_14default_configENS1_25partition_config_selectorILNS1_17partition_subalgoE6EtNS0_10empty_typeEbEEZZNS1_14partition_implILS5_6ELb0ES3_mN6thrust23THRUST_200600_302600_NS6detail15normal_iteratorINSA_10device_ptrItEEEEPS6_SG_NS0_5tupleIJSF_S6_EEENSH_IJSG_SG_EEES6_PlJ5mod_3ItEEEE10hipError_tPvRmT3_T4_T5_T6_T7_T9_mT8_P12ihipStream_tbDpT10_ENKUlT_T0_E_clISt17integral_constantIbLb0EES15_IbLb1EEEEDaS11_S12_EUlS11_E_NS1_11comp_targetILNS1_3genE9ELNS1_11target_archE1100ELNS1_3gpuE3ELNS1_3repE0EEENS1_30default_config_static_selectorELNS0_4arch9wavefront6targetE0EEEvT1_ ; -- Begin function _ZN7rocprim17ROCPRIM_400000_NS6detail17trampoline_kernelINS0_14default_configENS1_25partition_config_selectorILNS1_17partition_subalgoE6EtNS0_10empty_typeEbEEZZNS1_14partition_implILS5_6ELb0ES3_mN6thrust23THRUST_200600_302600_NS6detail15normal_iteratorINSA_10device_ptrItEEEEPS6_SG_NS0_5tupleIJSF_S6_EEENSH_IJSG_SG_EEES6_PlJ5mod_3ItEEEE10hipError_tPvRmT3_T4_T5_T6_T7_T9_mT8_P12ihipStream_tbDpT10_ENKUlT_T0_E_clISt17integral_constantIbLb0EES15_IbLb1EEEEDaS11_S12_EUlS11_E_NS1_11comp_targetILNS1_3genE9ELNS1_11target_archE1100ELNS1_3gpuE3ELNS1_3repE0EEENS1_30default_config_static_selectorELNS0_4arch9wavefront6targetE0EEEvT1_
	.globl	_ZN7rocprim17ROCPRIM_400000_NS6detail17trampoline_kernelINS0_14default_configENS1_25partition_config_selectorILNS1_17partition_subalgoE6EtNS0_10empty_typeEbEEZZNS1_14partition_implILS5_6ELb0ES3_mN6thrust23THRUST_200600_302600_NS6detail15normal_iteratorINSA_10device_ptrItEEEEPS6_SG_NS0_5tupleIJSF_S6_EEENSH_IJSG_SG_EEES6_PlJ5mod_3ItEEEE10hipError_tPvRmT3_T4_T5_T6_T7_T9_mT8_P12ihipStream_tbDpT10_ENKUlT_T0_E_clISt17integral_constantIbLb0EES15_IbLb1EEEEDaS11_S12_EUlS11_E_NS1_11comp_targetILNS1_3genE9ELNS1_11target_archE1100ELNS1_3gpuE3ELNS1_3repE0EEENS1_30default_config_static_selectorELNS0_4arch9wavefront6targetE0EEEvT1_
	.p2align	8
	.type	_ZN7rocprim17ROCPRIM_400000_NS6detail17trampoline_kernelINS0_14default_configENS1_25partition_config_selectorILNS1_17partition_subalgoE6EtNS0_10empty_typeEbEEZZNS1_14partition_implILS5_6ELb0ES3_mN6thrust23THRUST_200600_302600_NS6detail15normal_iteratorINSA_10device_ptrItEEEEPS6_SG_NS0_5tupleIJSF_S6_EEENSH_IJSG_SG_EEES6_PlJ5mod_3ItEEEE10hipError_tPvRmT3_T4_T5_T6_T7_T9_mT8_P12ihipStream_tbDpT10_ENKUlT_T0_E_clISt17integral_constantIbLb0EES15_IbLb1EEEEDaS11_S12_EUlS11_E_NS1_11comp_targetILNS1_3genE9ELNS1_11target_archE1100ELNS1_3gpuE3ELNS1_3repE0EEENS1_30default_config_static_selectorELNS0_4arch9wavefront6targetE0EEEvT1_,@function
_ZN7rocprim17ROCPRIM_400000_NS6detail17trampoline_kernelINS0_14default_configENS1_25partition_config_selectorILNS1_17partition_subalgoE6EtNS0_10empty_typeEbEEZZNS1_14partition_implILS5_6ELb0ES3_mN6thrust23THRUST_200600_302600_NS6detail15normal_iteratorINSA_10device_ptrItEEEEPS6_SG_NS0_5tupleIJSF_S6_EEENSH_IJSG_SG_EEES6_PlJ5mod_3ItEEEE10hipError_tPvRmT3_T4_T5_T6_T7_T9_mT8_P12ihipStream_tbDpT10_ENKUlT_T0_E_clISt17integral_constantIbLb0EES15_IbLb1EEEEDaS11_S12_EUlS11_E_NS1_11comp_targetILNS1_3genE9ELNS1_11target_archE1100ELNS1_3gpuE3ELNS1_3repE0EEENS1_30default_config_static_selectorELNS0_4arch9wavefront6targetE0EEEvT1_: ; @_ZN7rocprim17ROCPRIM_400000_NS6detail17trampoline_kernelINS0_14default_configENS1_25partition_config_selectorILNS1_17partition_subalgoE6EtNS0_10empty_typeEbEEZZNS1_14partition_implILS5_6ELb0ES3_mN6thrust23THRUST_200600_302600_NS6detail15normal_iteratorINSA_10device_ptrItEEEEPS6_SG_NS0_5tupleIJSF_S6_EEENSH_IJSG_SG_EEES6_PlJ5mod_3ItEEEE10hipError_tPvRmT3_T4_T5_T6_T7_T9_mT8_P12ihipStream_tbDpT10_ENKUlT_T0_E_clISt17integral_constantIbLb0EES15_IbLb1EEEEDaS11_S12_EUlS11_E_NS1_11comp_targetILNS1_3genE9ELNS1_11target_archE1100ELNS1_3gpuE3ELNS1_3repE0EEENS1_30default_config_static_selectorELNS0_4arch9wavefront6targetE0EEEvT1_
; %bb.0:
	s_clause 0x3
	s_load_b64 s[12:13], s[0:1], 0x28
	s_load_b128 s[8:11], s[0:1], 0x40
	s_load_b64 s[16:17], s[0:1], 0x50
	s_load_b64 s[14:15], s[0:1], 0x60
	v_cmp_eq_u32_e64 s2, 0, v0
	s_delay_alu instid0(VALU_DEP_1)
	s_and_saveexec_b32 s3, s2
	s_cbranch_execz .LBB550_4
; %bb.1:
	s_mov_b32 s5, exec_lo
	s_mov_b32 s4, exec_lo
	v_mbcnt_lo_u32_b32 v1, s5, 0
                                        ; implicit-def: $vgpr2
	s_delay_alu instid0(VALU_DEP_1)
	v_cmpx_eq_u32_e32 0, v1
	s_cbranch_execz .LBB550_3
; %bb.2:
	s_load_b64 s[6:7], s[0:1], 0x70
	s_bcnt1_i32_b32 s5, s5
	s_delay_alu instid0(SALU_CYCLE_1)
	v_dual_mov_b32 v2, 0 :: v_dual_mov_b32 v3, s5
	s_waitcnt lgkmcnt(0)
	global_atomic_add_u32 v2, v2, v3, s[6:7] glc
.LBB550_3:
	s_or_b32 exec_lo, exec_lo, s4
	s_waitcnt vmcnt(0)
	v_readfirstlane_b32 s4, v2
	s_delay_alu instid0(VALU_DEP_1)
	v_dual_mov_b32 v2, 0 :: v_dual_add_nc_u32 v1, s4, v1
	ds_store_b32 v2, v1
.LBB550_4:
	s_or_b32 exec_lo, exec_lo, s3
	v_mov_b32_e32 v2, 0
	s_clause 0x1
	s_load_b128 s[4:7], s[0:1], 0x8
	s_load_b32 s0, s[0:1], 0x68
	s_waitcnt lgkmcnt(0)
	s_barrier
	buffer_gl0_inv
	ds_load_b32 v1, v2
	s_waitcnt lgkmcnt(0)
	s_barrier
	buffer_gl0_inv
	global_load_b64 v[12:13], v2, s[10:11]
	s_lshl_b64 s[10:11], s[6:7], 1
	s_mul_i32 s3, s0, 0xf00
	s_add_u32 s18, s4, s10
	s_addc_u32 s11, s5, s11
	s_add_i32 s1, s3, s6
	v_readfirstlane_b32 s10, v1
	v_mul_lo_u32 v1, 0xf00, v1
	s_add_i32 s0, s0, -1
	s_sub_i32 s1, s16, s1
	s_add_u32 s4, s6, s3
	s_addc_u32 s5, s7, 0
	s_cmp_eq_u32 s10, s0
	v_cmp_ge_u64_e64 s3, s[4:5], s[16:17]
	s_cselect_b32 s5, -1, 0
	v_lshlrev_b64 v[2:3], 1, v[1:2]
	v_lshlrev_b32_e32 v1, 1, v0
	s_mov_b32 s0, -1
	s_delay_alu instid0(VALU_DEP_3) | instskip(NEXT) | instid1(VALU_DEP_2)
	s_and_b32 s3, s3, s5
	v_add_co_u32 v2, vcc_lo, s18, v2
	s_delay_alu instid0(VALU_DEP_3) | instskip(SKIP_1) | instid1(SALU_CYCLE_1)
	v_add_co_ci_u32_e32 v3, vcc_lo, s11, v3, vcc_lo
	s_xor_b32 s4, s3, -1
	s_and_b32 vcc_lo, exec_lo, s4
	s_cbranch_vccz .LBB550_6
; %bb.5:
	v_add_co_u32 v4, vcc_lo, v2, v1
	v_add_co_ci_u32_e32 v5, vcc_lo, 0, v3, vcc_lo
	s_mov_b32 s0, 0
	s_delay_alu instid0(VALU_DEP_2)
	v_add_co_u32 v6, vcc_lo, 0x1000, v4
	s_clause 0x7
	flat_load_u16 v8, v[4:5]
	flat_load_u16 v9, v[4:5] offset:256
	flat_load_u16 v10, v[4:5] offset:512
	;; [unrolled: 1-line block ×7, first 2 shown]
	v_add_co_ci_u32_e32 v7, vcc_lo, 0, v5, vcc_lo
	s_clause 0x15
	flat_load_u16 v18, v[4:5] offset:2048
	flat_load_u16 v19, v[4:5] offset:2304
	;; [unrolled: 1-line block ×8, first 2 shown]
	flat_load_u16 v5, v[6:7]
	flat_load_u16 v25, v[6:7] offset:256
	flat_load_u16 v26, v[6:7] offset:512
	;; [unrolled: 1-line block ×13, first 2 shown]
	s_waitcnt vmcnt(29) lgkmcnt(29)
	ds_store_b16 v1, v8
	s_waitcnt vmcnt(28) lgkmcnt(29)
	ds_store_b16 v1, v9 offset:256
	s_waitcnt vmcnt(27) lgkmcnt(29)
	ds_store_b16 v1, v10 offset:512
	;; [unrolled: 2-line block ×29, first 2 shown]
	s_waitcnt lgkmcnt(0)
	s_barrier
.LBB550_6:
	s_and_not1_b32 vcc_lo, exec_lo, s0
	s_addk_i32 s1, 0xf00
	s_cbranch_vccnz .LBB550_68
; %bb.7:
	s_mov_b32 s0, exec_lo
                                        ; implicit-def: $vgpr4
	v_cmpx_gt_u32_e64 s1, v0
	s_cbranch_execz .LBB550_9
; %bb.8:
	v_add_co_u32 v4, vcc_lo, v2, v1
	v_add_co_ci_u32_e32 v5, vcc_lo, 0, v3, vcc_lo
	flat_load_u16 v4, v[4:5]
.LBB550_9:
	s_or_b32 exec_lo, exec_lo, s0
	v_or_b32_e32 v5, 0x80, v0
	s_delay_alu instid0(VALU_DEP_1)
	v_cmp_gt_u32_e32 vcc_lo, s1, v5
                                        ; implicit-def: $vgpr5
	s_and_saveexec_b32 s0, vcc_lo
	s_cbranch_execz .LBB550_11
; %bb.10:
	v_add_co_u32 v5, vcc_lo, v2, v1
	v_add_co_ci_u32_e32 v6, vcc_lo, 0, v3, vcc_lo
	flat_load_u16 v5, v[5:6] offset:256
.LBB550_11:
	s_or_b32 exec_lo, exec_lo, s0
	v_or_b32_e32 v6, 0x100, v0
	s_delay_alu instid0(VALU_DEP_1)
	v_cmp_gt_u32_e32 vcc_lo, s1, v6
                                        ; implicit-def: $vgpr6
	s_and_saveexec_b32 s0, vcc_lo
	s_cbranch_execz .LBB550_13
; %bb.12:
	v_add_co_u32 v6, vcc_lo, v2, v1
	v_add_co_ci_u32_e32 v7, vcc_lo, 0, v3, vcc_lo
	flat_load_u16 v6, v[6:7] offset:512
.LBB550_13:
	s_or_b32 exec_lo, exec_lo, s0
	v_or_b32_e32 v7, 0x180, v0
	s_delay_alu instid0(VALU_DEP_1)
	v_cmp_gt_u32_e32 vcc_lo, s1, v7
                                        ; implicit-def: $vgpr7
	s_and_saveexec_b32 s0, vcc_lo
	s_cbranch_execz .LBB550_15
; %bb.14:
	v_add_co_u32 v7, vcc_lo, v2, v1
	v_add_co_ci_u32_e32 v8, vcc_lo, 0, v3, vcc_lo
	flat_load_u16 v7, v[7:8] offset:768
.LBB550_15:
	s_or_b32 exec_lo, exec_lo, s0
	v_or_b32_e32 v8, 0x200, v0
	s_delay_alu instid0(VALU_DEP_1)
	v_cmp_gt_u32_e32 vcc_lo, s1, v8
                                        ; implicit-def: $vgpr8
	s_and_saveexec_b32 s0, vcc_lo
	s_cbranch_execz .LBB550_17
; %bb.16:
	v_add_co_u32 v8, vcc_lo, v2, v1
	v_add_co_ci_u32_e32 v9, vcc_lo, 0, v3, vcc_lo
	flat_load_u16 v8, v[8:9] offset:1024
.LBB550_17:
	s_or_b32 exec_lo, exec_lo, s0
	v_or_b32_e32 v9, 0x280, v0
	s_delay_alu instid0(VALU_DEP_1)
	v_cmp_gt_u32_e32 vcc_lo, s1, v9
                                        ; implicit-def: $vgpr9
	s_and_saveexec_b32 s0, vcc_lo
	s_cbranch_execz .LBB550_19
; %bb.18:
	v_add_co_u32 v9, vcc_lo, v2, v1
	v_add_co_ci_u32_e32 v10, vcc_lo, 0, v3, vcc_lo
	flat_load_u16 v9, v[9:10] offset:1280
.LBB550_19:
	s_or_b32 exec_lo, exec_lo, s0
	v_or_b32_e32 v10, 0x300, v0
	s_delay_alu instid0(VALU_DEP_1)
	v_cmp_gt_u32_e32 vcc_lo, s1, v10
                                        ; implicit-def: $vgpr10
	s_and_saveexec_b32 s0, vcc_lo
	s_cbranch_execz .LBB550_21
; %bb.20:
	v_add_co_u32 v10, vcc_lo, v2, v1
	v_add_co_ci_u32_e32 v11, vcc_lo, 0, v3, vcc_lo
	flat_load_u16 v10, v[10:11] offset:1536
.LBB550_21:
	s_or_b32 exec_lo, exec_lo, s0
	v_or_b32_e32 v11, 0x380, v0
	s_delay_alu instid0(VALU_DEP_1)
	v_cmp_gt_u32_e32 vcc_lo, s1, v11
                                        ; implicit-def: $vgpr11
	s_and_saveexec_b32 s0, vcc_lo
	s_cbranch_execz .LBB550_23
; %bb.22:
	v_add_co_u32 v14, vcc_lo, v2, v1
	v_add_co_ci_u32_e32 v15, vcc_lo, 0, v3, vcc_lo
	flat_load_u16 v11, v[14:15] offset:1792
.LBB550_23:
	s_or_b32 exec_lo, exec_lo, s0
	v_or_b32_e32 v14, 0x400, v0
	s_delay_alu instid0(VALU_DEP_1)
	v_cmp_gt_u32_e32 vcc_lo, s1, v14
                                        ; implicit-def: $vgpr14
	s_and_saveexec_b32 s0, vcc_lo
	s_cbranch_execz .LBB550_25
; %bb.24:
	v_add_co_u32 v14, vcc_lo, v2, v1
	v_add_co_ci_u32_e32 v15, vcc_lo, 0, v3, vcc_lo
	flat_load_u16 v14, v[14:15] offset:2048
.LBB550_25:
	s_or_b32 exec_lo, exec_lo, s0
	v_or_b32_e32 v15, 0x480, v0
	s_delay_alu instid0(VALU_DEP_1)
	v_cmp_gt_u32_e32 vcc_lo, s1, v15
                                        ; implicit-def: $vgpr15
	s_and_saveexec_b32 s0, vcc_lo
	s_cbranch_execz .LBB550_27
; %bb.26:
	v_add_co_u32 v15, vcc_lo, v2, v1
	v_add_co_ci_u32_e32 v16, vcc_lo, 0, v3, vcc_lo
	flat_load_u16 v15, v[15:16] offset:2304
.LBB550_27:
	s_or_b32 exec_lo, exec_lo, s0
	v_or_b32_e32 v16, 0x500, v0
	s_delay_alu instid0(VALU_DEP_1)
	v_cmp_gt_u32_e32 vcc_lo, s1, v16
                                        ; implicit-def: $vgpr16
	s_and_saveexec_b32 s0, vcc_lo
	s_cbranch_execz .LBB550_29
; %bb.28:
	v_add_co_u32 v16, vcc_lo, v2, v1
	v_add_co_ci_u32_e32 v17, vcc_lo, 0, v3, vcc_lo
	flat_load_u16 v16, v[16:17] offset:2560
.LBB550_29:
	s_or_b32 exec_lo, exec_lo, s0
	v_or_b32_e32 v17, 0x580, v0
	s_delay_alu instid0(VALU_DEP_1)
	v_cmp_gt_u32_e32 vcc_lo, s1, v17
                                        ; implicit-def: $vgpr17
	s_and_saveexec_b32 s0, vcc_lo
	s_cbranch_execz .LBB550_31
; %bb.30:
	v_add_co_u32 v17, vcc_lo, v2, v1
	v_add_co_ci_u32_e32 v18, vcc_lo, 0, v3, vcc_lo
	flat_load_u16 v17, v[17:18] offset:2816
.LBB550_31:
	s_or_b32 exec_lo, exec_lo, s0
	v_or_b32_e32 v18, 0x600, v0
	s_delay_alu instid0(VALU_DEP_1)
	v_cmp_gt_u32_e32 vcc_lo, s1, v18
                                        ; implicit-def: $vgpr18
	s_and_saveexec_b32 s0, vcc_lo
	s_cbranch_execz .LBB550_33
; %bb.32:
	v_add_co_u32 v18, vcc_lo, v2, v1
	v_add_co_ci_u32_e32 v19, vcc_lo, 0, v3, vcc_lo
	flat_load_u16 v18, v[18:19] offset:3072
.LBB550_33:
	s_or_b32 exec_lo, exec_lo, s0
	v_or_b32_e32 v19, 0x680, v0
	s_delay_alu instid0(VALU_DEP_1)
	v_cmp_gt_u32_e32 vcc_lo, s1, v19
                                        ; implicit-def: $vgpr19
	s_and_saveexec_b32 s0, vcc_lo
	s_cbranch_execz .LBB550_35
; %bb.34:
	v_add_co_u32 v19, vcc_lo, v2, v1
	v_add_co_ci_u32_e32 v20, vcc_lo, 0, v3, vcc_lo
	flat_load_u16 v19, v[19:20] offset:3328
.LBB550_35:
	s_or_b32 exec_lo, exec_lo, s0
	v_or_b32_e32 v20, 0x700, v0
	s_delay_alu instid0(VALU_DEP_1)
	v_cmp_gt_u32_e32 vcc_lo, s1, v20
                                        ; implicit-def: $vgpr20
	s_and_saveexec_b32 s0, vcc_lo
	s_cbranch_execz .LBB550_37
; %bb.36:
	v_add_co_u32 v20, vcc_lo, v2, v1
	v_add_co_ci_u32_e32 v21, vcc_lo, 0, v3, vcc_lo
	flat_load_u16 v20, v[20:21] offset:3584
.LBB550_37:
	s_or_b32 exec_lo, exec_lo, s0
	v_or_b32_e32 v21, 0x780, v0
	s_delay_alu instid0(VALU_DEP_1)
	v_cmp_gt_u32_e32 vcc_lo, s1, v21
                                        ; implicit-def: $vgpr21
	s_and_saveexec_b32 s0, vcc_lo
	s_cbranch_execz .LBB550_39
; %bb.38:
	v_add_co_u32 v21, vcc_lo, v2, v1
	v_add_co_ci_u32_e32 v22, vcc_lo, 0, v3, vcc_lo
	flat_load_u16 v21, v[21:22] offset:3840
.LBB550_39:
	s_or_b32 exec_lo, exec_lo, s0
	v_or_b32_e32 v23, 0x800, v0
	s_mov_b32 s0, exec_lo
                                        ; implicit-def: $vgpr22
	s_delay_alu instid0(VALU_DEP_1)
	v_cmpx_gt_u32_e64 s1, v23
	s_cbranch_execz .LBB550_41
; %bb.40:
	v_lshlrev_b32_e32 v22, 1, v23
	s_delay_alu instid0(VALU_DEP_1)
	v_add_co_u32 v22, vcc_lo, v2, v22
	v_add_co_ci_u32_e32 v23, vcc_lo, 0, v3, vcc_lo
	flat_load_u16 v22, v[22:23]
.LBB550_41:
	s_or_b32 exec_lo, exec_lo, s0
	v_or_b32_e32 v24, 0x880, v0
	s_mov_b32 s0, exec_lo
                                        ; implicit-def: $vgpr23
	s_delay_alu instid0(VALU_DEP_1)
	v_cmpx_gt_u32_e64 s1, v24
	s_cbranch_execz .LBB550_43
; %bb.42:
	v_lshlrev_b32_e32 v23, 1, v24
	s_delay_alu instid0(VALU_DEP_1)
	v_add_co_u32 v23, vcc_lo, v2, v23
	v_add_co_ci_u32_e32 v24, vcc_lo, 0, v3, vcc_lo
	flat_load_u16 v23, v[23:24]
.LBB550_43:
	s_or_b32 exec_lo, exec_lo, s0
	v_or_b32_e32 v25, 0x900, v0
	s_mov_b32 s0, exec_lo
                                        ; implicit-def: $vgpr24
	s_delay_alu instid0(VALU_DEP_1)
	v_cmpx_gt_u32_e64 s1, v25
	s_cbranch_execz .LBB550_45
; %bb.44:
	v_lshlrev_b32_e32 v24, 1, v25
	s_delay_alu instid0(VALU_DEP_1)
	v_add_co_u32 v24, vcc_lo, v2, v24
	v_add_co_ci_u32_e32 v25, vcc_lo, 0, v3, vcc_lo
	flat_load_u16 v24, v[24:25]
.LBB550_45:
	s_or_b32 exec_lo, exec_lo, s0
	v_or_b32_e32 v26, 0x980, v0
	s_mov_b32 s0, exec_lo
                                        ; implicit-def: $vgpr25
	s_delay_alu instid0(VALU_DEP_1)
	v_cmpx_gt_u32_e64 s1, v26
	s_cbranch_execz .LBB550_47
; %bb.46:
	v_lshlrev_b32_e32 v25, 1, v26
	s_delay_alu instid0(VALU_DEP_1)
	v_add_co_u32 v25, vcc_lo, v2, v25
	v_add_co_ci_u32_e32 v26, vcc_lo, 0, v3, vcc_lo
	flat_load_u16 v25, v[25:26]
.LBB550_47:
	s_or_b32 exec_lo, exec_lo, s0
	v_or_b32_e32 v27, 0xa00, v0
	s_mov_b32 s0, exec_lo
                                        ; implicit-def: $vgpr26
	s_delay_alu instid0(VALU_DEP_1)
	v_cmpx_gt_u32_e64 s1, v27
	s_cbranch_execz .LBB550_49
; %bb.48:
	v_lshlrev_b32_e32 v26, 1, v27
	s_delay_alu instid0(VALU_DEP_1)
	v_add_co_u32 v26, vcc_lo, v2, v26
	v_add_co_ci_u32_e32 v27, vcc_lo, 0, v3, vcc_lo
	flat_load_u16 v26, v[26:27]
.LBB550_49:
	s_or_b32 exec_lo, exec_lo, s0
	v_or_b32_e32 v28, 0xa80, v0
	s_mov_b32 s0, exec_lo
                                        ; implicit-def: $vgpr27
	s_delay_alu instid0(VALU_DEP_1)
	v_cmpx_gt_u32_e64 s1, v28
	s_cbranch_execz .LBB550_51
; %bb.50:
	v_lshlrev_b32_e32 v27, 1, v28
	s_delay_alu instid0(VALU_DEP_1)
	v_add_co_u32 v27, vcc_lo, v2, v27
	v_add_co_ci_u32_e32 v28, vcc_lo, 0, v3, vcc_lo
	flat_load_u16 v27, v[27:28]
.LBB550_51:
	s_or_b32 exec_lo, exec_lo, s0
	v_or_b32_e32 v29, 0xb00, v0
	s_mov_b32 s0, exec_lo
                                        ; implicit-def: $vgpr28
	s_delay_alu instid0(VALU_DEP_1)
	v_cmpx_gt_u32_e64 s1, v29
	s_cbranch_execz .LBB550_53
; %bb.52:
	v_lshlrev_b32_e32 v28, 1, v29
	s_delay_alu instid0(VALU_DEP_1)
	v_add_co_u32 v28, vcc_lo, v2, v28
	v_add_co_ci_u32_e32 v29, vcc_lo, 0, v3, vcc_lo
	flat_load_u16 v28, v[28:29]
.LBB550_53:
	s_or_b32 exec_lo, exec_lo, s0
	v_or_b32_e32 v30, 0xb80, v0
	s_mov_b32 s0, exec_lo
                                        ; implicit-def: $vgpr29
	s_delay_alu instid0(VALU_DEP_1)
	v_cmpx_gt_u32_e64 s1, v30
	s_cbranch_execz .LBB550_55
; %bb.54:
	v_lshlrev_b32_e32 v29, 1, v30
	s_delay_alu instid0(VALU_DEP_1)
	v_add_co_u32 v29, vcc_lo, v2, v29
	v_add_co_ci_u32_e32 v30, vcc_lo, 0, v3, vcc_lo
	flat_load_u16 v29, v[29:30]
.LBB550_55:
	s_or_b32 exec_lo, exec_lo, s0
	v_or_b32_e32 v31, 0xc00, v0
	s_mov_b32 s0, exec_lo
                                        ; implicit-def: $vgpr30
	s_delay_alu instid0(VALU_DEP_1)
	v_cmpx_gt_u32_e64 s1, v31
	s_cbranch_execz .LBB550_57
; %bb.56:
	v_lshlrev_b32_e32 v30, 1, v31
	s_delay_alu instid0(VALU_DEP_1)
	v_add_co_u32 v30, vcc_lo, v2, v30
	v_add_co_ci_u32_e32 v31, vcc_lo, 0, v3, vcc_lo
	flat_load_u16 v30, v[30:31]
.LBB550_57:
	s_or_b32 exec_lo, exec_lo, s0
	v_or_b32_e32 v32, 0xc80, v0
	s_mov_b32 s0, exec_lo
                                        ; implicit-def: $vgpr31
	s_delay_alu instid0(VALU_DEP_1)
	v_cmpx_gt_u32_e64 s1, v32
	s_cbranch_execz .LBB550_59
; %bb.58:
	v_lshlrev_b32_e32 v31, 1, v32
	s_delay_alu instid0(VALU_DEP_1)
	v_add_co_u32 v31, vcc_lo, v2, v31
	v_add_co_ci_u32_e32 v32, vcc_lo, 0, v3, vcc_lo
	flat_load_u16 v31, v[31:32]
.LBB550_59:
	s_or_b32 exec_lo, exec_lo, s0
	v_or_b32_e32 v33, 0xd00, v0
	s_mov_b32 s0, exec_lo
                                        ; implicit-def: $vgpr32
	s_delay_alu instid0(VALU_DEP_1)
	v_cmpx_gt_u32_e64 s1, v33
	s_cbranch_execz .LBB550_61
; %bb.60:
	v_lshlrev_b32_e32 v32, 1, v33
	s_delay_alu instid0(VALU_DEP_1)
	v_add_co_u32 v32, vcc_lo, v2, v32
	v_add_co_ci_u32_e32 v33, vcc_lo, 0, v3, vcc_lo
	flat_load_u16 v32, v[32:33]
.LBB550_61:
	s_or_b32 exec_lo, exec_lo, s0
	v_or_b32_e32 v34, 0xd80, v0
	s_mov_b32 s0, exec_lo
                                        ; implicit-def: $vgpr33
	s_delay_alu instid0(VALU_DEP_1)
	v_cmpx_gt_u32_e64 s1, v34
	s_cbranch_execz .LBB550_63
; %bb.62:
	v_lshlrev_b32_e32 v33, 1, v34
	s_delay_alu instid0(VALU_DEP_1)
	v_add_co_u32 v33, vcc_lo, v2, v33
	v_add_co_ci_u32_e32 v34, vcc_lo, 0, v3, vcc_lo
	flat_load_u16 v33, v[33:34]
.LBB550_63:
	s_or_b32 exec_lo, exec_lo, s0
	v_or_b32_e32 v35, 0xe00, v0
	s_mov_b32 s0, exec_lo
                                        ; implicit-def: $vgpr34
	s_delay_alu instid0(VALU_DEP_1)
	v_cmpx_gt_u32_e64 s1, v35
	s_cbranch_execz .LBB550_65
; %bb.64:
	v_lshlrev_b32_e32 v34, 1, v35
	s_delay_alu instid0(VALU_DEP_1)
	v_add_co_u32 v34, vcc_lo, v2, v34
	v_add_co_ci_u32_e32 v35, vcc_lo, 0, v3, vcc_lo
	flat_load_u16 v34, v[34:35]
.LBB550_65:
	s_or_b32 exec_lo, exec_lo, s0
	v_or_b32_e32 v36, 0xe80, v0
	s_mov_b32 s0, exec_lo
                                        ; implicit-def: $vgpr35
	s_delay_alu instid0(VALU_DEP_1)
	v_cmpx_gt_u32_e64 s1, v36
	s_cbranch_execz .LBB550_67
; %bb.66:
	v_lshlrev_b32_e32 v35, 1, v36
	s_delay_alu instid0(VALU_DEP_1)
	v_add_co_u32 v2, vcc_lo, v2, v35
	v_add_co_ci_u32_e32 v3, vcc_lo, 0, v3, vcc_lo
	flat_load_u16 v35, v[2:3]
.LBB550_67:
	s_or_b32 exec_lo, exec_lo, s0
	s_waitcnt vmcnt(0) lgkmcnt(0)
	ds_store_b16 v1, v4
	ds_store_b16 v1, v5 offset:256
	ds_store_b16 v1, v6 offset:512
	;; [unrolled: 1-line block ×29, first 2 shown]
	s_waitcnt lgkmcnt(0)
	s_barrier
.LBB550_68:
	v_mul_u32_u24_e32 v1, 30, v0
	s_waitcnt vmcnt(0)
	buffer_gl0_inv
	s_and_not1_b32 vcc_lo, exec_lo, s4
	v_lshlrev_b32_e32 v2, 1, v1
	ds_load_b32 v11, v2 offset:56
	ds_load_2addr_b32 v[9:10], v2 offset0:12 offset1:13
	ds_load_2addr_b32 v[14:15], v2 offset0:10 offset1:11
	ds_load_2addr_b32 v[24:25], v2 offset1:1
	ds_load_2addr_b32 v[22:23], v2 offset0:2 offset1:3
	ds_load_2addr_b32 v[20:21], v2 offset0:4 offset1:5
	;; [unrolled: 1-line block ×4, first 2 shown]
	s_waitcnt lgkmcnt(0)
	s_barrier
	buffer_gl0_inv
	v_lshrrev_b32_e32 v86, 16, v11
	v_lshrrev_b32_e32 v88, 16, v9
	;; [unrolled: 1-line block ×15, first 2 shown]
	s_cbranch_vccnz .LBB550_70
; %bb.69:
	v_mul_lo_u16 v2, 0xaaab, v24
	v_mul_lo_u16 v3, 0xaaab, v100
	;; [unrolled: 1-line block ×4, first 2 shown]
	s_delay_alu instid0(VALU_DEP_4)
	v_cmp_lt_u16_e32 vcc_lo, 0x5555, v2
	v_mul_lo_u16 v2, 0xaaab, v99
	v_cndmask_b32_e64 v102, 0, 1, vcc_lo
	v_cmp_lt_u16_e32 vcc_lo, 0x5555, v3
	v_mul_lo_u16 v3, 0xaaab, v22
	v_cndmask_b32_e64 v101, 0, 1, vcc_lo
	v_cmp_lt_u16_e32 vcc_lo, 0x5555, v4
	v_mul_lo_u16 v4, 0xaaab, v98
	v_cndmask_b32_e64 v104, 0, 1, vcc_lo
	v_cmp_lt_u16_e32 vcc_lo, 0x5555, v2
	v_mul_lo_u16 v2, 0xaaab, v23
	v_cndmask_b32_e64 v103, 0, 1, vcc_lo
	v_cmp_lt_u16_e32 vcc_lo, 0x5555, v3
	v_mul_lo_u16 v3, 0xaaab, v97
	v_cndmask_b32_e64 v106, 0, 1, vcc_lo
	v_cmp_lt_u16_e32 vcc_lo, 0x5555, v4
	v_mul_lo_u16 v4, 0xaaab, v20
	v_cndmask_b32_e64 v105, 0, 1, vcc_lo
	v_cmp_lt_u16_e32 vcc_lo, 0x5555, v2
	v_mul_lo_u16 v2, 0xaaab, v96
	v_cndmask_b32_e64 v108, 0, 1, vcc_lo
	v_cmp_lt_u16_e32 vcc_lo, 0x5555, v3
	v_mul_lo_u16 v3, 0xaaab, v21
	v_cndmask_b32_e64 v107, 0, 1, vcc_lo
	v_cmp_lt_u16_e32 vcc_lo, 0x5555, v4
	v_mul_lo_u16 v4, 0xaaab, v18
	v_cndmask_b32_e64 v110, 0, 1, vcc_lo
	v_cmp_lt_u16_e32 vcc_lo, 0x5555, v2
	v_mul_lo_u16 v2, 0xaaab, v95
	v_cndmask_b32_e64 v109, 0, 1, vcc_lo
	v_cmp_lt_u16_e32 vcc_lo, 0x5555, v3
	v_mul_lo_u16 v3, 0xaaab, v94
	v_cndmask_b32_e64 v112, 0, 1, vcc_lo
	v_cmp_lt_u16_e32 vcc_lo, 0x5555, v2
	v_mul_lo_u16 v2, 0xaaab, v19
	v_cndmask_b32_e64 v111, 0, 1, vcc_lo
	v_cmp_lt_u16_e32 vcc_lo, 0x5555, v4
	v_mul_lo_u16 v4, 0xaaab, v16
	v_cndmask_b32_e64 v114, 0, 1, vcc_lo
	v_cmp_lt_u16_e32 vcc_lo, 0x5555, v3
	v_mul_lo_u16 v3, 0xaaab, v93
	v_cndmask_b32_e64 v113, 0, 1, vcc_lo
	v_cmp_lt_u16_e32 vcc_lo, 0x5555, v2
	v_mul_lo_u16 v2, 0xaaab, v92
	v_cndmask_b32_e64 v116, 0, 1, vcc_lo
	v_cmp_lt_u16_e32 vcc_lo, 0x5555, v3
	v_mul_lo_u16 v3, 0xaaab, v17
	v_cndmask_b32_e64 v115, 0, 1, vcc_lo
	v_cmp_lt_u16_e32 vcc_lo, 0x5555, v4
	v_mul_lo_u16 v4, 0xaaab, v14
	v_cndmask_b32_e64 v118, 0, 1, vcc_lo
	v_cmp_lt_u16_e32 vcc_lo, 0x5555, v2
	v_mul_lo_u16 v2, 0xaaab, v91
	v_cndmask_b32_e64 v117, 0, 1, vcc_lo
	v_cmp_lt_u16_e32 vcc_lo, 0x5555, v3
	v_mul_lo_u16 v3, 0xaaab, v90
	v_cndmask_b32_e64 v120, 0, 1, vcc_lo
	v_cmp_lt_u16_e32 vcc_lo, 0x5555, v2
	v_mul_lo_u16 v2, 0xaaab, v15
	v_cndmask_b32_e64 v119, 0, 1, vcc_lo
	v_cmp_lt_u16_e32 vcc_lo, 0x5555, v4
	v_mul_lo_u16 v4, 0xaaab, v9
	v_cndmask_b32_e64 v122, 0, 1, vcc_lo
	v_cmp_lt_u16_e32 vcc_lo, 0x5555, v3
	v_mul_lo_u16 v3, 0xaaab, v89
	v_cndmask_b32_e64 v121, 0, 1, vcc_lo
	v_cmp_lt_u16_e32 vcc_lo, 0x5555, v2
	v_mul_lo_u16 v2, 0xaaab, v88
	v_cndmask_b32_e64 v124, 0, 1, vcc_lo
	v_cmp_lt_u16_e32 vcc_lo, 0x5555, v3
	v_mul_lo_u16 v3, 0xaaab, v10
	v_cndmask_b32_e64 v123, 0, 1, vcc_lo
	v_cmp_lt_u16_e32 vcc_lo, 0x5555, v4
	v_mul_lo_u16 v4, 0xaaab, v11
	v_cndmask_b32_e64 v126, 0, 1, vcc_lo
	v_cmp_lt_u16_e32 vcc_lo, 0x5555, v2
	v_mul_lo_u16 v2, 0xaaab, v87
	s_delay_alu instid0(VALU_DEP_4) | instskip(SKIP_2) | instid1(VALU_DEP_3)
	v_cmp_lt_u16_e64 s0, 0x5555, v4
	v_cndmask_b32_e64 v125, 0, 1, vcc_lo
	v_cmp_lt_u16_e32 vcc_lo, 0x5555, v3
	v_cndmask_b32_e64 v129, 0, 1, s0
	v_cndmask_b32_e64 v128, 0, 1, vcc_lo
	v_cmp_lt_u16_e32 vcc_lo, 0x5555, v2
	v_cndmask_b32_e64 v127, 0, 1, vcc_lo
	v_cmp_lt_u16_e32 vcc_lo, 0x5555, v5
	s_and_b32 s6, vcc_lo, exec_lo
	s_cbranch_execz .LBB550_71
	s_branch .LBB550_132
.LBB550_70:
                                        ; implicit-def: $sgpr6
                                        ; implicit-def: $vgpr102
                                        ; implicit-def: $vgpr101
                                        ; implicit-def: $vgpr104
                                        ; implicit-def: $vgpr103
                                        ; implicit-def: $vgpr106
                                        ; implicit-def: $vgpr105
                                        ; implicit-def: $vgpr108
                                        ; implicit-def: $vgpr107
                                        ; implicit-def: $vgpr110
                                        ; implicit-def: $vgpr109
                                        ; implicit-def: $vgpr112
                                        ; implicit-def: $vgpr111
                                        ; implicit-def: $vgpr114
                                        ; implicit-def: $vgpr113
                                        ; implicit-def: $vgpr116
                                        ; implicit-def: $vgpr115
                                        ; implicit-def: $vgpr118
                                        ; implicit-def: $vgpr117
                                        ; implicit-def: $vgpr120
                                        ; implicit-def: $vgpr119
                                        ; implicit-def: $vgpr122
                                        ; implicit-def: $vgpr121
                                        ; implicit-def: $vgpr124
                                        ; implicit-def: $vgpr123
                                        ; implicit-def: $vgpr126
                                        ; implicit-def: $vgpr125
                                        ; implicit-def: $vgpr128
                                        ; implicit-def: $vgpr127
                                        ; implicit-def: $vgpr129
.LBB550_71:
	v_dual_mov_b32 v101, 0 :: v_dual_mov_b32 v102, 0
	s_mov_b32 s0, exec_lo
	v_cmpx_gt_u32_e64 s1, v1
; %bb.72:
	v_mul_lo_u16 v2, 0xaaab, v24
	s_delay_alu instid0(VALU_DEP_1)
	v_cmp_lt_u16_e32 vcc_lo, 0x5555, v2
	v_cndmask_b32_e64 v102, 0, 1, vcc_lo
; %bb.73:
	s_or_b32 exec_lo, exec_lo, s0
	v_or_b32_e32 v2, 1, v1
	s_mov_b32 s0, exec_lo
	s_delay_alu instid0(VALU_DEP_1)
	v_cmpx_gt_u32_e64 s1, v2
; %bb.74:
	v_mul_lo_u16 v2, 0xaaab, v100
	s_delay_alu instid0(VALU_DEP_1)
	v_cmp_lt_u16_e32 vcc_lo, 0x5555, v2
	v_cndmask_b32_e64 v101, 0, 1, vcc_lo
; %bb.75:
	s_or_b32 exec_lo, exec_lo, s0
	v_dual_mov_b32 v103, 0 :: v_dual_add_nc_u32 v2, 2, v1
	v_mov_b32_e32 v104, 0
	s_mov_b32 s0, exec_lo
	s_delay_alu instid0(VALU_DEP_2)
	v_cmpx_gt_u32_e64 s1, v2
; %bb.76:
	v_mul_lo_u16 v2, 0xaaab, v25
	s_delay_alu instid0(VALU_DEP_1)
	v_cmp_lt_u16_e32 vcc_lo, 0x5555, v2
	v_cndmask_b32_e64 v104, 0, 1, vcc_lo
; %bb.77:
	s_or_b32 exec_lo, exec_lo, s0
	v_add_nc_u32_e32 v2, 3, v1
	s_mov_b32 s0, exec_lo
	s_delay_alu instid0(VALU_DEP_1)
	v_cmpx_gt_u32_e64 s1, v2
; %bb.78:
	v_mul_lo_u16 v2, 0xaaab, v99
	s_delay_alu instid0(VALU_DEP_1)
	v_cmp_lt_u16_e32 vcc_lo, 0x5555, v2
	v_cndmask_b32_e64 v103, 0, 1, vcc_lo
; %bb.79:
	s_or_b32 exec_lo, exec_lo, s0
	v_dual_mov_b32 v105, 0 :: v_dual_add_nc_u32 v2, 4, v1
	v_mov_b32_e32 v106, 0
	s_mov_b32 s0, exec_lo
	s_delay_alu instid0(VALU_DEP_2)
	v_cmpx_gt_u32_e64 s1, v2
; %bb.80:
	v_mul_lo_u16 v2, 0xaaab, v22
	s_delay_alu instid0(VALU_DEP_1)
	v_cmp_lt_u16_e32 vcc_lo, 0x5555, v2
	v_cndmask_b32_e64 v106, 0, 1, vcc_lo
; %bb.81:
	s_or_b32 exec_lo, exec_lo, s0
	v_add_nc_u32_e32 v2, 5, v1
	;; [unrolled: 23-line block ×13, first 2 shown]
	s_mov_b32 s0, exec_lo
	s_delay_alu instid0(VALU_DEP_1)
	v_cmpx_gt_u32_e64 s1, v2
; %bb.126:
	v_mul_lo_u16 v2, 0xaaab, v87
	s_delay_alu instid0(VALU_DEP_1)
	v_cmp_lt_u16_e32 vcc_lo, 0x5555, v2
	v_cndmask_b32_e64 v127, 0, 1, vcc_lo
; %bb.127:
	s_or_b32 exec_lo, exec_lo, s0
	v_dual_mov_b32 v129, 0 :: v_dual_add_nc_u32 v2, 28, v1
	s_mov_b32 s0, exec_lo
	s_delay_alu instid0(VALU_DEP_1)
	v_cmpx_gt_u32_e64 s1, v2
; %bb.128:
	v_mul_lo_u16 v2, 0xaaab, v11
	s_delay_alu instid0(VALU_DEP_1)
	v_cmp_lt_u16_e32 vcc_lo, 0x5555, v2
	v_cndmask_b32_e64 v129, 0, 1, vcc_lo
; %bb.129:
	s_or_b32 exec_lo, exec_lo, s0
	v_add_nc_u32_e32 v1, 29, v1
	s_mov_b32 s6, 0
	s_mov_b32 s0, exec_lo
	s_delay_alu instid0(VALU_DEP_1)
	v_cmpx_gt_u32_e64 s1, v1
; %bb.130:
	v_mul_lo_u16 v1, 0xaaab, v86
	s_delay_alu instid0(VALU_DEP_1)
	v_cmp_lt_u16_e32 vcc_lo, 0x5555, v1
	s_and_b32 s6, vcc_lo, exec_lo
; %bb.131:
	s_or_b32 exec_lo, exec_lo, s0
.LBB550_132:
	v_and_b32_e32 v84, 0xff, v129
	v_cndmask_b32_e64 v1, 0, 1, s6
	v_dual_mov_b32 v2, 0 :: v_dual_and_b32 v85, 0xff, v127
	v_and_b32_e32 v130, 0xff, v128
	v_and_b32_e32 v131, 0xff, v125
	s_delay_alu instid0(VALU_DEP_4) | instskip(NEXT) | instid1(VALU_DEP_1)
	v_add_co_u32 v1, s0, v84, v1
	v_add_co_ci_u32_e64 v3, null, 0, 0, s0
	v_and_b32_e32 v132, 0xff, v126
	s_delay_alu instid0(VALU_DEP_3) | instskip(NEXT) | instid1(VALU_DEP_3)
	v_add_co_u32 v1, vcc_lo, v1, v85
	v_add_co_ci_u32_e32 v3, vcc_lo, 0, v3, vcc_lo
	v_and_b32_e32 v34, 0xff, v123
	s_delay_alu instid0(VALU_DEP_3) | instskip(NEXT) | instid1(VALU_DEP_3)
	v_add_co_u32 v1, vcc_lo, v1, v130
	v_add_co_ci_u32_e32 v3, vcc_lo, 0, v3, vcc_lo
	;; [unrolled: 4-line block ×24, first 2 shown]
	v_mbcnt_lo_u32_b32 v58, -1, 0
	s_delay_alu instid0(VALU_DEP_3) | instskip(NEXT) | instid1(VALU_DEP_3)
	v_add_co_u32 v1, vcc_lo, v1, v55
	v_add_co_ci_u32_e32 v3, vcc_lo, 0, v3, vcc_lo
	v_and_b32_e32 v46, 0xff, v102
	s_delay_alu instid0(VALU_DEP_3) | instskip(NEXT) | instid1(VALU_DEP_3)
	v_add_co_u32 v1, vcc_lo, v1, v56
	v_add_co_ci_u32_e32 v3, vcc_lo, 0, v3, vcc_lo
	v_and_b32_e32 v59, 15, v58
	s_delay_alu instid0(VALU_DEP_3) | instskip(NEXT) | instid1(VALU_DEP_3)
	v_add_co_u32 v1, vcc_lo, v1, v57
	v_add_co_ci_u32_e32 v3, vcc_lo, 0, v3, vcc_lo
	s_delay_alu instid0(VALU_DEP_3) | instskip(NEXT) | instid1(VALU_DEP_3)
	v_cmp_ne_u32_e64 s0, 0, v59
	v_add_co_u32 v26, vcc_lo, v1, v46
	s_delay_alu instid0(VALU_DEP_3)
	v_add_co_ci_u32_e32 v27, vcc_lo, 0, v3, vcc_lo
	s_cmp_lg_u32 s10, 0
	s_mov_b32 s1, -1
	s_cbranch_scc0 .LBB550_192
; %bb.133:
	v_mov_b32_e32 v3, v26
	v_mov_b32_dpp v1, v26 row_shr:1 row_mask:0xf bank_mask:0xf
	v_mov_b32_dpp v6, v2 row_shr:1 row_mask:0xf bank_mask:0xf
	v_dual_mov_b32 v5, v26 :: v_dual_mov_b32 v4, v27
	s_and_saveexec_b32 s1, s0
; %bb.134:
	s_delay_alu instid0(VALU_DEP_3) | instskip(SKIP_1) | instid1(VALU_DEP_2)
	v_add_co_u32 v5, vcc_lo, v26, v1
	v_add_co_ci_u32_e32 v2, vcc_lo, 0, v27, vcc_lo
	v_add_co_u32 v1, vcc_lo, 0, v5
	s_delay_alu instid0(VALU_DEP_2) | instskip(NEXT) | instid1(VALU_DEP_1)
	v_add_co_ci_u32_e32 v2, vcc_lo, v6, v2, vcc_lo
	v_dual_mov_b32 v4, v2 :: v_dual_mov_b32 v3, v1
; %bb.135:
	s_or_b32 exec_lo, exec_lo, s1
	v_mov_b32_dpp v1, v5 row_shr:2 row_mask:0xf bank_mask:0xf
	v_mov_b32_dpp v6, v2 row_shr:2 row_mask:0xf bank_mask:0xf
	s_mov_b32 s1, exec_lo
	v_cmpx_lt_u32_e32 1, v59
; %bb.136:
	s_delay_alu instid0(VALU_DEP_3) | instskip(SKIP_1) | instid1(VALU_DEP_2)
	v_add_co_u32 v5, vcc_lo, v3, v1
	v_add_co_ci_u32_e32 v2, vcc_lo, 0, v4, vcc_lo
	v_add_co_u32 v1, vcc_lo, 0, v5
	s_delay_alu instid0(VALU_DEP_2) | instskip(NEXT) | instid1(VALU_DEP_1)
	v_add_co_ci_u32_e32 v2, vcc_lo, v6, v2, vcc_lo
	v_dual_mov_b32 v4, v2 :: v_dual_mov_b32 v3, v1
; %bb.137:
	s_or_b32 exec_lo, exec_lo, s1
	v_mov_b32_dpp v1, v5 row_shr:4 row_mask:0xf bank_mask:0xf
	v_mov_b32_dpp v6, v2 row_shr:4 row_mask:0xf bank_mask:0xf
	s_mov_b32 s1, exec_lo
	v_cmpx_lt_u32_e32 3, v59
	;; [unrolled: 14-line block ×3, first 2 shown]
; %bb.140:
	s_delay_alu instid0(VALU_DEP_3) | instskip(SKIP_1) | instid1(VALU_DEP_2)
	v_add_co_u32 v5, vcc_lo, v3, v6
	v_add_co_ci_u32_e32 v2, vcc_lo, 0, v4, vcc_lo
	v_add_co_u32 v3, vcc_lo, 0, v5
	s_delay_alu instid0(VALU_DEP_2) | instskip(NEXT) | instid1(VALU_DEP_1)
	v_add_co_ci_u32_e32 v4, vcc_lo, v1, v2, vcc_lo
	v_mov_b32_e32 v2, v4
; %bb.141:
	s_or_b32 exec_lo, exec_lo, s1
	ds_swizzle_b32 v1, v5 offset:swizzle(BROADCAST,32,15)
	ds_swizzle_b32 v6, v2 offset:swizzle(BROADCAST,32,15)
	v_and_b32_e32 v7, 16, v58
	s_mov_b32 s1, exec_lo
	s_delay_alu instid0(VALU_DEP_1)
	v_cmpx_ne_u32_e32 0, v7
	s_cbranch_execz .LBB550_143
; %bb.142:
	s_waitcnt lgkmcnt(1)
	v_add_co_u32 v5, vcc_lo, v3, v1
	v_add_co_ci_u32_e32 v2, vcc_lo, 0, v4, vcc_lo
	s_delay_alu instid0(VALU_DEP_2) | instskip(SKIP_1) | instid1(VALU_DEP_2)
	v_add_co_u32 v1, vcc_lo, 0, v5
	s_waitcnt lgkmcnt(0)
	v_add_co_ci_u32_e32 v2, vcc_lo, v6, v2, vcc_lo
	s_delay_alu instid0(VALU_DEP_1)
	v_dual_mov_b32 v4, v2 :: v_dual_mov_b32 v3, v1
.LBB550_143:
	s_or_b32 exec_lo, exec_lo, s1
	s_waitcnt lgkmcnt(0)
	v_or_b32_e32 v6, 31, v0
	v_lshrrev_b32_e32 v1, 5, v0
	s_mov_b32 s1, exec_lo
	s_delay_alu instid0(VALU_DEP_2)
	v_cmpx_eq_u32_e64 v6, v0
	s_cbranch_execz .LBB550_145
; %bb.144:
	s_delay_alu instid0(VALU_DEP_2)
	v_lshlrev_b32_e32 v6, 3, v1
	ds_store_b64 v6, v[3:4]
.LBB550_145:
	s_or_b32 exec_lo, exec_lo, s1
	s_delay_alu instid0(SALU_CYCLE_1)
	s_mov_b32 s1, exec_lo
	s_waitcnt lgkmcnt(0)
	s_barrier
	buffer_gl0_inv
	v_cmpx_gt_u32_e32 4, v0
	s_cbranch_execz .LBB550_151
; %bb.146:
	v_lshlrev_b32_e32 v6, 3, v0
	s_mov_b32 s7, exec_lo
	ds_load_b64 v[3:4], v6
	s_waitcnt lgkmcnt(0)
	v_dual_mov_b32 v8, v3 :: v_dual_and_b32 v7, 3, v58
	v_mov_b32_dpp v29, v3 row_shr:1 row_mask:0xf bank_mask:0xf
	v_mov_b32_dpp v28, v4 row_shr:1 row_mask:0xf bank_mask:0xf
	s_delay_alu instid0(VALU_DEP_3)
	v_cmpx_ne_u32_e32 0, v7
; %bb.147:
	s_delay_alu instid0(VALU_DEP_3) | instskip(SKIP_1) | instid1(VALU_DEP_2)
	v_add_co_u32 v8, vcc_lo, v3, v29
	v_add_co_ci_u32_e32 v4, vcc_lo, 0, v4, vcc_lo
	v_add_co_u32 v3, vcc_lo, 0, v8
	s_delay_alu instid0(VALU_DEP_2)
	v_add_co_ci_u32_e32 v4, vcc_lo, v28, v4, vcc_lo
; %bb.148:
	s_or_b32 exec_lo, exec_lo, s7
	v_mov_b32_dpp v28, v8 row_shr:2 row_mask:0xf bank_mask:0xf
	s_delay_alu instid0(VALU_DEP_2)
	v_mov_b32_dpp v8, v4 row_shr:2 row_mask:0xf bank_mask:0xf
	s_mov_b32 s7, exec_lo
	v_cmpx_lt_u32_e32 1, v7
; %bb.149:
	s_delay_alu instid0(VALU_DEP_3) | instskip(SKIP_1) | instid1(VALU_DEP_2)
	v_add_co_u32 v3, vcc_lo, v3, v28
	v_add_co_ci_u32_e32 v4, vcc_lo, 0, v4, vcc_lo
	v_add_co_u32 v3, vcc_lo, v3, 0
	s_delay_alu instid0(VALU_DEP_2)
	v_add_co_ci_u32_e32 v4, vcc_lo, v4, v8, vcc_lo
; %bb.150:
	s_or_b32 exec_lo, exec_lo, s7
	ds_store_b64 v6, v[3:4]
.LBB550_151:
	s_or_b32 exec_lo, exec_lo, s1
	v_cmp_gt_u32_e32 vcc_lo, 32, v0
	s_mov_b32 s7, exec_lo
	s_waitcnt lgkmcnt(0)
	s_barrier
	buffer_gl0_inv
                                        ; implicit-def: $vgpr28_vgpr29
	v_cmpx_lt_u32_e32 31, v0
	s_cbranch_execz .LBB550_153
; %bb.152:
	v_lshl_add_u32 v1, v1, 3, -8
	ds_load_b64 v[28:29], v1
	s_waitcnt lgkmcnt(0)
	v_add_co_u32 v5, s1, v5, v28
	s_delay_alu instid0(VALU_DEP_1)
	v_add_co_ci_u32_e64 v2, s1, v2, v29, s1
.LBB550_153:
	s_or_b32 exec_lo, exec_lo, s7
	v_add_nc_u32_e32 v1, -1, v58
	s_delay_alu instid0(VALU_DEP_1) | instskip(NEXT) | instid1(VALU_DEP_1)
	v_cmp_gt_i32_e64 s1, 0, v1
	v_cndmask_b32_e64 v1, v1, v58, s1
	v_cmp_eq_u32_e64 s1, 0, v58
	s_delay_alu instid0(VALU_DEP_2)
	v_lshlrev_b32_e32 v1, 2, v1
	ds_bpermute_b32 v60, v1, v5
	ds_bpermute_b32 v61, v1, v2
	s_and_saveexec_b32 s7, vcc_lo
	s_cbranch_execz .LBB550_191
; %bb.154:
	v_mov_b32_e32 v4, 0
	ds_load_b64 v[1:2], v4 offset:24
	s_and_saveexec_b32 s11, s1
	s_cbranch_execz .LBB550_156
; %bb.155:
	s_add_i32 s16, s10, 32
	s_mov_b32 s17, 0
	s_delay_alu instid0(SALU_CYCLE_1) | instskip(NEXT) | instid1(SALU_CYCLE_1)
	s_lshl_b64 s[16:17], s[16:17], 4
	s_add_u32 s16, s14, s16
	s_addc_u32 s17, s15, s17
	v_mov_b32_e32 v5, s16
	v_dual_mov_b32 v3, 1 :: v_dual_mov_b32 v6, s17
	s_waitcnt lgkmcnt(0)
	;;#ASMSTART
	global_store_dwordx4 v[5:6], v[1:4] off	
s_waitcnt vmcnt(0)
	;;#ASMEND
.LBB550_156:
	s_or_b32 exec_lo, exec_lo, s11
	v_xad_u32 v30, v58, -1, s10
	s_mov_b32 s16, 0
	s_mov_b32 s11, exec_lo
	s_delay_alu instid0(VALU_DEP_1) | instskip(NEXT) | instid1(VALU_DEP_1)
	v_add_nc_u32_e32 v3, 32, v30
	v_lshlrev_b64 v[3:4], 4, v[3:4]
	s_delay_alu instid0(VALU_DEP_1) | instskip(NEXT) | instid1(VALU_DEP_2)
	v_add_co_u32 v3, vcc_lo, s14, v3
	v_add_co_ci_u32_e32 v4, vcc_lo, s15, v4, vcc_lo
	;;#ASMSTART
	global_load_dwordx4 v[5:8], v[3:4] off glc	
s_waitcnt vmcnt(0)
	;;#ASMEND
	v_and_b32_e32 v8, 0xff, v6
	v_and_b32_e32 v31, 0xff00, v6
	v_or3_b32 v5, v5, 0, 0
	v_and_b32_e32 v32, 0xff000000, v6
	v_and_b32_e32 v6, 0xff0000, v6
	s_delay_alu instid0(VALU_DEP_4) | instskip(SKIP_2) | instid1(VALU_DEP_3)
	v_or3_b32 v8, 0, v8, v31
	v_and_b32_e32 v31, 0xff, v7
	v_or3_b32 v5, v5, 0, 0
	v_or3_b32 v6, v8, v6, v32
	s_delay_alu instid0(VALU_DEP_3)
	v_cmpx_eq_u16_e32 0, v31
	s_cbranch_execz .LBB550_159
.LBB550_157:                            ; =>This Inner Loop Header: Depth=1
	;;#ASMSTART
	global_load_dwordx4 v[5:8], v[3:4] off glc	
s_waitcnt vmcnt(0)
	;;#ASMEND
	v_and_b32_e32 v8, 0xff, v7
	s_delay_alu instid0(VALU_DEP_1) | instskip(SKIP_1) | instid1(SALU_CYCLE_1)
	v_cmp_ne_u16_e32 vcc_lo, 0, v8
	s_or_b32 s16, vcc_lo, s16
	s_and_not1_b32 exec_lo, exec_lo, s16
	s_cbranch_execnz .LBB550_157
; %bb.158:
	s_or_b32 exec_lo, exec_lo, s16
.LBB550_159:
	s_delay_alu instid0(SALU_CYCLE_1)
	s_or_b32 exec_lo, exec_lo, s11
	v_cmp_ne_u32_e32 vcc_lo, 31, v58
	v_and_b32_e32 v4, 0xff, v7
	v_lshlrev_b32_e64 v63, v58, -1
	s_mov_b32 s11, exec_lo
	v_add_co_ci_u32_e32 v3, vcc_lo, 0, v58, vcc_lo
	s_delay_alu instid0(VALU_DEP_3) | instskip(SKIP_1) | instid1(VALU_DEP_3)
	v_cmp_eq_u16_e32 vcc_lo, 2, v4
	v_mov_b32_e32 v4, v5
	v_lshlrev_b32_e32 v62, 2, v3
	v_and_or_b32 v3, vcc_lo, v63, 0x80000000
	ds_bpermute_b32 v31, v62, v5
	ds_bpermute_b32 v8, v62, v6
	v_ctz_i32_b32_e32 v3, v3
	s_delay_alu instid0(VALU_DEP_1)
	v_cmpx_lt_u32_e64 v58, v3
	s_cbranch_execz .LBB550_161
; %bb.160:
	s_waitcnt lgkmcnt(1)
	v_add_co_u32 v4, vcc_lo, v5, v31
	v_add_co_ci_u32_e32 v6, vcc_lo, 0, v6, vcc_lo
	s_delay_alu instid0(VALU_DEP_2) | instskip(SKIP_1) | instid1(VALU_DEP_2)
	v_add_co_u32 v5, vcc_lo, 0, v4
	s_waitcnt lgkmcnt(0)
	v_add_co_ci_u32_e32 v6, vcc_lo, v8, v6, vcc_lo
.LBB550_161:
	s_or_b32 exec_lo, exec_lo, s11
	v_cmp_gt_u32_e32 vcc_lo, 30, v58
	v_add_nc_u32_e32 v65, 2, v58
	s_mov_b32 s11, exec_lo
	s_waitcnt lgkmcnt(0)
	v_cndmask_b32_e64 v8, 0, 1, vcc_lo
	s_delay_alu instid0(VALU_DEP_1) | instskip(NEXT) | instid1(VALU_DEP_1)
	v_lshlrev_b32_e32 v8, 1, v8
	v_add_lshl_u32 v64, v8, v58, 2
	ds_bpermute_b32 v31, v64, v4
	ds_bpermute_b32 v8, v64, v6
	v_cmpx_le_u32_e64 v65, v3
	s_cbranch_execz .LBB550_163
; %bb.162:
	s_waitcnt lgkmcnt(1)
	v_add_co_u32 v4, vcc_lo, v5, v31
	v_add_co_ci_u32_e32 v6, vcc_lo, 0, v6, vcc_lo
	s_delay_alu instid0(VALU_DEP_2) | instskip(SKIP_1) | instid1(VALU_DEP_2)
	v_add_co_u32 v5, vcc_lo, 0, v4
	s_waitcnt lgkmcnt(0)
	v_add_co_ci_u32_e32 v6, vcc_lo, v8, v6, vcc_lo
.LBB550_163:
	s_or_b32 exec_lo, exec_lo, s11
	v_cmp_gt_u32_e32 vcc_lo, 28, v58
	v_add_nc_u32_e32 v67, 4, v58
	s_mov_b32 s11, exec_lo
	s_waitcnt lgkmcnt(0)
	v_cndmask_b32_e64 v8, 0, 1, vcc_lo
	s_delay_alu instid0(VALU_DEP_1) | instskip(NEXT) | instid1(VALU_DEP_1)
	v_lshlrev_b32_e32 v8, 2, v8
	v_add_lshl_u32 v66, v8, v58, 2
	ds_bpermute_b32 v31, v66, v4
	ds_bpermute_b32 v8, v66, v6
	v_cmpx_le_u32_e64 v67, v3
	;; [unrolled: 22-line block ×4, first 2 shown]
	s_cbranch_execz .LBB550_169
; %bb.168:
	s_waitcnt lgkmcnt(1)
	v_add_co_u32 v3, vcc_lo, v5, v8
	v_add_co_ci_u32_e32 v6, vcc_lo, 0, v6, vcc_lo
	s_delay_alu instid0(VALU_DEP_2) | instskip(SKIP_1) | instid1(VALU_DEP_2)
	v_add_co_u32 v5, vcc_lo, v3, 0
	s_waitcnt lgkmcnt(0)
	v_add_co_ci_u32_e32 v6, vcc_lo, v6, v4, vcc_lo
.LBB550_169:
	s_or_b32 exec_lo, exec_lo, s11
	v_mov_b32_e32 v31, 0
	s_branch .LBB550_171
.LBB550_170:                            ;   in Loop: Header=BB550_171 Depth=1
	s_or_b32 exec_lo, exec_lo, s11
	v_add_co_u32 v5, vcc_lo, v5, v3
	v_subrev_nc_u32_e32 v30, 32, v30
	v_add_co_ci_u32_e32 v6, vcc_lo, v6, v4, vcc_lo
.LBB550_171:                            ; =>This Loop Header: Depth=1
                                        ;     Child Loop BB550_174 Depth 2
	v_and_b32_e32 v3, 0xff, v7
	s_delay_alu instid0(VALU_DEP_1) | instskip(SKIP_2) | instid1(VALU_DEP_1)
	v_cmp_ne_u16_e32 vcc_lo, 2, v3
	v_cndmask_b32_e64 v3, 0, 1, vcc_lo
	;;#ASMSTART
	;;#ASMEND
	v_cmp_ne_u32_e32 vcc_lo, 0, v3
	s_waitcnt lgkmcnt(0)
	v_dual_mov_b32 v3, v5 :: v_dual_mov_b32 v4, v6
	s_cmp_lg_u32 vcc_lo, exec_lo
	s_cbranch_scc1 .LBB550_186
; %bb.172:                              ;   in Loop: Header=BB550_171 Depth=1
	v_lshlrev_b64 v[5:6], 4, v[30:31]
	s_mov_b32 s11, exec_lo
	s_delay_alu instid0(VALU_DEP_1) | instskip(NEXT) | instid1(VALU_DEP_2)
	v_add_co_u32 v32, vcc_lo, s14, v5
	v_add_co_ci_u32_e32 v33, vcc_lo, s15, v6, vcc_lo
	;;#ASMSTART
	global_load_dwordx4 v[5:8], v[32:33] off glc	
s_waitcnt vmcnt(0)
	;;#ASMEND
	v_and_b32_e32 v8, 0xff, v6
	v_and_b32_e32 v72, 0xff00, v6
	v_or3_b32 v5, v5, 0, 0
	v_and_b32_e32 v73, 0xff000000, v6
	v_and_b32_e32 v6, 0xff0000, v6
	s_delay_alu instid0(VALU_DEP_4) | instskip(SKIP_2) | instid1(VALU_DEP_3)
	v_or3_b32 v8, 0, v8, v72
	v_and_b32_e32 v72, 0xff, v7
	v_or3_b32 v5, v5, 0, 0
	v_or3_b32 v6, v8, v6, v73
	s_delay_alu instid0(VALU_DEP_3)
	v_cmpx_eq_u16_e32 0, v72
	s_cbranch_execz .LBB550_176
; %bb.173:                              ;   in Loop: Header=BB550_171 Depth=1
	s_mov_b32 s16, 0
.LBB550_174:                            ;   Parent Loop BB550_171 Depth=1
                                        ; =>  This Inner Loop Header: Depth=2
	;;#ASMSTART
	global_load_dwordx4 v[5:8], v[32:33] off glc	
s_waitcnt vmcnt(0)
	;;#ASMEND
	v_and_b32_e32 v8, 0xff, v7
	s_delay_alu instid0(VALU_DEP_1) | instskip(SKIP_1) | instid1(SALU_CYCLE_1)
	v_cmp_ne_u16_e32 vcc_lo, 0, v8
	s_or_b32 s16, vcc_lo, s16
	s_and_not1_b32 exec_lo, exec_lo, s16
	s_cbranch_execnz .LBB550_174
; %bb.175:                              ;   in Loop: Header=BB550_171 Depth=1
	s_or_b32 exec_lo, exec_lo, s16
.LBB550_176:                            ;   in Loop: Header=BB550_171 Depth=1
	s_delay_alu instid0(SALU_CYCLE_1)
	s_or_b32 exec_lo, exec_lo, s11
	v_and_b32_e32 v8, 0xff, v7
	ds_bpermute_b32 v72, v62, v5
	ds_bpermute_b32 v33, v62, v6
	v_mov_b32_e32 v32, v5
	s_mov_b32 s11, exec_lo
	v_cmp_eq_u16_e32 vcc_lo, 2, v8
	v_and_or_b32 v8, vcc_lo, v63, 0x80000000
	s_delay_alu instid0(VALU_DEP_1) | instskip(NEXT) | instid1(VALU_DEP_1)
	v_ctz_i32_b32_e32 v8, v8
	v_cmpx_lt_u32_e64 v58, v8
	s_cbranch_execz .LBB550_178
; %bb.177:                              ;   in Loop: Header=BB550_171 Depth=1
	s_waitcnt lgkmcnt(1)
	v_add_co_u32 v32, vcc_lo, v5, v72
	v_add_co_ci_u32_e32 v6, vcc_lo, 0, v6, vcc_lo
	s_delay_alu instid0(VALU_DEP_2) | instskip(SKIP_1) | instid1(VALU_DEP_2)
	v_add_co_u32 v5, vcc_lo, 0, v32
	s_waitcnt lgkmcnt(0)
	v_add_co_ci_u32_e32 v6, vcc_lo, v33, v6, vcc_lo
.LBB550_178:                            ;   in Loop: Header=BB550_171 Depth=1
	s_or_b32 exec_lo, exec_lo, s11
	s_waitcnt lgkmcnt(1)
	ds_bpermute_b32 v72, v64, v32
	s_waitcnt lgkmcnt(1)
	ds_bpermute_b32 v33, v64, v6
	s_mov_b32 s11, exec_lo
	v_cmpx_le_u32_e64 v65, v8
	s_cbranch_execz .LBB550_180
; %bb.179:                              ;   in Loop: Header=BB550_171 Depth=1
	s_waitcnt lgkmcnt(1)
	v_add_co_u32 v32, vcc_lo, v5, v72
	v_add_co_ci_u32_e32 v6, vcc_lo, 0, v6, vcc_lo
	s_delay_alu instid0(VALU_DEP_2) | instskip(SKIP_1) | instid1(VALU_DEP_2)
	v_add_co_u32 v5, vcc_lo, 0, v32
	s_waitcnt lgkmcnt(0)
	v_add_co_ci_u32_e32 v6, vcc_lo, v33, v6, vcc_lo
.LBB550_180:                            ;   in Loop: Header=BB550_171 Depth=1
	s_or_b32 exec_lo, exec_lo, s11
	s_waitcnt lgkmcnt(1)
	ds_bpermute_b32 v72, v66, v32
	s_waitcnt lgkmcnt(1)
	ds_bpermute_b32 v33, v66, v6
	s_mov_b32 s11, exec_lo
	v_cmpx_le_u32_e64 v67, v8
	;; [unrolled: 17-line block ×3, first 2 shown]
	s_cbranch_execz .LBB550_184
; %bb.183:                              ;   in Loop: Header=BB550_171 Depth=1
	s_waitcnt lgkmcnt(1)
	v_add_co_u32 v32, vcc_lo, v5, v72
	v_add_co_ci_u32_e32 v6, vcc_lo, 0, v6, vcc_lo
	s_delay_alu instid0(VALU_DEP_2) | instskip(SKIP_1) | instid1(VALU_DEP_2)
	v_add_co_u32 v5, vcc_lo, 0, v32
	s_waitcnt lgkmcnt(0)
	v_add_co_ci_u32_e32 v6, vcc_lo, v33, v6, vcc_lo
.LBB550_184:                            ;   in Loop: Header=BB550_171 Depth=1
	s_or_b32 exec_lo, exec_lo, s11
	s_waitcnt lgkmcnt(0)
	ds_bpermute_b32 v33, v70, v32
	ds_bpermute_b32 v32, v70, v6
	s_mov_b32 s11, exec_lo
	v_cmpx_le_u32_e64 v71, v8
	s_cbranch_execz .LBB550_170
; %bb.185:                              ;   in Loop: Header=BB550_171 Depth=1
	s_waitcnt lgkmcnt(1)
	v_add_co_u32 v5, vcc_lo, v5, v33
	v_add_co_ci_u32_e32 v6, vcc_lo, 0, v6, vcc_lo
	s_delay_alu instid0(VALU_DEP_2) | instskip(SKIP_1) | instid1(VALU_DEP_2)
	v_add_co_u32 v5, vcc_lo, v5, 0
	s_waitcnt lgkmcnt(0)
	v_add_co_ci_u32_e32 v6, vcc_lo, v6, v32, vcc_lo
	s_branch .LBB550_170
.LBB550_186:                            ;   in Loop: Header=BB550_171 Depth=1
                                        ; implicit-def: $vgpr5_vgpr6
	s_cbranch_execz .LBB550_171
; %bb.187:
	s_and_saveexec_b32 s11, s1
	s_cbranch_execz .LBB550_189
; %bb.188:
	s_add_i32 s16, s10, 32
	s_mov_b32 s17, 0
	v_add_co_u32 v5, vcc_lo, v3, v1
	s_lshl_b64 s[16:17], s[16:17], 4
	v_dual_mov_b32 v7, 2 :: v_dual_mov_b32 v8, 0
	s_add_u32 s16, s14, s16
	s_addc_u32 s17, s15, s17
	v_add_co_ci_u32_e32 v6, vcc_lo, v4, v2, vcc_lo
	v_dual_mov_b32 v31, s17 :: v_dual_mov_b32 v30, s16
	;;#ASMSTART
	global_store_dwordx4 v[30:31], v[5:8] off	
s_waitcnt vmcnt(0)
	;;#ASMEND
	ds_store_b128 v8, v[1:4] offset:7680
.LBB550_189:
	s_or_b32 exec_lo, exec_lo, s11
	s_delay_alu instid0(SALU_CYCLE_1)
	s_and_b32 exec_lo, exec_lo, s2
	s_cbranch_execz .LBB550_191
; %bb.190:
	v_mov_b32_e32 v1, 0
	ds_store_b64 v1, v[3:4] offset:24
.LBB550_191:
	s_or_b32 exec_lo, exec_lo, s7
	v_mov_b32_e32 v3, 0
	s_waitcnt lgkmcnt(0)
	s_barrier
	buffer_gl0_inv
	v_cndmask_b32_e64 v8, v61, v29, s1
	ds_load_b64 v[1:2], v3 offset:24
	s_waitcnt lgkmcnt(0)
	s_barrier
	buffer_gl0_inv
	ds_load_b128 v[4:7], v3 offset:7680
	v_cndmask_b32_e64 v3, v60, v28, s1
	v_cndmask_b32_e64 v8, v8, 0, s2
	s_delay_alu instid0(VALU_DEP_2) | instskip(NEXT) | instid1(VALU_DEP_1)
	v_cndmask_b32_e64 v3, v3, 0, s2
	v_add_co_u32 v74, vcc_lo, v1, v3
	s_delay_alu instid0(VALU_DEP_3)
	v_add_co_ci_u32_e32 v75, vcc_lo, v2, v8, vcc_lo
	s_branch .LBB550_216
.LBB550_192:
                                        ; implicit-def: $vgpr6_vgpr7
                                        ; implicit-def: $vgpr74_vgpr75
	s_and_b32 vcc_lo, exec_lo, s1
	s_cbranch_vccz .LBB550_216
; %bb.193:
	v_dual_mov_b32 v2, 0 :: v_dual_mov_b32 v3, v26
	s_waitcnt lgkmcnt(0)
	v_mov_b32_dpp v4, v26 row_shr:1 row_mask:0xf bank_mask:0xf
	s_delay_alu instid0(VALU_DEP_2)
	v_mov_b32_dpp v1, v2 row_shr:1 row_mask:0xf bank_mask:0xf
	s_and_saveexec_b32 s1, s0
; %bb.194:
	s_delay_alu instid0(VALU_DEP_2) | instskip(SKIP_1) | instid1(VALU_DEP_2)
	v_add_co_u32 v3, vcc_lo, v26, v4
	v_add_co_ci_u32_e32 v2, vcc_lo, 0, v27, vcc_lo
	v_add_co_u32 v26, vcc_lo, 0, v3
	s_delay_alu instid0(VALU_DEP_2) | instskip(NEXT) | instid1(VALU_DEP_1)
	v_add_co_ci_u32_e32 v27, vcc_lo, v1, v2, vcc_lo
	v_mov_b32_e32 v2, v27
; %bb.195:
	s_or_b32 exec_lo, exec_lo, s1
	v_mov_b32_dpp v1, v3 row_shr:2 row_mask:0xf bank_mask:0xf
	s_delay_alu instid0(VALU_DEP_2)
	v_mov_b32_dpp v4, v2 row_shr:2 row_mask:0xf bank_mask:0xf
	s_mov_b32 s0, exec_lo
	v_cmpx_lt_u32_e32 1, v59
; %bb.196:
	s_delay_alu instid0(VALU_DEP_3) | instskip(SKIP_1) | instid1(VALU_DEP_2)
	v_add_co_u32 v3, vcc_lo, v26, v1
	v_add_co_ci_u32_e32 v2, vcc_lo, 0, v27, vcc_lo
	v_add_co_u32 v1, vcc_lo, 0, v3
	s_delay_alu instid0(VALU_DEP_2) | instskip(NEXT) | instid1(VALU_DEP_1)
	v_add_co_ci_u32_e32 v2, vcc_lo, v4, v2, vcc_lo
	v_dual_mov_b32 v27, v2 :: v_dual_mov_b32 v26, v1
; %bb.197:
	s_or_b32 exec_lo, exec_lo, s0
	v_mov_b32_dpp v1, v3 row_shr:4 row_mask:0xf bank_mask:0xf
	v_mov_b32_dpp v4, v2 row_shr:4 row_mask:0xf bank_mask:0xf
	s_mov_b32 s0, exec_lo
	v_cmpx_lt_u32_e32 3, v59
; %bb.198:
	s_delay_alu instid0(VALU_DEP_3) | instskip(SKIP_1) | instid1(VALU_DEP_2)
	v_add_co_u32 v3, vcc_lo, v26, v1
	v_add_co_ci_u32_e32 v2, vcc_lo, 0, v27, vcc_lo
	v_add_co_u32 v1, vcc_lo, 0, v3
	s_delay_alu instid0(VALU_DEP_2) | instskip(NEXT) | instid1(VALU_DEP_1)
	v_add_co_ci_u32_e32 v2, vcc_lo, v4, v2, vcc_lo
	v_dual_mov_b32 v27, v2 :: v_dual_mov_b32 v26, v1
; %bb.199:
	s_or_b32 exec_lo, exec_lo, s0
	v_mov_b32_dpp v4, v3 row_shr:8 row_mask:0xf bank_mask:0xf
	v_mov_b32_dpp v1, v2 row_shr:8 row_mask:0xf bank_mask:0xf
	s_mov_b32 s0, exec_lo
	v_cmpx_lt_u32_e32 7, v59
; %bb.200:
	s_delay_alu instid0(VALU_DEP_3) | instskip(SKIP_1) | instid1(VALU_DEP_2)
	v_add_co_u32 v3, vcc_lo, v26, v4
	v_add_co_ci_u32_e32 v2, vcc_lo, 0, v27, vcc_lo
	v_add_co_u32 v26, vcc_lo, 0, v3
	s_delay_alu instid0(VALU_DEP_2) | instskip(NEXT) | instid1(VALU_DEP_1)
	v_add_co_ci_u32_e32 v27, vcc_lo, v1, v2, vcc_lo
	v_mov_b32_e32 v2, v27
; %bb.201:
	s_or_b32 exec_lo, exec_lo, s0
	ds_swizzle_b32 v3, v3 offset:swizzle(BROADCAST,32,15)
	ds_swizzle_b32 v1, v2 offset:swizzle(BROADCAST,32,15)
	v_and_b32_e32 v2, 16, v58
	s_mov_b32 s0, exec_lo
	s_delay_alu instid0(VALU_DEP_1)
	v_cmpx_ne_u32_e32 0, v2
	s_cbranch_execz .LBB550_203
; %bb.202:
	s_waitcnt lgkmcnt(1)
	v_add_co_u32 v2, vcc_lo, v26, v3
	v_add_co_ci_u32_e32 v3, vcc_lo, 0, v27, vcc_lo
	s_delay_alu instid0(VALU_DEP_2) | instskip(SKIP_1) | instid1(VALU_DEP_2)
	v_add_co_u32 v26, vcc_lo, v2, 0
	s_waitcnt lgkmcnt(0)
	v_add_co_ci_u32_e32 v27, vcc_lo, v3, v1, vcc_lo
.LBB550_203:
	s_or_b32 exec_lo, exec_lo, s0
	s_waitcnt lgkmcnt(0)
	v_or_b32_e32 v1, 31, v0
	v_lshrrev_b32_e32 v3, 5, v0
	s_mov_b32 s0, exec_lo
	s_delay_alu instid0(VALU_DEP_2)
	v_cmpx_eq_u32_e64 v1, v0
	s_cbranch_execz .LBB550_205
; %bb.204:
	s_delay_alu instid0(VALU_DEP_2)
	v_lshlrev_b32_e32 v1, 3, v3
	ds_store_b64 v1, v[26:27]
.LBB550_205:
	s_or_b32 exec_lo, exec_lo, s0
	s_delay_alu instid0(SALU_CYCLE_1)
	s_mov_b32 s0, exec_lo
	s_waitcnt lgkmcnt(0)
	s_barrier
	buffer_gl0_inv
	v_cmpx_gt_u32_e32 4, v0
	s_cbranch_execz .LBB550_211
; %bb.206:
	v_lshlrev_b32_e32 v4, 3, v0
	s_mov_b32 s1, exec_lo
	ds_load_b64 v[1:2], v4
	s_waitcnt lgkmcnt(0)
	v_dual_mov_b32 v6, v1 :: v_dual_and_b32 v5, 3, v58
	v_mov_b32_dpp v8, v1 row_shr:1 row_mask:0xf bank_mask:0xf
	v_mov_b32_dpp v7, v2 row_shr:1 row_mask:0xf bank_mask:0xf
	s_delay_alu instid0(VALU_DEP_3)
	v_cmpx_ne_u32_e32 0, v5
; %bb.207:
	s_delay_alu instid0(VALU_DEP_3) | instskip(SKIP_1) | instid1(VALU_DEP_2)
	v_add_co_u32 v6, vcc_lo, v1, v8
	v_add_co_ci_u32_e32 v2, vcc_lo, 0, v2, vcc_lo
	v_add_co_u32 v1, vcc_lo, 0, v6
	s_delay_alu instid0(VALU_DEP_2)
	v_add_co_ci_u32_e32 v2, vcc_lo, v7, v2, vcc_lo
; %bb.208:
	s_or_b32 exec_lo, exec_lo, s1
	v_mov_b32_dpp v7, v6 row_shr:2 row_mask:0xf bank_mask:0xf
	s_delay_alu instid0(VALU_DEP_2)
	v_mov_b32_dpp v6, v2 row_shr:2 row_mask:0xf bank_mask:0xf
	s_mov_b32 s1, exec_lo
	v_cmpx_lt_u32_e32 1, v5
; %bb.209:
	s_delay_alu instid0(VALU_DEP_3) | instskip(SKIP_1) | instid1(VALU_DEP_2)
	v_add_co_u32 v1, vcc_lo, v1, v7
	v_add_co_ci_u32_e32 v2, vcc_lo, 0, v2, vcc_lo
	v_add_co_u32 v1, vcc_lo, v1, 0
	s_delay_alu instid0(VALU_DEP_2)
	v_add_co_ci_u32_e32 v2, vcc_lo, v2, v6, vcc_lo
; %bb.210:
	s_or_b32 exec_lo, exec_lo, s1
	ds_store_b64 v4, v[1:2]
.LBB550_211:
	s_or_b32 exec_lo, exec_lo, s0
	v_mov_b32_e32 v1, 0
	v_mov_b32_e32 v2, 0
	s_mov_b32 s0, exec_lo
	s_waitcnt lgkmcnt(0)
	s_barrier
	buffer_gl0_inv
	v_cmpx_lt_u32_e32 31, v0
	s_cbranch_execz .LBB550_213
; %bb.212:
	v_lshl_add_u32 v1, v3, 3, -8
	ds_load_b64 v[1:2], v1
.LBB550_213:
	s_or_b32 exec_lo, exec_lo, s0
	v_add_nc_u32_e32 v3, -1, v58
	v_mov_b32_e32 v7, 0
	s_delay_alu instid0(VALU_DEP_2) | instskip(SKIP_1) | instid1(VALU_DEP_1)
	v_cmp_gt_i32_e32 vcc_lo, 0, v3
	v_cndmask_b32_e32 v3, v3, v58, vcc_lo
	v_lshlrev_b32_e32 v4, 2, v3
	s_waitcnt lgkmcnt(0)
	v_add_co_u32 v3, vcc_lo, v1, v26
	v_add_co_ci_u32_e32 v5, vcc_lo, v2, v27, vcc_lo
	ds_bpermute_b32 v3, v4, v3
	ds_bpermute_b32 v8, v4, v5
	ds_load_b64 v[4:5], v7 offset:24
	s_and_saveexec_b32 s0, s2
	s_cbranch_execz .LBB550_215
; %bb.214:
	s_add_u32 s10, s14, 0x200
	s_addc_u32 s11, s15, 0
	s_delay_alu instid0(SALU_CYCLE_1)
	v_dual_mov_b32 v6, 2 :: v_dual_mov_b32 v27, s11
	v_mov_b32_e32 v26, s10
	s_waitcnt lgkmcnt(0)
	;;#ASMSTART
	global_store_dwordx4 v[26:27], v[4:7] off	
s_waitcnt vmcnt(0)
	;;#ASMEND
.LBB550_215:
	s_or_b32 exec_lo, exec_lo, s0
	v_cmp_eq_u32_e32 vcc_lo, 0, v58
	v_mov_b32_e32 v6, 0
	v_mov_b32_e32 v7, 0
	s_waitcnt lgkmcnt(0)
	s_barrier
	v_dual_cndmask_b32 v1, v3, v1 :: v_dual_cndmask_b32 v2, v8, v2
	buffer_gl0_inv
	v_cndmask_b32_e64 v74, v1, 0, s2
	v_cndmask_b32_e64 v75, v2, 0, s2
.LBB550_216:
	s_delay_alu instid0(VALU_DEP_2) | instskip(NEXT) | instid1(VALU_DEP_2)
	v_add_co_u32 v82, vcc_lo, v74, v46
	v_add_co_ci_u32_e32 v83, vcc_lo, 0, v75, vcc_lo
	s_delay_alu instid0(VALU_DEP_2) | instskip(NEXT) | instid1(VALU_DEP_2)
	v_add_co_u32 v80, vcc_lo, v82, v57
	v_add_co_ci_u32_e32 v81, vcc_lo, 0, v83, vcc_lo
	;; [unrolled: 3-line block ×27, first 2 shown]
	s_waitcnt lgkmcnt(0)
	v_cmp_gt_u64_e32 vcc_lo, 0x81, v[4:5]
	s_delay_alu instid0(VALU_DEP_3) | instskip(NEXT) | instid1(VALU_DEP_1)
	v_add_co_u32 v28, s0, v26, v85
	v_add_co_ci_u32_e64 v29, s0, 0, v27, s0
	s_delay_alu instid0(VALU_DEP_2) | instskip(NEXT) | instid1(VALU_DEP_1)
	v_add_co_u32 v1, s0, v28, v84
	v_add_co_ci_u32_e64 v2, s0, 0, v29, s0
	s_mov_b32 s0, -1
	s_cbranch_vccnz .LBB550_220
; %bb.217:
	s_and_b32 vcc_lo, exec_lo, s0
	s_cbranch_vccnz .LBB550_310
.LBB550_218:
	s_and_b32 s0, s2, s5
	s_delay_alu instid0(SALU_CYCLE_1)
	s_and_saveexec_b32 s1, s0
	s_cbranch_execnz .LBB550_381
.LBB550_219:
	s_nop 0
	s_sendmsg sendmsg(MSG_DEALLOC_VGPRS)
	s_endpgm
.LBB550_220:
	v_add_co_u32 v84, vcc_lo, v6, v4
	v_add_co_ci_u32_e32 v85, vcc_lo, v7, v5, vcc_lo
	v_lshlrev_b64 v[130:131], 1, v[12:13]
	s_delay_alu instid0(VALU_DEP_2) | instskip(NEXT) | instid1(VALU_DEP_2)
	v_cmp_lt_u64_e32 vcc_lo, v[74:75], v[84:85]
	v_add_co_u32 v3, s0, s12, v130
	s_delay_alu instid0(VALU_DEP_1) | instskip(SKIP_1) | instid1(SALU_CYCLE_1)
	v_add_co_ci_u32_e64 v8, s0, s13, v131, s0
	s_or_b32 s1, s4, vcc_lo
	s_and_saveexec_b32 s0, s1
	s_cbranch_execz .LBB550_223
; %bb.221:
	v_and_b32_e32 v130, 1, v102
	s_delay_alu instid0(VALU_DEP_1)
	v_cmp_eq_u32_e32 vcc_lo, 1, v130
	s_and_b32 exec_lo, exec_lo, vcc_lo
	s_cbranch_execz .LBB550_223
; %bb.222:
	v_lshlrev_b64 v[130:131], 1, v[74:75]
	s_delay_alu instid0(VALU_DEP_1) | instskip(NEXT) | instid1(VALU_DEP_2)
	v_add_co_u32 v130, vcc_lo, v3, v130
	v_add_co_ci_u32_e32 v131, vcc_lo, v8, v131, vcc_lo
	global_store_b16 v[130:131], v24, off
.LBB550_223:
	s_or_b32 exec_lo, exec_lo, s0
	v_cmp_lt_u64_e32 vcc_lo, v[82:83], v[84:85]
	s_or_b32 s1, s4, vcc_lo
	s_delay_alu instid0(SALU_CYCLE_1)
	s_and_saveexec_b32 s0, s1
	s_cbranch_execz .LBB550_226
; %bb.224:
	v_and_b32_e32 v75, 1, v101
	s_delay_alu instid0(VALU_DEP_1)
	v_cmp_eq_u32_e32 vcc_lo, 1, v75
	s_and_b32 exec_lo, exec_lo, vcc_lo
	s_cbranch_execz .LBB550_226
; %bb.225:
	v_lshlrev_b64 v[130:131], 1, v[82:83]
	s_delay_alu instid0(VALU_DEP_1) | instskip(NEXT) | instid1(VALU_DEP_2)
	v_add_co_u32 v130, vcc_lo, v3, v130
	v_add_co_ci_u32_e32 v131, vcc_lo, v8, v131, vcc_lo
	global_store_b16 v[130:131], v100, off
.LBB550_226:
	s_or_b32 exec_lo, exec_lo, s0
	v_cmp_lt_u64_e32 vcc_lo, v[80:81], v[84:85]
	s_or_b32 s1, s4, vcc_lo
	s_delay_alu instid0(SALU_CYCLE_1)
	;; [unrolled: 19-line block ×28, first 2 shown]
	s_and_saveexec_b32 s0, s1
	s_cbranch_execz .LBB550_307
; %bb.305:
	v_and_b32_e32 v27, 1, v129
	s_delay_alu instid0(VALU_DEP_1)
	v_cmp_eq_u32_e32 vcc_lo, 1, v27
	s_and_b32 exec_lo, exec_lo, vcc_lo
	s_cbranch_execz .LBB550_307
; %bb.306:
	v_lshlrev_b64 v[130:131], 1, v[28:29]
	s_delay_alu instid0(VALU_DEP_1) | instskip(NEXT) | instid1(VALU_DEP_2)
	v_add_co_u32 v130, vcc_lo, v3, v130
	v_add_co_ci_u32_e32 v131, vcc_lo, v8, v131, vcc_lo
	global_store_b16 v[130:131], v11, off
.LBB550_307:
	s_or_b32 exec_lo, exec_lo, s0
	v_cmp_ge_u64_e32 vcc_lo, v[1:2], v[84:85]
	s_xor_b32 s1, s6, -1
	s_and_b32 s0, s3, vcc_lo
	s_delay_alu instid0(SALU_CYCLE_1) | instskip(NEXT) | instid1(SALU_CYCLE_1)
	s_or_b32 s0, s0, s1
	s_xor_b32 s1, s0, -1
	s_delay_alu instid0(SALU_CYCLE_1)
	s_and_saveexec_b32 s0, s1
	s_cbranch_execz .LBB550_309
; %bb.308:
	v_lshlrev_b64 v[83:84], 1, v[1:2]
	s_delay_alu instid0(VALU_DEP_1) | instskip(NEXT) | instid1(VALU_DEP_2)
	v_add_co_u32 v2, vcc_lo, v3, v83
	v_add_co_ci_u32_e32 v3, vcc_lo, v8, v84, vcc_lo
	global_store_b16 v[2:3], v86, off
.LBB550_309:
	s_or_b32 exec_lo, exec_lo, s0
	s_branch .LBB550_218
.LBB550_310:
	v_and_b32_e32 v2, 1, v102
	s_mov_b32 s0, exec_lo
	s_delay_alu instid0(VALU_DEP_1)
	v_cmpx_eq_u32_e32 1, v2
	s_cbranch_execz .LBB550_312
; %bb.311:
	v_sub_nc_u32_e32 v2, v74, v6
	s_delay_alu instid0(VALU_DEP_1)
	v_lshlrev_b32_e32 v2, 1, v2
	ds_store_b16 v2, v24
.LBB550_312:
	s_or_b32 exec_lo, exec_lo, s0
	v_and_b32_e32 v2, 1, v101
	s_mov_b32 s0, exec_lo
	s_delay_alu instid0(VALU_DEP_1)
	v_cmpx_eq_u32_e32 1, v2
	s_cbranch_execz .LBB550_314
; %bb.313:
	v_sub_nc_u32_e32 v2, v82, v6
	s_delay_alu instid0(VALU_DEP_1)
	v_lshlrev_b32_e32 v2, 1, v2
	ds_store_b16 v2, v100
.LBB550_314:
	s_or_b32 exec_lo, exec_lo, s0
	;; [unrolled: 12-line block ×29, first 2 shown]
	s_and_saveexec_b32 s0, s6
	s_cbranch_execz .LBB550_370
; %bb.369:
	v_sub_nc_u32_e32 v1, v1, v6
	s_delay_alu instid0(VALU_DEP_1)
	v_lshlrev_b32_e32 v1, 1, v1
	ds_store_b16 v1, v86
.LBB550_370:
	s_or_b32 exec_lo, exec_lo, s0
	v_mov_b32_e32 v1, 0
	s_mov_b32 s10, exec_lo
	s_waitcnt lgkmcnt(0)
	s_waitcnt_vscnt null, 0x0
	s_barrier
	buffer_gl0_inv
	v_cmpx_gt_u64_e64 v[4:5], v[0:1]
	s_cbranch_execz .LBB550_380
; %bb.371:
	v_not_b32_e32 v2, v0
	v_not_b32_e32 v3, 0
	s_mov_b32 s11, exec_lo
	s_delay_alu instid0(VALU_DEP_2) | instskip(NEXT) | instid1(VALU_DEP_2)
	v_add_co_u32 v8, vcc_lo, v4, v2
	v_add_co_ci_u32_e32 v9, vcc_lo, v5, v3, vcc_lo
	v_dual_mov_b32 v3, v1 :: v_dual_mov_b32 v2, v0
	s_delay_alu instid0(VALU_DEP_2)
	v_cmp_gt_u64_e32 vcc_lo, 0x1a80, v[8:9]
	v_cmpx_lt_u64_e32 0x1a7f, v[8:9]
	s_cbranch_execz .LBB550_377
; %bb.372:
	v_alignbit_b32 v2, v9, v8, 7
	v_not_b32_e32 v3, v0
	v_xor_b32_e32 v10, 0xffffff7f, v0
	s_movk_i32 s7, 0x7f
	s_mov_b32 s6, -1
	v_lshlrev_b32_e32 v11, 7, v2
	v_cmp_lt_u64_e64 s0, s[6:7], v[8:9]
	v_cmp_lt_u32_e64 s1, 0x1ffffff, v2
	s_delay_alu instid0(VALU_DEP_3) | instskip(SKIP_2) | instid1(VALU_DEP_4)
	v_cmp_gt_u32_e64 s3, v11, v3
	v_dual_mov_b32 v3, v1 :: v_dual_mov_b32 v2, v0
	v_cmp_lt_u32_e64 s4, v10, v11
	s_or_b32 s0, s1, s0
	s_delay_alu instid0(VALU_DEP_3) | instskip(NEXT) | instid1(VALU_DEP_1)
	s_or_b32 s1, s3, s1
	s_or_b32 s0, s0, s4
	s_delay_alu instid0(SALU_CYCLE_1) | instskip(NEXT) | instid1(SALU_CYCLE_1)
	s_or_b32 s0, s1, s0
	s_xor_b32 s0, s0, -1
	s_delay_alu instid0(SALU_CYCLE_1)
	s_and_saveexec_b32 s3, s0
	s_cbranch_execz .LBB550_376
; %bb.373:
	v_lshrrev_b64 v[2:3], 7, v[8:9]
	v_lshlrev_b64 v[8:9], 1, v[6:7]
	s_mov_b32 s4, 0
	s_delay_alu instid0(VALU_DEP_2) | instskip(NEXT) | instid1(VALU_DEP_1)
	v_add_co_u32 v14, s0, v2, 1
	v_add_co_ci_u32_e64 v15, s0, 0, v3, s0
	v_lshlrev_b64 v[2:3], 1, v[12:13]
	s_delay_alu instid0(VALU_DEP_2) | instskip(NEXT) | instid1(VALU_DEP_2)
	v_dual_mov_b32 v17, v15 :: v_dual_and_b32 v16, -2, v14
	v_add_co_u32 v2, s0, v8, v2
	s_delay_alu instid0(VALU_DEP_1) | instskip(SKIP_1) | instid1(VALU_DEP_3)
	v_add_co_ci_u32_e64 v3, s0, v9, v3, s0
	v_lshlrev_b32_e32 v8, 1, v0
	v_add_co_u32 v9, s0, s12, v2
	s_delay_alu instid0(VALU_DEP_1) | instskip(SKIP_1) | instid1(VALU_DEP_3)
	v_add_co_ci_u32_e64 v3, s0, s13, v3, s0
	v_or_b32_e32 v2, 0x80, v0
	v_add_co_u32 v8, s0, v9, v8
	s_delay_alu instid0(VALU_DEP_1) | instskip(SKIP_1) | instid1(VALU_DEP_3)
	v_add_co_ci_u32_e64 v9, s0, 0, v3, s0
	v_mov_b32_e32 v3, v1
	v_add_co_u32 v18, s0, 0x100, v8
	s_delay_alu instid0(VALU_DEP_1) | instskip(NEXT) | instid1(VALU_DEP_3)
	v_add_co_ci_u32_e64 v19, s0, 0, v9, s0
	v_dual_mov_b32 v11, v3 :: v_dual_mov_b32 v10, v2
	v_dual_mov_b32 v21, v17 :: v_dual_mov_b32 v20, v16
	;; [unrolled: 1-line block ×3, first 2 shown]
	s_set_inst_prefetch_distance 0x1
	.p2align	6
.LBB550_374:                            ; =>This Inner Loop Header: Depth=1
	s_delay_alu instid0(VALU_DEP_1) | instskip(SKIP_2) | instid1(VALU_DEP_1)
	v_lshlrev_b32_e32 v1, 1, v8
	v_lshlrev_b32_e32 v2, 1, v10
	v_add_co_u32 v10, s0, 0x100, v10
	v_add_co_ci_u32_e64 v11, s0, 0, v11, s0
	ds_load_u16 v1, v1
	ds_load_u16 v2, v2
	v_add_co_u32 v20, s0, v20, -2
	s_delay_alu instid0(VALU_DEP_1) | instskip(SKIP_1) | instid1(VALU_DEP_1)
	v_add_co_ci_u32_e64 v21, s0, -1, v21, s0
	v_add_co_u32 v8, s0, 0x100, v8
	v_add_co_ci_u32_e64 v9, s0, 0, v9, s0
	s_delay_alu instid0(VALU_DEP_3)
	v_cmp_eq_u64_e64 s0, 0, v[20:21]
	s_waitcnt lgkmcnt(1)
	global_store_b16 v[18:19], v1, off offset:-256
	s_waitcnt lgkmcnt(0)
	global_store_b16 v[18:19], v2, off
	v_add_co_u32 v18, s1, 0x200, v18
	s_delay_alu instid0(VALU_DEP_1) | instskip(SKIP_1) | instid1(SALU_CYCLE_1)
	v_add_co_ci_u32_e64 v19, s1, 0, v19, s1
	s_or_b32 s4, s0, s4
	s_and_not1_b32 exec_lo, exec_lo, s4
	s_cbranch_execnz .LBB550_374
; %bb.375:
	s_set_inst_prefetch_distance 0x2
	s_or_b32 exec_lo, exec_lo, s4
	v_lshlrev_b64 v[1:2], 7, v[16:17]
	v_cmp_ne_u64_e64 s0, v[14:15], v[16:17]
	s_delay_alu instid0(VALU_DEP_2) | instskip(NEXT) | instid1(VALU_DEP_3)
	v_or_b32_e32 v3, 0, v2
	v_or_b32_e32 v2, v1, v0
	v_lshl_or_b32 v0, v16, 7, v0
	s_delay_alu instid0(VALU_DEP_4)
	s_or_not1_b32 s6, s0, exec_lo
.LBB550_376:
	s_or_b32 exec_lo, exec_lo, s3
	s_delay_alu instid0(SALU_CYCLE_1) | instskip(SKIP_1) | instid1(SALU_CYCLE_1)
	s_and_not1_b32 s0, vcc_lo, exec_lo
	s_and_b32 s1, s6, exec_lo
	s_or_b32 vcc_lo, s0, s1
.LBB550_377:
	s_or_b32 exec_lo, exec_lo, s11
	s_delay_alu instid0(SALU_CYCLE_1)
	s_and_b32 exec_lo, exec_lo, vcc_lo
	s_cbranch_execz .LBB550_380
; %bb.378:
	v_lshlrev_b64 v[8:9], 1, v[6:7]
	v_lshlrev_b64 v[10:11], 1, v[12:13]
	v_add_nc_u32_e32 v0, 0x80, v0
	s_mov_b32 s1, 0
	s_delay_alu instid0(VALU_DEP_3) | instskip(NEXT) | instid1(VALU_DEP_4)
	v_add_co_u32 v1, vcc_lo, s12, v8
	v_add_co_ci_u32_e32 v9, vcc_lo, s13, v9, vcc_lo
	s_delay_alu instid0(VALU_DEP_2) | instskip(SKIP_1) | instid1(VALU_DEP_3)
	v_add_co_u32 v8, vcc_lo, v1, v10
	v_mov_b32_e32 v1, 0
	v_add_co_ci_u32_e32 v9, vcc_lo, v9, v11, vcc_lo
	.p2align	6
.LBB550_379:                            ; =>This Inner Loop Header: Depth=1
	v_lshlrev_b32_e32 v10, 1, v2
	s_delay_alu instid0(VALU_DEP_3)
	v_cmp_le_u64_e32 vcc_lo, v[4:5], v[0:1]
	ds_load_u16 v14, v10
	v_lshlrev_b64 v[10:11], 1, v[2:3]
	v_dual_mov_b32 v3, v1 :: v_dual_mov_b32 v2, v0
	v_add_nc_u32_e32 v0, 0x80, v0
	s_or_b32 s1, vcc_lo, s1
	s_delay_alu instid0(VALU_DEP_3) | instskip(NEXT) | instid1(VALU_DEP_1)
	v_add_co_u32 v10, s0, v8, v10
	v_add_co_ci_u32_e64 v11, s0, v9, v11, s0
	s_waitcnt lgkmcnt(0)
	global_store_b16 v[10:11], v14, off
	s_and_not1_b32 exec_lo, exec_lo, s1
	s_cbranch_execnz .LBB550_379
.LBB550_380:
	s_or_b32 exec_lo, exec_lo, s10
	s_and_b32 s0, s2, s5
	s_delay_alu instid0(SALU_CYCLE_1)
	s_and_saveexec_b32 s1, s0
	s_cbranch_execz .LBB550_219
.LBB550_381:
	v_add_co_u32 v0, vcc_lo, v6, v4
	v_add_co_ci_u32_e32 v1, vcc_lo, v7, v5, vcc_lo
	v_mov_b32_e32 v2, 0
	s_delay_alu instid0(VALU_DEP_3) | instskip(NEXT) | instid1(VALU_DEP_3)
	v_add_co_u32 v0, vcc_lo, v0, v12
	v_add_co_ci_u32_e32 v1, vcc_lo, v1, v13, vcc_lo
	global_store_b64 v2, v[0:1], s[8:9]
	s_nop 0
	s_sendmsg sendmsg(MSG_DEALLOC_VGPRS)
	s_endpgm
	.section	.rodata,"a",@progbits
	.p2align	6, 0x0
	.amdhsa_kernel _ZN7rocprim17ROCPRIM_400000_NS6detail17trampoline_kernelINS0_14default_configENS1_25partition_config_selectorILNS1_17partition_subalgoE6EtNS0_10empty_typeEbEEZZNS1_14partition_implILS5_6ELb0ES3_mN6thrust23THRUST_200600_302600_NS6detail15normal_iteratorINSA_10device_ptrItEEEEPS6_SG_NS0_5tupleIJSF_S6_EEENSH_IJSG_SG_EEES6_PlJ5mod_3ItEEEE10hipError_tPvRmT3_T4_T5_T6_T7_T9_mT8_P12ihipStream_tbDpT10_ENKUlT_T0_E_clISt17integral_constantIbLb0EES15_IbLb1EEEEDaS11_S12_EUlS11_E_NS1_11comp_targetILNS1_3genE9ELNS1_11target_archE1100ELNS1_3gpuE3ELNS1_3repE0EEENS1_30default_config_static_selectorELNS0_4arch9wavefront6targetE0EEEvT1_
		.amdhsa_group_segment_fixed_size 7696
		.amdhsa_private_segment_fixed_size 0
		.amdhsa_kernarg_size 128
		.amdhsa_user_sgpr_count 15
		.amdhsa_user_sgpr_dispatch_ptr 0
		.amdhsa_user_sgpr_queue_ptr 0
		.amdhsa_user_sgpr_kernarg_segment_ptr 1
		.amdhsa_user_sgpr_dispatch_id 0
		.amdhsa_user_sgpr_private_segment_size 0
		.amdhsa_wavefront_size32 1
		.amdhsa_uses_dynamic_stack 0
		.amdhsa_enable_private_segment 0
		.amdhsa_system_sgpr_workgroup_id_x 1
		.amdhsa_system_sgpr_workgroup_id_y 0
		.amdhsa_system_sgpr_workgroup_id_z 0
		.amdhsa_system_sgpr_workgroup_info 0
		.amdhsa_system_vgpr_workitem_id 0
		.amdhsa_next_free_vgpr 133
		.amdhsa_next_free_sgpr 19
		.amdhsa_reserve_vcc 1
		.amdhsa_float_round_mode_32 0
		.amdhsa_float_round_mode_16_64 0
		.amdhsa_float_denorm_mode_32 3
		.amdhsa_float_denorm_mode_16_64 3
		.amdhsa_dx10_clamp 1
		.amdhsa_ieee_mode 1
		.amdhsa_fp16_overflow 0
		.amdhsa_workgroup_processor_mode 1
		.amdhsa_memory_ordered 1
		.amdhsa_forward_progress 0
		.amdhsa_shared_vgpr_count 0
		.amdhsa_exception_fp_ieee_invalid_op 0
		.amdhsa_exception_fp_denorm_src 0
		.amdhsa_exception_fp_ieee_div_zero 0
		.amdhsa_exception_fp_ieee_overflow 0
		.amdhsa_exception_fp_ieee_underflow 0
		.amdhsa_exception_fp_ieee_inexact 0
		.amdhsa_exception_int_div_zero 0
	.end_amdhsa_kernel
	.section	.text._ZN7rocprim17ROCPRIM_400000_NS6detail17trampoline_kernelINS0_14default_configENS1_25partition_config_selectorILNS1_17partition_subalgoE6EtNS0_10empty_typeEbEEZZNS1_14partition_implILS5_6ELb0ES3_mN6thrust23THRUST_200600_302600_NS6detail15normal_iteratorINSA_10device_ptrItEEEEPS6_SG_NS0_5tupleIJSF_S6_EEENSH_IJSG_SG_EEES6_PlJ5mod_3ItEEEE10hipError_tPvRmT3_T4_T5_T6_T7_T9_mT8_P12ihipStream_tbDpT10_ENKUlT_T0_E_clISt17integral_constantIbLb0EES15_IbLb1EEEEDaS11_S12_EUlS11_E_NS1_11comp_targetILNS1_3genE9ELNS1_11target_archE1100ELNS1_3gpuE3ELNS1_3repE0EEENS1_30default_config_static_selectorELNS0_4arch9wavefront6targetE0EEEvT1_,"axG",@progbits,_ZN7rocprim17ROCPRIM_400000_NS6detail17trampoline_kernelINS0_14default_configENS1_25partition_config_selectorILNS1_17partition_subalgoE6EtNS0_10empty_typeEbEEZZNS1_14partition_implILS5_6ELb0ES3_mN6thrust23THRUST_200600_302600_NS6detail15normal_iteratorINSA_10device_ptrItEEEEPS6_SG_NS0_5tupleIJSF_S6_EEENSH_IJSG_SG_EEES6_PlJ5mod_3ItEEEE10hipError_tPvRmT3_T4_T5_T6_T7_T9_mT8_P12ihipStream_tbDpT10_ENKUlT_T0_E_clISt17integral_constantIbLb0EES15_IbLb1EEEEDaS11_S12_EUlS11_E_NS1_11comp_targetILNS1_3genE9ELNS1_11target_archE1100ELNS1_3gpuE3ELNS1_3repE0EEENS1_30default_config_static_selectorELNS0_4arch9wavefront6targetE0EEEvT1_,comdat
.Lfunc_end550:
	.size	_ZN7rocprim17ROCPRIM_400000_NS6detail17trampoline_kernelINS0_14default_configENS1_25partition_config_selectorILNS1_17partition_subalgoE6EtNS0_10empty_typeEbEEZZNS1_14partition_implILS5_6ELb0ES3_mN6thrust23THRUST_200600_302600_NS6detail15normal_iteratorINSA_10device_ptrItEEEEPS6_SG_NS0_5tupleIJSF_S6_EEENSH_IJSG_SG_EEES6_PlJ5mod_3ItEEEE10hipError_tPvRmT3_T4_T5_T6_T7_T9_mT8_P12ihipStream_tbDpT10_ENKUlT_T0_E_clISt17integral_constantIbLb0EES15_IbLb1EEEEDaS11_S12_EUlS11_E_NS1_11comp_targetILNS1_3genE9ELNS1_11target_archE1100ELNS1_3gpuE3ELNS1_3repE0EEENS1_30default_config_static_selectorELNS0_4arch9wavefront6targetE0EEEvT1_, .Lfunc_end550-_ZN7rocprim17ROCPRIM_400000_NS6detail17trampoline_kernelINS0_14default_configENS1_25partition_config_selectorILNS1_17partition_subalgoE6EtNS0_10empty_typeEbEEZZNS1_14partition_implILS5_6ELb0ES3_mN6thrust23THRUST_200600_302600_NS6detail15normal_iteratorINSA_10device_ptrItEEEEPS6_SG_NS0_5tupleIJSF_S6_EEENSH_IJSG_SG_EEES6_PlJ5mod_3ItEEEE10hipError_tPvRmT3_T4_T5_T6_T7_T9_mT8_P12ihipStream_tbDpT10_ENKUlT_T0_E_clISt17integral_constantIbLb0EES15_IbLb1EEEEDaS11_S12_EUlS11_E_NS1_11comp_targetILNS1_3genE9ELNS1_11target_archE1100ELNS1_3gpuE3ELNS1_3repE0EEENS1_30default_config_static_selectorELNS0_4arch9wavefront6targetE0EEEvT1_
                                        ; -- End function
	.section	.AMDGPU.csdata,"",@progbits
; Kernel info:
; codeLenInByte = 14996
; NumSgprs: 21
; NumVgprs: 133
; ScratchSize: 0
; MemoryBound: 0
; FloatMode: 240
; IeeeMode: 1
; LDSByteSize: 7696 bytes/workgroup (compile time only)
; SGPRBlocks: 2
; VGPRBlocks: 16
; NumSGPRsForWavesPerEU: 21
; NumVGPRsForWavesPerEU: 133
; Occupancy: 10
; WaveLimiterHint : 1
; COMPUTE_PGM_RSRC2:SCRATCH_EN: 0
; COMPUTE_PGM_RSRC2:USER_SGPR: 15
; COMPUTE_PGM_RSRC2:TRAP_HANDLER: 0
; COMPUTE_PGM_RSRC2:TGID_X_EN: 1
; COMPUTE_PGM_RSRC2:TGID_Y_EN: 0
; COMPUTE_PGM_RSRC2:TGID_Z_EN: 0
; COMPUTE_PGM_RSRC2:TIDIG_COMP_CNT: 0
	.section	.text._ZN7rocprim17ROCPRIM_400000_NS6detail17trampoline_kernelINS0_14default_configENS1_25partition_config_selectorILNS1_17partition_subalgoE6EtNS0_10empty_typeEbEEZZNS1_14partition_implILS5_6ELb0ES3_mN6thrust23THRUST_200600_302600_NS6detail15normal_iteratorINSA_10device_ptrItEEEEPS6_SG_NS0_5tupleIJSF_S6_EEENSH_IJSG_SG_EEES6_PlJ5mod_3ItEEEE10hipError_tPvRmT3_T4_T5_T6_T7_T9_mT8_P12ihipStream_tbDpT10_ENKUlT_T0_E_clISt17integral_constantIbLb0EES15_IbLb1EEEEDaS11_S12_EUlS11_E_NS1_11comp_targetILNS1_3genE8ELNS1_11target_archE1030ELNS1_3gpuE2ELNS1_3repE0EEENS1_30default_config_static_selectorELNS0_4arch9wavefront6targetE0EEEvT1_,"axG",@progbits,_ZN7rocprim17ROCPRIM_400000_NS6detail17trampoline_kernelINS0_14default_configENS1_25partition_config_selectorILNS1_17partition_subalgoE6EtNS0_10empty_typeEbEEZZNS1_14partition_implILS5_6ELb0ES3_mN6thrust23THRUST_200600_302600_NS6detail15normal_iteratorINSA_10device_ptrItEEEEPS6_SG_NS0_5tupleIJSF_S6_EEENSH_IJSG_SG_EEES6_PlJ5mod_3ItEEEE10hipError_tPvRmT3_T4_T5_T6_T7_T9_mT8_P12ihipStream_tbDpT10_ENKUlT_T0_E_clISt17integral_constantIbLb0EES15_IbLb1EEEEDaS11_S12_EUlS11_E_NS1_11comp_targetILNS1_3genE8ELNS1_11target_archE1030ELNS1_3gpuE2ELNS1_3repE0EEENS1_30default_config_static_selectorELNS0_4arch9wavefront6targetE0EEEvT1_,comdat
	.protected	_ZN7rocprim17ROCPRIM_400000_NS6detail17trampoline_kernelINS0_14default_configENS1_25partition_config_selectorILNS1_17partition_subalgoE6EtNS0_10empty_typeEbEEZZNS1_14partition_implILS5_6ELb0ES3_mN6thrust23THRUST_200600_302600_NS6detail15normal_iteratorINSA_10device_ptrItEEEEPS6_SG_NS0_5tupleIJSF_S6_EEENSH_IJSG_SG_EEES6_PlJ5mod_3ItEEEE10hipError_tPvRmT3_T4_T5_T6_T7_T9_mT8_P12ihipStream_tbDpT10_ENKUlT_T0_E_clISt17integral_constantIbLb0EES15_IbLb1EEEEDaS11_S12_EUlS11_E_NS1_11comp_targetILNS1_3genE8ELNS1_11target_archE1030ELNS1_3gpuE2ELNS1_3repE0EEENS1_30default_config_static_selectorELNS0_4arch9wavefront6targetE0EEEvT1_ ; -- Begin function _ZN7rocprim17ROCPRIM_400000_NS6detail17trampoline_kernelINS0_14default_configENS1_25partition_config_selectorILNS1_17partition_subalgoE6EtNS0_10empty_typeEbEEZZNS1_14partition_implILS5_6ELb0ES3_mN6thrust23THRUST_200600_302600_NS6detail15normal_iteratorINSA_10device_ptrItEEEEPS6_SG_NS0_5tupleIJSF_S6_EEENSH_IJSG_SG_EEES6_PlJ5mod_3ItEEEE10hipError_tPvRmT3_T4_T5_T6_T7_T9_mT8_P12ihipStream_tbDpT10_ENKUlT_T0_E_clISt17integral_constantIbLb0EES15_IbLb1EEEEDaS11_S12_EUlS11_E_NS1_11comp_targetILNS1_3genE8ELNS1_11target_archE1030ELNS1_3gpuE2ELNS1_3repE0EEENS1_30default_config_static_selectorELNS0_4arch9wavefront6targetE0EEEvT1_
	.globl	_ZN7rocprim17ROCPRIM_400000_NS6detail17trampoline_kernelINS0_14default_configENS1_25partition_config_selectorILNS1_17partition_subalgoE6EtNS0_10empty_typeEbEEZZNS1_14partition_implILS5_6ELb0ES3_mN6thrust23THRUST_200600_302600_NS6detail15normal_iteratorINSA_10device_ptrItEEEEPS6_SG_NS0_5tupleIJSF_S6_EEENSH_IJSG_SG_EEES6_PlJ5mod_3ItEEEE10hipError_tPvRmT3_T4_T5_T6_T7_T9_mT8_P12ihipStream_tbDpT10_ENKUlT_T0_E_clISt17integral_constantIbLb0EES15_IbLb1EEEEDaS11_S12_EUlS11_E_NS1_11comp_targetILNS1_3genE8ELNS1_11target_archE1030ELNS1_3gpuE2ELNS1_3repE0EEENS1_30default_config_static_selectorELNS0_4arch9wavefront6targetE0EEEvT1_
	.p2align	8
	.type	_ZN7rocprim17ROCPRIM_400000_NS6detail17trampoline_kernelINS0_14default_configENS1_25partition_config_selectorILNS1_17partition_subalgoE6EtNS0_10empty_typeEbEEZZNS1_14partition_implILS5_6ELb0ES3_mN6thrust23THRUST_200600_302600_NS6detail15normal_iteratorINSA_10device_ptrItEEEEPS6_SG_NS0_5tupleIJSF_S6_EEENSH_IJSG_SG_EEES6_PlJ5mod_3ItEEEE10hipError_tPvRmT3_T4_T5_T6_T7_T9_mT8_P12ihipStream_tbDpT10_ENKUlT_T0_E_clISt17integral_constantIbLb0EES15_IbLb1EEEEDaS11_S12_EUlS11_E_NS1_11comp_targetILNS1_3genE8ELNS1_11target_archE1030ELNS1_3gpuE2ELNS1_3repE0EEENS1_30default_config_static_selectorELNS0_4arch9wavefront6targetE0EEEvT1_,@function
_ZN7rocprim17ROCPRIM_400000_NS6detail17trampoline_kernelINS0_14default_configENS1_25partition_config_selectorILNS1_17partition_subalgoE6EtNS0_10empty_typeEbEEZZNS1_14partition_implILS5_6ELb0ES3_mN6thrust23THRUST_200600_302600_NS6detail15normal_iteratorINSA_10device_ptrItEEEEPS6_SG_NS0_5tupleIJSF_S6_EEENSH_IJSG_SG_EEES6_PlJ5mod_3ItEEEE10hipError_tPvRmT3_T4_T5_T6_T7_T9_mT8_P12ihipStream_tbDpT10_ENKUlT_T0_E_clISt17integral_constantIbLb0EES15_IbLb1EEEEDaS11_S12_EUlS11_E_NS1_11comp_targetILNS1_3genE8ELNS1_11target_archE1030ELNS1_3gpuE2ELNS1_3repE0EEENS1_30default_config_static_selectorELNS0_4arch9wavefront6targetE0EEEvT1_: ; @_ZN7rocprim17ROCPRIM_400000_NS6detail17trampoline_kernelINS0_14default_configENS1_25partition_config_selectorILNS1_17partition_subalgoE6EtNS0_10empty_typeEbEEZZNS1_14partition_implILS5_6ELb0ES3_mN6thrust23THRUST_200600_302600_NS6detail15normal_iteratorINSA_10device_ptrItEEEEPS6_SG_NS0_5tupleIJSF_S6_EEENSH_IJSG_SG_EEES6_PlJ5mod_3ItEEEE10hipError_tPvRmT3_T4_T5_T6_T7_T9_mT8_P12ihipStream_tbDpT10_ENKUlT_T0_E_clISt17integral_constantIbLb0EES15_IbLb1EEEEDaS11_S12_EUlS11_E_NS1_11comp_targetILNS1_3genE8ELNS1_11target_archE1030ELNS1_3gpuE2ELNS1_3repE0EEENS1_30default_config_static_selectorELNS0_4arch9wavefront6targetE0EEEvT1_
; %bb.0:
	.section	.rodata,"a",@progbits
	.p2align	6, 0x0
	.amdhsa_kernel _ZN7rocprim17ROCPRIM_400000_NS6detail17trampoline_kernelINS0_14default_configENS1_25partition_config_selectorILNS1_17partition_subalgoE6EtNS0_10empty_typeEbEEZZNS1_14partition_implILS5_6ELb0ES3_mN6thrust23THRUST_200600_302600_NS6detail15normal_iteratorINSA_10device_ptrItEEEEPS6_SG_NS0_5tupleIJSF_S6_EEENSH_IJSG_SG_EEES6_PlJ5mod_3ItEEEE10hipError_tPvRmT3_T4_T5_T6_T7_T9_mT8_P12ihipStream_tbDpT10_ENKUlT_T0_E_clISt17integral_constantIbLb0EES15_IbLb1EEEEDaS11_S12_EUlS11_E_NS1_11comp_targetILNS1_3genE8ELNS1_11target_archE1030ELNS1_3gpuE2ELNS1_3repE0EEENS1_30default_config_static_selectorELNS0_4arch9wavefront6targetE0EEEvT1_
		.amdhsa_group_segment_fixed_size 0
		.amdhsa_private_segment_fixed_size 0
		.amdhsa_kernarg_size 128
		.amdhsa_user_sgpr_count 15
		.amdhsa_user_sgpr_dispatch_ptr 0
		.amdhsa_user_sgpr_queue_ptr 0
		.amdhsa_user_sgpr_kernarg_segment_ptr 1
		.amdhsa_user_sgpr_dispatch_id 0
		.amdhsa_user_sgpr_private_segment_size 0
		.amdhsa_wavefront_size32 1
		.amdhsa_uses_dynamic_stack 0
		.amdhsa_enable_private_segment 0
		.amdhsa_system_sgpr_workgroup_id_x 1
		.amdhsa_system_sgpr_workgroup_id_y 0
		.amdhsa_system_sgpr_workgroup_id_z 0
		.amdhsa_system_sgpr_workgroup_info 0
		.amdhsa_system_vgpr_workitem_id 0
		.amdhsa_next_free_vgpr 1
		.amdhsa_next_free_sgpr 1
		.amdhsa_reserve_vcc 0
		.amdhsa_float_round_mode_32 0
		.amdhsa_float_round_mode_16_64 0
		.amdhsa_float_denorm_mode_32 3
		.amdhsa_float_denorm_mode_16_64 3
		.amdhsa_dx10_clamp 1
		.amdhsa_ieee_mode 1
		.amdhsa_fp16_overflow 0
		.amdhsa_workgroup_processor_mode 1
		.amdhsa_memory_ordered 1
		.amdhsa_forward_progress 0
		.amdhsa_shared_vgpr_count 0
		.amdhsa_exception_fp_ieee_invalid_op 0
		.amdhsa_exception_fp_denorm_src 0
		.amdhsa_exception_fp_ieee_div_zero 0
		.amdhsa_exception_fp_ieee_overflow 0
		.amdhsa_exception_fp_ieee_underflow 0
		.amdhsa_exception_fp_ieee_inexact 0
		.amdhsa_exception_int_div_zero 0
	.end_amdhsa_kernel
	.section	.text._ZN7rocprim17ROCPRIM_400000_NS6detail17trampoline_kernelINS0_14default_configENS1_25partition_config_selectorILNS1_17partition_subalgoE6EtNS0_10empty_typeEbEEZZNS1_14partition_implILS5_6ELb0ES3_mN6thrust23THRUST_200600_302600_NS6detail15normal_iteratorINSA_10device_ptrItEEEEPS6_SG_NS0_5tupleIJSF_S6_EEENSH_IJSG_SG_EEES6_PlJ5mod_3ItEEEE10hipError_tPvRmT3_T4_T5_T6_T7_T9_mT8_P12ihipStream_tbDpT10_ENKUlT_T0_E_clISt17integral_constantIbLb0EES15_IbLb1EEEEDaS11_S12_EUlS11_E_NS1_11comp_targetILNS1_3genE8ELNS1_11target_archE1030ELNS1_3gpuE2ELNS1_3repE0EEENS1_30default_config_static_selectorELNS0_4arch9wavefront6targetE0EEEvT1_,"axG",@progbits,_ZN7rocprim17ROCPRIM_400000_NS6detail17trampoline_kernelINS0_14default_configENS1_25partition_config_selectorILNS1_17partition_subalgoE6EtNS0_10empty_typeEbEEZZNS1_14partition_implILS5_6ELb0ES3_mN6thrust23THRUST_200600_302600_NS6detail15normal_iteratorINSA_10device_ptrItEEEEPS6_SG_NS0_5tupleIJSF_S6_EEENSH_IJSG_SG_EEES6_PlJ5mod_3ItEEEE10hipError_tPvRmT3_T4_T5_T6_T7_T9_mT8_P12ihipStream_tbDpT10_ENKUlT_T0_E_clISt17integral_constantIbLb0EES15_IbLb1EEEEDaS11_S12_EUlS11_E_NS1_11comp_targetILNS1_3genE8ELNS1_11target_archE1030ELNS1_3gpuE2ELNS1_3repE0EEENS1_30default_config_static_selectorELNS0_4arch9wavefront6targetE0EEEvT1_,comdat
.Lfunc_end551:
	.size	_ZN7rocprim17ROCPRIM_400000_NS6detail17trampoline_kernelINS0_14default_configENS1_25partition_config_selectorILNS1_17partition_subalgoE6EtNS0_10empty_typeEbEEZZNS1_14partition_implILS5_6ELb0ES3_mN6thrust23THRUST_200600_302600_NS6detail15normal_iteratorINSA_10device_ptrItEEEEPS6_SG_NS0_5tupleIJSF_S6_EEENSH_IJSG_SG_EEES6_PlJ5mod_3ItEEEE10hipError_tPvRmT3_T4_T5_T6_T7_T9_mT8_P12ihipStream_tbDpT10_ENKUlT_T0_E_clISt17integral_constantIbLb0EES15_IbLb1EEEEDaS11_S12_EUlS11_E_NS1_11comp_targetILNS1_3genE8ELNS1_11target_archE1030ELNS1_3gpuE2ELNS1_3repE0EEENS1_30default_config_static_selectorELNS0_4arch9wavefront6targetE0EEEvT1_, .Lfunc_end551-_ZN7rocprim17ROCPRIM_400000_NS6detail17trampoline_kernelINS0_14default_configENS1_25partition_config_selectorILNS1_17partition_subalgoE6EtNS0_10empty_typeEbEEZZNS1_14partition_implILS5_6ELb0ES3_mN6thrust23THRUST_200600_302600_NS6detail15normal_iteratorINSA_10device_ptrItEEEEPS6_SG_NS0_5tupleIJSF_S6_EEENSH_IJSG_SG_EEES6_PlJ5mod_3ItEEEE10hipError_tPvRmT3_T4_T5_T6_T7_T9_mT8_P12ihipStream_tbDpT10_ENKUlT_T0_E_clISt17integral_constantIbLb0EES15_IbLb1EEEEDaS11_S12_EUlS11_E_NS1_11comp_targetILNS1_3genE8ELNS1_11target_archE1030ELNS1_3gpuE2ELNS1_3repE0EEENS1_30default_config_static_selectorELNS0_4arch9wavefront6targetE0EEEvT1_
                                        ; -- End function
	.section	.AMDGPU.csdata,"",@progbits
; Kernel info:
; codeLenInByte = 0
; NumSgprs: 0
; NumVgprs: 0
; ScratchSize: 0
; MemoryBound: 0
; FloatMode: 240
; IeeeMode: 1
; LDSByteSize: 0 bytes/workgroup (compile time only)
; SGPRBlocks: 0
; VGPRBlocks: 0
; NumSGPRsForWavesPerEU: 1
; NumVGPRsForWavesPerEU: 1
; Occupancy: 16
; WaveLimiterHint : 0
; COMPUTE_PGM_RSRC2:SCRATCH_EN: 0
; COMPUTE_PGM_RSRC2:USER_SGPR: 15
; COMPUTE_PGM_RSRC2:TRAP_HANDLER: 0
; COMPUTE_PGM_RSRC2:TGID_X_EN: 1
; COMPUTE_PGM_RSRC2:TGID_Y_EN: 0
; COMPUTE_PGM_RSRC2:TGID_Z_EN: 0
; COMPUTE_PGM_RSRC2:TIDIG_COMP_CNT: 0
	.section	.text._ZN7rocprim17ROCPRIM_400000_NS6detail17trampoline_kernelINS0_14default_configENS1_25partition_config_selectorILNS1_17partition_subalgoE6ExNS0_10empty_typeEbEEZZNS1_14partition_implILS5_6ELb0ES3_mN6thrust23THRUST_200600_302600_NS6detail15normal_iteratorINSA_10device_ptrIxEEEEPS6_SG_NS0_5tupleIJSF_S6_EEENSH_IJSG_SG_EEES6_PlJ5mod_3IxEEEE10hipError_tPvRmT3_T4_T5_T6_T7_T9_mT8_P12ihipStream_tbDpT10_ENKUlT_T0_E_clISt17integral_constantIbLb0EES16_EEDaS11_S12_EUlS11_E_NS1_11comp_targetILNS1_3genE0ELNS1_11target_archE4294967295ELNS1_3gpuE0ELNS1_3repE0EEENS1_30default_config_static_selectorELNS0_4arch9wavefront6targetE0EEEvT1_,"axG",@progbits,_ZN7rocprim17ROCPRIM_400000_NS6detail17trampoline_kernelINS0_14default_configENS1_25partition_config_selectorILNS1_17partition_subalgoE6ExNS0_10empty_typeEbEEZZNS1_14partition_implILS5_6ELb0ES3_mN6thrust23THRUST_200600_302600_NS6detail15normal_iteratorINSA_10device_ptrIxEEEEPS6_SG_NS0_5tupleIJSF_S6_EEENSH_IJSG_SG_EEES6_PlJ5mod_3IxEEEE10hipError_tPvRmT3_T4_T5_T6_T7_T9_mT8_P12ihipStream_tbDpT10_ENKUlT_T0_E_clISt17integral_constantIbLb0EES16_EEDaS11_S12_EUlS11_E_NS1_11comp_targetILNS1_3genE0ELNS1_11target_archE4294967295ELNS1_3gpuE0ELNS1_3repE0EEENS1_30default_config_static_selectorELNS0_4arch9wavefront6targetE0EEEvT1_,comdat
	.protected	_ZN7rocprim17ROCPRIM_400000_NS6detail17trampoline_kernelINS0_14default_configENS1_25partition_config_selectorILNS1_17partition_subalgoE6ExNS0_10empty_typeEbEEZZNS1_14partition_implILS5_6ELb0ES3_mN6thrust23THRUST_200600_302600_NS6detail15normal_iteratorINSA_10device_ptrIxEEEEPS6_SG_NS0_5tupleIJSF_S6_EEENSH_IJSG_SG_EEES6_PlJ5mod_3IxEEEE10hipError_tPvRmT3_T4_T5_T6_T7_T9_mT8_P12ihipStream_tbDpT10_ENKUlT_T0_E_clISt17integral_constantIbLb0EES16_EEDaS11_S12_EUlS11_E_NS1_11comp_targetILNS1_3genE0ELNS1_11target_archE4294967295ELNS1_3gpuE0ELNS1_3repE0EEENS1_30default_config_static_selectorELNS0_4arch9wavefront6targetE0EEEvT1_ ; -- Begin function _ZN7rocprim17ROCPRIM_400000_NS6detail17trampoline_kernelINS0_14default_configENS1_25partition_config_selectorILNS1_17partition_subalgoE6ExNS0_10empty_typeEbEEZZNS1_14partition_implILS5_6ELb0ES3_mN6thrust23THRUST_200600_302600_NS6detail15normal_iteratorINSA_10device_ptrIxEEEEPS6_SG_NS0_5tupleIJSF_S6_EEENSH_IJSG_SG_EEES6_PlJ5mod_3IxEEEE10hipError_tPvRmT3_T4_T5_T6_T7_T9_mT8_P12ihipStream_tbDpT10_ENKUlT_T0_E_clISt17integral_constantIbLb0EES16_EEDaS11_S12_EUlS11_E_NS1_11comp_targetILNS1_3genE0ELNS1_11target_archE4294967295ELNS1_3gpuE0ELNS1_3repE0EEENS1_30default_config_static_selectorELNS0_4arch9wavefront6targetE0EEEvT1_
	.globl	_ZN7rocprim17ROCPRIM_400000_NS6detail17trampoline_kernelINS0_14default_configENS1_25partition_config_selectorILNS1_17partition_subalgoE6ExNS0_10empty_typeEbEEZZNS1_14partition_implILS5_6ELb0ES3_mN6thrust23THRUST_200600_302600_NS6detail15normal_iteratorINSA_10device_ptrIxEEEEPS6_SG_NS0_5tupleIJSF_S6_EEENSH_IJSG_SG_EEES6_PlJ5mod_3IxEEEE10hipError_tPvRmT3_T4_T5_T6_T7_T9_mT8_P12ihipStream_tbDpT10_ENKUlT_T0_E_clISt17integral_constantIbLb0EES16_EEDaS11_S12_EUlS11_E_NS1_11comp_targetILNS1_3genE0ELNS1_11target_archE4294967295ELNS1_3gpuE0ELNS1_3repE0EEENS1_30default_config_static_selectorELNS0_4arch9wavefront6targetE0EEEvT1_
	.p2align	8
	.type	_ZN7rocprim17ROCPRIM_400000_NS6detail17trampoline_kernelINS0_14default_configENS1_25partition_config_selectorILNS1_17partition_subalgoE6ExNS0_10empty_typeEbEEZZNS1_14partition_implILS5_6ELb0ES3_mN6thrust23THRUST_200600_302600_NS6detail15normal_iteratorINSA_10device_ptrIxEEEEPS6_SG_NS0_5tupleIJSF_S6_EEENSH_IJSG_SG_EEES6_PlJ5mod_3IxEEEE10hipError_tPvRmT3_T4_T5_T6_T7_T9_mT8_P12ihipStream_tbDpT10_ENKUlT_T0_E_clISt17integral_constantIbLb0EES16_EEDaS11_S12_EUlS11_E_NS1_11comp_targetILNS1_3genE0ELNS1_11target_archE4294967295ELNS1_3gpuE0ELNS1_3repE0EEENS1_30default_config_static_selectorELNS0_4arch9wavefront6targetE0EEEvT1_,@function
_ZN7rocprim17ROCPRIM_400000_NS6detail17trampoline_kernelINS0_14default_configENS1_25partition_config_selectorILNS1_17partition_subalgoE6ExNS0_10empty_typeEbEEZZNS1_14partition_implILS5_6ELb0ES3_mN6thrust23THRUST_200600_302600_NS6detail15normal_iteratorINSA_10device_ptrIxEEEEPS6_SG_NS0_5tupleIJSF_S6_EEENSH_IJSG_SG_EEES6_PlJ5mod_3IxEEEE10hipError_tPvRmT3_T4_T5_T6_T7_T9_mT8_P12ihipStream_tbDpT10_ENKUlT_T0_E_clISt17integral_constantIbLb0EES16_EEDaS11_S12_EUlS11_E_NS1_11comp_targetILNS1_3genE0ELNS1_11target_archE4294967295ELNS1_3gpuE0ELNS1_3repE0EEENS1_30default_config_static_selectorELNS0_4arch9wavefront6targetE0EEEvT1_: ; @_ZN7rocprim17ROCPRIM_400000_NS6detail17trampoline_kernelINS0_14default_configENS1_25partition_config_selectorILNS1_17partition_subalgoE6ExNS0_10empty_typeEbEEZZNS1_14partition_implILS5_6ELb0ES3_mN6thrust23THRUST_200600_302600_NS6detail15normal_iteratorINSA_10device_ptrIxEEEEPS6_SG_NS0_5tupleIJSF_S6_EEENSH_IJSG_SG_EEES6_PlJ5mod_3IxEEEE10hipError_tPvRmT3_T4_T5_T6_T7_T9_mT8_P12ihipStream_tbDpT10_ENKUlT_T0_E_clISt17integral_constantIbLb0EES16_EEDaS11_S12_EUlS11_E_NS1_11comp_targetILNS1_3genE0ELNS1_11target_archE4294967295ELNS1_3gpuE0ELNS1_3repE0EEENS1_30default_config_static_selectorELNS0_4arch9wavefront6targetE0EEEvT1_
; %bb.0:
	.section	.rodata,"a",@progbits
	.p2align	6, 0x0
	.amdhsa_kernel _ZN7rocprim17ROCPRIM_400000_NS6detail17trampoline_kernelINS0_14default_configENS1_25partition_config_selectorILNS1_17partition_subalgoE6ExNS0_10empty_typeEbEEZZNS1_14partition_implILS5_6ELb0ES3_mN6thrust23THRUST_200600_302600_NS6detail15normal_iteratorINSA_10device_ptrIxEEEEPS6_SG_NS0_5tupleIJSF_S6_EEENSH_IJSG_SG_EEES6_PlJ5mod_3IxEEEE10hipError_tPvRmT3_T4_T5_T6_T7_T9_mT8_P12ihipStream_tbDpT10_ENKUlT_T0_E_clISt17integral_constantIbLb0EES16_EEDaS11_S12_EUlS11_E_NS1_11comp_targetILNS1_3genE0ELNS1_11target_archE4294967295ELNS1_3gpuE0ELNS1_3repE0EEENS1_30default_config_static_selectorELNS0_4arch9wavefront6targetE0EEEvT1_
		.amdhsa_group_segment_fixed_size 0
		.amdhsa_private_segment_fixed_size 0
		.amdhsa_kernarg_size 112
		.amdhsa_user_sgpr_count 15
		.amdhsa_user_sgpr_dispatch_ptr 0
		.amdhsa_user_sgpr_queue_ptr 0
		.amdhsa_user_sgpr_kernarg_segment_ptr 1
		.amdhsa_user_sgpr_dispatch_id 0
		.amdhsa_user_sgpr_private_segment_size 0
		.amdhsa_wavefront_size32 1
		.amdhsa_uses_dynamic_stack 0
		.amdhsa_enable_private_segment 0
		.amdhsa_system_sgpr_workgroup_id_x 1
		.amdhsa_system_sgpr_workgroup_id_y 0
		.amdhsa_system_sgpr_workgroup_id_z 0
		.amdhsa_system_sgpr_workgroup_info 0
		.amdhsa_system_vgpr_workitem_id 0
		.amdhsa_next_free_vgpr 1
		.amdhsa_next_free_sgpr 1
		.amdhsa_reserve_vcc 0
		.amdhsa_float_round_mode_32 0
		.amdhsa_float_round_mode_16_64 0
		.amdhsa_float_denorm_mode_32 3
		.amdhsa_float_denorm_mode_16_64 3
		.amdhsa_dx10_clamp 1
		.amdhsa_ieee_mode 1
		.amdhsa_fp16_overflow 0
		.amdhsa_workgroup_processor_mode 1
		.amdhsa_memory_ordered 1
		.amdhsa_forward_progress 0
		.amdhsa_shared_vgpr_count 0
		.amdhsa_exception_fp_ieee_invalid_op 0
		.amdhsa_exception_fp_denorm_src 0
		.amdhsa_exception_fp_ieee_div_zero 0
		.amdhsa_exception_fp_ieee_overflow 0
		.amdhsa_exception_fp_ieee_underflow 0
		.amdhsa_exception_fp_ieee_inexact 0
		.amdhsa_exception_int_div_zero 0
	.end_amdhsa_kernel
	.section	.text._ZN7rocprim17ROCPRIM_400000_NS6detail17trampoline_kernelINS0_14default_configENS1_25partition_config_selectorILNS1_17partition_subalgoE6ExNS0_10empty_typeEbEEZZNS1_14partition_implILS5_6ELb0ES3_mN6thrust23THRUST_200600_302600_NS6detail15normal_iteratorINSA_10device_ptrIxEEEEPS6_SG_NS0_5tupleIJSF_S6_EEENSH_IJSG_SG_EEES6_PlJ5mod_3IxEEEE10hipError_tPvRmT3_T4_T5_T6_T7_T9_mT8_P12ihipStream_tbDpT10_ENKUlT_T0_E_clISt17integral_constantIbLb0EES16_EEDaS11_S12_EUlS11_E_NS1_11comp_targetILNS1_3genE0ELNS1_11target_archE4294967295ELNS1_3gpuE0ELNS1_3repE0EEENS1_30default_config_static_selectorELNS0_4arch9wavefront6targetE0EEEvT1_,"axG",@progbits,_ZN7rocprim17ROCPRIM_400000_NS6detail17trampoline_kernelINS0_14default_configENS1_25partition_config_selectorILNS1_17partition_subalgoE6ExNS0_10empty_typeEbEEZZNS1_14partition_implILS5_6ELb0ES3_mN6thrust23THRUST_200600_302600_NS6detail15normal_iteratorINSA_10device_ptrIxEEEEPS6_SG_NS0_5tupleIJSF_S6_EEENSH_IJSG_SG_EEES6_PlJ5mod_3IxEEEE10hipError_tPvRmT3_T4_T5_T6_T7_T9_mT8_P12ihipStream_tbDpT10_ENKUlT_T0_E_clISt17integral_constantIbLb0EES16_EEDaS11_S12_EUlS11_E_NS1_11comp_targetILNS1_3genE0ELNS1_11target_archE4294967295ELNS1_3gpuE0ELNS1_3repE0EEENS1_30default_config_static_selectorELNS0_4arch9wavefront6targetE0EEEvT1_,comdat
.Lfunc_end552:
	.size	_ZN7rocprim17ROCPRIM_400000_NS6detail17trampoline_kernelINS0_14default_configENS1_25partition_config_selectorILNS1_17partition_subalgoE6ExNS0_10empty_typeEbEEZZNS1_14partition_implILS5_6ELb0ES3_mN6thrust23THRUST_200600_302600_NS6detail15normal_iteratorINSA_10device_ptrIxEEEEPS6_SG_NS0_5tupleIJSF_S6_EEENSH_IJSG_SG_EEES6_PlJ5mod_3IxEEEE10hipError_tPvRmT3_T4_T5_T6_T7_T9_mT8_P12ihipStream_tbDpT10_ENKUlT_T0_E_clISt17integral_constantIbLb0EES16_EEDaS11_S12_EUlS11_E_NS1_11comp_targetILNS1_3genE0ELNS1_11target_archE4294967295ELNS1_3gpuE0ELNS1_3repE0EEENS1_30default_config_static_selectorELNS0_4arch9wavefront6targetE0EEEvT1_, .Lfunc_end552-_ZN7rocprim17ROCPRIM_400000_NS6detail17trampoline_kernelINS0_14default_configENS1_25partition_config_selectorILNS1_17partition_subalgoE6ExNS0_10empty_typeEbEEZZNS1_14partition_implILS5_6ELb0ES3_mN6thrust23THRUST_200600_302600_NS6detail15normal_iteratorINSA_10device_ptrIxEEEEPS6_SG_NS0_5tupleIJSF_S6_EEENSH_IJSG_SG_EEES6_PlJ5mod_3IxEEEE10hipError_tPvRmT3_T4_T5_T6_T7_T9_mT8_P12ihipStream_tbDpT10_ENKUlT_T0_E_clISt17integral_constantIbLb0EES16_EEDaS11_S12_EUlS11_E_NS1_11comp_targetILNS1_3genE0ELNS1_11target_archE4294967295ELNS1_3gpuE0ELNS1_3repE0EEENS1_30default_config_static_selectorELNS0_4arch9wavefront6targetE0EEEvT1_
                                        ; -- End function
	.section	.AMDGPU.csdata,"",@progbits
; Kernel info:
; codeLenInByte = 0
; NumSgprs: 0
; NumVgprs: 0
; ScratchSize: 0
; MemoryBound: 0
; FloatMode: 240
; IeeeMode: 1
; LDSByteSize: 0 bytes/workgroup (compile time only)
; SGPRBlocks: 0
; VGPRBlocks: 0
; NumSGPRsForWavesPerEU: 1
; NumVGPRsForWavesPerEU: 1
; Occupancy: 16
; WaveLimiterHint : 0
; COMPUTE_PGM_RSRC2:SCRATCH_EN: 0
; COMPUTE_PGM_RSRC2:USER_SGPR: 15
; COMPUTE_PGM_RSRC2:TRAP_HANDLER: 0
; COMPUTE_PGM_RSRC2:TGID_X_EN: 1
; COMPUTE_PGM_RSRC2:TGID_Y_EN: 0
; COMPUTE_PGM_RSRC2:TGID_Z_EN: 0
; COMPUTE_PGM_RSRC2:TIDIG_COMP_CNT: 0
	.section	.text._ZN7rocprim17ROCPRIM_400000_NS6detail17trampoline_kernelINS0_14default_configENS1_25partition_config_selectorILNS1_17partition_subalgoE6ExNS0_10empty_typeEbEEZZNS1_14partition_implILS5_6ELb0ES3_mN6thrust23THRUST_200600_302600_NS6detail15normal_iteratorINSA_10device_ptrIxEEEEPS6_SG_NS0_5tupleIJSF_S6_EEENSH_IJSG_SG_EEES6_PlJ5mod_3IxEEEE10hipError_tPvRmT3_T4_T5_T6_T7_T9_mT8_P12ihipStream_tbDpT10_ENKUlT_T0_E_clISt17integral_constantIbLb0EES16_EEDaS11_S12_EUlS11_E_NS1_11comp_targetILNS1_3genE5ELNS1_11target_archE942ELNS1_3gpuE9ELNS1_3repE0EEENS1_30default_config_static_selectorELNS0_4arch9wavefront6targetE0EEEvT1_,"axG",@progbits,_ZN7rocprim17ROCPRIM_400000_NS6detail17trampoline_kernelINS0_14default_configENS1_25partition_config_selectorILNS1_17partition_subalgoE6ExNS0_10empty_typeEbEEZZNS1_14partition_implILS5_6ELb0ES3_mN6thrust23THRUST_200600_302600_NS6detail15normal_iteratorINSA_10device_ptrIxEEEEPS6_SG_NS0_5tupleIJSF_S6_EEENSH_IJSG_SG_EEES6_PlJ5mod_3IxEEEE10hipError_tPvRmT3_T4_T5_T6_T7_T9_mT8_P12ihipStream_tbDpT10_ENKUlT_T0_E_clISt17integral_constantIbLb0EES16_EEDaS11_S12_EUlS11_E_NS1_11comp_targetILNS1_3genE5ELNS1_11target_archE942ELNS1_3gpuE9ELNS1_3repE0EEENS1_30default_config_static_selectorELNS0_4arch9wavefront6targetE0EEEvT1_,comdat
	.protected	_ZN7rocprim17ROCPRIM_400000_NS6detail17trampoline_kernelINS0_14default_configENS1_25partition_config_selectorILNS1_17partition_subalgoE6ExNS0_10empty_typeEbEEZZNS1_14partition_implILS5_6ELb0ES3_mN6thrust23THRUST_200600_302600_NS6detail15normal_iteratorINSA_10device_ptrIxEEEEPS6_SG_NS0_5tupleIJSF_S6_EEENSH_IJSG_SG_EEES6_PlJ5mod_3IxEEEE10hipError_tPvRmT3_T4_T5_T6_T7_T9_mT8_P12ihipStream_tbDpT10_ENKUlT_T0_E_clISt17integral_constantIbLb0EES16_EEDaS11_S12_EUlS11_E_NS1_11comp_targetILNS1_3genE5ELNS1_11target_archE942ELNS1_3gpuE9ELNS1_3repE0EEENS1_30default_config_static_selectorELNS0_4arch9wavefront6targetE0EEEvT1_ ; -- Begin function _ZN7rocprim17ROCPRIM_400000_NS6detail17trampoline_kernelINS0_14default_configENS1_25partition_config_selectorILNS1_17partition_subalgoE6ExNS0_10empty_typeEbEEZZNS1_14partition_implILS5_6ELb0ES3_mN6thrust23THRUST_200600_302600_NS6detail15normal_iteratorINSA_10device_ptrIxEEEEPS6_SG_NS0_5tupleIJSF_S6_EEENSH_IJSG_SG_EEES6_PlJ5mod_3IxEEEE10hipError_tPvRmT3_T4_T5_T6_T7_T9_mT8_P12ihipStream_tbDpT10_ENKUlT_T0_E_clISt17integral_constantIbLb0EES16_EEDaS11_S12_EUlS11_E_NS1_11comp_targetILNS1_3genE5ELNS1_11target_archE942ELNS1_3gpuE9ELNS1_3repE0EEENS1_30default_config_static_selectorELNS0_4arch9wavefront6targetE0EEEvT1_
	.globl	_ZN7rocprim17ROCPRIM_400000_NS6detail17trampoline_kernelINS0_14default_configENS1_25partition_config_selectorILNS1_17partition_subalgoE6ExNS0_10empty_typeEbEEZZNS1_14partition_implILS5_6ELb0ES3_mN6thrust23THRUST_200600_302600_NS6detail15normal_iteratorINSA_10device_ptrIxEEEEPS6_SG_NS0_5tupleIJSF_S6_EEENSH_IJSG_SG_EEES6_PlJ5mod_3IxEEEE10hipError_tPvRmT3_T4_T5_T6_T7_T9_mT8_P12ihipStream_tbDpT10_ENKUlT_T0_E_clISt17integral_constantIbLb0EES16_EEDaS11_S12_EUlS11_E_NS1_11comp_targetILNS1_3genE5ELNS1_11target_archE942ELNS1_3gpuE9ELNS1_3repE0EEENS1_30default_config_static_selectorELNS0_4arch9wavefront6targetE0EEEvT1_
	.p2align	8
	.type	_ZN7rocprim17ROCPRIM_400000_NS6detail17trampoline_kernelINS0_14default_configENS1_25partition_config_selectorILNS1_17partition_subalgoE6ExNS0_10empty_typeEbEEZZNS1_14partition_implILS5_6ELb0ES3_mN6thrust23THRUST_200600_302600_NS6detail15normal_iteratorINSA_10device_ptrIxEEEEPS6_SG_NS0_5tupleIJSF_S6_EEENSH_IJSG_SG_EEES6_PlJ5mod_3IxEEEE10hipError_tPvRmT3_T4_T5_T6_T7_T9_mT8_P12ihipStream_tbDpT10_ENKUlT_T0_E_clISt17integral_constantIbLb0EES16_EEDaS11_S12_EUlS11_E_NS1_11comp_targetILNS1_3genE5ELNS1_11target_archE942ELNS1_3gpuE9ELNS1_3repE0EEENS1_30default_config_static_selectorELNS0_4arch9wavefront6targetE0EEEvT1_,@function
_ZN7rocprim17ROCPRIM_400000_NS6detail17trampoline_kernelINS0_14default_configENS1_25partition_config_selectorILNS1_17partition_subalgoE6ExNS0_10empty_typeEbEEZZNS1_14partition_implILS5_6ELb0ES3_mN6thrust23THRUST_200600_302600_NS6detail15normal_iteratorINSA_10device_ptrIxEEEEPS6_SG_NS0_5tupleIJSF_S6_EEENSH_IJSG_SG_EEES6_PlJ5mod_3IxEEEE10hipError_tPvRmT3_T4_T5_T6_T7_T9_mT8_P12ihipStream_tbDpT10_ENKUlT_T0_E_clISt17integral_constantIbLb0EES16_EEDaS11_S12_EUlS11_E_NS1_11comp_targetILNS1_3genE5ELNS1_11target_archE942ELNS1_3gpuE9ELNS1_3repE0EEENS1_30default_config_static_selectorELNS0_4arch9wavefront6targetE0EEEvT1_: ; @_ZN7rocprim17ROCPRIM_400000_NS6detail17trampoline_kernelINS0_14default_configENS1_25partition_config_selectorILNS1_17partition_subalgoE6ExNS0_10empty_typeEbEEZZNS1_14partition_implILS5_6ELb0ES3_mN6thrust23THRUST_200600_302600_NS6detail15normal_iteratorINSA_10device_ptrIxEEEEPS6_SG_NS0_5tupleIJSF_S6_EEENSH_IJSG_SG_EEES6_PlJ5mod_3IxEEEE10hipError_tPvRmT3_T4_T5_T6_T7_T9_mT8_P12ihipStream_tbDpT10_ENKUlT_T0_E_clISt17integral_constantIbLb0EES16_EEDaS11_S12_EUlS11_E_NS1_11comp_targetILNS1_3genE5ELNS1_11target_archE942ELNS1_3gpuE9ELNS1_3repE0EEENS1_30default_config_static_selectorELNS0_4arch9wavefront6targetE0EEEvT1_
; %bb.0:
	.section	.rodata,"a",@progbits
	.p2align	6, 0x0
	.amdhsa_kernel _ZN7rocprim17ROCPRIM_400000_NS6detail17trampoline_kernelINS0_14default_configENS1_25partition_config_selectorILNS1_17partition_subalgoE6ExNS0_10empty_typeEbEEZZNS1_14partition_implILS5_6ELb0ES3_mN6thrust23THRUST_200600_302600_NS6detail15normal_iteratorINSA_10device_ptrIxEEEEPS6_SG_NS0_5tupleIJSF_S6_EEENSH_IJSG_SG_EEES6_PlJ5mod_3IxEEEE10hipError_tPvRmT3_T4_T5_T6_T7_T9_mT8_P12ihipStream_tbDpT10_ENKUlT_T0_E_clISt17integral_constantIbLb0EES16_EEDaS11_S12_EUlS11_E_NS1_11comp_targetILNS1_3genE5ELNS1_11target_archE942ELNS1_3gpuE9ELNS1_3repE0EEENS1_30default_config_static_selectorELNS0_4arch9wavefront6targetE0EEEvT1_
		.amdhsa_group_segment_fixed_size 0
		.amdhsa_private_segment_fixed_size 0
		.amdhsa_kernarg_size 112
		.amdhsa_user_sgpr_count 15
		.amdhsa_user_sgpr_dispatch_ptr 0
		.amdhsa_user_sgpr_queue_ptr 0
		.amdhsa_user_sgpr_kernarg_segment_ptr 1
		.amdhsa_user_sgpr_dispatch_id 0
		.amdhsa_user_sgpr_private_segment_size 0
		.amdhsa_wavefront_size32 1
		.amdhsa_uses_dynamic_stack 0
		.amdhsa_enable_private_segment 0
		.amdhsa_system_sgpr_workgroup_id_x 1
		.amdhsa_system_sgpr_workgroup_id_y 0
		.amdhsa_system_sgpr_workgroup_id_z 0
		.amdhsa_system_sgpr_workgroup_info 0
		.amdhsa_system_vgpr_workitem_id 0
		.amdhsa_next_free_vgpr 1
		.amdhsa_next_free_sgpr 1
		.amdhsa_reserve_vcc 0
		.amdhsa_float_round_mode_32 0
		.amdhsa_float_round_mode_16_64 0
		.amdhsa_float_denorm_mode_32 3
		.amdhsa_float_denorm_mode_16_64 3
		.amdhsa_dx10_clamp 1
		.amdhsa_ieee_mode 1
		.amdhsa_fp16_overflow 0
		.amdhsa_workgroup_processor_mode 1
		.amdhsa_memory_ordered 1
		.amdhsa_forward_progress 0
		.amdhsa_shared_vgpr_count 0
		.amdhsa_exception_fp_ieee_invalid_op 0
		.amdhsa_exception_fp_denorm_src 0
		.amdhsa_exception_fp_ieee_div_zero 0
		.amdhsa_exception_fp_ieee_overflow 0
		.amdhsa_exception_fp_ieee_underflow 0
		.amdhsa_exception_fp_ieee_inexact 0
		.amdhsa_exception_int_div_zero 0
	.end_amdhsa_kernel
	.section	.text._ZN7rocprim17ROCPRIM_400000_NS6detail17trampoline_kernelINS0_14default_configENS1_25partition_config_selectorILNS1_17partition_subalgoE6ExNS0_10empty_typeEbEEZZNS1_14partition_implILS5_6ELb0ES3_mN6thrust23THRUST_200600_302600_NS6detail15normal_iteratorINSA_10device_ptrIxEEEEPS6_SG_NS0_5tupleIJSF_S6_EEENSH_IJSG_SG_EEES6_PlJ5mod_3IxEEEE10hipError_tPvRmT3_T4_T5_T6_T7_T9_mT8_P12ihipStream_tbDpT10_ENKUlT_T0_E_clISt17integral_constantIbLb0EES16_EEDaS11_S12_EUlS11_E_NS1_11comp_targetILNS1_3genE5ELNS1_11target_archE942ELNS1_3gpuE9ELNS1_3repE0EEENS1_30default_config_static_selectorELNS0_4arch9wavefront6targetE0EEEvT1_,"axG",@progbits,_ZN7rocprim17ROCPRIM_400000_NS6detail17trampoline_kernelINS0_14default_configENS1_25partition_config_selectorILNS1_17partition_subalgoE6ExNS0_10empty_typeEbEEZZNS1_14partition_implILS5_6ELb0ES3_mN6thrust23THRUST_200600_302600_NS6detail15normal_iteratorINSA_10device_ptrIxEEEEPS6_SG_NS0_5tupleIJSF_S6_EEENSH_IJSG_SG_EEES6_PlJ5mod_3IxEEEE10hipError_tPvRmT3_T4_T5_T6_T7_T9_mT8_P12ihipStream_tbDpT10_ENKUlT_T0_E_clISt17integral_constantIbLb0EES16_EEDaS11_S12_EUlS11_E_NS1_11comp_targetILNS1_3genE5ELNS1_11target_archE942ELNS1_3gpuE9ELNS1_3repE0EEENS1_30default_config_static_selectorELNS0_4arch9wavefront6targetE0EEEvT1_,comdat
.Lfunc_end553:
	.size	_ZN7rocprim17ROCPRIM_400000_NS6detail17trampoline_kernelINS0_14default_configENS1_25partition_config_selectorILNS1_17partition_subalgoE6ExNS0_10empty_typeEbEEZZNS1_14partition_implILS5_6ELb0ES3_mN6thrust23THRUST_200600_302600_NS6detail15normal_iteratorINSA_10device_ptrIxEEEEPS6_SG_NS0_5tupleIJSF_S6_EEENSH_IJSG_SG_EEES6_PlJ5mod_3IxEEEE10hipError_tPvRmT3_T4_T5_T6_T7_T9_mT8_P12ihipStream_tbDpT10_ENKUlT_T0_E_clISt17integral_constantIbLb0EES16_EEDaS11_S12_EUlS11_E_NS1_11comp_targetILNS1_3genE5ELNS1_11target_archE942ELNS1_3gpuE9ELNS1_3repE0EEENS1_30default_config_static_selectorELNS0_4arch9wavefront6targetE0EEEvT1_, .Lfunc_end553-_ZN7rocprim17ROCPRIM_400000_NS6detail17trampoline_kernelINS0_14default_configENS1_25partition_config_selectorILNS1_17partition_subalgoE6ExNS0_10empty_typeEbEEZZNS1_14partition_implILS5_6ELb0ES3_mN6thrust23THRUST_200600_302600_NS6detail15normal_iteratorINSA_10device_ptrIxEEEEPS6_SG_NS0_5tupleIJSF_S6_EEENSH_IJSG_SG_EEES6_PlJ5mod_3IxEEEE10hipError_tPvRmT3_T4_T5_T6_T7_T9_mT8_P12ihipStream_tbDpT10_ENKUlT_T0_E_clISt17integral_constantIbLb0EES16_EEDaS11_S12_EUlS11_E_NS1_11comp_targetILNS1_3genE5ELNS1_11target_archE942ELNS1_3gpuE9ELNS1_3repE0EEENS1_30default_config_static_selectorELNS0_4arch9wavefront6targetE0EEEvT1_
                                        ; -- End function
	.section	.AMDGPU.csdata,"",@progbits
; Kernel info:
; codeLenInByte = 0
; NumSgprs: 0
; NumVgprs: 0
; ScratchSize: 0
; MemoryBound: 0
; FloatMode: 240
; IeeeMode: 1
; LDSByteSize: 0 bytes/workgroup (compile time only)
; SGPRBlocks: 0
; VGPRBlocks: 0
; NumSGPRsForWavesPerEU: 1
; NumVGPRsForWavesPerEU: 1
; Occupancy: 16
; WaveLimiterHint : 0
; COMPUTE_PGM_RSRC2:SCRATCH_EN: 0
; COMPUTE_PGM_RSRC2:USER_SGPR: 15
; COMPUTE_PGM_RSRC2:TRAP_HANDLER: 0
; COMPUTE_PGM_RSRC2:TGID_X_EN: 1
; COMPUTE_PGM_RSRC2:TGID_Y_EN: 0
; COMPUTE_PGM_RSRC2:TGID_Z_EN: 0
; COMPUTE_PGM_RSRC2:TIDIG_COMP_CNT: 0
	.section	.text._ZN7rocprim17ROCPRIM_400000_NS6detail17trampoline_kernelINS0_14default_configENS1_25partition_config_selectorILNS1_17partition_subalgoE6ExNS0_10empty_typeEbEEZZNS1_14partition_implILS5_6ELb0ES3_mN6thrust23THRUST_200600_302600_NS6detail15normal_iteratorINSA_10device_ptrIxEEEEPS6_SG_NS0_5tupleIJSF_S6_EEENSH_IJSG_SG_EEES6_PlJ5mod_3IxEEEE10hipError_tPvRmT3_T4_T5_T6_T7_T9_mT8_P12ihipStream_tbDpT10_ENKUlT_T0_E_clISt17integral_constantIbLb0EES16_EEDaS11_S12_EUlS11_E_NS1_11comp_targetILNS1_3genE4ELNS1_11target_archE910ELNS1_3gpuE8ELNS1_3repE0EEENS1_30default_config_static_selectorELNS0_4arch9wavefront6targetE0EEEvT1_,"axG",@progbits,_ZN7rocprim17ROCPRIM_400000_NS6detail17trampoline_kernelINS0_14default_configENS1_25partition_config_selectorILNS1_17partition_subalgoE6ExNS0_10empty_typeEbEEZZNS1_14partition_implILS5_6ELb0ES3_mN6thrust23THRUST_200600_302600_NS6detail15normal_iteratorINSA_10device_ptrIxEEEEPS6_SG_NS0_5tupleIJSF_S6_EEENSH_IJSG_SG_EEES6_PlJ5mod_3IxEEEE10hipError_tPvRmT3_T4_T5_T6_T7_T9_mT8_P12ihipStream_tbDpT10_ENKUlT_T0_E_clISt17integral_constantIbLb0EES16_EEDaS11_S12_EUlS11_E_NS1_11comp_targetILNS1_3genE4ELNS1_11target_archE910ELNS1_3gpuE8ELNS1_3repE0EEENS1_30default_config_static_selectorELNS0_4arch9wavefront6targetE0EEEvT1_,comdat
	.protected	_ZN7rocprim17ROCPRIM_400000_NS6detail17trampoline_kernelINS0_14default_configENS1_25partition_config_selectorILNS1_17partition_subalgoE6ExNS0_10empty_typeEbEEZZNS1_14partition_implILS5_6ELb0ES3_mN6thrust23THRUST_200600_302600_NS6detail15normal_iteratorINSA_10device_ptrIxEEEEPS6_SG_NS0_5tupleIJSF_S6_EEENSH_IJSG_SG_EEES6_PlJ5mod_3IxEEEE10hipError_tPvRmT3_T4_T5_T6_T7_T9_mT8_P12ihipStream_tbDpT10_ENKUlT_T0_E_clISt17integral_constantIbLb0EES16_EEDaS11_S12_EUlS11_E_NS1_11comp_targetILNS1_3genE4ELNS1_11target_archE910ELNS1_3gpuE8ELNS1_3repE0EEENS1_30default_config_static_selectorELNS0_4arch9wavefront6targetE0EEEvT1_ ; -- Begin function _ZN7rocprim17ROCPRIM_400000_NS6detail17trampoline_kernelINS0_14default_configENS1_25partition_config_selectorILNS1_17partition_subalgoE6ExNS0_10empty_typeEbEEZZNS1_14partition_implILS5_6ELb0ES3_mN6thrust23THRUST_200600_302600_NS6detail15normal_iteratorINSA_10device_ptrIxEEEEPS6_SG_NS0_5tupleIJSF_S6_EEENSH_IJSG_SG_EEES6_PlJ5mod_3IxEEEE10hipError_tPvRmT3_T4_T5_T6_T7_T9_mT8_P12ihipStream_tbDpT10_ENKUlT_T0_E_clISt17integral_constantIbLb0EES16_EEDaS11_S12_EUlS11_E_NS1_11comp_targetILNS1_3genE4ELNS1_11target_archE910ELNS1_3gpuE8ELNS1_3repE0EEENS1_30default_config_static_selectorELNS0_4arch9wavefront6targetE0EEEvT1_
	.globl	_ZN7rocprim17ROCPRIM_400000_NS6detail17trampoline_kernelINS0_14default_configENS1_25partition_config_selectorILNS1_17partition_subalgoE6ExNS0_10empty_typeEbEEZZNS1_14partition_implILS5_6ELb0ES3_mN6thrust23THRUST_200600_302600_NS6detail15normal_iteratorINSA_10device_ptrIxEEEEPS6_SG_NS0_5tupleIJSF_S6_EEENSH_IJSG_SG_EEES6_PlJ5mod_3IxEEEE10hipError_tPvRmT3_T4_T5_T6_T7_T9_mT8_P12ihipStream_tbDpT10_ENKUlT_T0_E_clISt17integral_constantIbLb0EES16_EEDaS11_S12_EUlS11_E_NS1_11comp_targetILNS1_3genE4ELNS1_11target_archE910ELNS1_3gpuE8ELNS1_3repE0EEENS1_30default_config_static_selectorELNS0_4arch9wavefront6targetE0EEEvT1_
	.p2align	8
	.type	_ZN7rocprim17ROCPRIM_400000_NS6detail17trampoline_kernelINS0_14default_configENS1_25partition_config_selectorILNS1_17partition_subalgoE6ExNS0_10empty_typeEbEEZZNS1_14partition_implILS5_6ELb0ES3_mN6thrust23THRUST_200600_302600_NS6detail15normal_iteratorINSA_10device_ptrIxEEEEPS6_SG_NS0_5tupleIJSF_S6_EEENSH_IJSG_SG_EEES6_PlJ5mod_3IxEEEE10hipError_tPvRmT3_T4_T5_T6_T7_T9_mT8_P12ihipStream_tbDpT10_ENKUlT_T0_E_clISt17integral_constantIbLb0EES16_EEDaS11_S12_EUlS11_E_NS1_11comp_targetILNS1_3genE4ELNS1_11target_archE910ELNS1_3gpuE8ELNS1_3repE0EEENS1_30default_config_static_selectorELNS0_4arch9wavefront6targetE0EEEvT1_,@function
_ZN7rocprim17ROCPRIM_400000_NS6detail17trampoline_kernelINS0_14default_configENS1_25partition_config_selectorILNS1_17partition_subalgoE6ExNS0_10empty_typeEbEEZZNS1_14partition_implILS5_6ELb0ES3_mN6thrust23THRUST_200600_302600_NS6detail15normal_iteratorINSA_10device_ptrIxEEEEPS6_SG_NS0_5tupleIJSF_S6_EEENSH_IJSG_SG_EEES6_PlJ5mod_3IxEEEE10hipError_tPvRmT3_T4_T5_T6_T7_T9_mT8_P12ihipStream_tbDpT10_ENKUlT_T0_E_clISt17integral_constantIbLb0EES16_EEDaS11_S12_EUlS11_E_NS1_11comp_targetILNS1_3genE4ELNS1_11target_archE910ELNS1_3gpuE8ELNS1_3repE0EEENS1_30default_config_static_selectorELNS0_4arch9wavefront6targetE0EEEvT1_: ; @_ZN7rocprim17ROCPRIM_400000_NS6detail17trampoline_kernelINS0_14default_configENS1_25partition_config_selectorILNS1_17partition_subalgoE6ExNS0_10empty_typeEbEEZZNS1_14partition_implILS5_6ELb0ES3_mN6thrust23THRUST_200600_302600_NS6detail15normal_iteratorINSA_10device_ptrIxEEEEPS6_SG_NS0_5tupleIJSF_S6_EEENSH_IJSG_SG_EEES6_PlJ5mod_3IxEEEE10hipError_tPvRmT3_T4_T5_T6_T7_T9_mT8_P12ihipStream_tbDpT10_ENKUlT_T0_E_clISt17integral_constantIbLb0EES16_EEDaS11_S12_EUlS11_E_NS1_11comp_targetILNS1_3genE4ELNS1_11target_archE910ELNS1_3gpuE8ELNS1_3repE0EEENS1_30default_config_static_selectorELNS0_4arch9wavefront6targetE0EEEvT1_
; %bb.0:
	.section	.rodata,"a",@progbits
	.p2align	6, 0x0
	.amdhsa_kernel _ZN7rocprim17ROCPRIM_400000_NS6detail17trampoline_kernelINS0_14default_configENS1_25partition_config_selectorILNS1_17partition_subalgoE6ExNS0_10empty_typeEbEEZZNS1_14partition_implILS5_6ELb0ES3_mN6thrust23THRUST_200600_302600_NS6detail15normal_iteratorINSA_10device_ptrIxEEEEPS6_SG_NS0_5tupleIJSF_S6_EEENSH_IJSG_SG_EEES6_PlJ5mod_3IxEEEE10hipError_tPvRmT3_T4_T5_T6_T7_T9_mT8_P12ihipStream_tbDpT10_ENKUlT_T0_E_clISt17integral_constantIbLb0EES16_EEDaS11_S12_EUlS11_E_NS1_11comp_targetILNS1_3genE4ELNS1_11target_archE910ELNS1_3gpuE8ELNS1_3repE0EEENS1_30default_config_static_selectorELNS0_4arch9wavefront6targetE0EEEvT1_
		.amdhsa_group_segment_fixed_size 0
		.amdhsa_private_segment_fixed_size 0
		.amdhsa_kernarg_size 112
		.amdhsa_user_sgpr_count 15
		.amdhsa_user_sgpr_dispatch_ptr 0
		.amdhsa_user_sgpr_queue_ptr 0
		.amdhsa_user_sgpr_kernarg_segment_ptr 1
		.amdhsa_user_sgpr_dispatch_id 0
		.amdhsa_user_sgpr_private_segment_size 0
		.amdhsa_wavefront_size32 1
		.amdhsa_uses_dynamic_stack 0
		.amdhsa_enable_private_segment 0
		.amdhsa_system_sgpr_workgroup_id_x 1
		.amdhsa_system_sgpr_workgroup_id_y 0
		.amdhsa_system_sgpr_workgroup_id_z 0
		.amdhsa_system_sgpr_workgroup_info 0
		.amdhsa_system_vgpr_workitem_id 0
		.amdhsa_next_free_vgpr 1
		.amdhsa_next_free_sgpr 1
		.amdhsa_reserve_vcc 0
		.amdhsa_float_round_mode_32 0
		.amdhsa_float_round_mode_16_64 0
		.amdhsa_float_denorm_mode_32 3
		.amdhsa_float_denorm_mode_16_64 3
		.amdhsa_dx10_clamp 1
		.amdhsa_ieee_mode 1
		.amdhsa_fp16_overflow 0
		.amdhsa_workgroup_processor_mode 1
		.amdhsa_memory_ordered 1
		.amdhsa_forward_progress 0
		.amdhsa_shared_vgpr_count 0
		.amdhsa_exception_fp_ieee_invalid_op 0
		.amdhsa_exception_fp_denorm_src 0
		.amdhsa_exception_fp_ieee_div_zero 0
		.amdhsa_exception_fp_ieee_overflow 0
		.amdhsa_exception_fp_ieee_underflow 0
		.amdhsa_exception_fp_ieee_inexact 0
		.amdhsa_exception_int_div_zero 0
	.end_amdhsa_kernel
	.section	.text._ZN7rocprim17ROCPRIM_400000_NS6detail17trampoline_kernelINS0_14default_configENS1_25partition_config_selectorILNS1_17partition_subalgoE6ExNS0_10empty_typeEbEEZZNS1_14partition_implILS5_6ELb0ES3_mN6thrust23THRUST_200600_302600_NS6detail15normal_iteratorINSA_10device_ptrIxEEEEPS6_SG_NS0_5tupleIJSF_S6_EEENSH_IJSG_SG_EEES6_PlJ5mod_3IxEEEE10hipError_tPvRmT3_T4_T5_T6_T7_T9_mT8_P12ihipStream_tbDpT10_ENKUlT_T0_E_clISt17integral_constantIbLb0EES16_EEDaS11_S12_EUlS11_E_NS1_11comp_targetILNS1_3genE4ELNS1_11target_archE910ELNS1_3gpuE8ELNS1_3repE0EEENS1_30default_config_static_selectorELNS0_4arch9wavefront6targetE0EEEvT1_,"axG",@progbits,_ZN7rocprim17ROCPRIM_400000_NS6detail17trampoline_kernelINS0_14default_configENS1_25partition_config_selectorILNS1_17partition_subalgoE6ExNS0_10empty_typeEbEEZZNS1_14partition_implILS5_6ELb0ES3_mN6thrust23THRUST_200600_302600_NS6detail15normal_iteratorINSA_10device_ptrIxEEEEPS6_SG_NS0_5tupleIJSF_S6_EEENSH_IJSG_SG_EEES6_PlJ5mod_3IxEEEE10hipError_tPvRmT3_T4_T5_T6_T7_T9_mT8_P12ihipStream_tbDpT10_ENKUlT_T0_E_clISt17integral_constantIbLb0EES16_EEDaS11_S12_EUlS11_E_NS1_11comp_targetILNS1_3genE4ELNS1_11target_archE910ELNS1_3gpuE8ELNS1_3repE0EEENS1_30default_config_static_selectorELNS0_4arch9wavefront6targetE0EEEvT1_,comdat
.Lfunc_end554:
	.size	_ZN7rocprim17ROCPRIM_400000_NS6detail17trampoline_kernelINS0_14default_configENS1_25partition_config_selectorILNS1_17partition_subalgoE6ExNS0_10empty_typeEbEEZZNS1_14partition_implILS5_6ELb0ES3_mN6thrust23THRUST_200600_302600_NS6detail15normal_iteratorINSA_10device_ptrIxEEEEPS6_SG_NS0_5tupleIJSF_S6_EEENSH_IJSG_SG_EEES6_PlJ5mod_3IxEEEE10hipError_tPvRmT3_T4_T5_T6_T7_T9_mT8_P12ihipStream_tbDpT10_ENKUlT_T0_E_clISt17integral_constantIbLb0EES16_EEDaS11_S12_EUlS11_E_NS1_11comp_targetILNS1_3genE4ELNS1_11target_archE910ELNS1_3gpuE8ELNS1_3repE0EEENS1_30default_config_static_selectorELNS0_4arch9wavefront6targetE0EEEvT1_, .Lfunc_end554-_ZN7rocprim17ROCPRIM_400000_NS6detail17trampoline_kernelINS0_14default_configENS1_25partition_config_selectorILNS1_17partition_subalgoE6ExNS0_10empty_typeEbEEZZNS1_14partition_implILS5_6ELb0ES3_mN6thrust23THRUST_200600_302600_NS6detail15normal_iteratorINSA_10device_ptrIxEEEEPS6_SG_NS0_5tupleIJSF_S6_EEENSH_IJSG_SG_EEES6_PlJ5mod_3IxEEEE10hipError_tPvRmT3_T4_T5_T6_T7_T9_mT8_P12ihipStream_tbDpT10_ENKUlT_T0_E_clISt17integral_constantIbLb0EES16_EEDaS11_S12_EUlS11_E_NS1_11comp_targetILNS1_3genE4ELNS1_11target_archE910ELNS1_3gpuE8ELNS1_3repE0EEENS1_30default_config_static_selectorELNS0_4arch9wavefront6targetE0EEEvT1_
                                        ; -- End function
	.section	.AMDGPU.csdata,"",@progbits
; Kernel info:
; codeLenInByte = 0
; NumSgprs: 0
; NumVgprs: 0
; ScratchSize: 0
; MemoryBound: 0
; FloatMode: 240
; IeeeMode: 1
; LDSByteSize: 0 bytes/workgroup (compile time only)
; SGPRBlocks: 0
; VGPRBlocks: 0
; NumSGPRsForWavesPerEU: 1
; NumVGPRsForWavesPerEU: 1
; Occupancy: 16
; WaveLimiterHint : 0
; COMPUTE_PGM_RSRC2:SCRATCH_EN: 0
; COMPUTE_PGM_RSRC2:USER_SGPR: 15
; COMPUTE_PGM_RSRC2:TRAP_HANDLER: 0
; COMPUTE_PGM_RSRC2:TGID_X_EN: 1
; COMPUTE_PGM_RSRC2:TGID_Y_EN: 0
; COMPUTE_PGM_RSRC2:TGID_Z_EN: 0
; COMPUTE_PGM_RSRC2:TIDIG_COMP_CNT: 0
	.section	.text._ZN7rocprim17ROCPRIM_400000_NS6detail17trampoline_kernelINS0_14default_configENS1_25partition_config_selectorILNS1_17partition_subalgoE6ExNS0_10empty_typeEbEEZZNS1_14partition_implILS5_6ELb0ES3_mN6thrust23THRUST_200600_302600_NS6detail15normal_iteratorINSA_10device_ptrIxEEEEPS6_SG_NS0_5tupleIJSF_S6_EEENSH_IJSG_SG_EEES6_PlJ5mod_3IxEEEE10hipError_tPvRmT3_T4_T5_T6_T7_T9_mT8_P12ihipStream_tbDpT10_ENKUlT_T0_E_clISt17integral_constantIbLb0EES16_EEDaS11_S12_EUlS11_E_NS1_11comp_targetILNS1_3genE3ELNS1_11target_archE908ELNS1_3gpuE7ELNS1_3repE0EEENS1_30default_config_static_selectorELNS0_4arch9wavefront6targetE0EEEvT1_,"axG",@progbits,_ZN7rocprim17ROCPRIM_400000_NS6detail17trampoline_kernelINS0_14default_configENS1_25partition_config_selectorILNS1_17partition_subalgoE6ExNS0_10empty_typeEbEEZZNS1_14partition_implILS5_6ELb0ES3_mN6thrust23THRUST_200600_302600_NS6detail15normal_iteratorINSA_10device_ptrIxEEEEPS6_SG_NS0_5tupleIJSF_S6_EEENSH_IJSG_SG_EEES6_PlJ5mod_3IxEEEE10hipError_tPvRmT3_T4_T5_T6_T7_T9_mT8_P12ihipStream_tbDpT10_ENKUlT_T0_E_clISt17integral_constantIbLb0EES16_EEDaS11_S12_EUlS11_E_NS1_11comp_targetILNS1_3genE3ELNS1_11target_archE908ELNS1_3gpuE7ELNS1_3repE0EEENS1_30default_config_static_selectorELNS0_4arch9wavefront6targetE0EEEvT1_,comdat
	.protected	_ZN7rocprim17ROCPRIM_400000_NS6detail17trampoline_kernelINS0_14default_configENS1_25partition_config_selectorILNS1_17partition_subalgoE6ExNS0_10empty_typeEbEEZZNS1_14partition_implILS5_6ELb0ES3_mN6thrust23THRUST_200600_302600_NS6detail15normal_iteratorINSA_10device_ptrIxEEEEPS6_SG_NS0_5tupleIJSF_S6_EEENSH_IJSG_SG_EEES6_PlJ5mod_3IxEEEE10hipError_tPvRmT3_T4_T5_T6_T7_T9_mT8_P12ihipStream_tbDpT10_ENKUlT_T0_E_clISt17integral_constantIbLb0EES16_EEDaS11_S12_EUlS11_E_NS1_11comp_targetILNS1_3genE3ELNS1_11target_archE908ELNS1_3gpuE7ELNS1_3repE0EEENS1_30default_config_static_selectorELNS0_4arch9wavefront6targetE0EEEvT1_ ; -- Begin function _ZN7rocprim17ROCPRIM_400000_NS6detail17trampoline_kernelINS0_14default_configENS1_25partition_config_selectorILNS1_17partition_subalgoE6ExNS0_10empty_typeEbEEZZNS1_14partition_implILS5_6ELb0ES3_mN6thrust23THRUST_200600_302600_NS6detail15normal_iteratorINSA_10device_ptrIxEEEEPS6_SG_NS0_5tupleIJSF_S6_EEENSH_IJSG_SG_EEES6_PlJ5mod_3IxEEEE10hipError_tPvRmT3_T4_T5_T6_T7_T9_mT8_P12ihipStream_tbDpT10_ENKUlT_T0_E_clISt17integral_constantIbLb0EES16_EEDaS11_S12_EUlS11_E_NS1_11comp_targetILNS1_3genE3ELNS1_11target_archE908ELNS1_3gpuE7ELNS1_3repE0EEENS1_30default_config_static_selectorELNS0_4arch9wavefront6targetE0EEEvT1_
	.globl	_ZN7rocprim17ROCPRIM_400000_NS6detail17trampoline_kernelINS0_14default_configENS1_25partition_config_selectorILNS1_17partition_subalgoE6ExNS0_10empty_typeEbEEZZNS1_14partition_implILS5_6ELb0ES3_mN6thrust23THRUST_200600_302600_NS6detail15normal_iteratorINSA_10device_ptrIxEEEEPS6_SG_NS0_5tupleIJSF_S6_EEENSH_IJSG_SG_EEES6_PlJ5mod_3IxEEEE10hipError_tPvRmT3_T4_T5_T6_T7_T9_mT8_P12ihipStream_tbDpT10_ENKUlT_T0_E_clISt17integral_constantIbLb0EES16_EEDaS11_S12_EUlS11_E_NS1_11comp_targetILNS1_3genE3ELNS1_11target_archE908ELNS1_3gpuE7ELNS1_3repE0EEENS1_30default_config_static_selectorELNS0_4arch9wavefront6targetE0EEEvT1_
	.p2align	8
	.type	_ZN7rocprim17ROCPRIM_400000_NS6detail17trampoline_kernelINS0_14default_configENS1_25partition_config_selectorILNS1_17partition_subalgoE6ExNS0_10empty_typeEbEEZZNS1_14partition_implILS5_6ELb0ES3_mN6thrust23THRUST_200600_302600_NS6detail15normal_iteratorINSA_10device_ptrIxEEEEPS6_SG_NS0_5tupleIJSF_S6_EEENSH_IJSG_SG_EEES6_PlJ5mod_3IxEEEE10hipError_tPvRmT3_T4_T5_T6_T7_T9_mT8_P12ihipStream_tbDpT10_ENKUlT_T0_E_clISt17integral_constantIbLb0EES16_EEDaS11_S12_EUlS11_E_NS1_11comp_targetILNS1_3genE3ELNS1_11target_archE908ELNS1_3gpuE7ELNS1_3repE0EEENS1_30default_config_static_selectorELNS0_4arch9wavefront6targetE0EEEvT1_,@function
_ZN7rocprim17ROCPRIM_400000_NS6detail17trampoline_kernelINS0_14default_configENS1_25partition_config_selectorILNS1_17partition_subalgoE6ExNS0_10empty_typeEbEEZZNS1_14partition_implILS5_6ELb0ES3_mN6thrust23THRUST_200600_302600_NS6detail15normal_iteratorINSA_10device_ptrIxEEEEPS6_SG_NS0_5tupleIJSF_S6_EEENSH_IJSG_SG_EEES6_PlJ5mod_3IxEEEE10hipError_tPvRmT3_T4_T5_T6_T7_T9_mT8_P12ihipStream_tbDpT10_ENKUlT_T0_E_clISt17integral_constantIbLb0EES16_EEDaS11_S12_EUlS11_E_NS1_11comp_targetILNS1_3genE3ELNS1_11target_archE908ELNS1_3gpuE7ELNS1_3repE0EEENS1_30default_config_static_selectorELNS0_4arch9wavefront6targetE0EEEvT1_: ; @_ZN7rocprim17ROCPRIM_400000_NS6detail17trampoline_kernelINS0_14default_configENS1_25partition_config_selectorILNS1_17partition_subalgoE6ExNS0_10empty_typeEbEEZZNS1_14partition_implILS5_6ELb0ES3_mN6thrust23THRUST_200600_302600_NS6detail15normal_iteratorINSA_10device_ptrIxEEEEPS6_SG_NS0_5tupleIJSF_S6_EEENSH_IJSG_SG_EEES6_PlJ5mod_3IxEEEE10hipError_tPvRmT3_T4_T5_T6_T7_T9_mT8_P12ihipStream_tbDpT10_ENKUlT_T0_E_clISt17integral_constantIbLb0EES16_EEDaS11_S12_EUlS11_E_NS1_11comp_targetILNS1_3genE3ELNS1_11target_archE908ELNS1_3gpuE7ELNS1_3repE0EEENS1_30default_config_static_selectorELNS0_4arch9wavefront6targetE0EEEvT1_
; %bb.0:
	.section	.rodata,"a",@progbits
	.p2align	6, 0x0
	.amdhsa_kernel _ZN7rocprim17ROCPRIM_400000_NS6detail17trampoline_kernelINS0_14default_configENS1_25partition_config_selectorILNS1_17partition_subalgoE6ExNS0_10empty_typeEbEEZZNS1_14partition_implILS5_6ELb0ES3_mN6thrust23THRUST_200600_302600_NS6detail15normal_iteratorINSA_10device_ptrIxEEEEPS6_SG_NS0_5tupleIJSF_S6_EEENSH_IJSG_SG_EEES6_PlJ5mod_3IxEEEE10hipError_tPvRmT3_T4_T5_T6_T7_T9_mT8_P12ihipStream_tbDpT10_ENKUlT_T0_E_clISt17integral_constantIbLb0EES16_EEDaS11_S12_EUlS11_E_NS1_11comp_targetILNS1_3genE3ELNS1_11target_archE908ELNS1_3gpuE7ELNS1_3repE0EEENS1_30default_config_static_selectorELNS0_4arch9wavefront6targetE0EEEvT1_
		.amdhsa_group_segment_fixed_size 0
		.amdhsa_private_segment_fixed_size 0
		.amdhsa_kernarg_size 112
		.amdhsa_user_sgpr_count 15
		.amdhsa_user_sgpr_dispatch_ptr 0
		.amdhsa_user_sgpr_queue_ptr 0
		.amdhsa_user_sgpr_kernarg_segment_ptr 1
		.amdhsa_user_sgpr_dispatch_id 0
		.amdhsa_user_sgpr_private_segment_size 0
		.amdhsa_wavefront_size32 1
		.amdhsa_uses_dynamic_stack 0
		.amdhsa_enable_private_segment 0
		.amdhsa_system_sgpr_workgroup_id_x 1
		.amdhsa_system_sgpr_workgroup_id_y 0
		.amdhsa_system_sgpr_workgroup_id_z 0
		.amdhsa_system_sgpr_workgroup_info 0
		.amdhsa_system_vgpr_workitem_id 0
		.amdhsa_next_free_vgpr 1
		.amdhsa_next_free_sgpr 1
		.amdhsa_reserve_vcc 0
		.amdhsa_float_round_mode_32 0
		.amdhsa_float_round_mode_16_64 0
		.amdhsa_float_denorm_mode_32 3
		.amdhsa_float_denorm_mode_16_64 3
		.amdhsa_dx10_clamp 1
		.amdhsa_ieee_mode 1
		.amdhsa_fp16_overflow 0
		.amdhsa_workgroup_processor_mode 1
		.amdhsa_memory_ordered 1
		.amdhsa_forward_progress 0
		.amdhsa_shared_vgpr_count 0
		.amdhsa_exception_fp_ieee_invalid_op 0
		.amdhsa_exception_fp_denorm_src 0
		.amdhsa_exception_fp_ieee_div_zero 0
		.amdhsa_exception_fp_ieee_overflow 0
		.amdhsa_exception_fp_ieee_underflow 0
		.amdhsa_exception_fp_ieee_inexact 0
		.amdhsa_exception_int_div_zero 0
	.end_amdhsa_kernel
	.section	.text._ZN7rocprim17ROCPRIM_400000_NS6detail17trampoline_kernelINS0_14default_configENS1_25partition_config_selectorILNS1_17partition_subalgoE6ExNS0_10empty_typeEbEEZZNS1_14partition_implILS5_6ELb0ES3_mN6thrust23THRUST_200600_302600_NS6detail15normal_iteratorINSA_10device_ptrIxEEEEPS6_SG_NS0_5tupleIJSF_S6_EEENSH_IJSG_SG_EEES6_PlJ5mod_3IxEEEE10hipError_tPvRmT3_T4_T5_T6_T7_T9_mT8_P12ihipStream_tbDpT10_ENKUlT_T0_E_clISt17integral_constantIbLb0EES16_EEDaS11_S12_EUlS11_E_NS1_11comp_targetILNS1_3genE3ELNS1_11target_archE908ELNS1_3gpuE7ELNS1_3repE0EEENS1_30default_config_static_selectorELNS0_4arch9wavefront6targetE0EEEvT1_,"axG",@progbits,_ZN7rocprim17ROCPRIM_400000_NS6detail17trampoline_kernelINS0_14default_configENS1_25partition_config_selectorILNS1_17partition_subalgoE6ExNS0_10empty_typeEbEEZZNS1_14partition_implILS5_6ELb0ES3_mN6thrust23THRUST_200600_302600_NS6detail15normal_iteratorINSA_10device_ptrIxEEEEPS6_SG_NS0_5tupleIJSF_S6_EEENSH_IJSG_SG_EEES6_PlJ5mod_3IxEEEE10hipError_tPvRmT3_T4_T5_T6_T7_T9_mT8_P12ihipStream_tbDpT10_ENKUlT_T0_E_clISt17integral_constantIbLb0EES16_EEDaS11_S12_EUlS11_E_NS1_11comp_targetILNS1_3genE3ELNS1_11target_archE908ELNS1_3gpuE7ELNS1_3repE0EEENS1_30default_config_static_selectorELNS0_4arch9wavefront6targetE0EEEvT1_,comdat
.Lfunc_end555:
	.size	_ZN7rocprim17ROCPRIM_400000_NS6detail17trampoline_kernelINS0_14default_configENS1_25partition_config_selectorILNS1_17partition_subalgoE6ExNS0_10empty_typeEbEEZZNS1_14partition_implILS5_6ELb0ES3_mN6thrust23THRUST_200600_302600_NS6detail15normal_iteratorINSA_10device_ptrIxEEEEPS6_SG_NS0_5tupleIJSF_S6_EEENSH_IJSG_SG_EEES6_PlJ5mod_3IxEEEE10hipError_tPvRmT3_T4_T5_T6_T7_T9_mT8_P12ihipStream_tbDpT10_ENKUlT_T0_E_clISt17integral_constantIbLb0EES16_EEDaS11_S12_EUlS11_E_NS1_11comp_targetILNS1_3genE3ELNS1_11target_archE908ELNS1_3gpuE7ELNS1_3repE0EEENS1_30default_config_static_selectorELNS0_4arch9wavefront6targetE0EEEvT1_, .Lfunc_end555-_ZN7rocprim17ROCPRIM_400000_NS6detail17trampoline_kernelINS0_14default_configENS1_25partition_config_selectorILNS1_17partition_subalgoE6ExNS0_10empty_typeEbEEZZNS1_14partition_implILS5_6ELb0ES3_mN6thrust23THRUST_200600_302600_NS6detail15normal_iteratorINSA_10device_ptrIxEEEEPS6_SG_NS0_5tupleIJSF_S6_EEENSH_IJSG_SG_EEES6_PlJ5mod_3IxEEEE10hipError_tPvRmT3_T4_T5_T6_T7_T9_mT8_P12ihipStream_tbDpT10_ENKUlT_T0_E_clISt17integral_constantIbLb0EES16_EEDaS11_S12_EUlS11_E_NS1_11comp_targetILNS1_3genE3ELNS1_11target_archE908ELNS1_3gpuE7ELNS1_3repE0EEENS1_30default_config_static_selectorELNS0_4arch9wavefront6targetE0EEEvT1_
                                        ; -- End function
	.section	.AMDGPU.csdata,"",@progbits
; Kernel info:
; codeLenInByte = 0
; NumSgprs: 0
; NumVgprs: 0
; ScratchSize: 0
; MemoryBound: 0
; FloatMode: 240
; IeeeMode: 1
; LDSByteSize: 0 bytes/workgroup (compile time only)
; SGPRBlocks: 0
; VGPRBlocks: 0
; NumSGPRsForWavesPerEU: 1
; NumVGPRsForWavesPerEU: 1
; Occupancy: 16
; WaveLimiterHint : 0
; COMPUTE_PGM_RSRC2:SCRATCH_EN: 0
; COMPUTE_PGM_RSRC2:USER_SGPR: 15
; COMPUTE_PGM_RSRC2:TRAP_HANDLER: 0
; COMPUTE_PGM_RSRC2:TGID_X_EN: 1
; COMPUTE_PGM_RSRC2:TGID_Y_EN: 0
; COMPUTE_PGM_RSRC2:TGID_Z_EN: 0
; COMPUTE_PGM_RSRC2:TIDIG_COMP_CNT: 0
	.section	.text._ZN7rocprim17ROCPRIM_400000_NS6detail17trampoline_kernelINS0_14default_configENS1_25partition_config_selectorILNS1_17partition_subalgoE6ExNS0_10empty_typeEbEEZZNS1_14partition_implILS5_6ELb0ES3_mN6thrust23THRUST_200600_302600_NS6detail15normal_iteratorINSA_10device_ptrIxEEEEPS6_SG_NS0_5tupleIJSF_S6_EEENSH_IJSG_SG_EEES6_PlJ5mod_3IxEEEE10hipError_tPvRmT3_T4_T5_T6_T7_T9_mT8_P12ihipStream_tbDpT10_ENKUlT_T0_E_clISt17integral_constantIbLb0EES16_EEDaS11_S12_EUlS11_E_NS1_11comp_targetILNS1_3genE2ELNS1_11target_archE906ELNS1_3gpuE6ELNS1_3repE0EEENS1_30default_config_static_selectorELNS0_4arch9wavefront6targetE0EEEvT1_,"axG",@progbits,_ZN7rocprim17ROCPRIM_400000_NS6detail17trampoline_kernelINS0_14default_configENS1_25partition_config_selectorILNS1_17partition_subalgoE6ExNS0_10empty_typeEbEEZZNS1_14partition_implILS5_6ELb0ES3_mN6thrust23THRUST_200600_302600_NS6detail15normal_iteratorINSA_10device_ptrIxEEEEPS6_SG_NS0_5tupleIJSF_S6_EEENSH_IJSG_SG_EEES6_PlJ5mod_3IxEEEE10hipError_tPvRmT3_T4_T5_T6_T7_T9_mT8_P12ihipStream_tbDpT10_ENKUlT_T0_E_clISt17integral_constantIbLb0EES16_EEDaS11_S12_EUlS11_E_NS1_11comp_targetILNS1_3genE2ELNS1_11target_archE906ELNS1_3gpuE6ELNS1_3repE0EEENS1_30default_config_static_selectorELNS0_4arch9wavefront6targetE0EEEvT1_,comdat
	.protected	_ZN7rocprim17ROCPRIM_400000_NS6detail17trampoline_kernelINS0_14default_configENS1_25partition_config_selectorILNS1_17partition_subalgoE6ExNS0_10empty_typeEbEEZZNS1_14partition_implILS5_6ELb0ES3_mN6thrust23THRUST_200600_302600_NS6detail15normal_iteratorINSA_10device_ptrIxEEEEPS6_SG_NS0_5tupleIJSF_S6_EEENSH_IJSG_SG_EEES6_PlJ5mod_3IxEEEE10hipError_tPvRmT3_T4_T5_T6_T7_T9_mT8_P12ihipStream_tbDpT10_ENKUlT_T0_E_clISt17integral_constantIbLb0EES16_EEDaS11_S12_EUlS11_E_NS1_11comp_targetILNS1_3genE2ELNS1_11target_archE906ELNS1_3gpuE6ELNS1_3repE0EEENS1_30default_config_static_selectorELNS0_4arch9wavefront6targetE0EEEvT1_ ; -- Begin function _ZN7rocprim17ROCPRIM_400000_NS6detail17trampoline_kernelINS0_14default_configENS1_25partition_config_selectorILNS1_17partition_subalgoE6ExNS0_10empty_typeEbEEZZNS1_14partition_implILS5_6ELb0ES3_mN6thrust23THRUST_200600_302600_NS6detail15normal_iteratorINSA_10device_ptrIxEEEEPS6_SG_NS0_5tupleIJSF_S6_EEENSH_IJSG_SG_EEES6_PlJ5mod_3IxEEEE10hipError_tPvRmT3_T4_T5_T6_T7_T9_mT8_P12ihipStream_tbDpT10_ENKUlT_T0_E_clISt17integral_constantIbLb0EES16_EEDaS11_S12_EUlS11_E_NS1_11comp_targetILNS1_3genE2ELNS1_11target_archE906ELNS1_3gpuE6ELNS1_3repE0EEENS1_30default_config_static_selectorELNS0_4arch9wavefront6targetE0EEEvT1_
	.globl	_ZN7rocprim17ROCPRIM_400000_NS6detail17trampoline_kernelINS0_14default_configENS1_25partition_config_selectorILNS1_17partition_subalgoE6ExNS0_10empty_typeEbEEZZNS1_14partition_implILS5_6ELb0ES3_mN6thrust23THRUST_200600_302600_NS6detail15normal_iteratorINSA_10device_ptrIxEEEEPS6_SG_NS0_5tupleIJSF_S6_EEENSH_IJSG_SG_EEES6_PlJ5mod_3IxEEEE10hipError_tPvRmT3_T4_T5_T6_T7_T9_mT8_P12ihipStream_tbDpT10_ENKUlT_T0_E_clISt17integral_constantIbLb0EES16_EEDaS11_S12_EUlS11_E_NS1_11comp_targetILNS1_3genE2ELNS1_11target_archE906ELNS1_3gpuE6ELNS1_3repE0EEENS1_30default_config_static_selectorELNS0_4arch9wavefront6targetE0EEEvT1_
	.p2align	8
	.type	_ZN7rocprim17ROCPRIM_400000_NS6detail17trampoline_kernelINS0_14default_configENS1_25partition_config_selectorILNS1_17partition_subalgoE6ExNS0_10empty_typeEbEEZZNS1_14partition_implILS5_6ELb0ES3_mN6thrust23THRUST_200600_302600_NS6detail15normal_iteratorINSA_10device_ptrIxEEEEPS6_SG_NS0_5tupleIJSF_S6_EEENSH_IJSG_SG_EEES6_PlJ5mod_3IxEEEE10hipError_tPvRmT3_T4_T5_T6_T7_T9_mT8_P12ihipStream_tbDpT10_ENKUlT_T0_E_clISt17integral_constantIbLb0EES16_EEDaS11_S12_EUlS11_E_NS1_11comp_targetILNS1_3genE2ELNS1_11target_archE906ELNS1_3gpuE6ELNS1_3repE0EEENS1_30default_config_static_selectorELNS0_4arch9wavefront6targetE0EEEvT1_,@function
_ZN7rocprim17ROCPRIM_400000_NS6detail17trampoline_kernelINS0_14default_configENS1_25partition_config_selectorILNS1_17partition_subalgoE6ExNS0_10empty_typeEbEEZZNS1_14partition_implILS5_6ELb0ES3_mN6thrust23THRUST_200600_302600_NS6detail15normal_iteratorINSA_10device_ptrIxEEEEPS6_SG_NS0_5tupleIJSF_S6_EEENSH_IJSG_SG_EEES6_PlJ5mod_3IxEEEE10hipError_tPvRmT3_T4_T5_T6_T7_T9_mT8_P12ihipStream_tbDpT10_ENKUlT_T0_E_clISt17integral_constantIbLb0EES16_EEDaS11_S12_EUlS11_E_NS1_11comp_targetILNS1_3genE2ELNS1_11target_archE906ELNS1_3gpuE6ELNS1_3repE0EEENS1_30default_config_static_selectorELNS0_4arch9wavefront6targetE0EEEvT1_: ; @_ZN7rocprim17ROCPRIM_400000_NS6detail17trampoline_kernelINS0_14default_configENS1_25partition_config_selectorILNS1_17partition_subalgoE6ExNS0_10empty_typeEbEEZZNS1_14partition_implILS5_6ELb0ES3_mN6thrust23THRUST_200600_302600_NS6detail15normal_iteratorINSA_10device_ptrIxEEEEPS6_SG_NS0_5tupleIJSF_S6_EEENSH_IJSG_SG_EEES6_PlJ5mod_3IxEEEE10hipError_tPvRmT3_T4_T5_T6_T7_T9_mT8_P12ihipStream_tbDpT10_ENKUlT_T0_E_clISt17integral_constantIbLb0EES16_EEDaS11_S12_EUlS11_E_NS1_11comp_targetILNS1_3genE2ELNS1_11target_archE906ELNS1_3gpuE6ELNS1_3repE0EEENS1_30default_config_static_selectorELNS0_4arch9wavefront6targetE0EEEvT1_
; %bb.0:
	.section	.rodata,"a",@progbits
	.p2align	6, 0x0
	.amdhsa_kernel _ZN7rocprim17ROCPRIM_400000_NS6detail17trampoline_kernelINS0_14default_configENS1_25partition_config_selectorILNS1_17partition_subalgoE6ExNS0_10empty_typeEbEEZZNS1_14partition_implILS5_6ELb0ES3_mN6thrust23THRUST_200600_302600_NS6detail15normal_iteratorINSA_10device_ptrIxEEEEPS6_SG_NS0_5tupleIJSF_S6_EEENSH_IJSG_SG_EEES6_PlJ5mod_3IxEEEE10hipError_tPvRmT3_T4_T5_T6_T7_T9_mT8_P12ihipStream_tbDpT10_ENKUlT_T0_E_clISt17integral_constantIbLb0EES16_EEDaS11_S12_EUlS11_E_NS1_11comp_targetILNS1_3genE2ELNS1_11target_archE906ELNS1_3gpuE6ELNS1_3repE0EEENS1_30default_config_static_selectorELNS0_4arch9wavefront6targetE0EEEvT1_
		.amdhsa_group_segment_fixed_size 0
		.amdhsa_private_segment_fixed_size 0
		.amdhsa_kernarg_size 112
		.amdhsa_user_sgpr_count 15
		.amdhsa_user_sgpr_dispatch_ptr 0
		.amdhsa_user_sgpr_queue_ptr 0
		.amdhsa_user_sgpr_kernarg_segment_ptr 1
		.amdhsa_user_sgpr_dispatch_id 0
		.amdhsa_user_sgpr_private_segment_size 0
		.amdhsa_wavefront_size32 1
		.amdhsa_uses_dynamic_stack 0
		.amdhsa_enable_private_segment 0
		.amdhsa_system_sgpr_workgroup_id_x 1
		.amdhsa_system_sgpr_workgroup_id_y 0
		.amdhsa_system_sgpr_workgroup_id_z 0
		.amdhsa_system_sgpr_workgroup_info 0
		.amdhsa_system_vgpr_workitem_id 0
		.amdhsa_next_free_vgpr 1
		.amdhsa_next_free_sgpr 1
		.amdhsa_reserve_vcc 0
		.amdhsa_float_round_mode_32 0
		.amdhsa_float_round_mode_16_64 0
		.amdhsa_float_denorm_mode_32 3
		.amdhsa_float_denorm_mode_16_64 3
		.amdhsa_dx10_clamp 1
		.amdhsa_ieee_mode 1
		.amdhsa_fp16_overflow 0
		.amdhsa_workgroup_processor_mode 1
		.amdhsa_memory_ordered 1
		.amdhsa_forward_progress 0
		.amdhsa_shared_vgpr_count 0
		.amdhsa_exception_fp_ieee_invalid_op 0
		.amdhsa_exception_fp_denorm_src 0
		.amdhsa_exception_fp_ieee_div_zero 0
		.amdhsa_exception_fp_ieee_overflow 0
		.amdhsa_exception_fp_ieee_underflow 0
		.amdhsa_exception_fp_ieee_inexact 0
		.amdhsa_exception_int_div_zero 0
	.end_amdhsa_kernel
	.section	.text._ZN7rocprim17ROCPRIM_400000_NS6detail17trampoline_kernelINS0_14default_configENS1_25partition_config_selectorILNS1_17partition_subalgoE6ExNS0_10empty_typeEbEEZZNS1_14partition_implILS5_6ELb0ES3_mN6thrust23THRUST_200600_302600_NS6detail15normal_iteratorINSA_10device_ptrIxEEEEPS6_SG_NS0_5tupleIJSF_S6_EEENSH_IJSG_SG_EEES6_PlJ5mod_3IxEEEE10hipError_tPvRmT3_T4_T5_T6_T7_T9_mT8_P12ihipStream_tbDpT10_ENKUlT_T0_E_clISt17integral_constantIbLb0EES16_EEDaS11_S12_EUlS11_E_NS1_11comp_targetILNS1_3genE2ELNS1_11target_archE906ELNS1_3gpuE6ELNS1_3repE0EEENS1_30default_config_static_selectorELNS0_4arch9wavefront6targetE0EEEvT1_,"axG",@progbits,_ZN7rocprim17ROCPRIM_400000_NS6detail17trampoline_kernelINS0_14default_configENS1_25partition_config_selectorILNS1_17partition_subalgoE6ExNS0_10empty_typeEbEEZZNS1_14partition_implILS5_6ELb0ES3_mN6thrust23THRUST_200600_302600_NS6detail15normal_iteratorINSA_10device_ptrIxEEEEPS6_SG_NS0_5tupleIJSF_S6_EEENSH_IJSG_SG_EEES6_PlJ5mod_3IxEEEE10hipError_tPvRmT3_T4_T5_T6_T7_T9_mT8_P12ihipStream_tbDpT10_ENKUlT_T0_E_clISt17integral_constantIbLb0EES16_EEDaS11_S12_EUlS11_E_NS1_11comp_targetILNS1_3genE2ELNS1_11target_archE906ELNS1_3gpuE6ELNS1_3repE0EEENS1_30default_config_static_selectorELNS0_4arch9wavefront6targetE0EEEvT1_,comdat
.Lfunc_end556:
	.size	_ZN7rocprim17ROCPRIM_400000_NS6detail17trampoline_kernelINS0_14default_configENS1_25partition_config_selectorILNS1_17partition_subalgoE6ExNS0_10empty_typeEbEEZZNS1_14partition_implILS5_6ELb0ES3_mN6thrust23THRUST_200600_302600_NS6detail15normal_iteratorINSA_10device_ptrIxEEEEPS6_SG_NS0_5tupleIJSF_S6_EEENSH_IJSG_SG_EEES6_PlJ5mod_3IxEEEE10hipError_tPvRmT3_T4_T5_T6_T7_T9_mT8_P12ihipStream_tbDpT10_ENKUlT_T0_E_clISt17integral_constantIbLb0EES16_EEDaS11_S12_EUlS11_E_NS1_11comp_targetILNS1_3genE2ELNS1_11target_archE906ELNS1_3gpuE6ELNS1_3repE0EEENS1_30default_config_static_selectorELNS0_4arch9wavefront6targetE0EEEvT1_, .Lfunc_end556-_ZN7rocprim17ROCPRIM_400000_NS6detail17trampoline_kernelINS0_14default_configENS1_25partition_config_selectorILNS1_17partition_subalgoE6ExNS0_10empty_typeEbEEZZNS1_14partition_implILS5_6ELb0ES3_mN6thrust23THRUST_200600_302600_NS6detail15normal_iteratorINSA_10device_ptrIxEEEEPS6_SG_NS0_5tupleIJSF_S6_EEENSH_IJSG_SG_EEES6_PlJ5mod_3IxEEEE10hipError_tPvRmT3_T4_T5_T6_T7_T9_mT8_P12ihipStream_tbDpT10_ENKUlT_T0_E_clISt17integral_constantIbLb0EES16_EEDaS11_S12_EUlS11_E_NS1_11comp_targetILNS1_3genE2ELNS1_11target_archE906ELNS1_3gpuE6ELNS1_3repE0EEENS1_30default_config_static_selectorELNS0_4arch9wavefront6targetE0EEEvT1_
                                        ; -- End function
	.section	.AMDGPU.csdata,"",@progbits
; Kernel info:
; codeLenInByte = 0
; NumSgprs: 0
; NumVgprs: 0
; ScratchSize: 0
; MemoryBound: 0
; FloatMode: 240
; IeeeMode: 1
; LDSByteSize: 0 bytes/workgroup (compile time only)
; SGPRBlocks: 0
; VGPRBlocks: 0
; NumSGPRsForWavesPerEU: 1
; NumVGPRsForWavesPerEU: 1
; Occupancy: 16
; WaveLimiterHint : 0
; COMPUTE_PGM_RSRC2:SCRATCH_EN: 0
; COMPUTE_PGM_RSRC2:USER_SGPR: 15
; COMPUTE_PGM_RSRC2:TRAP_HANDLER: 0
; COMPUTE_PGM_RSRC2:TGID_X_EN: 1
; COMPUTE_PGM_RSRC2:TGID_Y_EN: 0
; COMPUTE_PGM_RSRC2:TGID_Z_EN: 0
; COMPUTE_PGM_RSRC2:TIDIG_COMP_CNT: 0
	.section	.text._ZN7rocprim17ROCPRIM_400000_NS6detail17trampoline_kernelINS0_14default_configENS1_25partition_config_selectorILNS1_17partition_subalgoE6ExNS0_10empty_typeEbEEZZNS1_14partition_implILS5_6ELb0ES3_mN6thrust23THRUST_200600_302600_NS6detail15normal_iteratorINSA_10device_ptrIxEEEEPS6_SG_NS0_5tupleIJSF_S6_EEENSH_IJSG_SG_EEES6_PlJ5mod_3IxEEEE10hipError_tPvRmT3_T4_T5_T6_T7_T9_mT8_P12ihipStream_tbDpT10_ENKUlT_T0_E_clISt17integral_constantIbLb0EES16_EEDaS11_S12_EUlS11_E_NS1_11comp_targetILNS1_3genE10ELNS1_11target_archE1200ELNS1_3gpuE4ELNS1_3repE0EEENS1_30default_config_static_selectorELNS0_4arch9wavefront6targetE0EEEvT1_,"axG",@progbits,_ZN7rocprim17ROCPRIM_400000_NS6detail17trampoline_kernelINS0_14default_configENS1_25partition_config_selectorILNS1_17partition_subalgoE6ExNS0_10empty_typeEbEEZZNS1_14partition_implILS5_6ELb0ES3_mN6thrust23THRUST_200600_302600_NS6detail15normal_iteratorINSA_10device_ptrIxEEEEPS6_SG_NS0_5tupleIJSF_S6_EEENSH_IJSG_SG_EEES6_PlJ5mod_3IxEEEE10hipError_tPvRmT3_T4_T5_T6_T7_T9_mT8_P12ihipStream_tbDpT10_ENKUlT_T0_E_clISt17integral_constantIbLb0EES16_EEDaS11_S12_EUlS11_E_NS1_11comp_targetILNS1_3genE10ELNS1_11target_archE1200ELNS1_3gpuE4ELNS1_3repE0EEENS1_30default_config_static_selectorELNS0_4arch9wavefront6targetE0EEEvT1_,comdat
	.protected	_ZN7rocprim17ROCPRIM_400000_NS6detail17trampoline_kernelINS0_14default_configENS1_25partition_config_selectorILNS1_17partition_subalgoE6ExNS0_10empty_typeEbEEZZNS1_14partition_implILS5_6ELb0ES3_mN6thrust23THRUST_200600_302600_NS6detail15normal_iteratorINSA_10device_ptrIxEEEEPS6_SG_NS0_5tupleIJSF_S6_EEENSH_IJSG_SG_EEES6_PlJ5mod_3IxEEEE10hipError_tPvRmT3_T4_T5_T6_T7_T9_mT8_P12ihipStream_tbDpT10_ENKUlT_T0_E_clISt17integral_constantIbLb0EES16_EEDaS11_S12_EUlS11_E_NS1_11comp_targetILNS1_3genE10ELNS1_11target_archE1200ELNS1_3gpuE4ELNS1_3repE0EEENS1_30default_config_static_selectorELNS0_4arch9wavefront6targetE0EEEvT1_ ; -- Begin function _ZN7rocprim17ROCPRIM_400000_NS6detail17trampoline_kernelINS0_14default_configENS1_25partition_config_selectorILNS1_17partition_subalgoE6ExNS0_10empty_typeEbEEZZNS1_14partition_implILS5_6ELb0ES3_mN6thrust23THRUST_200600_302600_NS6detail15normal_iteratorINSA_10device_ptrIxEEEEPS6_SG_NS0_5tupleIJSF_S6_EEENSH_IJSG_SG_EEES6_PlJ5mod_3IxEEEE10hipError_tPvRmT3_T4_T5_T6_T7_T9_mT8_P12ihipStream_tbDpT10_ENKUlT_T0_E_clISt17integral_constantIbLb0EES16_EEDaS11_S12_EUlS11_E_NS1_11comp_targetILNS1_3genE10ELNS1_11target_archE1200ELNS1_3gpuE4ELNS1_3repE0EEENS1_30default_config_static_selectorELNS0_4arch9wavefront6targetE0EEEvT1_
	.globl	_ZN7rocprim17ROCPRIM_400000_NS6detail17trampoline_kernelINS0_14default_configENS1_25partition_config_selectorILNS1_17partition_subalgoE6ExNS0_10empty_typeEbEEZZNS1_14partition_implILS5_6ELb0ES3_mN6thrust23THRUST_200600_302600_NS6detail15normal_iteratorINSA_10device_ptrIxEEEEPS6_SG_NS0_5tupleIJSF_S6_EEENSH_IJSG_SG_EEES6_PlJ5mod_3IxEEEE10hipError_tPvRmT3_T4_T5_T6_T7_T9_mT8_P12ihipStream_tbDpT10_ENKUlT_T0_E_clISt17integral_constantIbLb0EES16_EEDaS11_S12_EUlS11_E_NS1_11comp_targetILNS1_3genE10ELNS1_11target_archE1200ELNS1_3gpuE4ELNS1_3repE0EEENS1_30default_config_static_selectorELNS0_4arch9wavefront6targetE0EEEvT1_
	.p2align	8
	.type	_ZN7rocprim17ROCPRIM_400000_NS6detail17trampoline_kernelINS0_14default_configENS1_25partition_config_selectorILNS1_17partition_subalgoE6ExNS0_10empty_typeEbEEZZNS1_14partition_implILS5_6ELb0ES3_mN6thrust23THRUST_200600_302600_NS6detail15normal_iteratorINSA_10device_ptrIxEEEEPS6_SG_NS0_5tupleIJSF_S6_EEENSH_IJSG_SG_EEES6_PlJ5mod_3IxEEEE10hipError_tPvRmT3_T4_T5_T6_T7_T9_mT8_P12ihipStream_tbDpT10_ENKUlT_T0_E_clISt17integral_constantIbLb0EES16_EEDaS11_S12_EUlS11_E_NS1_11comp_targetILNS1_3genE10ELNS1_11target_archE1200ELNS1_3gpuE4ELNS1_3repE0EEENS1_30default_config_static_selectorELNS0_4arch9wavefront6targetE0EEEvT1_,@function
_ZN7rocprim17ROCPRIM_400000_NS6detail17trampoline_kernelINS0_14default_configENS1_25partition_config_selectorILNS1_17partition_subalgoE6ExNS0_10empty_typeEbEEZZNS1_14partition_implILS5_6ELb0ES3_mN6thrust23THRUST_200600_302600_NS6detail15normal_iteratorINSA_10device_ptrIxEEEEPS6_SG_NS0_5tupleIJSF_S6_EEENSH_IJSG_SG_EEES6_PlJ5mod_3IxEEEE10hipError_tPvRmT3_T4_T5_T6_T7_T9_mT8_P12ihipStream_tbDpT10_ENKUlT_T0_E_clISt17integral_constantIbLb0EES16_EEDaS11_S12_EUlS11_E_NS1_11comp_targetILNS1_3genE10ELNS1_11target_archE1200ELNS1_3gpuE4ELNS1_3repE0EEENS1_30default_config_static_selectorELNS0_4arch9wavefront6targetE0EEEvT1_: ; @_ZN7rocprim17ROCPRIM_400000_NS6detail17trampoline_kernelINS0_14default_configENS1_25partition_config_selectorILNS1_17partition_subalgoE6ExNS0_10empty_typeEbEEZZNS1_14partition_implILS5_6ELb0ES3_mN6thrust23THRUST_200600_302600_NS6detail15normal_iteratorINSA_10device_ptrIxEEEEPS6_SG_NS0_5tupleIJSF_S6_EEENSH_IJSG_SG_EEES6_PlJ5mod_3IxEEEE10hipError_tPvRmT3_T4_T5_T6_T7_T9_mT8_P12ihipStream_tbDpT10_ENKUlT_T0_E_clISt17integral_constantIbLb0EES16_EEDaS11_S12_EUlS11_E_NS1_11comp_targetILNS1_3genE10ELNS1_11target_archE1200ELNS1_3gpuE4ELNS1_3repE0EEENS1_30default_config_static_selectorELNS0_4arch9wavefront6targetE0EEEvT1_
; %bb.0:
	.section	.rodata,"a",@progbits
	.p2align	6, 0x0
	.amdhsa_kernel _ZN7rocprim17ROCPRIM_400000_NS6detail17trampoline_kernelINS0_14default_configENS1_25partition_config_selectorILNS1_17partition_subalgoE6ExNS0_10empty_typeEbEEZZNS1_14partition_implILS5_6ELb0ES3_mN6thrust23THRUST_200600_302600_NS6detail15normal_iteratorINSA_10device_ptrIxEEEEPS6_SG_NS0_5tupleIJSF_S6_EEENSH_IJSG_SG_EEES6_PlJ5mod_3IxEEEE10hipError_tPvRmT3_T4_T5_T6_T7_T9_mT8_P12ihipStream_tbDpT10_ENKUlT_T0_E_clISt17integral_constantIbLb0EES16_EEDaS11_S12_EUlS11_E_NS1_11comp_targetILNS1_3genE10ELNS1_11target_archE1200ELNS1_3gpuE4ELNS1_3repE0EEENS1_30default_config_static_selectorELNS0_4arch9wavefront6targetE0EEEvT1_
		.amdhsa_group_segment_fixed_size 0
		.amdhsa_private_segment_fixed_size 0
		.amdhsa_kernarg_size 112
		.amdhsa_user_sgpr_count 15
		.amdhsa_user_sgpr_dispatch_ptr 0
		.amdhsa_user_sgpr_queue_ptr 0
		.amdhsa_user_sgpr_kernarg_segment_ptr 1
		.amdhsa_user_sgpr_dispatch_id 0
		.amdhsa_user_sgpr_private_segment_size 0
		.amdhsa_wavefront_size32 1
		.amdhsa_uses_dynamic_stack 0
		.amdhsa_enable_private_segment 0
		.amdhsa_system_sgpr_workgroup_id_x 1
		.amdhsa_system_sgpr_workgroup_id_y 0
		.amdhsa_system_sgpr_workgroup_id_z 0
		.amdhsa_system_sgpr_workgroup_info 0
		.amdhsa_system_vgpr_workitem_id 0
		.amdhsa_next_free_vgpr 1
		.amdhsa_next_free_sgpr 1
		.amdhsa_reserve_vcc 0
		.amdhsa_float_round_mode_32 0
		.amdhsa_float_round_mode_16_64 0
		.amdhsa_float_denorm_mode_32 3
		.amdhsa_float_denorm_mode_16_64 3
		.amdhsa_dx10_clamp 1
		.amdhsa_ieee_mode 1
		.amdhsa_fp16_overflow 0
		.amdhsa_workgroup_processor_mode 1
		.amdhsa_memory_ordered 1
		.amdhsa_forward_progress 0
		.amdhsa_shared_vgpr_count 0
		.amdhsa_exception_fp_ieee_invalid_op 0
		.amdhsa_exception_fp_denorm_src 0
		.amdhsa_exception_fp_ieee_div_zero 0
		.amdhsa_exception_fp_ieee_overflow 0
		.amdhsa_exception_fp_ieee_underflow 0
		.amdhsa_exception_fp_ieee_inexact 0
		.amdhsa_exception_int_div_zero 0
	.end_amdhsa_kernel
	.section	.text._ZN7rocprim17ROCPRIM_400000_NS6detail17trampoline_kernelINS0_14default_configENS1_25partition_config_selectorILNS1_17partition_subalgoE6ExNS0_10empty_typeEbEEZZNS1_14partition_implILS5_6ELb0ES3_mN6thrust23THRUST_200600_302600_NS6detail15normal_iteratorINSA_10device_ptrIxEEEEPS6_SG_NS0_5tupleIJSF_S6_EEENSH_IJSG_SG_EEES6_PlJ5mod_3IxEEEE10hipError_tPvRmT3_T4_T5_T6_T7_T9_mT8_P12ihipStream_tbDpT10_ENKUlT_T0_E_clISt17integral_constantIbLb0EES16_EEDaS11_S12_EUlS11_E_NS1_11comp_targetILNS1_3genE10ELNS1_11target_archE1200ELNS1_3gpuE4ELNS1_3repE0EEENS1_30default_config_static_selectorELNS0_4arch9wavefront6targetE0EEEvT1_,"axG",@progbits,_ZN7rocprim17ROCPRIM_400000_NS6detail17trampoline_kernelINS0_14default_configENS1_25partition_config_selectorILNS1_17partition_subalgoE6ExNS0_10empty_typeEbEEZZNS1_14partition_implILS5_6ELb0ES3_mN6thrust23THRUST_200600_302600_NS6detail15normal_iteratorINSA_10device_ptrIxEEEEPS6_SG_NS0_5tupleIJSF_S6_EEENSH_IJSG_SG_EEES6_PlJ5mod_3IxEEEE10hipError_tPvRmT3_T4_T5_T6_T7_T9_mT8_P12ihipStream_tbDpT10_ENKUlT_T0_E_clISt17integral_constantIbLb0EES16_EEDaS11_S12_EUlS11_E_NS1_11comp_targetILNS1_3genE10ELNS1_11target_archE1200ELNS1_3gpuE4ELNS1_3repE0EEENS1_30default_config_static_selectorELNS0_4arch9wavefront6targetE0EEEvT1_,comdat
.Lfunc_end557:
	.size	_ZN7rocprim17ROCPRIM_400000_NS6detail17trampoline_kernelINS0_14default_configENS1_25partition_config_selectorILNS1_17partition_subalgoE6ExNS0_10empty_typeEbEEZZNS1_14partition_implILS5_6ELb0ES3_mN6thrust23THRUST_200600_302600_NS6detail15normal_iteratorINSA_10device_ptrIxEEEEPS6_SG_NS0_5tupleIJSF_S6_EEENSH_IJSG_SG_EEES6_PlJ5mod_3IxEEEE10hipError_tPvRmT3_T4_T5_T6_T7_T9_mT8_P12ihipStream_tbDpT10_ENKUlT_T0_E_clISt17integral_constantIbLb0EES16_EEDaS11_S12_EUlS11_E_NS1_11comp_targetILNS1_3genE10ELNS1_11target_archE1200ELNS1_3gpuE4ELNS1_3repE0EEENS1_30default_config_static_selectorELNS0_4arch9wavefront6targetE0EEEvT1_, .Lfunc_end557-_ZN7rocprim17ROCPRIM_400000_NS6detail17trampoline_kernelINS0_14default_configENS1_25partition_config_selectorILNS1_17partition_subalgoE6ExNS0_10empty_typeEbEEZZNS1_14partition_implILS5_6ELb0ES3_mN6thrust23THRUST_200600_302600_NS6detail15normal_iteratorINSA_10device_ptrIxEEEEPS6_SG_NS0_5tupleIJSF_S6_EEENSH_IJSG_SG_EEES6_PlJ5mod_3IxEEEE10hipError_tPvRmT3_T4_T5_T6_T7_T9_mT8_P12ihipStream_tbDpT10_ENKUlT_T0_E_clISt17integral_constantIbLb0EES16_EEDaS11_S12_EUlS11_E_NS1_11comp_targetILNS1_3genE10ELNS1_11target_archE1200ELNS1_3gpuE4ELNS1_3repE0EEENS1_30default_config_static_selectorELNS0_4arch9wavefront6targetE0EEEvT1_
                                        ; -- End function
	.section	.AMDGPU.csdata,"",@progbits
; Kernel info:
; codeLenInByte = 0
; NumSgprs: 0
; NumVgprs: 0
; ScratchSize: 0
; MemoryBound: 0
; FloatMode: 240
; IeeeMode: 1
; LDSByteSize: 0 bytes/workgroup (compile time only)
; SGPRBlocks: 0
; VGPRBlocks: 0
; NumSGPRsForWavesPerEU: 1
; NumVGPRsForWavesPerEU: 1
; Occupancy: 16
; WaveLimiterHint : 0
; COMPUTE_PGM_RSRC2:SCRATCH_EN: 0
; COMPUTE_PGM_RSRC2:USER_SGPR: 15
; COMPUTE_PGM_RSRC2:TRAP_HANDLER: 0
; COMPUTE_PGM_RSRC2:TGID_X_EN: 1
; COMPUTE_PGM_RSRC2:TGID_Y_EN: 0
; COMPUTE_PGM_RSRC2:TGID_Z_EN: 0
; COMPUTE_PGM_RSRC2:TIDIG_COMP_CNT: 0
	.section	.text._ZN7rocprim17ROCPRIM_400000_NS6detail17trampoline_kernelINS0_14default_configENS1_25partition_config_selectorILNS1_17partition_subalgoE6ExNS0_10empty_typeEbEEZZNS1_14partition_implILS5_6ELb0ES3_mN6thrust23THRUST_200600_302600_NS6detail15normal_iteratorINSA_10device_ptrIxEEEEPS6_SG_NS0_5tupleIJSF_S6_EEENSH_IJSG_SG_EEES6_PlJ5mod_3IxEEEE10hipError_tPvRmT3_T4_T5_T6_T7_T9_mT8_P12ihipStream_tbDpT10_ENKUlT_T0_E_clISt17integral_constantIbLb0EES16_EEDaS11_S12_EUlS11_E_NS1_11comp_targetILNS1_3genE9ELNS1_11target_archE1100ELNS1_3gpuE3ELNS1_3repE0EEENS1_30default_config_static_selectorELNS0_4arch9wavefront6targetE0EEEvT1_,"axG",@progbits,_ZN7rocprim17ROCPRIM_400000_NS6detail17trampoline_kernelINS0_14default_configENS1_25partition_config_selectorILNS1_17partition_subalgoE6ExNS0_10empty_typeEbEEZZNS1_14partition_implILS5_6ELb0ES3_mN6thrust23THRUST_200600_302600_NS6detail15normal_iteratorINSA_10device_ptrIxEEEEPS6_SG_NS0_5tupleIJSF_S6_EEENSH_IJSG_SG_EEES6_PlJ5mod_3IxEEEE10hipError_tPvRmT3_T4_T5_T6_T7_T9_mT8_P12ihipStream_tbDpT10_ENKUlT_T0_E_clISt17integral_constantIbLb0EES16_EEDaS11_S12_EUlS11_E_NS1_11comp_targetILNS1_3genE9ELNS1_11target_archE1100ELNS1_3gpuE3ELNS1_3repE0EEENS1_30default_config_static_selectorELNS0_4arch9wavefront6targetE0EEEvT1_,comdat
	.protected	_ZN7rocprim17ROCPRIM_400000_NS6detail17trampoline_kernelINS0_14default_configENS1_25partition_config_selectorILNS1_17partition_subalgoE6ExNS0_10empty_typeEbEEZZNS1_14partition_implILS5_6ELb0ES3_mN6thrust23THRUST_200600_302600_NS6detail15normal_iteratorINSA_10device_ptrIxEEEEPS6_SG_NS0_5tupleIJSF_S6_EEENSH_IJSG_SG_EEES6_PlJ5mod_3IxEEEE10hipError_tPvRmT3_T4_T5_T6_T7_T9_mT8_P12ihipStream_tbDpT10_ENKUlT_T0_E_clISt17integral_constantIbLb0EES16_EEDaS11_S12_EUlS11_E_NS1_11comp_targetILNS1_3genE9ELNS1_11target_archE1100ELNS1_3gpuE3ELNS1_3repE0EEENS1_30default_config_static_selectorELNS0_4arch9wavefront6targetE0EEEvT1_ ; -- Begin function _ZN7rocprim17ROCPRIM_400000_NS6detail17trampoline_kernelINS0_14default_configENS1_25partition_config_selectorILNS1_17partition_subalgoE6ExNS0_10empty_typeEbEEZZNS1_14partition_implILS5_6ELb0ES3_mN6thrust23THRUST_200600_302600_NS6detail15normal_iteratorINSA_10device_ptrIxEEEEPS6_SG_NS0_5tupleIJSF_S6_EEENSH_IJSG_SG_EEES6_PlJ5mod_3IxEEEE10hipError_tPvRmT3_T4_T5_T6_T7_T9_mT8_P12ihipStream_tbDpT10_ENKUlT_T0_E_clISt17integral_constantIbLb0EES16_EEDaS11_S12_EUlS11_E_NS1_11comp_targetILNS1_3genE9ELNS1_11target_archE1100ELNS1_3gpuE3ELNS1_3repE0EEENS1_30default_config_static_selectorELNS0_4arch9wavefront6targetE0EEEvT1_
	.globl	_ZN7rocprim17ROCPRIM_400000_NS6detail17trampoline_kernelINS0_14default_configENS1_25partition_config_selectorILNS1_17partition_subalgoE6ExNS0_10empty_typeEbEEZZNS1_14partition_implILS5_6ELb0ES3_mN6thrust23THRUST_200600_302600_NS6detail15normal_iteratorINSA_10device_ptrIxEEEEPS6_SG_NS0_5tupleIJSF_S6_EEENSH_IJSG_SG_EEES6_PlJ5mod_3IxEEEE10hipError_tPvRmT3_T4_T5_T6_T7_T9_mT8_P12ihipStream_tbDpT10_ENKUlT_T0_E_clISt17integral_constantIbLb0EES16_EEDaS11_S12_EUlS11_E_NS1_11comp_targetILNS1_3genE9ELNS1_11target_archE1100ELNS1_3gpuE3ELNS1_3repE0EEENS1_30default_config_static_selectorELNS0_4arch9wavefront6targetE0EEEvT1_
	.p2align	8
	.type	_ZN7rocprim17ROCPRIM_400000_NS6detail17trampoline_kernelINS0_14default_configENS1_25partition_config_selectorILNS1_17partition_subalgoE6ExNS0_10empty_typeEbEEZZNS1_14partition_implILS5_6ELb0ES3_mN6thrust23THRUST_200600_302600_NS6detail15normal_iteratorINSA_10device_ptrIxEEEEPS6_SG_NS0_5tupleIJSF_S6_EEENSH_IJSG_SG_EEES6_PlJ5mod_3IxEEEE10hipError_tPvRmT3_T4_T5_T6_T7_T9_mT8_P12ihipStream_tbDpT10_ENKUlT_T0_E_clISt17integral_constantIbLb0EES16_EEDaS11_S12_EUlS11_E_NS1_11comp_targetILNS1_3genE9ELNS1_11target_archE1100ELNS1_3gpuE3ELNS1_3repE0EEENS1_30default_config_static_selectorELNS0_4arch9wavefront6targetE0EEEvT1_,@function
_ZN7rocprim17ROCPRIM_400000_NS6detail17trampoline_kernelINS0_14default_configENS1_25partition_config_selectorILNS1_17partition_subalgoE6ExNS0_10empty_typeEbEEZZNS1_14partition_implILS5_6ELb0ES3_mN6thrust23THRUST_200600_302600_NS6detail15normal_iteratorINSA_10device_ptrIxEEEEPS6_SG_NS0_5tupleIJSF_S6_EEENSH_IJSG_SG_EEES6_PlJ5mod_3IxEEEE10hipError_tPvRmT3_T4_T5_T6_T7_T9_mT8_P12ihipStream_tbDpT10_ENKUlT_T0_E_clISt17integral_constantIbLb0EES16_EEDaS11_S12_EUlS11_E_NS1_11comp_targetILNS1_3genE9ELNS1_11target_archE1100ELNS1_3gpuE3ELNS1_3repE0EEENS1_30default_config_static_selectorELNS0_4arch9wavefront6targetE0EEEvT1_: ; @_ZN7rocprim17ROCPRIM_400000_NS6detail17trampoline_kernelINS0_14default_configENS1_25partition_config_selectorILNS1_17partition_subalgoE6ExNS0_10empty_typeEbEEZZNS1_14partition_implILS5_6ELb0ES3_mN6thrust23THRUST_200600_302600_NS6detail15normal_iteratorINSA_10device_ptrIxEEEEPS6_SG_NS0_5tupleIJSF_S6_EEENSH_IJSG_SG_EEES6_PlJ5mod_3IxEEEE10hipError_tPvRmT3_T4_T5_T6_T7_T9_mT8_P12ihipStream_tbDpT10_ENKUlT_T0_E_clISt17integral_constantIbLb0EES16_EEDaS11_S12_EUlS11_E_NS1_11comp_targetILNS1_3genE9ELNS1_11target_archE1100ELNS1_3gpuE3ELNS1_3repE0EEENS1_30default_config_static_selectorELNS0_4arch9wavefront6targetE0EEEvT1_
; %bb.0:
	s_clause 0x3
	s_load_b128 s[8:11], s[0:1], 0x8
	s_load_b128 s[4:7], s[0:1], 0x40
	s_load_b32 s14, s[0:1], 0x68
	s_load_b64 s[12:13], s[0:1], 0x50
	s_waitcnt lgkmcnt(0)
	s_lshl_b64 s[2:3], s[10:11], 3
	s_load_b64 s[6:7], s[6:7], 0x0
	s_mul_i32 s16, s14, 0x900
	s_add_u32 s17, s8, s2
	s_addc_u32 s18, s9, s3
	s_add_i32 s2, s16, s10
	s_add_i32 s14, s14, -1
	s_sub_i32 s2, s12, s2
	s_add_u32 s8, s10, s16
	s_addc_u32 s9, s11, 0
	s_cmp_eq_u32 s15, s14
	v_cmp_ge_u64_e64 s3, s[8:9], s[12:13]
	s_cselect_b32 s12, -1, 0
	s_mov_b32 s9, 0
	s_mul_i32 s8, s15, 0x900
	s_delay_alu instid0(SALU_CYCLE_1) | instskip(NEXT) | instid1(VALU_DEP_1)
	s_lshl_b64 s[8:9], s[8:9], 3
	s_and_b32 s3, s12, s3
	s_delay_alu instid0(SALU_CYCLE_1)
	s_xor_b32 s13, s3, -1
	s_add_u32 s3, s17, s8
	s_addc_u32 s8, s18, s9
	s_and_b32 vcc_lo, exec_lo, s13
	s_mov_b32 s9, -1
	s_cbranch_vccz .LBB558_2
; %bb.1:
	v_lshlrev_b32_e32 v13, 3, v0
	s_delay_alu instid0(VALU_DEP_1) | instskip(NEXT) | instid1(VALU_DEP_1)
	v_add_co_u32 v1, s9, s3, v13
	v_add_co_ci_u32_e64 v2, null, s8, 0, s9
	s_mov_b32 s9, 0
	s_delay_alu instid0(VALU_DEP_2) | instskip(NEXT) | instid1(VALU_DEP_2)
	v_add_co_u32 v3, vcc_lo, 0x1000, v1
	v_add_co_ci_u32_e32 v4, vcc_lo, 0, v2, vcc_lo
	v_add_co_u32 v5, vcc_lo, 0x2000, v1
	v_add_co_ci_u32_e32 v6, vcc_lo, 0, v2, vcc_lo
	;; [unrolled: 2-line block ×3, first 2 shown]
	s_clause 0x5
	flat_load_b64 v[9:10], v[1:2]
	flat_load_b64 v[1:2], v[1:2] offset:3072
	flat_load_b64 v[3:4], v[3:4] offset:2048
	;; [unrolled: 1-line block ×3, first 2 shown]
	flat_load_b64 v[11:12], v[7:8]
	flat_load_b64 v[7:8], v[7:8] offset:3072
	s_waitcnt vmcnt(4) lgkmcnt(0)
	ds_store_2addr_stride64_b64 v13, v[9:10], v[1:2] offset1:6
	s_waitcnt vmcnt(2)
	ds_store_2addr_stride64_b64 v13, v[3:4], v[5:6] offset0:12 offset1:18
	s_waitcnt vmcnt(0)
	ds_store_2addr_stride64_b64 v13, v[11:12], v[7:8] offset0:24 offset1:30
	s_waitcnt lgkmcnt(0)
	s_barrier
.LBB558_2:
	s_and_not1_b32 vcc_lo, exec_lo, s9
	s_addk_i32 s2, 0x900
	s_cbranch_vccnz .LBB558_16
; %bb.3:
	s_mov_b32 s9, exec_lo
                                        ; implicit-def: $vgpr1_vgpr2_vgpr3_vgpr4_vgpr5_vgpr6_vgpr7_vgpr8_vgpr9_vgpr10_vgpr11_vgpr12_vgpr13_vgpr14_vgpr15_vgpr16
	v_cmpx_gt_u32_e64 s2, v0
	s_cbranch_execz .LBB558_5
; %bb.4:
	v_lshlrev_b32_e32 v1, 3, v0
	s_delay_alu instid0(VALU_DEP_1) | instskip(NEXT) | instid1(VALU_DEP_1)
	v_add_co_u32 v1, s10, s3, v1
	v_add_co_ci_u32_e64 v2, null, s8, 0, s10
	flat_load_b64 v[1:2], v[1:2]
.LBB558_5:
	s_or_b32 exec_lo, exec_lo, s9
	v_add_nc_u32_e32 v13, 0x180, v0
	s_mov_b32 s9, exec_lo
	s_delay_alu instid0(VALU_DEP_1)
	v_cmpx_gt_u32_e64 s2, v13
	s_cbranch_execz .LBB558_7
; %bb.6:
	v_lshlrev_b32_e32 v3, 3, v0
	s_delay_alu instid0(VALU_DEP_1) | instskip(NEXT) | instid1(VALU_DEP_1)
	v_add_co_u32 v3, s10, s3, v3
	v_add_co_ci_u32_e64 v4, null, s8, 0, s10
	flat_load_b64 v[3:4], v[3:4] offset:3072
.LBB558_7:
	s_or_b32 exec_lo, exec_lo, s9
	v_add_nc_u32_e32 v13, 0x300, v0
	s_mov_b32 s9, exec_lo
	s_delay_alu instid0(VALU_DEP_1)
	v_cmpx_gt_u32_e64 s2, v13
	s_cbranch_execz .LBB558_9
; %bb.8:
	v_lshlrev_b32_e32 v5, 3, v13
	s_delay_alu instid0(VALU_DEP_1) | instskip(NEXT) | instid1(VALU_DEP_1)
	v_add_co_u32 v5, s10, s3, v5
	v_add_co_ci_u32_e64 v6, null, s8, 0, s10
	flat_load_b64 v[5:6], v[5:6]
.LBB558_9:
	s_or_b32 exec_lo, exec_lo, s9
	v_add_nc_u32_e32 v13, 0x480, v0
	s_mov_b32 s9, exec_lo
	s_delay_alu instid0(VALU_DEP_1)
	v_cmpx_gt_u32_e64 s2, v13
	s_cbranch_execz .LBB558_11
; %bb.10:
	v_lshlrev_b32_e32 v7, 3, v13
	s_delay_alu instid0(VALU_DEP_1) | instskip(NEXT) | instid1(VALU_DEP_1)
	v_add_co_u32 v7, s10, s3, v7
	v_add_co_ci_u32_e64 v8, null, s8, 0, s10
	flat_load_b64 v[7:8], v[7:8]
.LBB558_11:
	s_or_b32 exec_lo, exec_lo, s9
	v_or_b32_e32 v13, 0x600, v0
	s_mov_b32 s9, exec_lo
	s_delay_alu instid0(VALU_DEP_1)
	v_cmpx_gt_u32_e64 s2, v13
	s_cbranch_execz .LBB558_13
; %bb.12:
	v_lshlrev_b32_e32 v9, 3, v13
	s_delay_alu instid0(VALU_DEP_1) | instskip(NEXT) | instid1(VALU_DEP_1)
	v_add_co_u32 v9, s10, s3, v9
	v_add_co_ci_u32_e64 v10, null, s8, 0, s10
	flat_load_b64 v[9:10], v[9:10]
.LBB558_13:
	s_or_b32 exec_lo, exec_lo, s9
	v_add_nc_u32_e32 v13, 0x780, v0
	s_mov_b32 s9, exec_lo
	s_delay_alu instid0(VALU_DEP_1)
	v_cmpx_gt_u32_e64 s2, v13
	s_cbranch_execz .LBB558_15
; %bb.14:
	v_lshlrev_b32_e32 v11, 3, v13
	s_delay_alu instid0(VALU_DEP_1) | instskip(NEXT) | instid1(VALU_DEP_1)
	v_add_co_u32 v11, s3, s3, v11
	v_add_co_ci_u32_e64 v12, null, s8, 0, s3
	flat_load_b64 v[11:12], v[11:12]
.LBB558_15:
	s_or_b32 exec_lo, exec_lo, s9
	v_lshlrev_b32_e32 v13, 3, v0
	s_waitcnt vmcnt(0) lgkmcnt(0)
	ds_store_2addr_stride64_b64 v13, v[1:2], v[3:4] offset1:6
	ds_store_2addr_stride64_b64 v13, v[5:6], v[7:8] offset0:12 offset1:18
	ds_store_2addr_stride64_b64 v13, v[9:10], v[11:12] offset0:24 offset1:30
	s_waitcnt lgkmcnt(0)
	s_barrier
.LBB558_16:
	v_mul_u32_u24_e32 v13, 6, v0
	s_waitcnt lgkmcnt(0)
	buffer_gl0_inv
	s_and_not1_b32 vcc_lo, exec_lo, s13
	v_lshlrev_b32_e32 v35, 3, v13
	ds_load_b128 v[9:12], v35
	ds_load_b128 v[5:8], v35 offset:16
	ds_load_b128 v[1:4], v35 offset:32
	s_waitcnt lgkmcnt(0)
	s_barrier
	buffer_gl0_inv
	s_cbranch_vccnz .LBB558_18
; %bb.17:
	v_mul_lo_u32 v14, 0xaaaaaaab, v11
	v_mul_lo_u32 v15, 0xaaaaaaab, v7
	v_mul_lo_u32 v16, 0xaaaaaaab, v9
	v_mul_lo_u32 v17, 0xaaaaaaab, v5
	v_mul_lo_u32 v18, 0xaaaaaaab, v1
	v_cmp_lt_u32_e32 vcc_lo, 0x55555555, v14
	v_cndmask_b32_e64 v14, 0, 1, vcc_lo
	v_cmp_lt_u32_e32 vcc_lo, 0x55555555, v15
	s_delay_alu instid0(VALU_DEP_2) | instskip(SKIP_2) | instid1(VALU_DEP_2)
	v_lshlrev_b16 v14, 8, v14
	v_cndmask_b32_e64 v15, 0, 1, vcc_lo
	v_cmp_lt_u32_e32 vcc_lo, 0x55555555, v16
	v_lshlrev_b16 v15, 8, v15
	v_cndmask_b32_e64 v16, 0, 1, vcc_lo
	v_cmp_lt_u32_e32 vcc_lo, 0x55555555, v17
	s_delay_alu instid0(VALU_DEP_2) | instskip(SKIP_3) | instid1(VALU_DEP_4)
	v_or_b32_e32 v14, v16, v14
	v_cndmask_b32_e64 v17, 0, 1, vcc_lo
	v_mul_lo_u32 v16, 0xaaaaaaab, v3
	v_cmp_lt_u32_e32 vcc_lo, 0x55555555, v18
	v_and_b32_e32 v14, 0xffff, v14
	s_delay_alu instid0(VALU_DEP_4) | instskip(SKIP_2) | instid1(VALU_DEP_3)
	v_or_b32_e32 v15, v17, v15
	v_cndmask_b32_e64 v32, 0, 1, vcc_lo
	v_cmp_lt_u32_e32 vcc_lo, 0x55555555, v16
	v_lshlrev_b32_e32 v15, 16, v15
	v_cndmask_b32_e64 v31, 0, 1, vcc_lo
	s_delay_alu instid0(VALU_DEP_2)
	v_or_b32_e32 v33, v14, v15
	s_clause 0x1
	s_load_b64 s[8:9], s[0:1], 0x28
	s_load_b64 s[10:11], s[0:1], 0x60
	s_cbranch_execz .LBB558_19
	s_branch .LBB558_32
.LBB558_18:
                                        ; implicit-def: $vgpr31
                                        ; implicit-def: $vgpr32
                                        ; implicit-def: $vgpr33
	s_clause 0x1
	s_load_b64 s[8:9], s[0:1], 0x28
	s_load_b64 s[10:11], s[0:1], 0x60
.LBB558_19:
	v_dual_mov_b32 v15, 0 :: v_dual_mov_b32 v14, 0
	s_mov_b32 s0, exec_lo
	v_cmpx_gt_u32_e64 s2, v13
; %bb.20:
	v_mul_lo_u32 v14, 0xaaaaaaab, v9
	s_delay_alu instid0(VALU_DEP_1)
	v_cmp_lt_u32_e32 vcc_lo, 0x55555555, v14
	v_cndmask_b32_e64 v14, 0, 1, vcc_lo
; %bb.21:
	s_or_b32 exec_lo, exec_lo, s0
	v_or_b32_e32 v16, 1, v13
	s_mov_b32 s0, exec_lo
	s_delay_alu instid0(VALU_DEP_1)
	v_cmpx_gt_u32_e64 s2, v16
; %bb.22:
	v_mul_lo_u32 v15, 0xaaaaaaab, v11
	s_delay_alu instid0(VALU_DEP_1)
	v_cmp_lt_u32_e32 vcc_lo, 0x55555555, v15
	v_cndmask_b32_e64 v15, 0, 1, vcc_lo
; %bb.23:
	s_or_b32 exec_lo, exec_lo, s0
	v_dual_mov_b32 v17, 0 :: v_dual_add_nc_u32 v16, 2, v13
	s_delay_alu instid0(VALU_DEP_1)
	v_cmp_gt_u32_e32 vcc_lo, s2, v16
	v_mov_b32_e32 v16, 0
	s_and_saveexec_b32 s0, vcc_lo
; %bb.24:
	v_mul_lo_u32 v16, 0xaaaaaaab, v5
	s_delay_alu instid0(VALU_DEP_1)
	v_cmp_lt_u32_e32 vcc_lo, 0x55555555, v16
	v_cndmask_b32_e64 v16, 0, 1, vcc_lo
; %bb.25:
	s_or_b32 exec_lo, exec_lo, s0
	v_add_nc_u32_e32 v18, 3, v13
	s_mov_b32 s0, exec_lo
	s_delay_alu instid0(VALU_DEP_1)
	v_cmpx_gt_u32_e64 s2, v18
; %bb.26:
	v_mul_lo_u32 v17, 0xaaaaaaab, v7
	s_delay_alu instid0(VALU_DEP_1)
	v_cmp_lt_u32_e32 vcc_lo, 0x55555555, v17
	v_cndmask_b32_e64 v17, 0, 1, vcc_lo
; %bb.27:
	s_or_b32 exec_lo, exec_lo, s0
	v_dual_mov_b32 v31, 0 :: v_dual_add_nc_u32 v18, 4, v13
	v_mov_b32_e32 v32, 0
	s_mov_b32 s0, exec_lo
	s_delay_alu instid0(VALU_DEP_2)
	v_cmpx_gt_u32_e64 s2, v18
; %bb.28:
	v_mul_lo_u32 v18, 0xaaaaaaab, v1
	s_delay_alu instid0(VALU_DEP_1)
	v_cmp_lt_u32_e32 vcc_lo, 0x55555555, v18
	v_cndmask_b32_e64 v32, 0, 1, vcc_lo
; %bb.29:
	s_or_b32 exec_lo, exec_lo, s0
	v_add_nc_u32_e32 v13, 5, v13
	s_mov_b32 s0, exec_lo
	s_delay_alu instid0(VALU_DEP_1)
	v_cmpx_gt_u32_e64 s2, v13
; %bb.30:
	v_mul_lo_u32 v13, 0xaaaaaaab, v3
	s_delay_alu instid0(VALU_DEP_1)
	v_cmp_lt_u32_e32 vcc_lo, 0x55555555, v13
	v_cndmask_b32_e64 v31, 0, 1, vcc_lo
; %bb.31:
	s_or_b32 exec_lo, exec_lo, s0
	v_lshlrev_b16 v13, 8, v15
	v_lshlrev_b16 v15, 8, v17
	s_delay_alu instid0(VALU_DEP_2) | instskip(NEXT) | instid1(VALU_DEP_2)
	v_or_b32_e32 v13, v14, v13
	v_or_b32_e32 v14, v16, v15
	s_delay_alu instid0(VALU_DEP_2) | instskip(NEXT) | instid1(VALU_DEP_2)
	v_and_b32_e32 v13, 0xffff, v13
	v_lshlrev_b32_e32 v14, 16, v14
	s_delay_alu instid0(VALU_DEP_1)
	v_or_b32_e32 v33, v13, v14
.LBB558_32:
	s_delay_alu instid0(VALU_DEP_1)
	v_dual_mov_b32 v14, 0 :: v_dual_and_b32 v39, 0xff, v33
	v_bfe_u32 v38, v33, 8, 8
	v_bfe_u32 v37, v33, 16, 8
	v_lshrrev_b32_e32 v34, 24, v33
	v_and_b32_e32 v36, 0xff, v32
	v_mbcnt_lo_u32_b32 v40, -1, 0
	v_add_co_u32 v13, s0, v38, v39
	s_delay_alu instid0(VALU_DEP_1) | instskip(SKIP_1) | instid1(VALU_DEP_3)
	v_add_co_ci_u32_e64 v15, null, 0, 0, s0
	v_and_b32_e32 v16, 0xff, v31
	v_add_co_u32 v13, vcc_lo, v13, v37
	s_delay_alu instid0(VALU_DEP_3) | instskip(SKIP_1) | instid1(VALU_DEP_3)
	v_add_co_ci_u32_e32 v15, vcc_lo, 0, v15, vcc_lo
	v_and_b32_e32 v41, 15, v40
	v_add_co_u32 v13, vcc_lo, v13, v34
	s_delay_alu instid0(VALU_DEP_3) | instskip(NEXT) | instid1(VALU_DEP_3)
	v_add_co_ci_u32_e32 v15, vcc_lo, 0, v15, vcc_lo
	v_cmp_ne_u32_e64 s0, 0, v41
	s_delay_alu instid0(VALU_DEP_3) | instskip(NEXT) | instid1(VALU_DEP_3)
	v_add_co_u32 v13, vcc_lo, v13, v36
	v_add_co_ci_u32_e32 v15, vcc_lo, 0, v15, vcc_lo
	s_cmp_lg_u32 s15, 0
	s_delay_alu instid0(VALU_DEP_2) | instskip(NEXT) | instid1(VALU_DEP_2)
	v_add_co_u32 v21, vcc_lo, v13, v16
	v_add_co_ci_u32_e32 v22, vcc_lo, 0, v15, vcc_lo
	s_mov_b32 s1, -1
	s_cbranch_scc0 .LBB558_96
; %bb.33:
	s_delay_alu instid0(VALU_DEP_2)
	v_mov_b32_e32 v15, v21
	v_mov_b32_dpp v13, v21 row_shr:1 row_mask:0xf bank_mask:0xf
	v_mov_b32_dpp v18, v14 row_shr:1 row_mask:0xf bank_mask:0xf
	v_dual_mov_b32 v17, v21 :: v_dual_mov_b32 v16, v22
	s_and_saveexec_b32 s1, s0
; %bb.34:
	s_delay_alu instid0(VALU_DEP_3) | instskip(SKIP_1) | instid1(VALU_DEP_2)
	v_add_co_u32 v17, vcc_lo, v21, v13
	v_add_co_ci_u32_e32 v14, vcc_lo, 0, v22, vcc_lo
	v_add_co_u32 v13, vcc_lo, 0, v17
	s_delay_alu instid0(VALU_DEP_2) | instskip(NEXT) | instid1(VALU_DEP_1)
	v_add_co_ci_u32_e32 v14, vcc_lo, v18, v14, vcc_lo
	v_dual_mov_b32 v16, v14 :: v_dual_mov_b32 v15, v13
; %bb.35:
	s_or_b32 exec_lo, exec_lo, s1
	v_mov_b32_dpp v13, v17 row_shr:2 row_mask:0xf bank_mask:0xf
	v_mov_b32_dpp v18, v14 row_shr:2 row_mask:0xf bank_mask:0xf
	v_cmp_lt_u32_e32 vcc_lo, 1, v41
	s_and_saveexec_b32 s2, vcc_lo
; %bb.36:
	s_delay_alu instid0(VALU_DEP_3) | instskip(NEXT) | instid1(VALU_DEP_1)
	v_add_co_u32 v17, s1, v15, v13
	v_add_co_ci_u32_e64 v14, s1, 0, v16, s1
	s_delay_alu instid0(VALU_DEP_2) | instskip(NEXT) | instid1(VALU_DEP_1)
	v_add_co_u32 v13, s1, 0, v17
	v_add_co_ci_u32_e64 v14, s1, v18, v14, s1
	s_delay_alu instid0(VALU_DEP_1)
	v_dual_mov_b32 v16, v14 :: v_dual_mov_b32 v15, v13
; %bb.37:
	s_or_b32 exec_lo, exec_lo, s2
	v_mov_b32_dpp v13, v17 row_shr:4 row_mask:0xf bank_mask:0xf
	v_mov_b32_dpp v18, v14 row_shr:4 row_mask:0xf bank_mask:0xf
	v_cmp_lt_u32_e64 s1, 3, v41
	s_delay_alu instid0(VALU_DEP_1)
	s_and_saveexec_b32 s3, s1
; %bb.38:
	s_delay_alu instid0(VALU_DEP_3) | instskip(NEXT) | instid1(VALU_DEP_1)
	v_add_co_u32 v17, s2, v15, v13
	v_add_co_ci_u32_e64 v14, s2, 0, v16, s2
	s_delay_alu instid0(VALU_DEP_2) | instskip(NEXT) | instid1(VALU_DEP_1)
	v_add_co_u32 v13, s2, 0, v17
	v_add_co_ci_u32_e64 v14, s2, v18, v14, s2
	s_delay_alu instid0(VALU_DEP_1)
	v_dual_mov_b32 v16, v14 :: v_dual_mov_b32 v15, v13
; %bb.39:
	s_or_b32 exec_lo, exec_lo, s3
	v_mov_b32_dpp v18, v17 row_shr:8 row_mask:0xf bank_mask:0xf
	v_mov_b32_dpp v13, v14 row_shr:8 row_mask:0xf bank_mask:0xf
	v_cmp_lt_u32_e64 s2, 7, v41
	s_delay_alu instid0(VALU_DEP_1)
	s_and_saveexec_b32 s14, s2
; %bb.40:
	s_delay_alu instid0(VALU_DEP_3) | instskip(NEXT) | instid1(VALU_DEP_1)
	v_add_co_u32 v17, s3, v15, v18
	v_add_co_ci_u32_e64 v14, s3, 0, v16, s3
	s_delay_alu instid0(VALU_DEP_2) | instskip(NEXT) | instid1(VALU_DEP_1)
	v_add_co_u32 v15, s3, 0, v17
	v_add_co_ci_u32_e64 v16, s3, v13, v14, s3
	s_delay_alu instid0(VALU_DEP_1)
	v_mov_b32_e32 v14, v16
; %bb.41:
	s_or_b32 exec_lo, exec_lo, s14
	ds_swizzle_b32 v13, v17 offset:swizzle(BROADCAST,32,15)
	ds_swizzle_b32 v18, v14 offset:swizzle(BROADCAST,32,15)
	v_and_b32_e32 v19, 16, v40
	s_mov_b32 s14, exec_lo
	s_delay_alu instid0(VALU_DEP_1)
	v_cmpx_ne_u32_e32 0, v19
	s_cbranch_execz .LBB558_43
; %bb.42:
	s_waitcnt lgkmcnt(0)
	v_add_co_u32 v17, s3, v15, v13
	s_delay_alu instid0(VALU_DEP_1) | instskip(NEXT) | instid1(VALU_DEP_2)
	v_add_co_ci_u32_e64 v14, s3, 0, v16, s3
	v_add_co_u32 v13, s3, 0, v17
	s_delay_alu instid0(VALU_DEP_1) | instskip(NEXT) | instid1(VALU_DEP_1)
	v_add_co_ci_u32_e64 v14, s3, v18, v14, s3
	v_dual_mov_b32 v16, v14 :: v_dual_mov_b32 v15, v13
.LBB558_43:
	s_or_b32 exec_lo, exec_lo, s14
	s_waitcnt lgkmcnt(0)
	v_and_b32_e32 v13, 0x1e0, v0
	s_mov_b32 s14, exec_lo
	s_delay_alu instid0(VALU_DEP_1) | instskip(NEXT) | instid1(VALU_DEP_1)
	v_min_u32_e32 v13, 0x160, v13
	v_or_b32_e32 v18, 31, v13
	v_lshrrev_b32_e32 v13, 5, v0
	s_delay_alu instid0(VALU_DEP_2)
	v_cmpx_eq_u32_e64 v18, v0
	s_cbranch_execz .LBB558_45
; %bb.44:
	s_delay_alu instid0(VALU_DEP_2)
	v_lshlrev_b32_e32 v18, 3, v13
	ds_store_b64 v18, v[15:16]
.LBB558_45:
	s_or_b32 exec_lo, exec_lo, s14
	s_delay_alu instid0(SALU_CYCLE_1)
	s_mov_b32 s14, exec_lo
	s_waitcnt lgkmcnt(0)
	s_barrier
	buffer_gl0_inv
	v_cmpx_gt_u32_e32 12, v0
	s_cbranch_execz .LBB558_55
; %bb.46:
	v_lshlrev_b32_e32 v18, 3, v0
	ds_load_b64 v[15:16], v18
	s_waitcnt lgkmcnt(0)
	v_mov_b32_e32 v19, v15
	v_mov_b32_dpp v23, v15 row_shr:1 row_mask:0xf bank_mask:0xf
	v_mov_b32_dpp v20, v16 row_shr:1 row_mask:0xf bank_mask:0xf
	s_and_saveexec_b32 s16, s0
; %bb.47:
	s_delay_alu instid0(VALU_DEP_2) | instskip(NEXT) | instid1(VALU_DEP_1)
	v_add_co_u32 v19, s3, v15, v23
	v_add_co_ci_u32_e64 v16, s3, 0, v16, s3
	s_delay_alu instid0(VALU_DEP_2) | instskip(NEXT) | instid1(VALU_DEP_1)
	v_add_co_u32 v15, s3, 0, v19
	v_add_co_ci_u32_e64 v16, s3, v20, v16, s3
; %bb.48:
	s_or_b32 exec_lo, exec_lo, s16
	v_mov_b32_dpp v23, v19 row_shr:2 row_mask:0xf bank_mask:0xf
	s_delay_alu instid0(VALU_DEP_2)
	v_mov_b32_dpp v20, v16 row_shr:2 row_mask:0xf bank_mask:0xf
	s_and_saveexec_b32 s3, vcc_lo
; %bb.49:
	s_delay_alu instid0(VALU_DEP_2) | instskip(SKIP_1) | instid1(VALU_DEP_2)
	v_add_co_u32 v19, vcc_lo, v15, v23
	v_add_co_ci_u32_e32 v16, vcc_lo, 0, v16, vcc_lo
	v_add_co_u32 v15, vcc_lo, 0, v19
	s_delay_alu instid0(VALU_DEP_2)
	v_add_co_ci_u32_e32 v16, vcc_lo, v20, v16, vcc_lo
; %bb.50:
	s_or_b32 exec_lo, exec_lo, s3
	v_mov_b32_dpp v23, v19 row_shr:4 row_mask:0xf bank_mask:0xf
	s_delay_alu instid0(VALU_DEP_2)
	v_mov_b32_dpp v20, v16 row_shr:4 row_mask:0xf bank_mask:0xf
	s_and_saveexec_b32 s3, s1
; %bb.51:
	s_delay_alu instid0(VALU_DEP_2) | instskip(SKIP_1) | instid1(VALU_DEP_2)
	v_add_co_u32 v19, vcc_lo, v15, v23
	v_add_co_ci_u32_e32 v16, vcc_lo, 0, v16, vcc_lo
	v_add_co_u32 v15, vcc_lo, 0, v19
	s_delay_alu instid0(VALU_DEP_2)
	v_add_co_ci_u32_e32 v16, vcc_lo, v20, v16, vcc_lo
; %bb.52:
	s_or_b32 exec_lo, exec_lo, s3
	v_mov_b32_dpp v20, v19 row_shr:8 row_mask:0xf bank_mask:0xf
	s_delay_alu instid0(VALU_DEP_2)
	v_mov_b32_dpp v19, v16 row_shr:8 row_mask:0xf bank_mask:0xf
	s_and_saveexec_b32 s1, s2
; %bb.53:
	s_delay_alu instid0(VALU_DEP_2) | instskip(SKIP_1) | instid1(VALU_DEP_2)
	v_add_co_u32 v15, vcc_lo, v15, v20
	v_add_co_ci_u32_e32 v16, vcc_lo, 0, v16, vcc_lo
	v_add_co_u32 v15, vcc_lo, v15, 0
	s_delay_alu instid0(VALU_DEP_2)
	v_add_co_ci_u32_e32 v16, vcc_lo, v16, v19, vcc_lo
; %bb.54:
	s_or_b32 exec_lo, exec_lo, s1
	ds_store_b64 v18, v[15:16]
.LBB558_55:
	s_or_b32 exec_lo, exec_lo, s14
	v_cmp_gt_u32_e32 vcc_lo, 32, v0
	s_mov_b32 s2, exec_lo
	s_waitcnt lgkmcnt(0)
	s_barrier
	buffer_gl0_inv
                                        ; implicit-def: $vgpr23_vgpr24
	v_cmpx_lt_u32_e32 31, v0
	s_cbranch_execz .LBB558_57
; %bb.56:
	v_lshl_add_u32 v13, v13, 3, -8
	ds_load_b64 v[23:24], v13
	s_waitcnt lgkmcnt(0)
	v_add_co_u32 v17, s1, v17, v23
	s_delay_alu instid0(VALU_DEP_1)
	v_add_co_ci_u32_e64 v14, s1, v14, v24, s1
.LBB558_57:
	s_or_b32 exec_lo, exec_lo, s2
	v_add_nc_u32_e32 v13, -1, v40
	s_delay_alu instid0(VALU_DEP_1) | instskip(NEXT) | instid1(VALU_DEP_1)
	v_cmp_gt_i32_e64 s1, 0, v13
	v_cndmask_b32_e64 v13, v13, v40, s1
	v_cmp_eq_u32_e64 s1, 0, v40
	s_delay_alu instid0(VALU_DEP_2)
	v_lshlrev_b32_e32 v13, 2, v13
	ds_bpermute_b32 v29, v13, v17
	ds_bpermute_b32 v30, v13, v14
	s_and_saveexec_b32 s2, vcc_lo
	s_cbranch_execz .LBB558_95
; %bb.58:
	v_mov_b32_e32 v16, 0
	ds_load_b64 v[13:14], v16 offset:88
	s_and_saveexec_b32 s3, s1
	s_cbranch_execz .LBB558_60
; %bb.59:
	s_add_i32 s16, s15, 32
	s_mov_b32 s17, 0
	s_delay_alu instid0(SALU_CYCLE_1) | instskip(NEXT) | instid1(SALU_CYCLE_1)
	s_lshl_b64 s[16:17], s[16:17], 4
	s_add_u32 s16, s10, s16
	s_addc_u32 s17, s11, s17
	s_delay_alu instid0(SALU_CYCLE_1)
	v_dual_mov_b32 v15, 1 :: v_dual_mov_b32 v18, s17
	v_mov_b32_e32 v17, s16
	s_waitcnt lgkmcnt(0)
	;;#ASMSTART
	global_store_dwordx4 v[17:18], v[13:16] off	
s_waitcnt vmcnt(0)
	;;#ASMEND
.LBB558_60:
	s_or_b32 exec_lo, exec_lo, s3
	v_xad_u32 v25, v40, -1, s15
	s_mov_b32 s14, 0
	s_mov_b32 s3, exec_lo
	s_delay_alu instid0(VALU_DEP_1) | instskip(NEXT) | instid1(VALU_DEP_1)
	v_add_nc_u32_e32 v15, 32, v25
	v_lshlrev_b64 v[15:16], 4, v[15:16]
	s_delay_alu instid0(VALU_DEP_1) | instskip(NEXT) | instid1(VALU_DEP_2)
	v_add_co_u32 v15, vcc_lo, s10, v15
	v_add_co_ci_u32_e32 v16, vcc_lo, s11, v16, vcc_lo
	;;#ASMSTART
	global_load_dwordx4 v[17:20], v[15:16] off glc	
s_waitcnt vmcnt(0)
	;;#ASMEND
	v_and_b32_e32 v20, 0xff, v18
	v_and_b32_e32 v26, 0xff00, v18
	v_or3_b32 v17, v17, 0, 0
	v_and_b32_e32 v27, 0xff000000, v18
	v_and_b32_e32 v18, 0xff0000, v18
	s_delay_alu instid0(VALU_DEP_4) | instskip(SKIP_2) | instid1(VALU_DEP_3)
	v_or3_b32 v20, 0, v20, v26
	v_and_b32_e32 v26, 0xff, v19
	v_or3_b32 v17, v17, 0, 0
	v_or3_b32 v18, v20, v18, v27
	s_delay_alu instid0(VALU_DEP_3)
	v_cmpx_eq_u16_e32 0, v26
	s_cbranch_execz .LBB558_63
.LBB558_61:                             ; =>This Inner Loop Header: Depth=1
	;;#ASMSTART
	global_load_dwordx4 v[17:20], v[15:16] off glc	
s_waitcnt vmcnt(0)
	;;#ASMEND
	v_and_b32_e32 v20, 0xff, v19
	s_delay_alu instid0(VALU_DEP_1) | instskip(SKIP_1) | instid1(SALU_CYCLE_1)
	v_cmp_ne_u16_e32 vcc_lo, 0, v20
	s_or_b32 s14, vcc_lo, s14
	s_and_not1_b32 exec_lo, exec_lo, s14
	s_cbranch_execnz .LBB558_61
; %bb.62:
	s_or_b32 exec_lo, exec_lo, s14
.LBB558_63:
	s_delay_alu instid0(SALU_CYCLE_1)
	s_or_b32 exec_lo, exec_lo, s3
	v_cmp_ne_u32_e32 vcc_lo, 31, v40
	v_and_b32_e32 v16, 0xff, v19
	v_lshlrev_b32_e64 v43, v40, -1
	s_mov_b32 s3, exec_lo
	v_add_co_ci_u32_e32 v15, vcc_lo, 0, v40, vcc_lo
	s_delay_alu instid0(VALU_DEP_3) | instskip(SKIP_1) | instid1(VALU_DEP_3)
	v_cmp_eq_u16_e32 vcc_lo, 2, v16
	v_mov_b32_e32 v16, v17
	v_lshlrev_b32_e32 v42, 2, v15
	v_and_or_b32 v15, vcc_lo, v43, 0x80000000
	ds_bpermute_b32 v26, v42, v17
	ds_bpermute_b32 v20, v42, v18
	v_ctz_i32_b32_e32 v15, v15
	s_delay_alu instid0(VALU_DEP_1)
	v_cmpx_lt_u32_e64 v40, v15
	s_cbranch_execz .LBB558_65
; %bb.64:
	s_waitcnt lgkmcnt(1)
	v_add_co_u32 v16, vcc_lo, v17, v26
	v_add_co_ci_u32_e32 v18, vcc_lo, 0, v18, vcc_lo
	s_delay_alu instid0(VALU_DEP_2) | instskip(SKIP_1) | instid1(VALU_DEP_2)
	v_add_co_u32 v17, vcc_lo, 0, v16
	s_waitcnt lgkmcnt(0)
	v_add_co_ci_u32_e32 v18, vcc_lo, v20, v18, vcc_lo
.LBB558_65:
	s_or_b32 exec_lo, exec_lo, s3
	v_cmp_gt_u32_e32 vcc_lo, 30, v40
	v_add_nc_u32_e32 v45, 2, v40
	s_mov_b32 s3, exec_lo
	s_waitcnt lgkmcnt(0)
	v_cndmask_b32_e64 v20, 0, 1, vcc_lo
	s_delay_alu instid0(VALU_DEP_1) | instskip(NEXT) | instid1(VALU_DEP_1)
	v_lshlrev_b32_e32 v20, 1, v20
	v_add_lshl_u32 v44, v20, v40, 2
	ds_bpermute_b32 v26, v44, v16
	ds_bpermute_b32 v20, v44, v18
	v_cmpx_le_u32_e64 v45, v15
	s_cbranch_execz .LBB558_67
; %bb.66:
	s_waitcnt lgkmcnt(1)
	v_add_co_u32 v16, vcc_lo, v17, v26
	v_add_co_ci_u32_e32 v18, vcc_lo, 0, v18, vcc_lo
	s_delay_alu instid0(VALU_DEP_2) | instskip(SKIP_1) | instid1(VALU_DEP_2)
	v_add_co_u32 v17, vcc_lo, 0, v16
	s_waitcnt lgkmcnt(0)
	v_add_co_ci_u32_e32 v18, vcc_lo, v20, v18, vcc_lo
.LBB558_67:
	s_or_b32 exec_lo, exec_lo, s3
	v_cmp_gt_u32_e32 vcc_lo, 28, v40
	v_add_nc_u32_e32 v47, 4, v40
	s_mov_b32 s3, exec_lo
	s_waitcnt lgkmcnt(0)
	v_cndmask_b32_e64 v20, 0, 1, vcc_lo
	s_delay_alu instid0(VALU_DEP_1) | instskip(NEXT) | instid1(VALU_DEP_1)
	v_lshlrev_b32_e32 v20, 2, v20
	v_add_lshl_u32 v46, v20, v40, 2
	ds_bpermute_b32 v26, v46, v16
	ds_bpermute_b32 v20, v46, v18
	v_cmpx_le_u32_e64 v47, v15
	;; [unrolled: 22-line block ×4, first 2 shown]
	s_cbranch_execz .LBB558_73
; %bb.72:
	s_waitcnt lgkmcnt(1)
	v_add_co_u32 v15, vcc_lo, v17, v20
	v_add_co_ci_u32_e32 v18, vcc_lo, 0, v18, vcc_lo
	s_delay_alu instid0(VALU_DEP_2) | instskip(SKIP_1) | instid1(VALU_DEP_2)
	v_add_co_u32 v17, vcc_lo, v15, 0
	s_waitcnt lgkmcnt(0)
	v_add_co_ci_u32_e32 v18, vcc_lo, v18, v16, vcc_lo
.LBB558_73:
	s_or_b32 exec_lo, exec_lo, s3
	v_mov_b32_e32 v26, 0
	s_branch .LBB558_75
.LBB558_74:                             ;   in Loop: Header=BB558_75 Depth=1
	s_or_b32 exec_lo, exec_lo, s3
	v_add_co_u32 v17, vcc_lo, v17, v15
	v_subrev_nc_u32_e32 v25, 32, v25
	v_add_co_ci_u32_e32 v18, vcc_lo, v18, v16, vcc_lo
.LBB558_75:                             ; =>This Loop Header: Depth=1
                                        ;     Child Loop BB558_78 Depth 2
	v_and_b32_e32 v15, 0xff, v19
	s_delay_alu instid0(VALU_DEP_1) | instskip(SKIP_2) | instid1(VALU_DEP_1)
	v_cmp_ne_u16_e32 vcc_lo, 2, v15
	v_cndmask_b32_e64 v15, 0, 1, vcc_lo
	;;#ASMSTART
	;;#ASMEND
	v_cmp_ne_u32_e32 vcc_lo, 0, v15
	s_waitcnt lgkmcnt(0)
	v_dual_mov_b32 v15, v17 :: v_dual_mov_b32 v16, v18
	s_cmp_lg_u32 vcc_lo, exec_lo
	s_cbranch_scc1 .LBB558_90
; %bb.76:                               ;   in Loop: Header=BB558_75 Depth=1
	v_lshlrev_b64 v[17:18], 4, v[25:26]
	s_mov_b32 s3, exec_lo
	s_delay_alu instid0(VALU_DEP_1) | instskip(NEXT) | instid1(VALU_DEP_2)
	v_add_co_u32 v27, vcc_lo, s10, v17
	v_add_co_ci_u32_e32 v28, vcc_lo, s11, v18, vcc_lo
	;;#ASMSTART
	global_load_dwordx4 v[17:20], v[27:28] off glc	
s_waitcnt vmcnt(0)
	;;#ASMEND
	v_and_b32_e32 v20, 0xff, v18
	v_and_b32_e32 v52, 0xff00, v18
	v_or3_b32 v17, v17, 0, 0
	v_and_b32_e32 v53, 0xff000000, v18
	v_and_b32_e32 v18, 0xff0000, v18
	s_delay_alu instid0(VALU_DEP_4) | instskip(SKIP_2) | instid1(VALU_DEP_3)
	v_or3_b32 v20, 0, v20, v52
	v_and_b32_e32 v52, 0xff, v19
	v_or3_b32 v17, v17, 0, 0
	v_or3_b32 v18, v20, v18, v53
	s_delay_alu instid0(VALU_DEP_3)
	v_cmpx_eq_u16_e32 0, v52
	s_cbranch_execz .LBB558_80
; %bb.77:                               ;   in Loop: Header=BB558_75 Depth=1
	s_mov_b32 s14, 0
.LBB558_78:                             ;   Parent Loop BB558_75 Depth=1
                                        ; =>  This Inner Loop Header: Depth=2
	;;#ASMSTART
	global_load_dwordx4 v[17:20], v[27:28] off glc	
s_waitcnt vmcnt(0)
	;;#ASMEND
	v_and_b32_e32 v20, 0xff, v19
	s_delay_alu instid0(VALU_DEP_1) | instskip(SKIP_1) | instid1(SALU_CYCLE_1)
	v_cmp_ne_u16_e32 vcc_lo, 0, v20
	s_or_b32 s14, vcc_lo, s14
	s_and_not1_b32 exec_lo, exec_lo, s14
	s_cbranch_execnz .LBB558_78
; %bb.79:                               ;   in Loop: Header=BB558_75 Depth=1
	s_or_b32 exec_lo, exec_lo, s14
.LBB558_80:                             ;   in Loop: Header=BB558_75 Depth=1
	s_delay_alu instid0(SALU_CYCLE_1)
	s_or_b32 exec_lo, exec_lo, s3
	v_dual_mov_b32 v27, v17 :: v_dual_and_b32 v20, 0xff, v19
	ds_bpermute_b32 v52, v42, v17
	ds_bpermute_b32 v28, v42, v18
	s_mov_b32 s3, exec_lo
	v_cmp_eq_u16_e32 vcc_lo, 2, v20
	v_and_or_b32 v20, vcc_lo, v43, 0x80000000
	s_delay_alu instid0(VALU_DEP_1) | instskip(NEXT) | instid1(VALU_DEP_1)
	v_ctz_i32_b32_e32 v20, v20
	v_cmpx_lt_u32_e64 v40, v20
	s_cbranch_execz .LBB558_82
; %bb.81:                               ;   in Loop: Header=BB558_75 Depth=1
	s_waitcnt lgkmcnt(1)
	v_add_co_u32 v27, vcc_lo, v17, v52
	v_add_co_ci_u32_e32 v18, vcc_lo, 0, v18, vcc_lo
	s_delay_alu instid0(VALU_DEP_2) | instskip(SKIP_1) | instid1(VALU_DEP_2)
	v_add_co_u32 v17, vcc_lo, 0, v27
	s_waitcnt lgkmcnt(0)
	v_add_co_ci_u32_e32 v18, vcc_lo, v28, v18, vcc_lo
.LBB558_82:                             ;   in Loop: Header=BB558_75 Depth=1
	s_or_b32 exec_lo, exec_lo, s3
	s_waitcnt lgkmcnt(1)
	ds_bpermute_b32 v52, v44, v27
	s_waitcnt lgkmcnt(1)
	ds_bpermute_b32 v28, v44, v18
	s_mov_b32 s3, exec_lo
	v_cmpx_le_u32_e64 v45, v20
	s_cbranch_execz .LBB558_84
; %bb.83:                               ;   in Loop: Header=BB558_75 Depth=1
	s_waitcnt lgkmcnt(1)
	v_add_co_u32 v27, vcc_lo, v17, v52
	v_add_co_ci_u32_e32 v18, vcc_lo, 0, v18, vcc_lo
	s_delay_alu instid0(VALU_DEP_2) | instskip(SKIP_1) | instid1(VALU_DEP_2)
	v_add_co_u32 v17, vcc_lo, 0, v27
	s_waitcnt lgkmcnt(0)
	v_add_co_ci_u32_e32 v18, vcc_lo, v28, v18, vcc_lo
.LBB558_84:                             ;   in Loop: Header=BB558_75 Depth=1
	s_or_b32 exec_lo, exec_lo, s3
	s_waitcnt lgkmcnt(1)
	ds_bpermute_b32 v52, v46, v27
	s_waitcnt lgkmcnt(1)
	ds_bpermute_b32 v28, v46, v18
	s_mov_b32 s3, exec_lo
	v_cmpx_le_u32_e64 v47, v20
	;; [unrolled: 17-line block ×3, first 2 shown]
	s_cbranch_execz .LBB558_88
; %bb.87:                               ;   in Loop: Header=BB558_75 Depth=1
	s_waitcnt lgkmcnt(1)
	v_add_co_u32 v27, vcc_lo, v17, v52
	v_add_co_ci_u32_e32 v18, vcc_lo, 0, v18, vcc_lo
	s_delay_alu instid0(VALU_DEP_2) | instskip(SKIP_1) | instid1(VALU_DEP_2)
	v_add_co_u32 v17, vcc_lo, 0, v27
	s_waitcnt lgkmcnt(0)
	v_add_co_ci_u32_e32 v18, vcc_lo, v28, v18, vcc_lo
.LBB558_88:                             ;   in Loop: Header=BB558_75 Depth=1
	s_or_b32 exec_lo, exec_lo, s3
	s_waitcnt lgkmcnt(0)
	ds_bpermute_b32 v28, v50, v27
	ds_bpermute_b32 v27, v50, v18
	s_mov_b32 s3, exec_lo
	v_cmpx_le_u32_e64 v51, v20
	s_cbranch_execz .LBB558_74
; %bb.89:                               ;   in Loop: Header=BB558_75 Depth=1
	s_waitcnt lgkmcnt(1)
	v_add_co_u32 v17, vcc_lo, v17, v28
	v_add_co_ci_u32_e32 v18, vcc_lo, 0, v18, vcc_lo
	s_delay_alu instid0(VALU_DEP_2) | instskip(SKIP_1) | instid1(VALU_DEP_2)
	v_add_co_u32 v17, vcc_lo, v17, 0
	s_waitcnt lgkmcnt(0)
	v_add_co_ci_u32_e32 v18, vcc_lo, v18, v27, vcc_lo
	s_branch .LBB558_74
.LBB558_90:                             ;   in Loop: Header=BB558_75 Depth=1
                                        ; implicit-def: $vgpr17_vgpr18
	s_cbranch_execz .LBB558_75
; %bb.91:
	s_and_saveexec_b32 s3, s1
	s_cbranch_execz .LBB558_93
; %bb.92:
	s_add_i32 s14, s15, 32
	s_mov_b32 s15, 0
	v_add_co_u32 v17, vcc_lo, v15, v13
	s_lshl_b64 s[14:15], s[14:15], 4
	v_dual_mov_b32 v19, 2 :: v_dual_mov_b32 v20, 0
	s_add_u32 s14, s10, s14
	s_addc_u32 s15, s11, s15
	v_add_co_ci_u32_e32 v18, vcc_lo, v16, v14, vcc_lo
	v_dual_mov_b32 v26, s15 :: v_dual_mov_b32 v25, s14
	;;#ASMSTART
	global_store_dwordx4 v[25:26], v[17:20] off	
s_waitcnt vmcnt(0)
	;;#ASMEND
	ds_store_b128 v20, v[13:16] offset:18432
.LBB558_93:
	s_or_b32 exec_lo, exec_lo, s3
	v_cmp_eq_u32_e32 vcc_lo, 0, v0
	s_and_b32 exec_lo, exec_lo, vcc_lo
	s_cbranch_execz .LBB558_95
; %bb.94:
	v_mov_b32_e32 v13, 0
	ds_store_b64 v13, v[15:16] offset:88
.LBB558_95:
	s_or_b32 exec_lo, exec_lo, s2
	s_waitcnt lgkmcnt(1)
	v_cndmask_b32_e64 v16, v29, v23, s1
	v_cmp_ne_u32_e32 vcc_lo, 0, v0
	v_mov_b32_e32 v15, 0
	s_waitcnt lgkmcnt(0)
	s_barrier
	buffer_gl0_inv
	v_cndmask_b32_e32 v16, 0, v16, vcc_lo
	ds_load_b64 v[13:14], v15 offset:88
	v_cndmask_b32_e64 v17, v30, v24, s1
	s_waitcnt lgkmcnt(0)
	s_barrier
	buffer_gl0_inv
	v_cndmask_b32_e32 v17, 0, v17, vcc_lo
	v_add_co_u32 v29, vcc_lo, v13, v16
	s_delay_alu instid0(VALU_DEP_2) | instskip(SKIP_3) | instid1(VALU_DEP_2)
	v_add_co_ci_u32_e32 v30, vcc_lo, v14, v17, vcc_lo
	ds_load_b128 v[13:16], v15 offset:18432
	v_add_co_u32 v27, vcc_lo, v29, v39
	v_add_co_ci_u32_e32 v28, vcc_lo, 0, v30, vcc_lo
	v_add_co_u32 v25, vcc_lo, v27, v38
	s_delay_alu instid0(VALU_DEP_2) | instskip(NEXT) | instid1(VALU_DEP_2)
	v_add_co_ci_u32_e32 v26, vcc_lo, 0, v28, vcc_lo
	v_add_co_u32 v23, vcc_lo, v25, v37
	s_delay_alu instid0(VALU_DEP_2) | instskip(NEXT) | instid1(VALU_DEP_2)
	;; [unrolled: 3-line block ×3, first 2 shown]
	v_add_co_ci_u32_e32 v20, vcc_lo, 0, v24, vcc_lo
	v_add_co_u32 v17, vcc_lo, v19, v36
	s_delay_alu instid0(VALU_DEP_2)
	v_add_co_ci_u32_e32 v18, vcc_lo, 0, v20, vcc_lo
	s_branch .LBB558_124
.LBB558_96:
                                        ; implicit-def: $vgpr17_vgpr18
                                        ; implicit-def: $vgpr19_vgpr20
                                        ; implicit-def: $vgpr23_vgpr24
                                        ; implicit-def: $vgpr25_vgpr26
                                        ; implicit-def: $vgpr27_vgpr28
                                        ; implicit-def: $vgpr29_vgpr30
                                        ; implicit-def: $vgpr15_vgpr16
	s_and_b32 vcc_lo, exec_lo, s1
	s_cbranch_vccz .LBB558_124
; %bb.97:
	s_waitcnt lgkmcnt(0)
	v_dual_mov_b32 v14, 0 :: v_dual_mov_b32 v15, v21
	v_mov_b32_dpp v16, v21 row_shr:1 row_mask:0xf bank_mask:0xf
	s_delay_alu instid0(VALU_DEP_2)
	v_mov_b32_dpp v13, v14 row_shr:1 row_mask:0xf bank_mask:0xf
	s_and_saveexec_b32 s1, s0
; %bb.98:
	s_delay_alu instid0(VALU_DEP_2) | instskip(SKIP_1) | instid1(VALU_DEP_2)
	v_add_co_u32 v15, vcc_lo, v21, v16
	v_add_co_ci_u32_e32 v14, vcc_lo, 0, v22, vcc_lo
	v_add_co_u32 v21, vcc_lo, 0, v15
	s_delay_alu instid0(VALU_DEP_2) | instskip(NEXT) | instid1(VALU_DEP_1)
	v_add_co_ci_u32_e32 v22, vcc_lo, v13, v14, vcc_lo
	v_mov_b32_e32 v14, v22
; %bb.99:
	s_or_b32 exec_lo, exec_lo, s1
	v_mov_b32_dpp v13, v15 row_shr:2 row_mask:0xf bank_mask:0xf
	s_delay_alu instid0(VALU_DEP_2)
	v_mov_b32_dpp v16, v14 row_shr:2 row_mask:0xf bank_mask:0xf
	v_cmp_lt_u32_e32 vcc_lo, 1, v41
	s_and_saveexec_b32 s2, vcc_lo
; %bb.100:
	s_delay_alu instid0(VALU_DEP_3) | instskip(NEXT) | instid1(VALU_DEP_1)
	v_add_co_u32 v15, s1, v21, v13
	v_add_co_ci_u32_e64 v14, s1, 0, v22, s1
	s_delay_alu instid0(VALU_DEP_2) | instskip(NEXT) | instid1(VALU_DEP_1)
	v_add_co_u32 v13, s1, 0, v15
	v_add_co_ci_u32_e64 v14, s1, v16, v14, s1
	s_delay_alu instid0(VALU_DEP_1)
	v_dual_mov_b32 v22, v14 :: v_dual_mov_b32 v21, v13
; %bb.101:
	s_or_b32 exec_lo, exec_lo, s2
	v_mov_b32_dpp v13, v15 row_shr:4 row_mask:0xf bank_mask:0xf
	v_mov_b32_dpp v16, v14 row_shr:4 row_mask:0xf bank_mask:0xf
	v_cmp_lt_u32_e64 s1, 3, v41
	s_delay_alu instid0(VALU_DEP_1)
	s_and_saveexec_b32 s3, s1
; %bb.102:
	s_delay_alu instid0(VALU_DEP_3) | instskip(NEXT) | instid1(VALU_DEP_1)
	v_add_co_u32 v15, s2, v21, v13
	v_add_co_ci_u32_e64 v14, s2, 0, v22, s2
	s_delay_alu instid0(VALU_DEP_2) | instskip(NEXT) | instid1(VALU_DEP_1)
	v_add_co_u32 v13, s2, 0, v15
	v_add_co_ci_u32_e64 v14, s2, v16, v14, s2
	s_delay_alu instid0(VALU_DEP_1)
	v_dual_mov_b32 v22, v14 :: v_dual_mov_b32 v21, v13
; %bb.103:
	s_or_b32 exec_lo, exec_lo, s3
	v_mov_b32_dpp v16, v15 row_shr:8 row_mask:0xf bank_mask:0xf
	v_mov_b32_dpp v13, v14 row_shr:8 row_mask:0xf bank_mask:0xf
	v_cmp_lt_u32_e64 s2, 7, v41
	s_delay_alu instid0(VALU_DEP_1)
	s_and_saveexec_b32 s14, s2
; %bb.104:
	s_delay_alu instid0(VALU_DEP_3) | instskip(NEXT) | instid1(VALU_DEP_1)
	v_add_co_u32 v15, s3, v21, v16
	v_add_co_ci_u32_e64 v14, s3, 0, v22, s3
	s_delay_alu instid0(VALU_DEP_2) | instskip(NEXT) | instid1(VALU_DEP_1)
	v_add_co_u32 v21, s3, 0, v15
	v_add_co_ci_u32_e64 v22, s3, v13, v14, s3
	s_delay_alu instid0(VALU_DEP_1)
	v_mov_b32_e32 v14, v22
; %bb.105:
	s_or_b32 exec_lo, exec_lo, s14
	ds_swizzle_b32 v15, v15 offset:swizzle(BROADCAST,32,15)
	ds_swizzle_b32 v13, v14 offset:swizzle(BROADCAST,32,15)
	v_and_b32_e32 v14, 16, v40
	s_mov_b32 s14, exec_lo
	s_delay_alu instid0(VALU_DEP_1)
	v_cmpx_ne_u32_e32 0, v14
	s_cbranch_execz .LBB558_107
; %bb.106:
	s_waitcnt lgkmcnt(1)
	v_add_co_u32 v14, s3, v21, v15
	s_delay_alu instid0(VALU_DEP_1) | instskip(NEXT) | instid1(VALU_DEP_2)
	v_add_co_ci_u32_e64 v15, s3, 0, v22, s3
	v_add_co_u32 v21, s3, v14, 0
	s_waitcnt lgkmcnt(0)
	s_delay_alu instid0(VALU_DEP_2)
	v_add_co_ci_u32_e64 v22, s3, v15, v13, s3
.LBB558_107:
	s_or_b32 exec_lo, exec_lo, s14
	s_waitcnt lgkmcnt(0)
	v_and_b32_e32 v13, 0x1e0, v0
	v_lshrrev_b32_e32 v15, 5, v0
	s_mov_b32 s14, exec_lo
	s_delay_alu instid0(VALU_DEP_2) | instskip(NEXT) | instid1(VALU_DEP_1)
	v_min_u32_e32 v13, 0x160, v13
	v_or_b32_e32 v13, 31, v13
	s_delay_alu instid0(VALU_DEP_1)
	v_cmpx_eq_u32_e64 v13, v0
	s_cbranch_execz .LBB558_109
; %bb.108:
	v_lshlrev_b32_e32 v13, 3, v15
	ds_store_b64 v13, v[21:22]
.LBB558_109:
	s_or_b32 exec_lo, exec_lo, s14
	s_delay_alu instid0(SALU_CYCLE_1)
	s_mov_b32 s14, exec_lo
	s_waitcnt lgkmcnt(0)
	s_barrier
	buffer_gl0_inv
	v_cmpx_gt_u32_e32 12, v0
	s_cbranch_execz .LBB558_119
; %bb.110:
	v_mad_i32_i24 v13, 0xffffffd8, v0, v35
	ds_load_b64 v[13:14], v13
	s_waitcnt lgkmcnt(0)
	v_mov_b32_dpp v18, v13 row_shr:1 row_mask:0xf bank_mask:0xf
	v_mov_b32_dpp v17, v14 row_shr:1 row_mask:0xf bank_mask:0xf
	v_mov_b32_e32 v16, v13
	s_and_saveexec_b32 s3, s0
; %bb.111:
	s_delay_alu instid0(VALU_DEP_3) | instskip(NEXT) | instid1(VALU_DEP_1)
	v_add_co_u32 v16, s0, v13, v18
	v_add_co_ci_u32_e64 v14, s0, 0, v14, s0
	s_delay_alu instid0(VALU_DEP_2) | instskip(NEXT) | instid1(VALU_DEP_1)
	v_add_co_u32 v13, s0, 0, v16
	v_add_co_ci_u32_e64 v14, s0, v17, v14, s0
; %bb.112:
	s_or_b32 exec_lo, exec_lo, s3
	v_mov_b32_dpp v18, v16 row_shr:2 row_mask:0xf bank_mask:0xf
	s_delay_alu instid0(VALU_DEP_2)
	v_mov_b32_dpp v17, v14 row_shr:2 row_mask:0xf bank_mask:0xf
	s_and_saveexec_b32 s0, vcc_lo
; %bb.113:
	s_delay_alu instid0(VALU_DEP_2) | instskip(SKIP_1) | instid1(VALU_DEP_2)
	v_add_co_u32 v16, vcc_lo, v13, v18
	v_add_co_ci_u32_e32 v14, vcc_lo, 0, v14, vcc_lo
	v_add_co_u32 v13, vcc_lo, 0, v16
	s_delay_alu instid0(VALU_DEP_2)
	v_add_co_ci_u32_e32 v14, vcc_lo, v17, v14, vcc_lo
; %bb.114:
	s_or_b32 exec_lo, exec_lo, s0
	v_mov_b32_dpp v18, v16 row_shr:4 row_mask:0xf bank_mask:0xf
	s_delay_alu instid0(VALU_DEP_2)
	v_mov_b32_dpp v17, v14 row_shr:4 row_mask:0xf bank_mask:0xf
	s_and_saveexec_b32 s0, s1
; %bb.115:
	s_delay_alu instid0(VALU_DEP_2) | instskip(SKIP_1) | instid1(VALU_DEP_2)
	v_add_co_u32 v16, vcc_lo, v13, v18
	v_add_co_ci_u32_e32 v14, vcc_lo, 0, v14, vcc_lo
	v_add_co_u32 v13, vcc_lo, 0, v16
	s_delay_alu instid0(VALU_DEP_2)
	v_add_co_ci_u32_e32 v14, vcc_lo, v17, v14, vcc_lo
; %bb.116:
	s_or_b32 exec_lo, exec_lo, s0
	v_mul_i32_i24_e32 v17, 0xffffffd8, v0
	v_mov_b32_dpp v18, v16 row_shr:8 row_mask:0xf bank_mask:0xf
	s_delay_alu instid0(VALU_DEP_3)
	v_mov_b32_dpp v16, v14 row_shr:8 row_mask:0xf bank_mask:0xf
	s_and_saveexec_b32 s0, s2
; %bb.117:
	s_delay_alu instid0(VALU_DEP_2) | instskip(SKIP_1) | instid1(VALU_DEP_2)
	v_add_co_u32 v13, vcc_lo, v13, v18
	v_add_co_ci_u32_e32 v14, vcc_lo, 0, v14, vcc_lo
	v_add_co_u32 v13, vcc_lo, v13, 0
	s_delay_alu instid0(VALU_DEP_2)
	v_add_co_ci_u32_e32 v14, vcc_lo, v14, v16, vcc_lo
; %bb.118:
	s_or_b32 exec_lo, exec_lo, s0
	v_add_nc_u32_e32 v16, v35, v17
	ds_store_b64 v16, v[13:14]
.LBB558_119:
	s_or_b32 exec_lo, exec_lo, s14
	v_mov_b32_e32 v17, 0
	v_mov_b32_e32 v18, 0
	s_mov_b32 s0, exec_lo
	s_waitcnt lgkmcnt(0)
	s_barrier
	buffer_gl0_inv
	v_cmpx_lt_u32_e32 31, v0
	s_cbranch_execz .LBB558_121
; %bb.120:
	v_lshl_add_u32 v13, v15, 3, -8
	ds_load_b64 v[17:18], v13
.LBB558_121:
	s_or_b32 exec_lo, exec_lo, s0
	v_dual_mov_b32 v16, 0 :: v_dual_add_nc_u32 v13, -1, v40
	s_delay_alu instid0(VALU_DEP_1) | instskip(SKIP_4) | instid1(VALU_DEP_3)
	v_cmp_gt_i32_e32 vcc_lo, 0, v13
	v_cndmask_b32_e32 v13, v13, v40, vcc_lo
	s_waitcnt lgkmcnt(0)
	v_add_co_u32 v14, vcc_lo, v17, v21
	v_add_co_ci_u32_e32 v15, vcc_lo, v18, v22, vcc_lo
	v_lshlrev_b32_e32 v13, 2, v13
	v_cmp_eq_u32_e32 vcc_lo, 0, v0
	ds_bpermute_b32 v19, v13, v14
	ds_bpermute_b32 v20, v13, v15
	ds_load_b64 v[13:14], v16 offset:88
	s_and_saveexec_b32 s0, vcc_lo
	s_cbranch_execz .LBB558_123
; %bb.122:
	s_add_u32 s2, s10, 0x200
	s_addc_u32 s3, s11, 0
	s_delay_alu instid0(SALU_CYCLE_1)
	v_dual_mov_b32 v15, 2 :: v_dual_mov_b32 v22, s3
	v_mov_b32_e32 v21, s2
	s_waitcnt lgkmcnt(0)
	;;#ASMSTART
	global_store_dwordx4 v[21:22], v[13:16] off	
s_waitcnt vmcnt(0)
	;;#ASMEND
.LBB558_123:
	s_or_b32 exec_lo, exec_lo, s0
	v_cmp_eq_u32_e64 s0, 0, v40
	s_waitcnt lgkmcnt(0)
	s_barrier
	buffer_gl0_inv
	v_cndmask_b32_e64 v15, v19, v17, s0
	v_cndmask_b32_e64 v16, v20, v18, s0
	s_delay_alu instid0(VALU_DEP_2) | instskip(NEXT) | instid1(VALU_DEP_2)
	v_cndmask_b32_e64 v29, v15, 0, vcc_lo
	v_cndmask_b32_e64 v30, v16, 0, vcc_lo
	v_mov_b32_e32 v15, 0
	v_mov_b32_e32 v16, 0
	s_delay_alu instid0(VALU_DEP_4) | instskip(NEXT) | instid1(VALU_DEP_4)
	v_add_co_u32 v27, vcc_lo, v29, v39
	v_add_co_ci_u32_e32 v28, vcc_lo, 0, v30, vcc_lo
	s_delay_alu instid0(VALU_DEP_2) | instskip(NEXT) | instid1(VALU_DEP_2)
	v_add_co_u32 v25, vcc_lo, v27, v38
	v_add_co_ci_u32_e32 v26, vcc_lo, 0, v28, vcc_lo
	s_delay_alu instid0(VALU_DEP_2) | instskip(NEXT) | instid1(VALU_DEP_2)
	;; [unrolled: 3-line block ×4, first 2 shown]
	v_add_co_u32 v17, vcc_lo, v19, v36
	v_add_co_ci_u32_e32 v18, vcc_lo, 0, v20, vcc_lo
.LBB558_124:
	s_waitcnt lgkmcnt(0)
	v_cmp_gt_u64_e32 vcc_lo, 0x181, v[13:14]
	v_lshrrev_b32_e32 v36, 8, v33
	v_lshrrev_b32_e32 v35, 16, v33
	s_mov_b32 s0, -1
	s_cbranch_vccnz .LBB558_128
; %bb.125:
	s_and_b32 vcc_lo, exec_lo, s0
	s_cbranch_vccnz .LBB558_147
.LBB558_126:
	v_cmp_eq_u32_e32 vcc_lo, 0, v0
	s_and_b32 s0, vcc_lo, s12
	s_delay_alu instid0(SALU_CYCLE_1)
	s_and_saveexec_b32 s1, s0
	s_cbranch_execnz .LBB558_163
.LBB558_127:
	s_nop 0
	s_sendmsg sendmsg(MSG_DEALLOC_VGPRS)
	s_endpgm
.LBB558_128:
	v_add_co_u32 v21, vcc_lo, v15, v13
	v_add_co_ci_u32_e32 v22, vcc_lo, v16, v14, vcc_lo
	s_lshl_b64 s[0:1], s[6:7], 3
	s_delay_alu instid0(SALU_CYCLE_1) | instskip(NEXT) | instid1(VALU_DEP_1)
	s_add_u32 s0, s8, s0
	v_cmp_lt_u64_e32 vcc_lo, v[29:30], v[21:22]
	s_addc_u32 s1, s9, s1
	s_or_b32 s3, s13, vcc_lo
	s_delay_alu instid0(SALU_CYCLE_1)
	s_and_saveexec_b32 s2, s3
	s_cbranch_execz .LBB558_131
; %bb.129:
	v_and_b32_e32 v37, 1, v33
	s_delay_alu instid0(VALU_DEP_1)
	v_cmp_eq_u32_e32 vcc_lo, 1, v37
	s_and_b32 exec_lo, exec_lo, vcc_lo
	s_cbranch_execz .LBB558_131
; %bb.130:
	v_lshlrev_b64 v[37:38], 3, v[29:30]
	s_delay_alu instid0(VALU_DEP_1) | instskip(NEXT) | instid1(VALU_DEP_2)
	v_add_co_u32 v37, vcc_lo, s0, v37
	v_add_co_ci_u32_e32 v38, vcc_lo, s1, v38, vcc_lo
	global_store_b64 v[37:38], v[9:10], off
.LBB558_131:
	s_or_b32 exec_lo, exec_lo, s2
	v_cmp_lt_u64_e32 vcc_lo, v[27:28], v[21:22]
	s_or_b32 s3, s13, vcc_lo
	s_delay_alu instid0(SALU_CYCLE_1)
	s_and_saveexec_b32 s2, s3
	s_cbranch_execz .LBB558_134
; %bb.132:
	v_and_b32_e32 v30, 1, v36
	s_delay_alu instid0(VALU_DEP_1)
	v_cmp_eq_u32_e32 vcc_lo, 1, v30
	s_and_b32 exec_lo, exec_lo, vcc_lo
	s_cbranch_execz .LBB558_134
; %bb.133:
	v_lshlrev_b64 v[37:38], 3, v[27:28]
	s_delay_alu instid0(VALU_DEP_1) | instskip(NEXT) | instid1(VALU_DEP_2)
	v_add_co_u32 v37, vcc_lo, s0, v37
	v_add_co_ci_u32_e32 v38, vcc_lo, s1, v38, vcc_lo
	global_store_b64 v[37:38], v[11:12], off
.LBB558_134:
	s_or_b32 exec_lo, exec_lo, s2
	v_cmp_lt_u64_e32 vcc_lo, v[25:26], v[21:22]
	;; [unrolled: 19-line block ×5, first 2 shown]
	s_or_b32 s3, s13, vcc_lo
	s_delay_alu instid0(SALU_CYCLE_1)
	s_and_saveexec_b32 s2, s3
	s_cbranch_execz .LBB558_146
; %bb.144:
	v_and_b32_e32 v20, 1, v31
	s_delay_alu instid0(VALU_DEP_1)
	v_cmp_eq_u32_e32 vcc_lo, 1, v20
	s_and_b32 exec_lo, exec_lo, vcc_lo
	s_cbranch_execz .LBB558_146
; %bb.145:
	v_lshlrev_b64 v[20:21], 3, v[17:18]
	s_delay_alu instid0(VALU_DEP_1) | instskip(NEXT) | instid1(VALU_DEP_2)
	v_add_co_u32 v20, vcc_lo, s0, v20
	v_add_co_ci_u32_e32 v21, vcc_lo, s1, v21, vcc_lo
	global_store_b64 v[20:21], v[3:4], off
.LBB558_146:
	s_or_b32 exec_lo, exec_lo, s2
	s_branch .LBB558_126
.LBB558_147:
	v_and_b32_e32 v18, 1, v33
	s_mov_b32 s0, exec_lo
	s_delay_alu instid0(VALU_DEP_1)
	v_cmpx_eq_u32_e32 1, v18
	s_cbranch_execz .LBB558_149
; %bb.148:
	v_sub_nc_u32_e32 v18, v29, v15
	s_delay_alu instid0(VALU_DEP_1)
	v_lshlrev_b32_e32 v18, 3, v18
	ds_store_b64 v18, v[9:10]
.LBB558_149:
	s_or_b32 exec_lo, exec_lo, s0
	v_and_b32_e32 v9, 1, v36
	s_mov_b32 s0, exec_lo
	s_delay_alu instid0(VALU_DEP_1)
	v_cmpx_eq_u32_e32 1, v9
	s_cbranch_execz .LBB558_151
; %bb.150:
	v_sub_nc_u32_e32 v9, v27, v15
	s_delay_alu instid0(VALU_DEP_1)
	v_lshlrev_b32_e32 v9, 3, v9
	ds_store_b64 v9, v[11:12]
.LBB558_151:
	s_or_b32 exec_lo, exec_lo, s0
	;; [unrolled: 12-line block ×6, first 2 shown]
	v_mov_b32_e32 v3, 0
	s_mov_b32 s1, exec_lo
	s_waitcnt lgkmcnt(0)
	s_waitcnt_vscnt null, 0x0
	s_barrier
	buffer_gl0_inv
	v_mov_b32_e32 v1, v3
	s_delay_alu instid0(VALU_DEP_1)
	v_cmpx_gt_u64_e64 v[13:14], v[0:1]
	s_cbranch_execz .LBB558_162
; %bb.160:
	v_lshlrev_b64 v[4:5], 3, v[15:16]
	s_lshl_b64 s[2:3], s[6:7], 3
	v_add_nc_u32_e32 v2, 0x180, v0
	s_delay_alu instid0(VALU_DEP_2) | instskip(NEXT) | instid1(VALU_DEP_3)
	v_add_co_u32 v4, vcc_lo, s8, v4
	v_add_co_ci_u32_e32 v5, vcc_lo, s9, v5, vcc_lo
	s_delay_alu instid0(VALU_DEP_2) | instskip(NEXT) | instid1(VALU_DEP_2)
	v_add_co_u32 v6, vcc_lo, v4, s2
	v_add_co_ci_u32_e32 v7, vcc_lo, s3, v5, vcc_lo
	v_dual_mov_b32 v5, v1 :: v_dual_mov_b32 v4, v0
	s_mov_b32 s2, 0
	.p2align	6
.LBB558_161:                            ; =>This Inner Loop Header: Depth=1
	s_delay_alu instid0(VALU_DEP_1) | instskip(NEXT) | instid1(VALU_DEP_2)
	v_lshlrev_b32_e32 v1, 3, v4
	v_lshlrev_b64 v[10:11], 3, v[4:5]
	v_dual_mov_b32 v5, v3 :: v_dual_mov_b32 v4, v2
	v_cmp_le_u64_e32 vcc_lo, v[13:14], v[2:3]
	v_add_nc_u32_e32 v2, 0x180, v2
	ds_load_b64 v[8:9], v1
	v_add_co_u32 v10, s0, v6, v10
	s_delay_alu instid0(VALU_DEP_1)
	v_add_co_ci_u32_e64 v11, s0, v7, v11, s0
	s_or_b32 s2, vcc_lo, s2
	s_waitcnt lgkmcnt(0)
	global_store_b64 v[10:11], v[8:9], off
	s_and_not1_b32 exec_lo, exec_lo, s2
	s_cbranch_execnz .LBB558_161
.LBB558_162:
	s_or_b32 exec_lo, exec_lo, s1
	v_cmp_eq_u32_e32 vcc_lo, 0, v0
	s_and_b32 s0, vcc_lo, s12
	s_delay_alu instid0(SALU_CYCLE_1)
	s_and_saveexec_b32 s1, s0
	s_cbranch_execz .LBB558_127
.LBB558_163:
	v_add_co_u32 v0, vcc_lo, v15, v13
	v_add_co_ci_u32_e32 v1, vcc_lo, v16, v14, vcc_lo
	v_mov_b32_e32 v2, 0
	s_delay_alu instid0(VALU_DEP_3) | instskip(NEXT) | instid1(VALU_DEP_3)
	v_add_co_u32 v0, vcc_lo, v0, s6
	v_add_co_ci_u32_e32 v1, vcc_lo, s7, v1, vcc_lo
	global_store_b64 v2, v[0:1], s[4:5]
	s_nop 0
	s_sendmsg sendmsg(MSG_DEALLOC_VGPRS)
	s_endpgm
	.section	.rodata,"a",@progbits
	.p2align	6, 0x0
	.amdhsa_kernel _ZN7rocprim17ROCPRIM_400000_NS6detail17trampoline_kernelINS0_14default_configENS1_25partition_config_selectorILNS1_17partition_subalgoE6ExNS0_10empty_typeEbEEZZNS1_14partition_implILS5_6ELb0ES3_mN6thrust23THRUST_200600_302600_NS6detail15normal_iteratorINSA_10device_ptrIxEEEEPS6_SG_NS0_5tupleIJSF_S6_EEENSH_IJSG_SG_EEES6_PlJ5mod_3IxEEEE10hipError_tPvRmT3_T4_T5_T6_T7_T9_mT8_P12ihipStream_tbDpT10_ENKUlT_T0_E_clISt17integral_constantIbLb0EES16_EEDaS11_S12_EUlS11_E_NS1_11comp_targetILNS1_3genE9ELNS1_11target_archE1100ELNS1_3gpuE3ELNS1_3repE0EEENS1_30default_config_static_selectorELNS0_4arch9wavefront6targetE0EEEvT1_
		.amdhsa_group_segment_fixed_size 18448
		.amdhsa_private_segment_fixed_size 0
		.amdhsa_kernarg_size 112
		.amdhsa_user_sgpr_count 15
		.amdhsa_user_sgpr_dispatch_ptr 0
		.amdhsa_user_sgpr_queue_ptr 0
		.amdhsa_user_sgpr_kernarg_segment_ptr 1
		.amdhsa_user_sgpr_dispatch_id 0
		.amdhsa_user_sgpr_private_segment_size 0
		.amdhsa_wavefront_size32 1
		.amdhsa_uses_dynamic_stack 0
		.amdhsa_enable_private_segment 0
		.amdhsa_system_sgpr_workgroup_id_x 1
		.amdhsa_system_sgpr_workgroup_id_y 0
		.amdhsa_system_sgpr_workgroup_id_z 0
		.amdhsa_system_sgpr_workgroup_info 0
		.amdhsa_system_vgpr_workitem_id 0
		.amdhsa_next_free_vgpr 54
		.amdhsa_next_free_sgpr 19
		.amdhsa_reserve_vcc 1
		.amdhsa_float_round_mode_32 0
		.amdhsa_float_round_mode_16_64 0
		.amdhsa_float_denorm_mode_32 3
		.amdhsa_float_denorm_mode_16_64 3
		.amdhsa_dx10_clamp 1
		.amdhsa_ieee_mode 1
		.amdhsa_fp16_overflow 0
		.amdhsa_workgroup_processor_mode 1
		.amdhsa_memory_ordered 1
		.amdhsa_forward_progress 0
		.amdhsa_shared_vgpr_count 0
		.amdhsa_exception_fp_ieee_invalid_op 0
		.amdhsa_exception_fp_denorm_src 0
		.amdhsa_exception_fp_ieee_div_zero 0
		.amdhsa_exception_fp_ieee_overflow 0
		.amdhsa_exception_fp_ieee_underflow 0
		.amdhsa_exception_fp_ieee_inexact 0
		.amdhsa_exception_int_div_zero 0
	.end_amdhsa_kernel
	.section	.text._ZN7rocprim17ROCPRIM_400000_NS6detail17trampoline_kernelINS0_14default_configENS1_25partition_config_selectorILNS1_17partition_subalgoE6ExNS0_10empty_typeEbEEZZNS1_14partition_implILS5_6ELb0ES3_mN6thrust23THRUST_200600_302600_NS6detail15normal_iteratorINSA_10device_ptrIxEEEEPS6_SG_NS0_5tupleIJSF_S6_EEENSH_IJSG_SG_EEES6_PlJ5mod_3IxEEEE10hipError_tPvRmT3_T4_T5_T6_T7_T9_mT8_P12ihipStream_tbDpT10_ENKUlT_T0_E_clISt17integral_constantIbLb0EES16_EEDaS11_S12_EUlS11_E_NS1_11comp_targetILNS1_3genE9ELNS1_11target_archE1100ELNS1_3gpuE3ELNS1_3repE0EEENS1_30default_config_static_selectorELNS0_4arch9wavefront6targetE0EEEvT1_,"axG",@progbits,_ZN7rocprim17ROCPRIM_400000_NS6detail17trampoline_kernelINS0_14default_configENS1_25partition_config_selectorILNS1_17partition_subalgoE6ExNS0_10empty_typeEbEEZZNS1_14partition_implILS5_6ELb0ES3_mN6thrust23THRUST_200600_302600_NS6detail15normal_iteratorINSA_10device_ptrIxEEEEPS6_SG_NS0_5tupleIJSF_S6_EEENSH_IJSG_SG_EEES6_PlJ5mod_3IxEEEE10hipError_tPvRmT3_T4_T5_T6_T7_T9_mT8_P12ihipStream_tbDpT10_ENKUlT_T0_E_clISt17integral_constantIbLb0EES16_EEDaS11_S12_EUlS11_E_NS1_11comp_targetILNS1_3genE9ELNS1_11target_archE1100ELNS1_3gpuE3ELNS1_3repE0EEENS1_30default_config_static_selectorELNS0_4arch9wavefront6targetE0EEEvT1_,comdat
.Lfunc_end558:
	.size	_ZN7rocprim17ROCPRIM_400000_NS6detail17trampoline_kernelINS0_14default_configENS1_25partition_config_selectorILNS1_17partition_subalgoE6ExNS0_10empty_typeEbEEZZNS1_14partition_implILS5_6ELb0ES3_mN6thrust23THRUST_200600_302600_NS6detail15normal_iteratorINSA_10device_ptrIxEEEEPS6_SG_NS0_5tupleIJSF_S6_EEENSH_IJSG_SG_EEES6_PlJ5mod_3IxEEEE10hipError_tPvRmT3_T4_T5_T6_T7_T9_mT8_P12ihipStream_tbDpT10_ENKUlT_T0_E_clISt17integral_constantIbLb0EES16_EEDaS11_S12_EUlS11_E_NS1_11comp_targetILNS1_3genE9ELNS1_11target_archE1100ELNS1_3gpuE3ELNS1_3repE0EEENS1_30default_config_static_selectorELNS0_4arch9wavefront6targetE0EEEvT1_, .Lfunc_end558-_ZN7rocprim17ROCPRIM_400000_NS6detail17trampoline_kernelINS0_14default_configENS1_25partition_config_selectorILNS1_17partition_subalgoE6ExNS0_10empty_typeEbEEZZNS1_14partition_implILS5_6ELb0ES3_mN6thrust23THRUST_200600_302600_NS6detail15normal_iteratorINSA_10device_ptrIxEEEEPS6_SG_NS0_5tupleIJSF_S6_EEENSH_IJSG_SG_EEES6_PlJ5mod_3IxEEEE10hipError_tPvRmT3_T4_T5_T6_T7_T9_mT8_P12ihipStream_tbDpT10_ENKUlT_T0_E_clISt17integral_constantIbLb0EES16_EEDaS11_S12_EUlS11_E_NS1_11comp_targetILNS1_3genE9ELNS1_11target_archE1100ELNS1_3gpuE3ELNS1_3repE0EEENS1_30default_config_static_selectorELNS0_4arch9wavefront6targetE0EEEvT1_
                                        ; -- End function
	.section	.AMDGPU.csdata,"",@progbits
; Kernel info:
; codeLenInByte = 6872
; NumSgprs: 21
; NumVgprs: 54
; ScratchSize: 0
; MemoryBound: 0
; FloatMode: 240
; IeeeMode: 1
; LDSByteSize: 18448 bytes/workgroup (compile time only)
; SGPRBlocks: 2
; VGPRBlocks: 6
; NumSGPRsForWavesPerEU: 21
; NumVGPRsForWavesPerEU: 54
; Occupancy: 15
; WaveLimiterHint : 1
; COMPUTE_PGM_RSRC2:SCRATCH_EN: 0
; COMPUTE_PGM_RSRC2:USER_SGPR: 15
; COMPUTE_PGM_RSRC2:TRAP_HANDLER: 0
; COMPUTE_PGM_RSRC2:TGID_X_EN: 1
; COMPUTE_PGM_RSRC2:TGID_Y_EN: 0
; COMPUTE_PGM_RSRC2:TGID_Z_EN: 0
; COMPUTE_PGM_RSRC2:TIDIG_COMP_CNT: 0
	.section	.text._ZN7rocprim17ROCPRIM_400000_NS6detail17trampoline_kernelINS0_14default_configENS1_25partition_config_selectorILNS1_17partition_subalgoE6ExNS0_10empty_typeEbEEZZNS1_14partition_implILS5_6ELb0ES3_mN6thrust23THRUST_200600_302600_NS6detail15normal_iteratorINSA_10device_ptrIxEEEEPS6_SG_NS0_5tupleIJSF_S6_EEENSH_IJSG_SG_EEES6_PlJ5mod_3IxEEEE10hipError_tPvRmT3_T4_T5_T6_T7_T9_mT8_P12ihipStream_tbDpT10_ENKUlT_T0_E_clISt17integral_constantIbLb0EES16_EEDaS11_S12_EUlS11_E_NS1_11comp_targetILNS1_3genE8ELNS1_11target_archE1030ELNS1_3gpuE2ELNS1_3repE0EEENS1_30default_config_static_selectorELNS0_4arch9wavefront6targetE0EEEvT1_,"axG",@progbits,_ZN7rocprim17ROCPRIM_400000_NS6detail17trampoline_kernelINS0_14default_configENS1_25partition_config_selectorILNS1_17partition_subalgoE6ExNS0_10empty_typeEbEEZZNS1_14partition_implILS5_6ELb0ES3_mN6thrust23THRUST_200600_302600_NS6detail15normal_iteratorINSA_10device_ptrIxEEEEPS6_SG_NS0_5tupleIJSF_S6_EEENSH_IJSG_SG_EEES6_PlJ5mod_3IxEEEE10hipError_tPvRmT3_T4_T5_T6_T7_T9_mT8_P12ihipStream_tbDpT10_ENKUlT_T0_E_clISt17integral_constantIbLb0EES16_EEDaS11_S12_EUlS11_E_NS1_11comp_targetILNS1_3genE8ELNS1_11target_archE1030ELNS1_3gpuE2ELNS1_3repE0EEENS1_30default_config_static_selectorELNS0_4arch9wavefront6targetE0EEEvT1_,comdat
	.protected	_ZN7rocprim17ROCPRIM_400000_NS6detail17trampoline_kernelINS0_14default_configENS1_25partition_config_selectorILNS1_17partition_subalgoE6ExNS0_10empty_typeEbEEZZNS1_14partition_implILS5_6ELb0ES3_mN6thrust23THRUST_200600_302600_NS6detail15normal_iteratorINSA_10device_ptrIxEEEEPS6_SG_NS0_5tupleIJSF_S6_EEENSH_IJSG_SG_EEES6_PlJ5mod_3IxEEEE10hipError_tPvRmT3_T4_T5_T6_T7_T9_mT8_P12ihipStream_tbDpT10_ENKUlT_T0_E_clISt17integral_constantIbLb0EES16_EEDaS11_S12_EUlS11_E_NS1_11comp_targetILNS1_3genE8ELNS1_11target_archE1030ELNS1_3gpuE2ELNS1_3repE0EEENS1_30default_config_static_selectorELNS0_4arch9wavefront6targetE0EEEvT1_ ; -- Begin function _ZN7rocprim17ROCPRIM_400000_NS6detail17trampoline_kernelINS0_14default_configENS1_25partition_config_selectorILNS1_17partition_subalgoE6ExNS0_10empty_typeEbEEZZNS1_14partition_implILS5_6ELb0ES3_mN6thrust23THRUST_200600_302600_NS6detail15normal_iteratorINSA_10device_ptrIxEEEEPS6_SG_NS0_5tupleIJSF_S6_EEENSH_IJSG_SG_EEES6_PlJ5mod_3IxEEEE10hipError_tPvRmT3_T4_T5_T6_T7_T9_mT8_P12ihipStream_tbDpT10_ENKUlT_T0_E_clISt17integral_constantIbLb0EES16_EEDaS11_S12_EUlS11_E_NS1_11comp_targetILNS1_3genE8ELNS1_11target_archE1030ELNS1_3gpuE2ELNS1_3repE0EEENS1_30default_config_static_selectorELNS0_4arch9wavefront6targetE0EEEvT1_
	.globl	_ZN7rocprim17ROCPRIM_400000_NS6detail17trampoline_kernelINS0_14default_configENS1_25partition_config_selectorILNS1_17partition_subalgoE6ExNS0_10empty_typeEbEEZZNS1_14partition_implILS5_6ELb0ES3_mN6thrust23THRUST_200600_302600_NS6detail15normal_iteratorINSA_10device_ptrIxEEEEPS6_SG_NS0_5tupleIJSF_S6_EEENSH_IJSG_SG_EEES6_PlJ5mod_3IxEEEE10hipError_tPvRmT3_T4_T5_T6_T7_T9_mT8_P12ihipStream_tbDpT10_ENKUlT_T0_E_clISt17integral_constantIbLb0EES16_EEDaS11_S12_EUlS11_E_NS1_11comp_targetILNS1_3genE8ELNS1_11target_archE1030ELNS1_3gpuE2ELNS1_3repE0EEENS1_30default_config_static_selectorELNS0_4arch9wavefront6targetE0EEEvT1_
	.p2align	8
	.type	_ZN7rocprim17ROCPRIM_400000_NS6detail17trampoline_kernelINS0_14default_configENS1_25partition_config_selectorILNS1_17partition_subalgoE6ExNS0_10empty_typeEbEEZZNS1_14partition_implILS5_6ELb0ES3_mN6thrust23THRUST_200600_302600_NS6detail15normal_iteratorINSA_10device_ptrIxEEEEPS6_SG_NS0_5tupleIJSF_S6_EEENSH_IJSG_SG_EEES6_PlJ5mod_3IxEEEE10hipError_tPvRmT3_T4_T5_T6_T7_T9_mT8_P12ihipStream_tbDpT10_ENKUlT_T0_E_clISt17integral_constantIbLb0EES16_EEDaS11_S12_EUlS11_E_NS1_11comp_targetILNS1_3genE8ELNS1_11target_archE1030ELNS1_3gpuE2ELNS1_3repE0EEENS1_30default_config_static_selectorELNS0_4arch9wavefront6targetE0EEEvT1_,@function
_ZN7rocprim17ROCPRIM_400000_NS6detail17trampoline_kernelINS0_14default_configENS1_25partition_config_selectorILNS1_17partition_subalgoE6ExNS0_10empty_typeEbEEZZNS1_14partition_implILS5_6ELb0ES3_mN6thrust23THRUST_200600_302600_NS6detail15normal_iteratorINSA_10device_ptrIxEEEEPS6_SG_NS0_5tupleIJSF_S6_EEENSH_IJSG_SG_EEES6_PlJ5mod_3IxEEEE10hipError_tPvRmT3_T4_T5_T6_T7_T9_mT8_P12ihipStream_tbDpT10_ENKUlT_T0_E_clISt17integral_constantIbLb0EES16_EEDaS11_S12_EUlS11_E_NS1_11comp_targetILNS1_3genE8ELNS1_11target_archE1030ELNS1_3gpuE2ELNS1_3repE0EEENS1_30default_config_static_selectorELNS0_4arch9wavefront6targetE0EEEvT1_: ; @_ZN7rocprim17ROCPRIM_400000_NS6detail17trampoline_kernelINS0_14default_configENS1_25partition_config_selectorILNS1_17partition_subalgoE6ExNS0_10empty_typeEbEEZZNS1_14partition_implILS5_6ELb0ES3_mN6thrust23THRUST_200600_302600_NS6detail15normal_iteratorINSA_10device_ptrIxEEEEPS6_SG_NS0_5tupleIJSF_S6_EEENSH_IJSG_SG_EEES6_PlJ5mod_3IxEEEE10hipError_tPvRmT3_T4_T5_T6_T7_T9_mT8_P12ihipStream_tbDpT10_ENKUlT_T0_E_clISt17integral_constantIbLb0EES16_EEDaS11_S12_EUlS11_E_NS1_11comp_targetILNS1_3genE8ELNS1_11target_archE1030ELNS1_3gpuE2ELNS1_3repE0EEENS1_30default_config_static_selectorELNS0_4arch9wavefront6targetE0EEEvT1_
; %bb.0:
	.section	.rodata,"a",@progbits
	.p2align	6, 0x0
	.amdhsa_kernel _ZN7rocprim17ROCPRIM_400000_NS6detail17trampoline_kernelINS0_14default_configENS1_25partition_config_selectorILNS1_17partition_subalgoE6ExNS0_10empty_typeEbEEZZNS1_14partition_implILS5_6ELb0ES3_mN6thrust23THRUST_200600_302600_NS6detail15normal_iteratorINSA_10device_ptrIxEEEEPS6_SG_NS0_5tupleIJSF_S6_EEENSH_IJSG_SG_EEES6_PlJ5mod_3IxEEEE10hipError_tPvRmT3_T4_T5_T6_T7_T9_mT8_P12ihipStream_tbDpT10_ENKUlT_T0_E_clISt17integral_constantIbLb0EES16_EEDaS11_S12_EUlS11_E_NS1_11comp_targetILNS1_3genE8ELNS1_11target_archE1030ELNS1_3gpuE2ELNS1_3repE0EEENS1_30default_config_static_selectorELNS0_4arch9wavefront6targetE0EEEvT1_
		.amdhsa_group_segment_fixed_size 0
		.amdhsa_private_segment_fixed_size 0
		.amdhsa_kernarg_size 112
		.amdhsa_user_sgpr_count 15
		.amdhsa_user_sgpr_dispatch_ptr 0
		.amdhsa_user_sgpr_queue_ptr 0
		.amdhsa_user_sgpr_kernarg_segment_ptr 1
		.amdhsa_user_sgpr_dispatch_id 0
		.amdhsa_user_sgpr_private_segment_size 0
		.amdhsa_wavefront_size32 1
		.amdhsa_uses_dynamic_stack 0
		.amdhsa_enable_private_segment 0
		.amdhsa_system_sgpr_workgroup_id_x 1
		.amdhsa_system_sgpr_workgroup_id_y 0
		.amdhsa_system_sgpr_workgroup_id_z 0
		.amdhsa_system_sgpr_workgroup_info 0
		.amdhsa_system_vgpr_workitem_id 0
		.amdhsa_next_free_vgpr 1
		.amdhsa_next_free_sgpr 1
		.amdhsa_reserve_vcc 0
		.amdhsa_float_round_mode_32 0
		.amdhsa_float_round_mode_16_64 0
		.amdhsa_float_denorm_mode_32 3
		.amdhsa_float_denorm_mode_16_64 3
		.amdhsa_dx10_clamp 1
		.amdhsa_ieee_mode 1
		.amdhsa_fp16_overflow 0
		.amdhsa_workgroup_processor_mode 1
		.amdhsa_memory_ordered 1
		.amdhsa_forward_progress 0
		.amdhsa_shared_vgpr_count 0
		.amdhsa_exception_fp_ieee_invalid_op 0
		.amdhsa_exception_fp_denorm_src 0
		.amdhsa_exception_fp_ieee_div_zero 0
		.amdhsa_exception_fp_ieee_overflow 0
		.amdhsa_exception_fp_ieee_underflow 0
		.amdhsa_exception_fp_ieee_inexact 0
		.amdhsa_exception_int_div_zero 0
	.end_amdhsa_kernel
	.section	.text._ZN7rocprim17ROCPRIM_400000_NS6detail17trampoline_kernelINS0_14default_configENS1_25partition_config_selectorILNS1_17partition_subalgoE6ExNS0_10empty_typeEbEEZZNS1_14partition_implILS5_6ELb0ES3_mN6thrust23THRUST_200600_302600_NS6detail15normal_iteratorINSA_10device_ptrIxEEEEPS6_SG_NS0_5tupleIJSF_S6_EEENSH_IJSG_SG_EEES6_PlJ5mod_3IxEEEE10hipError_tPvRmT3_T4_T5_T6_T7_T9_mT8_P12ihipStream_tbDpT10_ENKUlT_T0_E_clISt17integral_constantIbLb0EES16_EEDaS11_S12_EUlS11_E_NS1_11comp_targetILNS1_3genE8ELNS1_11target_archE1030ELNS1_3gpuE2ELNS1_3repE0EEENS1_30default_config_static_selectorELNS0_4arch9wavefront6targetE0EEEvT1_,"axG",@progbits,_ZN7rocprim17ROCPRIM_400000_NS6detail17trampoline_kernelINS0_14default_configENS1_25partition_config_selectorILNS1_17partition_subalgoE6ExNS0_10empty_typeEbEEZZNS1_14partition_implILS5_6ELb0ES3_mN6thrust23THRUST_200600_302600_NS6detail15normal_iteratorINSA_10device_ptrIxEEEEPS6_SG_NS0_5tupleIJSF_S6_EEENSH_IJSG_SG_EEES6_PlJ5mod_3IxEEEE10hipError_tPvRmT3_T4_T5_T6_T7_T9_mT8_P12ihipStream_tbDpT10_ENKUlT_T0_E_clISt17integral_constantIbLb0EES16_EEDaS11_S12_EUlS11_E_NS1_11comp_targetILNS1_3genE8ELNS1_11target_archE1030ELNS1_3gpuE2ELNS1_3repE0EEENS1_30default_config_static_selectorELNS0_4arch9wavefront6targetE0EEEvT1_,comdat
.Lfunc_end559:
	.size	_ZN7rocprim17ROCPRIM_400000_NS6detail17trampoline_kernelINS0_14default_configENS1_25partition_config_selectorILNS1_17partition_subalgoE6ExNS0_10empty_typeEbEEZZNS1_14partition_implILS5_6ELb0ES3_mN6thrust23THRUST_200600_302600_NS6detail15normal_iteratorINSA_10device_ptrIxEEEEPS6_SG_NS0_5tupleIJSF_S6_EEENSH_IJSG_SG_EEES6_PlJ5mod_3IxEEEE10hipError_tPvRmT3_T4_T5_T6_T7_T9_mT8_P12ihipStream_tbDpT10_ENKUlT_T0_E_clISt17integral_constantIbLb0EES16_EEDaS11_S12_EUlS11_E_NS1_11comp_targetILNS1_3genE8ELNS1_11target_archE1030ELNS1_3gpuE2ELNS1_3repE0EEENS1_30default_config_static_selectorELNS0_4arch9wavefront6targetE0EEEvT1_, .Lfunc_end559-_ZN7rocprim17ROCPRIM_400000_NS6detail17trampoline_kernelINS0_14default_configENS1_25partition_config_selectorILNS1_17partition_subalgoE6ExNS0_10empty_typeEbEEZZNS1_14partition_implILS5_6ELb0ES3_mN6thrust23THRUST_200600_302600_NS6detail15normal_iteratorINSA_10device_ptrIxEEEEPS6_SG_NS0_5tupleIJSF_S6_EEENSH_IJSG_SG_EEES6_PlJ5mod_3IxEEEE10hipError_tPvRmT3_T4_T5_T6_T7_T9_mT8_P12ihipStream_tbDpT10_ENKUlT_T0_E_clISt17integral_constantIbLb0EES16_EEDaS11_S12_EUlS11_E_NS1_11comp_targetILNS1_3genE8ELNS1_11target_archE1030ELNS1_3gpuE2ELNS1_3repE0EEENS1_30default_config_static_selectorELNS0_4arch9wavefront6targetE0EEEvT1_
                                        ; -- End function
	.section	.AMDGPU.csdata,"",@progbits
; Kernel info:
; codeLenInByte = 0
; NumSgprs: 0
; NumVgprs: 0
; ScratchSize: 0
; MemoryBound: 0
; FloatMode: 240
; IeeeMode: 1
; LDSByteSize: 0 bytes/workgroup (compile time only)
; SGPRBlocks: 0
; VGPRBlocks: 0
; NumSGPRsForWavesPerEU: 1
; NumVGPRsForWavesPerEU: 1
; Occupancy: 16
; WaveLimiterHint : 0
; COMPUTE_PGM_RSRC2:SCRATCH_EN: 0
; COMPUTE_PGM_RSRC2:USER_SGPR: 15
; COMPUTE_PGM_RSRC2:TRAP_HANDLER: 0
; COMPUTE_PGM_RSRC2:TGID_X_EN: 1
; COMPUTE_PGM_RSRC2:TGID_Y_EN: 0
; COMPUTE_PGM_RSRC2:TGID_Z_EN: 0
; COMPUTE_PGM_RSRC2:TIDIG_COMP_CNT: 0
	.section	.text._ZN7rocprim17ROCPRIM_400000_NS6detail17trampoline_kernelINS0_14default_configENS1_25partition_config_selectorILNS1_17partition_subalgoE6ExNS0_10empty_typeEbEEZZNS1_14partition_implILS5_6ELb0ES3_mN6thrust23THRUST_200600_302600_NS6detail15normal_iteratorINSA_10device_ptrIxEEEEPS6_SG_NS0_5tupleIJSF_S6_EEENSH_IJSG_SG_EEES6_PlJ5mod_3IxEEEE10hipError_tPvRmT3_T4_T5_T6_T7_T9_mT8_P12ihipStream_tbDpT10_ENKUlT_T0_E_clISt17integral_constantIbLb1EES16_EEDaS11_S12_EUlS11_E_NS1_11comp_targetILNS1_3genE0ELNS1_11target_archE4294967295ELNS1_3gpuE0ELNS1_3repE0EEENS1_30default_config_static_selectorELNS0_4arch9wavefront6targetE0EEEvT1_,"axG",@progbits,_ZN7rocprim17ROCPRIM_400000_NS6detail17trampoline_kernelINS0_14default_configENS1_25partition_config_selectorILNS1_17partition_subalgoE6ExNS0_10empty_typeEbEEZZNS1_14partition_implILS5_6ELb0ES3_mN6thrust23THRUST_200600_302600_NS6detail15normal_iteratorINSA_10device_ptrIxEEEEPS6_SG_NS0_5tupleIJSF_S6_EEENSH_IJSG_SG_EEES6_PlJ5mod_3IxEEEE10hipError_tPvRmT3_T4_T5_T6_T7_T9_mT8_P12ihipStream_tbDpT10_ENKUlT_T0_E_clISt17integral_constantIbLb1EES16_EEDaS11_S12_EUlS11_E_NS1_11comp_targetILNS1_3genE0ELNS1_11target_archE4294967295ELNS1_3gpuE0ELNS1_3repE0EEENS1_30default_config_static_selectorELNS0_4arch9wavefront6targetE0EEEvT1_,comdat
	.protected	_ZN7rocprim17ROCPRIM_400000_NS6detail17trampoline_kernelINS0_14default_configENS1_25partition_config_selectorILNS1_17partition_subalgoE6ExNS0_10empty_typeEbEEZZNS1_14partition_implILS5_6ELb0ES3_mN6thrust23THRUST_200600_302600_NS6detail15normal_iteratorINSA_10device_ptrIxEEEEPS6_SG_NS0_5tupleIJSF_S6_EEENSH_IJSG_SG_EEES6_PlJ5mod_3IxEEEE10hipError_tPvRmT3_T4_T5_T6_T7_T9_mT8_P12ihipStream_tbDpT10_ENKUlT_T0_E_clISt17integral_constantIbLb1EES16_EEDaS11_S12_EUlS11_E_NS1_11comp_targetILNS1_3genE0ELNS1_11target_archE4294967295ELNS1_3gpuE0ELNS1_3repE0EEENS1_30default_config_static_selectorELNS0_4arch9wavefront6targetE0EEEvT1_ ; -- Begin function _ZN7rocprim17ROCPRIM_400000_NS6detail17trampoline_kernelINS0_14default_configENS1_25partition_config_selectorILNS1_17partition_subalgoE6ExNS0_10empty_typeEbEEZZNS1_14partition_implILS5_6ELb0ES3_mN6thrust23THRUST_200600_302600_NS6detail15normal_iteratorINSA_10device_ptrIxEEEEPS6_SG_NS0_5tupleIJSF_S6_EEENSH_IJSG_SG_EEES6_PlJ5mod_3IxEEEE10hipError_tPvRmT3_T4_T5_T6_T7_T9_mT8_P12ihipStream_tbDpT10_ENKUlT_T0_E_clISt17integral_constantIbLb1EES16_EEDaS11_S12_EUlS11_E_NS1_11comp_targetILNS1_3genE0ELNS1_11target_archE4294967295ELNS1_3gpuE0ELNS1_3repE0EEENS1_30default_config_static_selectorELNS0_4arch9wavefront6targetE0EEEvT1_
	.globl	_ZN7rocprim17ROCPRIM_400000_NS6detail17trampoline_kernelINS0_14default_configENS1_25partition_config_selectorILNS1_17partition_subalgoE6ExNS0_10empty_typeEbEEZZNS1_14partition_implILS5_6ELb0ES3_mN6thrust23THRUST_200600_302600_NS6detail15normal_iteratorINSA_10device_ptrIxEEEEPS6_SG_NS0_5tupleIJSF_S6_EEENSH_IJSG_SG_EEES6_PlJ5mod_3IxEEEE10hipError_tPvRmT3_T4_T5_T6_T7_T9_mT8_P12ihipStream_tbDpT10_ENKUlT_T0_E_clISt17integral_constantIbLb1EES16_EEDaS11_S12_EUlS11_E_NS1_11comp_targetILNS1_3genE0ELNS1_11target_archE4294967295ELNS1_3gpuE0ELNS1_3repE0EEENS1_30default_config_static_selectorELNS0_4arch9wavefront6targetE0EEEvT1_
	.p2align	8
	.type	_ZN7rocprim17ROCPRIM_400000_NS6detail17trampoline_kernelINS0_14default_configENS1_25partition_config_selectorILNS1_17partition_subalgoE6ExNS0_10empty_typeEbEEZZNS1_14partition_implILS5_6ELb0ES3_mN6thrust23THRUST_200600_302600_NS6detail15normal_iteratorINSA_10device_ptrIxEEEEPS6_SG_NS0_5tupleIJSF_S6_EEENSH_IJSG_SG_EEES6_PlJ5mod_3IxEEEE10hipError_tPvRmT3_T4_T5_T6_T7_T9_mT8_P12ihipStream_tbDpT10_ENKUlT_T0_E_clISt17integral_constantIbLb1EES16_EEDaS11_S12_EUlS11_E_NS1_11comp_targetILNS1_3genE0ELNS1_11target_archE4294967295ELNS1_3gpuE0ELNS1_3repE0EEENS1_30default_config_static_selectorELNS0_4arch9wavefront6targetE0EEEvT1_,@function
_ZN7rocprim17ROCPRIM_400000_NS6detail17trampoline_kernelINS0_14default_configENS1_25partition_config_selectorILNS1_17partition_subalgoE6ExNS0_10empty_typeEbEEZZNS1_14partition_implILS5_6ELb0ES3_mN6thrust23THRUST_200600_302600_NS6detail15normal_iteratorINSA_10device_ptrIxEEEEPS6_SG_NS0_5tupleIJSF_S6_EEENSH_IJSG_SG_EEES6_PlJ5mod_3IxEEEE10hipError_tPvRmT3_T4_T5_T6_T7_T9_mT8_P12ihipStream_tbDpT10_ENKUlT_T0_E_clISt17integral_constantIbLb1EES16_EEDaS11_S12_EUlS11_E_NS1_11comp_targetILNS1_3genE0ELNS1_11target_archE4294967295ELNS1_3gpuE0ELNS1_3repE0EEENS1_30default_config_static_selectorELNS0_4arch9wavefront6targetE0EEEvT1_: ; @_ZN7rocprim17ROCPRIM_400000_NS6detail17trampoline_kernelINS0_14default_configENS1_25partition_config_selectorILNS1_17partition_subalgoE6ExNS0_10empty_typeEbEEZZNS1_14partition_implILS5_6ELb0ES3_mN6thrust23THRUST_200600_302600_NS6detail15normal_iteratorINSA_10device_ptrIxEEEEPS6_SG_NS0_5tupleIJSF_S6_EEENSH_IJSG_SG_EEES6_PlJ5mod_3IxEEEE10hipError_tPvRmT3_T4_T5_T6_T7_T9_mT8_P12ihipStream_tbDpT10_ENKUlT_T0_E_clISt17integral_constantIbLb1EES16_EEDaS11_S12_EUlS11_E_NS1_11comp_targetILNS1_3genE0ELNS1_11target_archE4294967295ELNS1_3gpuE0ELNS1_3repE0EEENS1_30default_config_static_selectorELNS0_4arch9wavefront6targetE0EEEvT1_
; %bb.0:
	.section	.rodata,"a",@progbits
	.p2align	6, 0x0
	.amdhsa_kernel _ZN7rocprim17ROCPRIM_400000_NS6detail17trampoline_kernelINS0_14default_configENS1_25partition_config_selectorILNS1_17partition_subalgoE6ExNS0_10empty_typeEbEEZZNS1_14partition_implILS5_6ELb0ES3_mN6thrust23THRUST_200600_302600_NS6detail15normal_iteratorINSA_10device_ptrIxEEEEPS6_SG_NS0_5tupleIJSF_S6_EEENSH_IJSG_SG_EEES6_PlJ5mod_3IxEEEE10hipError_tPvRmT3_T4_T5_T6_T7_T9_mT8_P12ihipStream_tbDpT10_ENKUlT_T0_E_clISt17integral_constantIbLb1EES16_EEDaS11_S12_EUlS11_E_NS1_11comp_targetILNS1_3genE0ELNS1_11target_archE4294967295ELNS1_3gpuE0ELNS1_3repE0EEENS1_30default_config_static_selectorELNS0_4arch9wavefront6targetE0EEEvT1_
		.amdhsa_group_segment_fixed_size 0
		.amdhsa_private_segment_fixed_size 0
		.amdhsa_kernarg_size 128
		.amdhsa_user_sgpr_count 15
		.amdhsa_user_sgpr_dispatch_ptr 0
		.amdhsa_user_sgpr_queue_ptr 0
		.amdhsa_user_sgpr_kernarg_segment_ptr 1
		.amdhsa_user_sgpr_dispatch_id 0
		.amdhsa_user_sgpr_private_segment_size 0
		.amdhsa_wavefront_size32 1
		.amdhsa_uses_dynamic_stack 0
		.amdhsa_enable_private_segment 0
		.amdhsa_system_sgpr_workgroup_id_x 1
		.amdhsa_system_sgpr_workgroup_id_y 0
		.amdhsa_system_sgpr_workgroup_id_z 0
		.amdhsa_system_sgpr_workgroup_info 0
		.amdhsa_system_vgpr_workitem_id 0
		.amdhsa_next_free_vgpr 1
		.amdhsa_next_free_sgpr 1
		.amdhsa_reserve_vcc 0
		.amdhsa_float_round_mode_32 0
		.amdhsa_float_round_mode_16_64 0
		.amdhsa_float_denorm_mode_32 3
		.amdhsa_float_denorm_mode_16_64 3
		.amdhsa_dx10_clamp 1
		.amdhsa_ieee_mode 1
		.amdhsa_fp16_overflow 0
		.amdhsa_workgroup_processor_mode 1
		.amdhsa_memory_ordered 1
		.amdhsa_forward_progress 0
		.amdhsa_shared_vgpr_count 0
		.amdhsa_exception_fp_ieee_invalid_op 0
		.amdhsa_exception_fp_denorm_src 0
		.amdhsa_exception_fp_ieee_div_zero 0
		.amdhsa_exception_fp_ieee_overflow 0
		.amdhsa_exception_fp_ieee_underflow 0
		.amdhsa_exception_fp_ieee_inexact 0
		.amdhsa_exception_int_div_zero 0
	.end_amdhsa_kernel
	.section	.text._ZN7rocprim17ROCPRIM_400000_NS6detail17trampoline_kernelINS0_14default_configENS1_25partition_config_selectorILNS1_17partition_subalgoE6ExNS0_10empty_typeEbEEZZNS1_14partition_implILS5_6ELb0ES3_mN6thrust23THRUST_200600_302600_NS6detail15normal_iteratorINSA_10device_ptrIxEEEEPS6_SG_NS0_5tupleIJSF_S6_EEENSH_IJSG_SG_EEES6_PlJ5mod_3IxEEEE10hipError_tPvRmT3_T4_T5_T6_T7_T9_mT8_P12ihipStream_tbDpT10_ENKUlT_T0_E_clISt17integral_constantIbLb1EES16_EEDaS11_S12_EUlS11_E_NS1_11comp_targetILNS1_3genE0ELNS1_11target_archE4294967295ELNS1_3gpuE0ELNS1_3repE0EEENS1_30default_config_static_selectorELNS0_4arch9wavefront6targetE0EEEvT1_,"axG",@progbits,_ZN7rocprim17ROCPRIM_400000_NS6detail17trampoline_kernelINS0_14default_configENS1_25partition_config_selectorILNS1_17partition_subalgoE6ExNS0_10empty_typeEbEEZZNS1_14partition_implILS5_6ELb0ES3_mN6thrust23THRUST_200600_302600_NS6detail15normal_iteratorINSA_10device_ptrIxEEEEPS6_SG_NS0_5tupleIJSF_S6_EEENSH_IJSG_SG_EEES6_PlJ5mod_3IxEEEE10hipError_tPvRmT3_T4_T5_T6_T7_T9_mT8_P12ihipStream_tbDpT10_ENKUlT_T0_E_clISt17integral_constantIbLb1EES16_EEDaS11_S12_EUlS11_E_NS1_11comp_targetILNS1_3genE0ELNS1_11target_archE4294967295ELNS1_3gpuE0ELNS1_3repE0EEENS1_30default_config_static_selectorELNS0_4arch9wavefront6targetE0EEEvT1_,comdat
.Lfunc_end560:
	.size	_ZN7rocprim17ROCPRIM_400000_NS6detail17trampoline_kernelINS0_14default_configENS1_25partition_config_selectorILNS1_17partition_subalgoE6ExNS0_10empty_typeEbEEZZNS1_14partition_implILS5_6ELb0ES3_mN6thrust23THRUST_200600_302600_NS6detail15normal_iteratorINSA_10device_ptrIxEEEEPS6_SG_NS0_5tupleIJSF_S6_EEENSH_IJSG_SG_EEES6_PlJ5mod_3IxEEEE10hipError_tPvRmT3_T4_T5_T6_T7_T9_mT8_P12ihipStream_tbDpT10_ENKUlT_T0_E_clISt17integral_constantIbLb1EES16_EEDaS11_S12_EUlS11_E_NS1_11comp_targetILNS1_3genE0ELNS1_11target_archE4294967295ELNS1_3gpuE0ELNS1_3repE0EEENS1_30default_config_static_selectorELNS0_4arch9wavefront6targetE0EEEvT1_, .Lfunc_end560-_ZN7rocprim17ROCPRIM_400000_NS6detail17trampoline_kernelINS0_14default_configENS1_25partition_config_selectorILNS1_17partition_subalgoE6ExNS0_10empty_typeEbEEZZNS1_14partition_implILS5_6ELb0ES3_mN6thrust23THRUST_200600_302600_NS6detail15normal_iteratorINSA_10device_ptrIxEEEEPS6_SG_NS0_5tupleIJSF_S6_EEENSH_IJSG_SG_EEES6_PlJ5mod_3IxEEEE10hipError_tPvRmT3_T4_T5_T6_T7_T9_mT8_P12ihipStream_tbDpT10_ENKUlT_T0_E_clISt17integral_constantIbLb1EES16_EEDaS11_S12_EUlS11_E_NS1_11comp_targetILNS1_3genE0ELNS1_11target_archE4294967295ELNS1_3gpuE0ELNS1_3repE0EEENS1_30default_config_static_selectorELNS0_4arch9wavefront6targetE0EEEvT1_
                                        ; -- End function
	.section	.AMDGPU.csdata,"",@progbits
; Kernel info:
; codeLenInByte = 0
; NumSgprs: 0
; NumVgprs: 0
; ScratchSize: 0
; MemoryBound: 0
; FloatMode: 240
; IeeeMode: 1
; LDSByteSize: 0 bytes/workgroup (compile time only)
; SGPRBlocks: 0
; VGPRBlocks: 0
; NumSGPRsForWavesPerEU: 1
; NumVGPRsForWavesPerEU: 1
; Occupancy: 16
; WaveLimiterHint : 0
; COMPUTE_PGM_RSRC2:SCRATCH_EN: 0
; COMPUTE_PGM_RSRC2:USER_SGPR: 15
; COMPUTE_PGM_RSRC2:TRAP_HANDLER: 0
; COMPUTE_PGM_RSRC2:TGID_X_EN: 1
; COMPUTE_PGM_RSRC2:TGID_Y_EN: 0
; COMPUTE_PGM_RSRC2:TGID_Z_EN: 0
; COMPUTE_PGM_RSRC2:TIDIG_COMP_CNT: 0
	.section	.text._ZN7rocprim17ROCPRIM_400000_NS6detail17trampoline_kernelINS0_14default_configENS1_25partition_config_selectorILNS1_17partition_subalgoE6ExNS0_10empty_typeEbEEZZNS1_14partition_implILS5_6ELb0ES3_mN6thrust23THRUST_200600_302600_NS6detail15normal_iteratorINSA_10device_ptrIxEEEEPS6_SG_NS0_5tupleIJSF_S6_EEENSH_IJSG_SG_EEES6_PlJ5mod_3IxEEEE10hipError_tPvRmT3_T4_T5_T6_T7_T9_mT8_P12ihipStream_tbDpT10_ENKUlT_T0_E_clISt17integral_constantIbLb1EES16_EEDaS11_S12_EUlS11_E_NS1_11comp_targetILNS1_3genE5ELNS1_11target_archE942ELNS1_3gpuE9ELNS1_3repE0EEENS1_30default_config_static_selectorELNS0_4arch9wavefront6targetE0EEEvT1_,"axG",@progbits,_ZN7rocprim17ROCPRIM_400000_NS6detail17trampoline_kernelINS0_14default_configENS1_25partition_config_selectorILNS1_17partition_subalgoE6ExNS0_10empty_typeEbEEZZNS1_14partition_implILS5_6ELb0ES3_mN6thrust23THRUST_200600_302600_NS6detail15normal_iteratorINSA_10device_ptrIxEEEEPS6_SG_NS0_5tupleIJSF_S6_EEENSH_IJSG_SG_EEES6_PlJ5mod_3IxEEEE10hipError_tPvRmT3_T4_T5_T6_T7_T9_mT8_P12ihipStream_tbDpT10_ENKUlT_T0_E_clISt17integral_constantIbLb1EES16_EEDaS11_S12_EUlS11_E_NS1_11comp_targetILNS1_3genE5ELNS1_11target_archE942ELNS1_3gpuE9ELNS1_3repE0EEENS1_30default_config_static_selectorELNS0_4arch9wavefront6targetE0EEEvT1_,comdat
	.protected	_ZN7rocprim17ROCPRIM_400000_NS6detail17trampoline_kernelINS0_14default_configENS1_25partition_config_selectorILNS1_17partition_subalgoE6ExNS0_10empty_typeEbEEZZNS1_14partition_implILS5_6ELb0ES3_mN6thrust23THRUST_200600_302600_NS6detail15normal_iteratorINSA_10device_ptrIxEEEEPS6_SG_NS0_5tupleIJSF_S6_EEENSH_IJSG_SG_EEES6_PlJ5mod_3IxEEEE10hipError_tPvRmT3_T4_T5_T6_T7_T9_mT8_P12ihipStream_tbDpT10_ENKUlT_T0_E_clISt17integral_constantIbLb1EES16_EEDaS11_S12_EUlS11_E_NS1_11comp_targetILNS1_3genE5ELNS1_11target_archE942ELNS1_3gpuE9ELNS1_3repE0EEENS1_30default_config_static_selectorELNS0_4arch9wavefront6targetE0EEEvT1_ ; -- Begin function _ZN7rocprim17ROCPRIM_400000_NS6detail17trampoline_kernelINS0_14default_configENS1_25partition_config_selectorILNS1_17partition_subalgoE6ExNS0_10empty_typeEbEEZZNS1_14partition_implILS5_6ELb0ES3_mN6thrust23THRUST_200600_302600_NS6detail15normal_iteratorINSA_10device_ptrIxEEEEPS6_SG_NS0_5tupleIJSF_S6_EEENSH_IJSG_SG_EEES6_PlJ5mod_3IxEEEE10hipError_tPvRmT3_T4_T5_T6_T7_T9_mT8_P12ihipStream_tbDpT10_ENKUlT_T0_E_clISt17integral_constantIbLb1EES16_EEDaS11_S12_EUlS11_E_NS1_11comp_targetILNS1_3genE5ELNS1_11target_archE942ELNS1_3gpuE9ELNS1_3repE0EEENS1_30default_config_static_selectorELNS0_4arch9wavefront6targetE0EEEvT1_
	.globl	_ZN7rocprim17ROCPRIM_400000_NS6detail17trampoline_kernelINS0_14default_configENS1_25partition_config_selectorILNS1_17partition_subalgoE6ExNS0_10empty_typeEbEEZZNS1_14partition_implILS5_6ELb0ES3_mN6thrust23THRUST_200600_302600_NS6detail15normal_iteratorINSA_10device_ptrIxEEEEPS6_SG_NS0_5tupleIJSF_S6_EEENSH_IJSG_SG_EEES6_PlJ5mod_3IxEEEE10hipError_tPvRmT3_T4_T5_T6_T7_T9_mT8_P12ihipStream_tbDpT10_ENKUlT_T0_E_clISt17integral_constantIbLb1EES16_EEDaS11_S12_EUlS11_E_NS1_11comp_targetILNS1_3genE5ELNS1_11target_archE942ELNS1_3gpuE9ELNS1_3repE0EEENS1_30default_config_static_selectorELNS0_4arch9wavefront6targetE0EEEvT1_
	.p2align	8
	.type	_ZN7rocprim17ROCPRIM_400000_NS6detail17trampoline_kernelINS0_14default_configENS1_25partition_config_selectorILNS1_17partition_subalgoE6ExNS0_10empty_typeEbEEZZNS1_14partition_implILS5_6ELb0ES3_mN6thrust23THRUST_200600_302600_NS6detail15normal_iteratorINSA_10device_ptrIxEEEEPS6_SG_NS0_5tupleIJSF_S6_EEENSH_IJSG_SG_EEES6_PlJ5mod_3IxEEEE10hipError_tPvRmT3_T4_T5_T6_T7_T9_mT8_P12ihipStream_tbDpT10_ENKUlT_T0_E_clISt17integral_constantIbLb1EES16_EEDaS11_S12_EUlS11_E_NS1_11comp_targetILNS1_3genE5ELNS1_11target_archE942ELNS1_3gpuE9ELNS1_3repE0EEENS1_30default_config_static_selectorELNS0_4arch9wavefront6targetE0EEEvT1_,@function
_ZN7rocprim17ROCPRIM_400000_NS6detail17trampoline_kernelINS0_14default_configENS1_25partition_config_selectorILNS1_17partition_subalgoE6ExNS0_10empty_typeEbEEZZNS1_14partition_implILS5_6ELb0ES3_mN6thrust23THRUST_200600_302600_NS6detail15normal_iteratorINSA_10device_ptrIxEEEEPS6_SG_NS0_5tupleIJSF_S6_EEENSH_IJSG_SG_EEES6_PlJ5mod_3IxEEEE10hipError_tPvRmT3_T4_T5_T6_T7_T9_mT8_P12ihipStream_tbDpT10_ENKUlT_T0_E_clISt17integral_constantIbLb1EES16_EEDaS11_S12_EUlS11_E_NS1_11comp_targetILNS1_3genE5ELNS1_11target_archE942ELNS1_3gpuE9ELNS1_3repE0EEENS1_30default_config_static_selectorELNS0_4arch9wavefront6targetE0EEEvT1_: ; @_ZN7rocprim17ROCPRIM_400000_NS6detail17trampoline_kernelINS0_14default_configENS1_25partition_config_selectorILNS1_17partition_subalgoE6ExNS0_10empty_typeEbEEZZNS1_14partition_implILS5_6ELb0ES3_mN6thrust23THRUST_200600_302600_NS6detail15normal_iteratorINSA_10device_ptrIxEEEEPS6_SG_NS0_5tupleIJSF_S6_EEENSH_IJSG_SG_EEES6_PlJ5mod_3IxEEEE10hipError_tPvRmT3_T4_T5_T6_T7_T9_mT8_P12ihipStream_tbDpT10_ENKUlT_T0_E_clISt17integral_constantIbLb1EES16_EEDaS11_S12_EUlS11_E_NS1_11comp_targetILNS1_3genE5ELNS1_11target_archE942ELNS1_3gpuE9ELNS1_3repE0EEENS1_30default_config_static_selectorELNS0_4arch9wavefront6targetE0EEEvT1_
; %bb.0:
	.section	.rodata,"a",@progbits
	.p2align	6, 0x0
	.amdhsa_kernel _ZN7rocprim17ROCPRIM_400000_NS6detail17trampoline_kernelINS0_14default_configENS1_25partition_config_selectorILNS1_17partition_subalgoE6ExNS0_10empty_typeEbEEZZNS1_14partition_implILS5_6ELb0ES3_mN6thrust23THRUST_200600_302600_NS6detail15normal_iteratorINSA_10device_ptrIxEEEEPS6_SG_NS0_5tupleIJSF_S6_EEENSH_IJSG_SG_EEES6_PlJ5mod_3IxEEEE10hipError_tPvRmT3_T4_T5_T6_T7_T9_mT8_P12ihipStream_tbDpT10_ENKUlT_T0_E_clISt17integral_constantIbLb1EES16_EEDaS11_S12_EUlS11_E_NS1_11comp_targetILNS1_3genE5ELNS1_11target_archE942ELNS1_3gpuE9ELNS1_3repE0EEENS1_30default_config_static_selectorELNS0_4arch9wavefront6targetE0EEEvT1_
		.amdhsa_group_segment_fixed_size 0
		.amdhsa_private_segment_fixed_size 0
		.amdhsa_kernarg_size 128
		.amdhsa_user_sgpr_count 15
		.amdhsa_user_sgpr_dispatch_ptr 0
		.amdhsa_user_sgpr_queue_ptr 0
		.amdhsa_user_sgpr_kernarg_segment_ptr 1
		.amdhsa_user_sgpr_dispatch_id 0
		.amdhsa_user_sgpr_private_segment_size 0
		.amdhsa_wavefront_size32 1
		.amdhsa_uses_dynamic_stack 0
		.amdhsa_enable_private_segment 0
		.amdhsa_system_sgpr_workgroup_id_x 1
		.amdhsa_system_sgpr_workgroup_id_y 0
		.amdhsa_system_sgpr_workgroup_id_z 0
		.amdhsa_system_sgpr_workgroup_info 0
		.amdhsa_system_vgpr_workitem_id 0
		.amdhsa_next_free_vgpr 1
		.amdhsa_next_free_sgpr 1
		.amdhsa_reserve_vcc 0
		.amdhsa_float_round_mode_32 0
		.amdhsa_float_round_mode_16_64 0
		.amdhsa_float_denorm_mode_32 3
		.amdhsa_float_denorm_mode_16_64 3
		.amdhsa_dx10_clamp 1
		.amdhsa_ieee_mode 1
		.amdhsa_fp16_overflow 0
		.amdhsa_workgroup_processor_mode 1
		.amdhsa_memory_ordered 1
		.amdhsa_forward_progress 0
		.amdhsa_shared_vgpr_count 0
		.amdhsa_exception_fp_ieee_invalid_op 0
		.amdhsa_exception_fp_denorm_src 0
		.amdhsa_exception_fp_ieee_div_zero 0
		.amdhsa_exception_fp_ieee_overflow 0
		.amdhsa_exception_fp_ieee_underflow 0
		.amdhsa_exception_fp_ieee_inexact 0
		.amdhsa_exception_int_div_zero 0
	.end_amdhsa_kernel
	.section	.text._ZN7rocprim17ROCPRIM_400000_NS6detail17trampoline_kernelINS0_14default_configENS1_25partition_config_selectorILNS1_17partition_subalgoE6ExNS0_10empty_typeEbEEZZNS1_14partition_implILS5_6ELb0ES3_mN6thrust23THRUST_200600_302600_NS6detail15normal_iteratorINSA_10device_ptrIxEEEEPS6_SG_NS0_5tupleIJSF_S6_EEENSH_IJSG_SG_EEES6_PlJ5mod_3IxEEEE10hipError_tPvRmT3_T4_T5_T6_T7_T9_mT8_P12ihipStream_tbDpT10_ENKUlT_T0_E_clISt17integral_constantIbLb1EES16_EEDaS11_S12_EUlS11_E_NS1_11comp_targetILNS1_3genE5ELNS1_11target_archE942ELNS1_3gpuE9ELNS1_3repE0EEENS1_30default_config_static_selectorELNS0_4arch9wavefront6targetE0EEEvT1_,"axG",@progbits,_ZN7rocprim17ROCPRIM_400000_NS6detail17trampoline_kernelINS0_14default_configENS1_25partition_config_selectorILNS1_17partition_subalgoE6ExNS0_10empty_typeEbEEZZNS1_14partition_implILS5_6ELb0ES3_mN6thrust23THRUST_200600_302600_NS6detail15normal_iteratorINSA_10device_ptrIxEEEEPS6_SG_NS0_5tupleIJSF_S6_EEENSH_IJSG_SG_EEES6_PlJ5mod_3IxEEEE10hipError_tPvRmT3_T4_T5_T6_T7_T9_mT8_P12ihipStream_tbDpT10_ENKUlT_T0_E_clISt17integral_constantIbLb1EES16_EEDaS11_S12_EUlS11_E_NS1_11comp_targetILNS1_3genE5ELNS1_11target_archE942ELNS1_3gpuE9ELNS1_3repE0EEENS1_30default_config_static_selectorELNS0_4arch9wavefront6targetE0EEEvT1_,comdat
.Lfunc_end561:
	.size	_ZN7rocprim17ROCPRIM_400000_NS6detail17trampoline_kernelINS0_14default_configENS1_25partition_config_selectorILNS1_17partition_subalgoE6ExNS0_10empty_typeEbEEZZNS1_14partition_implILS5_6ELb0ES3_mN6thrust23THRUST_200600_302600_NS6detail15normal_iteratorINSA_10device_ptrIxEEEEPS6_SG_NS0_5tupleIJSF_S6_EEENSH_IJSG_SG_EEES6_PlJ5mod_3IxEEEE10hipError_tPvRmT3_T4_T5_T6_T7_T9_mT8_P12ihipStream_tbDpT10_ENKUlT_T0_E_clISt17integral_constantIbLb1EES16_EEDaS11_S12_EUlS11_E_NS1_11comp_targetILNS1_3genE5ELNS1_11target_archE942ELNS1_3gpuE9ELNS1_3repE0EEENS1_30default_config_static_selectorELNS0_4arch9wavefront6targetE0EEEvT1_, .Lfunc_end561-_ZN7rocprim17ROCPRIM_400000_NS6detail17trampoline_kernelINS0_14default_configENS1_25partition_config_selectorILNS1_17partition_subalgoE6ExNS0_10empty_typeEbEEZZNS1_14partition_implILS5_6ELb0ES3_mN6thrust23THRUST_200600_302600_NS6detail15normal_iteratorINSA_10device_ptrIxEEEEPS6_SG_NS0_5tupleIJSF_S6_EEENSH_IJSG_SG_EEES6_PlJ5mod_3IxEEEE10hipError_tPvRmT3_T4_T5_T6_T7_T9_mT8_P12ihipStream_tbDpT10_ENKUlT_T0_E_clISt17integral_constantIbLb1EES16_EEDaS11_S12_EUlS11_E_NS1_11comp_targetILNS1_3genE5ELNS1_11target_archE942ELNS1_3gpuE9ELNS1_3repE0EEENS1_30default_config_static_selectorELNS0_4arch9wavefront6targetE0EEEvT1_
                                        ; -- End function
	.section	.AMDGPU.csdata,"",@progbits
; Kernel info:
; codeLenInByte = 0
; NumSgprs: 0
; NumVgprs: 0
; ScratchSize: 0
; MemoryBound: 0
; FloatMode: 240
; IeeeMode: 1
; LDSByteSize: 0 bytes/workgroup (compile time only)
; SGPRBlocks: 0
; VGPRBlocks: 0
; NumSGPRsForWavesPerEU: 1
; NumVGPRsForWavesPerEU: 1
; Occupancy: 16
; WaveLimiterHint : 0
; COMPUTE_PGM_RSRC2:SCRATCH_EN: 0
; COMPUTE_PGM_RSRC2:USER_SGPR: 15
; COMPUTE_PGM_RSRC2:TRAP_HANDLER: 0
; COMPUTE_PGM_RSRC2:TGID_X_EN: 1
; COMPUTE_PGM_RSRC2:TGID_Y_EN: 0
; COMPUTE_PGM_RSRC2:TGID_Z_EN: 0
; COMPUTE_PGM_RSRC2:TIDIG_COMP_CNT: 0
	.section	.text._ZN7rocprim17ROCPRIM_400000_NS6detail17trampoline_kernelINS0_14default_configENS1_25partition_config_selectorILNS1_17partition_subalgoE6ExNS0_10empty_typeEbEEZZNS1_14partition_implILS5_6ELb0ES3_mN6thrust23THRUST_200600_302600_NS6detail15normal_iteratorINSA_10device_ptrIxEEEEPS6_SG_NS0_5tupleIJSF_S6_EEENSH_IJSG_SG_EEES6_PlJ5mod_3IxEEEE10hipError_tPvRmT3_T4_T5_T6_T7_T9_mT8_P12ihipStream_tbDpT10_ENKUlT_T0_E_clISt17integral_constantIbLb1EES16_EEDaS11_S12_EUlS11_E_NS1_11comp_targetILNS1_3genE4ELNS1_11target_archE910ELNS1_3gpuE8ELNS1_3repE0EEENS1_30default_config_static_selectorELNS0_4arch9wavefront6targetE0EEEvT1_,"axG",@progbits,_ZN7rocprim17ROCPRIM_400000_NS6detail17trampoline_kernelINS0_14default_configENS1_25partition_config_selectorILNS1_17partition_subalgoE6ExNS0_10empty_typeEbEEZZNS1_14partition_implILS5_6ELb0ES3_mN6thrust23THRUST_200600_302600_NS6detail15normal_iteratorINSA_10device_ptrIxEEEEPS6_SG_NS0_5tupleIJSF_S6_EEENSH_IJSG_SG_EEES6_PlJ5mod_3IxEEEE10hipError_tPvRmT3_T4_T5_T6_T7_T9_mT8_P12ihipStream_tbDpT10_ENKUlT_T0_E_clISt17integral_constantIbLb1EES16_EEDaS11_S12_EUlS11_E_NS1_11comp_targetILNS1_3genE4ELNS1_11target_archE910ELNS1_3gpuE8ELNS1_3repE0EEENS1_30default_config_static_selectorELNS0_4arch9wavefront6targetE0EEEvT1_,comdat
	.protected	_ZN7rocprim17ROCPRIM_400000_NS6detail17trampoline_kernelINS0_14default_configENS1_25partition_config_selectorILNS1_17partition_subalgoE6ExNS0_10empty_typeEbEEZZNS1_14partition_implILS5_6ELb0ES3_mN6thrust23THRUST_200600_302600_NS6detail15normal_iteratorINSA_10device_ptrIxEEEEPS6_SG_NS0_5tupleIJSF_S6_EEENSH_IJSG_SG_EEES6_PlJ5mod_3IxEEEE10hipError_tPvRmT3_T4_T5_T6_T7_T9_mT8_P12ihipStream_tbDpT10_ENKUlT_T0_E_clISt17integral_constantIbLb1EES16_EEDaS11_S12_EUlS11_E_NS1_11comp_targetILNS1_3genE4ELNS1_11target_archE910ELNS1_3gpuE8ELNS1_3repE0EEENS1_30default_config_static_selectorELNS0_4arch9wavefront6targetE0EEEvT1_ ; -- Begin function _ZN7rocprim17ROCPRIM_400000_NS6detail17trampoline_kernelINS0_14default_configENS1_25partition_config_selectorILNS1_17partition_subalgoE6ExNS0_10empty_typeEbEEZZNS1_14partition_implILS5_6ELb0ES3_mN6thrust23THRUST_200600_302600_NS6detail15normal_iteratorINSA_10device_ptrIxEEEEPS6_SG_NS0_5tupleIJSF_S6_EEENSH_IJSG_SG_EEES6_PlJ5mod_3IxEEEE10hipError_tPvRmT3_T4_T5_T6_T7_T9_mT8_P12ihipStream_tbDpT10_ENKUlT_T0_E_clISt17integral_constantIbLb1EES16_EEDaS11_S12_EUlS11_E_NS1_11comp_targetILNS1_3genE4ELNS1_11target_archE910ELNS1_3gpuE8ELNS1_3repE0EEENS1_30default_config_static_selectorELNS0_4arch9wavefront6targetE0EEEvT1_
	.globl	_ZN7rocprim17ROCPRIM_400000_NS6detail17trampoline_kernelINS0_14default_configENS1_25partition_config_selectorILNS1_17partition_subalgoE6ExNS0_10empty_typeEbEEZZNS1_14partition_implILS5_6ELb0ES3_mN6thrust23THRUST_200600_302600_NS6detail15normal_iteratorINSA_10device_ptrIxEEEEPS6_SG_NS0_5tupleIJSF_S6_EEENSH_IJSG_SG_EEES6_PlJ5mod_3IxEEEE10hipError_tPvRmT3_T4_T5_T6_T7_T9_mT8_P12ihipStream_tbDpT10_ENKUlT_T0_E_clISt17integral_constantIbLb1EES16_EEDaS11_S12_EUlS11_E_NS1_11comp_targetILNS1_3genE4ELNS1_11target_archE910ELNS1_3gpuE8ELNS1_3repE0EEENS1_30default_config_static_selectorELNS0_4arch9wavefront6targetE0EEEvT1_
	.p2align	8
	.type	_ZN7rocprim17ROCPRIM_400000_NS6detail17trampoline_kernelINS0_14default_configENS1_25partition_config_selectorILNS1_17partition_subalgoE6ExNS0_10empty_typeEbEEZZNS1_14partition_implILS5_6ELb0ES3_mN6thrust23THRUST_200600_302600_NS6detail15normal_iteratorINSA_10device_ptrIxEEEEPS6_SG_NS0_5tupleIJSF_S6_EEENSH_IJSG_SG_EEES6_PlJ5mod_3IxEEEE10hipError_tPvRmT3_T4_T5_T6_T7_T9_mT8_P12ihipStream_tbDpT10_ENKUlT_T0_E_clISt17integral_constantIbLb1EES16_EEDaS11_S12_EUlS11_E_NS1_11comp_targetILNS1_3genE4ELNS1_11target_archE910ELNS1_3gpuE8ELNS1_3repE0EEENS1_30default_config_static_selectorELNS0_4arch9wavefront6targetE0EEEvT1_,@function
_ZN7rocprim17ROCPRIM_400000_NS6detail17trampoline_kernelINS0_14default_configENS1_25partition_config_selectorILNS1_17partition_subalgoE6ExNS0_10empty_typeEbEEZZNS1_14partition_implILS5_6ELb0ES3_mN6thrust23THRUST_200600_302600_NS6detail15normal_iteratorINSA_10device_ptrIxEEEEPS6_SG_NS0_5tupleIJSF_S6_EEENSH_IJSG_SG_EEES6_PlJ5mod_3IxEEEE10hipError_tPvRmT3_T4_T5_T6_T7_T9_mT8_P12ihipStream_tbDpT10_ENKUlT_T0_E_clISt17integral_constantIbLb1EES16_EEDaS11_S12_EUlS11_E_NS1_11comp_targetILNS1_3genE4ELNS1_11target_archE910ELNS1_3gpuE8ELNS1_3repE0EEENS1_30default_config_static_selectorELNS0_4arch9wavefront6targetE0EEEvT1_: ; @_ZN7rocprim17ROCPRIM_400000_NS6detail17trampoline_kernelINS0_14default_configENS1_25partition_config_selectorILNS1_17partition_subalgoE6ExNS0_10empty_typeEbEEZZNS1_14partition_implILS5_6ELb0ES3_mN6thrust23THRUST_200600_302600_NS6detail15normal_iteratorINSA_10device_ptrIxEEEEPS6_SG_NS0_5tupleIJSF_S6_EEENSH_IJSG_SG_EEES6_PlJ5mod_3IxEEEE10hipError_tPvRmT3_T4_T5_T6_T7_T9_mT8_P12ihipStream_tbDpT10_ENKUlT_T0_E_clISt17integral_constantIbLb1EES16_EEDaS11_S12_EUlS11_E_NS1_11comp_targetILNS1_3genE4ELNS1_11target_archE910ELNS1_3gpuE8ELNS1_3repE0EEENS1_30default_config_static_selectorELNS0_4arch9wavefront6targetE0EEEvT1_
; %bb.0:
	.section	.rodata,"a",@progbits
	.p2align	6, 0x0
	.amdhsa_kernel _ZN7rocprim17ROCPRIM_400000_NS6detail17trampoline_kernelINS0_14default_configENS1_25partition_config_selectorILNS1_17partition_subalgoE6ExNS0_10empty_typeEbEEZZNS1_14partition_implILS5_6ELb0ES3_mN6thrust23THRUST_200600_302600_NS6detail15normal_iteratorINSA_10device_ptrIxEEEEPS6_SG_NS0_5tupleIJSF_S6_EEENSH_IJSG_SG_EEES6_PlJ5mod_3IxEEEE10hipError_tPvRmT3_T4_T5_T6_T7_T9_mT8_P12ihipStream_tbDpT10_ENKUlT_T0_E_clISt17integral_constantIbLb1EES16_EEDaS11_S12_EUlS11_E_NS1_11comp_targetILNS1_3genE4ELNS1_11target_archE910ELNS1_3gpuE8ELNS1_3repE0EEENS1_30default_config_static_selectorELNS0_4arch9wavefront6targetE0EEEvT1_
		.amdhsa_group_segment_fixed_size 0
		.amdhsa_private_segment_fixed_size 0
		.amdhsa_kernarg_size 128
		.amdhsa_user_sgpr_count 15
		.amdhsa_user_sgpr_dispatch_ptr 0
		.amdhsa_user_sgpr_queue_ptr 0
		.amdhsa_user_sgpr_kernarg_segment_ptr 1
		.amdhsa_user_sgpr_dispatch_id 0
		.amdhsa_user_sgpr_private_segment_size 0
		.amdhsa_wavefront_size32 1
		.amdhsa_uses_dynamic_stack 0
		.amdhsa_enable_private_segment 0
		.amdhsa_system_sgpr_workgroup_id_x 1
		.amdhsa_system_sgpr_workgroup_id_y 0
		.amdhsa_system_sgpr_workgroup_id_z 0
		.amdhsa_system_sgpr_workgroup_info 0
		.amdhsa_system_vgpr_workitem_id 0
		.amdhsa_next_free_vgpr 1
		.amdhsa_next_free_sgpr 1
		.amdhsa_reserve_vcc 0
		.amdhsa_float_round_mode_32 0
		.amdhsa_float_round_mode_16_64 0
		.amdhsa_float_denorm_mode_32 3
		.amdhsa_float_denorm_mode_16_64 3
		.amdhsa_dx10_clamp 1
		.amdhsa_ieee_mode 1
		.amdhsa_fp16_overflow 0
		.amdhsa_workgroup_processor_mode 1
		.amdhsa_memory_ordered 1
		.amdhsa_forward_progress 0
		.amdhsa_shared_vgpr_count 0
		.amdhsa_exception_fp_ieee_invalid_op 0
		.amdhsa_exception_fp_denorm_src 0
		.amdhsa_exception_fp_ieee_div_zero 0
		.amdhsa_exception_fp_ieee_overflow 0
		.amdhsa_exception_fp_ieee_underflow 0
		.amdhsa_exception_fp_ieee_inexact 0
		.amdhsa_exception_int_div_zero 0
	.end_amdhsa_kernel
	.section	.text._ZN7rocprim17ROCPRIM_400000_NS6detail17trampoline_kernelINS0_14default_configENS1_25partition_config_selectorILNS1_17partition_subalgoE6ExNS0_10empty_typeEbEEZZNS1_14partition_implILS5_6ELb0ES3_mN6thrust23THRUST_200600_302600_NS6detail15normal_iteratorINSA_10device_ptrIxEEEEPS6_SG_NS0_5tupleIJSF_S6_EEENSH_IJSG_SG_EEES6_PlJ5mod_3IxEEEE10hipError_tPvRmT3_T4_T5_T6_T7_T9_mT8_P12ihipStream_tbDpT10_ENKUlT_T0_E_clISt17integral_constantIbLb1EES16_EEDaS11_S12_EUlS11_E_NS1_11comp_targetILNS1_3genE4ELNS1_11target_archE910ELNS1_3gpuE8ELNS1_3repE0EEENS1_30default_config_static_selectorELNS0_4arch9wavefront6targetE0EEEvT1_,"axG",@progbits,_ZN7rocprim17ROCPRIM_400000_NS6detail17trampoline_kernelINS0_14default_configENS1_25partition_config_selectorILNS1_17partition_subalgoE6ExNS0_10empty_typeEbEEZZNS1_14partition_implILS5_6ELb0ES3_mN6thrust23THRUST_200600_302600_NS6detail15normal_iteratorINSA_10device_ptrIxEEEEPS6_SG_NS0_5tupleIJSF_S6_EEENSH_IJSG_SG_EEES6_PlJ5mod_3IxEEEE10hipError_tPvRmT3_T4_T5_T6_T7_T9_mT8_P12ihipStream_tbDpT10_ENKUlT_T0_E_clISt17integral_constantIbLb1EES16_EEDaS11_S12_EUlS11_E_NS1_11comp_targetILNS1_3genE4ELNS1_11target_archE910ELNS1_3gpuE8ELNS1_3repE0EEENS1_30default_config_static_selectorELNS0_4arch9wavefront6targetE0EEEvT1_,comdat
.Lfunc_end562:
	.size	_ZN7rocprim17ROCPRIM_400000_NS6detail17trampoline_kernelINS0_14default_configENS1_25partition_config_selectorILNS1_17partition_subalgoE6ExNS0_10empty_typeEbEEZZNS1_14partition_implILS5_6ELb0ES3_mN6thrust23THRUST_200600_302600_NS6detail15normal_iteratorINSA_10device_ptrIxEEEEPS6_SG_NS0_5tupleIJSF_S6_EEENSH_IJSG_SG_EEES6_PlJ5mod_3IxEEEE10hipError_tPvRmT3_T4_T5_T6_T7_T9_mT8_P12ihipStream_tbDpT10_ENKUlT_T0_E_clISt17integral_constantIbLb1EES16_EEDaS11_S12_EUlS11_E_NS1_11comp_targetILNS1_3genE4ELNS1_11target_archE910ELNS1_3gpuE8ELNS1_3repE0EEENS1_30default_config_static_selectorELNS0_4arch9wavefront6targetE0EEEvT1_, .Lfunc_end562-_ZN7rocprim17ROCPRIM_400000_NS6detail17trampoline_kernelINS0_14default_configENS1_25partition_config_selectorILNS1_17partition_subalgoE6ExNS0_10empty_typeEbEEZZNS1_14partition_implILS5_6ELb0ES3_mN6thrust23THRUST_200600_302600_NS6detail15normal_iteratorINSA_10device_ptrIxEEEEPS6_SG_NS0_5tupleIJSF_S6_EEENSH_IJSG_SG_EEES6_PlJ5mod_3IxEEEE10hipError_tPvRmT3_T4_T5_T6_T7_T9_mT8_P12ihipStream_tbDpT10_ENKUlT_T0_E_clISt17integral_constantIbLb1EES16_EEDaS11_S12_EUlS11_E_NS1_11comp_targetILNS1_3genE4ELNS1_11target_archE910ELNS1_3gpuE8ELNS1_3repE0EEENS1_30default_config_static_selectorELNS0_4arch9wavefront6targetE0EEEvT1_
                                        ; -- End function
	.section	.AMDGPU.csdata,"",@progbits
; Kernel info:
; codeLenInByte = 0
; NumSgprs: 0
; NumVgprs: 0
; ScratchSize: 0
; MemoryBound: 0
; FloatMode: 240
; IeeeMode: 1
; LDSByteSize: 0 bytes/workgroup (compile time only)
; SGPRBlocks: 0
; VGPRBlocks: 0
; NumSGPRsForWavesPerEU: 1
; NumVGPRsForWavesPerEU: 1
; Occupancy: 16
; WaveLimiterHint : 0
; COMPUTE_PGM_RSRC2:SCRATCH_EN: 0
; COMPUTE_PGM_RSRC2:USER_SGPR: 15
; COMPUTE_PGM_RSRC2:TRAP_HANDLER: 0
; COMPUTE_PGM_RSRC2:TGID_X_EN: 1
; COMPUTE_PGM_RSRC2:TGID_Y_EN: 0
; COMPUTE_PGM_RSRC2:TGID_Z_EN: 0
; COMPUTE_PGM_RSRC2:TIDIG_COMP_CNT: 0
	.section	.text._ZN7rocprim17ROCPRIM_400000_NS6detail17trampoline_kernelINS0_14default_configENS1_25partition_config_selectorILNS1_17partition_subalgoE6ExNS0_10empty_typeEbEEZZNS1_14partition_implILS5_6ELb0ES3_mN6thrust23THRUST_200600_302600_NS6detail15normal_iteratorINSA_10device_ptrIxEEEEPS6_SG_NS0_5tupleIJSF_S6_EEENSH_IJSG_SG_EEES6_PlJ5mod_3IxEEEE10hipError_tPvRmT3_T4_T5_T6_T7_T9_mT8_P12ihipStream_tbDpT10_ENKUlT_T0_E_clISt17integral_constantIbLb1EES16_EEDaS11_S12_EUlS11_E_NS1_11comp_targetILNS1_3genE3ELNS1_11target_archE908ELNS1_3gpuE7ELNS1_3repE0EEENS1_30default_config_static_selectorELNS0_4arch9wavefront6targetE0EEEvT1_,"axG",@progbits,_ZN7rocprim17ROCPRIM_400000_NS6detail17trampoline_kernelINS0_14default_configENS1_25partition_config_selectorILNS1_17partition_subalgoE6ExNS0_10empty_typeEbEEZZNS1_14partition_implILS5_6ELb0ES3_mN6thrust23THRUST_200600_302600_NS6detail15normal_iteratorINSA_10device_ptrIxEEEEPS6_SG_NS0_5tupleIJSF_S6_EEENSH_IJSG_SG_EEES6_PlJ5mod_3IxEEEE10hipError_tPvRmT3_T4_T5_T6_T7_T9_mT8_P12ihipStream_tbDpT10_ENKUlT_T0_E_clISt17integral_constantIbLb1EES16_EEDaS11_S12_EUlS11_E_NS1_11comp_targetILNS1_3genE3ELNS1_11target_archE908ELNS1_3gpuE7ELNS1_3repE0EEENS1_30default_config_static_selectorELNS0_4arch9wavefront6targetE0EEEvT1_,comdat
	.protected	_ZN7rocprim17ROCPRIM_400000_NS6detail17trampoline_kernelINS0_14default_configENS1_25partition_config_selectorILNS1_17partition_subalgoE6ExNS0_10empty_typeEbEEZZNS1_14partition_implILS5_6ELb0ES3_mN6thrust23THRUST_200600_302600_NS6detail15normal_iteratorINSA_10device_ptrIxEEEEPS6_SG_NS0_5tupleIJSF_S6_EEENSH_IJSG_SG_EEES6_PlJ5mod_3IxEEEE10hipError_tPvRmT3_T4_T5_T6_T7_T9_mT8_P12ihipStream_tbDpT10_ENKUlT_T0_E_clISt17integral_constantIbLb1EES16_EEDaS11_S12_EUlS11_E_NS1_11comp_targetILNS1_3genE3ELNS1_11target_archE908ELNS1_3gpuE7ELNS1_3repE0EEENS1_30default_config_static_selectorELNS0_4arch9wavefront6targetE0EEEvT1_ ; -- Begin function _ZN7rocprim17ROCPRIM_400000_NS6detail17trampoline_kernelINS0_14default_configENS1_25partition_config_selectorILNS1_17partition_subalgoE6ExNS0_10empty_typeEbEEZZNS1_14partition_implILS5_6ELb0ES3_mN6thrust23THRUST_200600_302600_NS6detail15normal_iteratorINSA_10device_ptrIxEEEEPS6_SG_NS0_5tupleIJSF_S6_EEENSH_IJSG_SG_EEES6_PlJ5mod_3IxEEEE10hipError_tPvRmT3_T4_T5_T6_T7_T9_mT8_P12ihipStream_tbDpT10_ENKUlT_T0_E_clISt17integral_constantIbLb1EES16_EEDaS11_S12_EUlS11_E_NS1_11comp_targetILNS1_3genE3ELNS1_11target_archE908ELNS1_3gpuE7ELNS1_3repE0EEENS1_30default_config_static_selectorELNS0_4arch9wavefront6targetE0EEEvT1_
	.globl	_ZN7rocprim17ROCPRIM_400000_NS6detail17trampoline_kernelINS0_14default_configENS1_25partition_config_selectorILNS1_17partition_subalgoE6ExNS0_10empty_typeEbEEZZNS1_14partition_implILS5_6ELb0ES3_mN6thrust23THRUST_200600_302600_NS6detail15normal_iteratorINSA_10device_ptrIxEEEEPS6_SG_NS0_5tupleIJSF_S6_EEENSH_IJSG_SG_EEES6_PlJ5mod_3IxEEEE10hipError_tPvRmT3_T4_T5_T6_T7_T9_mT8_P12ihipStream_tbDpT10_ENKUlT_T0_E_clISt17integral_constantIbLb1EES16_EEDaS11_S12_EUlS11_E_NS1_11comp_targetILNS1_3genE3ELNS1_11target_archE908ELNS1_3gpuE7ELNS1_3repE0EEENS1_30default_config_static_selectorELNS0_4arch9wavefront6targetE0EEEvT1_
	.p2align	8
	.type	_ZN7rocprim17ROCPRIM_400000_NS6detail17trampoline_kernelINS0_14default_configENS1_25partition_config_selectorILNS1_17partition_subalgoE6ExNS0_10empty_typeEbEEZZNS1_14partition_implILS5_6ELb0ES3_mN6thrust23THRUST_200600_302600_NS6detail15normal_iteratorINSA_10device_ptrIxEEEEPS6_SG_NS0_5tupleIJSF_S6_EEENSH_IJSG_SG_EEES6_PlJ5mod_3IxEEEE10hipError_tPvRmT3_T4_T5_T6_T7_T9_mT8_P12ihipStream_tbDpT10_ENKUlT_T0_E_clISt17integral_constantIbLb1EES16_EEDaS11_S12_EUlS11_E_NS1_11comp_targetILNS1_3genE3ELNS1_11target_archE908ELNS1_3gpuE7ELNS1_3repE0EEENS1_30default_config_static_selectorELNS0_4arch9wavefront6targetE0EEEvT1_,@function
_ZN7rocprim17ROCPRIM_400000_NS6detail17trampoline_kernelINS0_14default_configENS1_25partition_config_selectorILNS1_17partition_subalgoE6ExNS0_10empty_typeEbEEZZNS1_14partition_implILS5_6ELb0ES3_mN6thrust23THRUST_200600_302600_NS6detail15normal_iteratorINSA_10device_ptrIxEEEEPS6_SG_NS0_5tupleIJSF_S6_EEENSH_IJSG_SG_EEES6_PlJ5mod_3IxEEEE10hipError_tPvRmT3_T4_T5_T6_T7_T9_mT8_P12ihipStream_tbDpT10_ENKUlT_T0_E_clISt17integral_constantIbLb1EES16_EEDaS11_S12_EUlS11_E_NS1_11comp_targetILNS1_3genE3ELNS1_11target_archE908ELNS1_3gpuE7ELNS1_3repE0EEENS1_30default_config_static_selectorELNS0_4arch9wavefront6targetE0EEEvT1_: ; @_ZN7rocprim17ROCPRIM_400000_NS6detail17trampoline_kernelINS0_14default_configENS1_25partition_config_selectorILNS1_17partition_subalgoE6ExNS0_10empty_typeEbEEZZNS1_14partition_implILS5_6ELb0ES3_mN6thrust23THRUST_200600_302600_NS6detail15normal_iteratorINSA_10device_ptrIxEEEEPS6_SG_NS0_5tupleIJSF_S6_EEENSH_IJSG_SG_EEES6_PlJ5mod_3IxEEEE10hipError_tPvRmT3_T4_T5_T6_T7_T9_mT8_P12ihipStream_tbDpT10_ENKUlT_T0_E_clISt17integral_constantIbLb1EES16_EEDaS11_S12_EUlS11_E_NS1_11comp_targetILNS1_3genE3ELNS1_11target_archE908ELNS1_3gpuE7ELNS1_3repE0EEENS1_30default_config_static_selectorELNS0_4arch9wavefront6targetE0EEEvT1_
; %bb.0:
	.section	.rodata,"a",@progbits
	.p2align	6, 0x0
	.amdhsa_kernel _ZN7rocprim17ROCPRIM_400000_NS6detail17trampoline_kernelINS0_14default_configENS1_25partition_config_selectorILNS1_17partition_subalgoE6ExNS0_10empty_typeEbEEZZNS1_14partition_implILS5_6ELb0ES3_mN6thrust23THRUST_200600_302600_NS6detail15normal_iteratorINSA_10device_ptrIxEEEEPS6_SG_NS0_5tupleIJSF_S6_EEENSH_IJSG_SG_EEES6_PlJ5mod_3IxEEEE10hipError_tPvRmT3_T4_T5_T6_T7_T9_mT8_P12ihipStream_tbDpT10_ENKUlT_T0_E_clISt17integral_constantIbLb1EES16_EEDaS11_S12_EUlS11_E_NS1_11comp_targetILNS1_3genE3ELNS1_11target_archE908ELNS1_3gpuE7ELNS1_3repE0EEENS1_30default_config_static_selectorELNS0_4arch9wavefront6targetE0EEEvT1_
		.amdhsa_group_segment_fixed_size 0
		.amdhsa_private_segment_fixed_size 0
		.amdhsa_kernarg_size 128
		.amdhsa_user_sgpr_count 15
		.amdhsa_user_sgpr_dispatch_ptr 0
		.amdhsa_user_sgpr_queue_ptr 0
		.amdhsa_user_sgpr_kernarg_segment_ptr 1
		.amdhsa_user_sgpr_dispatch_id 0
		.amdhsa_user_sgpr_private_segment_size 0
		.amdhsa_wavefront_size32 1
		.amdhsa_uses_dynamic_stack 0
		.amdhsa_enable_private_segment 0
		.amdhsa_system_sgpr_workgroup_id_x 1
		.amdhsa_system_sgpr_workgroup_id_y 0
		.amdhsa_system_sgpr_workgroup_id_z 0
		.amdhsa_system_sgpr_workgroup_info 0
		.amdhsa_system_vgpr_workitem_id 0
		.amdhsa_next_free_vgpr 1
		.amdhsa_next_free_sgpr 1
		.amdhsa_reserve_vcc 0
		.amdhsa_float_round_mode_32 0
		.amdhsa_float_round_mode_16_64 0
		.amdhsa_float_denorm_mode_32 3
		.amdhsa_float_denorm_mode_16_64 3
		.amdhsa_dx10_clamp 1
		.amdhsa_ieee_mode 1
		.amdhsa_fp16_overflow 0
		.amdhsa_workgroup_processor_mode 1
		.amdhsa_memory_ordered 1
		.amdhsa_forward_progress 0
		.amdhsa_shared_vgpr_count 0
		.amdhsa_exception_fp_ieee_invalid_op 0
		.amdhsa_exception_fp_denorm_src 0
		.amdhsa_exception_fp_ieee_div_zero 0
		.amdhsa_exception_fp_ieee_overflow 0
		.amdhsa_exception_fp_ieee_underflow 0
		.amdhsa_exception_fp_ieee_inexact 0
		.amdhsa_exception_int_div_zero 0
	.end_amdhsa_kernel
	.section	.text._ZN7rocprim17ROCPRIM_400000_NS6detail17trampoline_kernelINS0_14default_configENS1_25partition_config_selectorILNS1_17partition_subalgoE6ExNS0_10empty_typeEbEEZZNS1_14partition_implILS5_6ELb0ES3_mN6thrust23THRUST_200600_302600_NS6detail15normal_iteratorINSA_10device_ptrIxEEEEPS6_SG_NS0_5tupleIJSF_S6_EEENSH_IJSG_SG_EEES6_PlJ5mod_3IxEEEE10hipError_tPvRmT3_T4_T5_T6_T7_T9_mT8_P12ihipStream_tbDpT10_ENKUlT_T0_E_clISt17integral_constantIbLb1EES16_EEDaS11_S12_EUlS11_E_NS1_11comp_targetILNS1_3genE3ELNS1_11target_archE908ELNS1_3gpuE7ELNS1_3repE0EEENS1_30default_config_static_selectorELNS0_4arch9wavefront6targetE0EEEvT1_,"axG",@progbits,_ZN7rocprim17ROCPRIM_400000_NS6detail17trampoline_kernelINS0_14default_configENS1_25partition_config_selectorILNS1_17partition_subalgoE6ExNS0_10empty_typeEbEEZZNS1_14partition_implILS5_6ELb0ES3_mN6thrust23THRUST_200600_302600_NS6detail15normal_iteratorINSA_10device_ptrIxEEEEPS6_SG_NS0_5tupleIJSF_S6_EEENSH_IJSG_SG_EEES6_PlJ5mod_3IxEEEE10hipError_tPvRmT3_T4_T5_T6_T7_T9_mT8_P12ihipStream_tbDpT10_ENKUlT_T0_E_clISt17integral_constantIbLb1EES16_EEDaS11_S12_EUlS11_E_NS1_11comp_targetILNS1_3genE3ELNS1_11target_archE908ELNS1_3gpuE7ELNS1_3repE0EEENS1_30default_config_static_selectorELNS0_4arch9wavefront6targetE0EEEvT1_,comdat
.Lfunc_end563:
	.size	_ZN7rocprim17ROCPRIM_400000_NS6detail17trampoline_kernelINS0_14default_configENS1_25partition_config_selectorILNS1_17partition_subalgoE6ExNS0_10empty_typeEbEEZZNS1_14partition_implILS5_6ELb0ES3_mN6thrust23THRUST_200600_302600_NS6detail15normal_iteratorINSA_10device_ptrIxEEEEPS6_SG_NS0_5tupleIJSF_S6_EEENSH_IJSG_SG_EEES6_PlJ5mod_3IxEEEE10hipError_tPvRmT3_T4_T5_T6_T7_T9_mT8_P12ihipStream_tbDpT10_ENKUlT_T0_E_clISt17integral_constantIbLb1EES16_EEDaS11_S12_EUlS11_E_NS1_11comp_targetILNS1_3genE3ELNS1_11target_archE908ELNS1_3gpuE7ELNS1_3repE0EEENS1_30default_config_static_selectorELNS0_4arch9wavefront6targetE0EEEvT1_, .Lfunc_end563-_ZN7rocprim17ROCPRIM_400000_NS6detail17trampoline_kernelINS0_14default_configENS1_25partition_config_selectorILNS1_17partition_subalgoE6ExNS0_10empty_typeEbEEZZNS1_14partition_implILS5_6ELb0ES3_mN6thrust23THRUST_200600_302600_NS6detail15normal_iteratorINSA_10device_ptrIxEEEEPS6_SG_NS0_5tupleIJSF_S6_EEENSH_IJSG_SG_EEES6_PlJ5mod_3IxEEEE10hipError_tPvRmT3_T4_T5_T6_T7_T9_mT8_P12ihipStream_tbDpT10_ENKUlT_T0_E_clISt17integral_constantIbLb1EES16_EEDaS11_S12_EUlS11_E_NS1_11comp_targetILNS1_3genE3ELNS1_11target_archE908ELNS1_3gpuE7ELNS1_3repE0EEENS1_30default_config_static_selectorELNS0_4arch9wavefront6targetE0EEEvT1_
                                        ; -- End function
	.section	.AMDGPU.csdata,"",@progbits
; Kernel info:
; codeLenInByte = 0
; NumSgprs: 0
; NumVgprs: 0
; ScratchSize: 0
; MemoryBound: 0
; FloatMode: 240
; IeeeMode: 1
; LDSByteSize: 0 bytes/workgroup (compile time only)
; SGPRBlocks: 0
; VGPRBlocks: 0
; NumSGPRsForWavesPerEU: 1
; NumVGPRsForWavesPerEU: 1
; Occupancy: 16
; WaveLimiterHint : 0
; COMPUTE_PGM_RSRC2:SCRATCH_EN: 0
; COMPUTE_PGM_RSRC2:USER_SGPR: 15
; COMPUTE_PGM_RSRC2:TRAP_HANDLER: 0
; COMPUTE_PGM_RSRC2:TGID_X_EN: 1
; COMPUTE_PGM_RSRC2:TGID_Y_EN: 0
; COMPUTE_PGM_RSRC2:TGID_Z_EN: 0
; COMPUTE_PGM_RSRC2:TIDIG_COMP_CNT: 0
	.section	.text._ZN7rocprim17ROCPRIM_400000_NS6detail17trampoline_kernelINS0_14default_configENS1_25partition_config_selectorILNS1_17partition_subalgoE6ExNS0_10empty_typeEbEEZZNS1_14partition_implILS5_6ELb0ES3_mN6thrust23THRUST_200600_302600_NS6detail15normal_iteratorINSA_10device_ptrIxEEEEPS6_SG_NS0_5tupleIJSF_S6_EEENSH_IJSG_SG_EEES6_PlJ5mod_3IxEEEE10hipError_tPvRmT3_T4_T5_T6_T7_T9_mT8_P12ihipStream_tbDpT10_ENKUlT_T0_E_clISt17integral_constantIbLb1EES16_EEDaS11_S12_EUlS11_E_NS1_11comp_targetILNS1_3genE2ELNS1_11target_archE906ELNS1_3gpuE6ELNS1_3repE0EEENS1_30default_config_static_selectorELNS0_4arch9wavefront6targetE0EEEvT1_,"axG",@progbits,_ZN7rocprim17ROCPRIM_400000_NS6detail17trampoline_kernelINS0_14default_configENS1_25partition_config_selectorILNS1_17partition_subalgoE6ExNS0_10empty_typeEbEEZZNS1_14partition_implILS5_6ELb0ES3_mN6thrust23THRUST_200600_302600_NS6detail15normal_iteratorINSA_10device_ptrIxEEEEPS6_SG_NS0_5tupleIJSF_S6_EEENSH_IJSG_SG_EEES6_PlJ5mod_3IxEEEE10hipError_tPvRmT3_T4_T5_T6_T7_T9_mT8_P12ihipStream_tbDpT10_ENKUlT_T0_E_clISt17integral_constantIbLb1EES16_EEDaS11_S12_EUlS11_E_NS1_11comp_targetILNS1_3genE2ELNS1_11target_archE906ELNS1_3gpuE6ELNS1_3repE0EEENS1_30default_config_static_selectorELNS0_4arch9wavefront6targetE0EEEvT1_,comdat
	.protected	_ZN7rocprim17ROCPRIM_400000_NS6detail17trampoline_kernelINS0_14default_configENS1_25partition_config_selectorILNS1_17partition_subalgoE6ExNS0_10empty_typeEbEEZZNS1_14partition_implILS5_6ELb0ES3_mN6thrust23THRUST_200600_302600_NS6detail15normal_iteratorINSA_10device_ptrIxEEEEPS6_SG_NS0_5tupleIJSF_S6_EEENSH_IJSG_SG_EEES6_PlJ5mod_3IxEEEE10hipError_tPvRmT3_T4_T5_T6_T7_T9_mT8_P12ihipStream_tbDpT10_ENKUlT_T0_E_clISt17integral_constantIbLb1EES16_EEDaS11_S12_EUlS11_E_NS1_11comp_targetILNS1_3genE2ELNS1_11target_archE906ELNS1_3gpuE6ELNS1_3repE0EEENS1_30default_config_static_selectorELNS0_4arch9wavefront6targetE0EEEvT1_ ; -- Begin function _ZN7rocprim17ROCPRIM_400000_NS6detail17trampoline_kernelINS0_14default_configENS1_25partition_config_selectorILNS1_17partition_subalgoE6ExNS0_10empty_typeEbEEZZNS1_14partition_implILS5_6ELb0ES3_mN6thrust23THRUST_200600_302600_NS6detail15normal_iteratorINSA_10device_ptrIxEEEEPS6_SG_NS0_5tupleIJSF_S6_EEENSH_IJSG_SG_EEES6_PlJ5mod_3IxEEEE10hipError_tPvRmT3_T4_T5_T6_T7_T9_mT8_P12ihipStream_tbDpT10_ENKUlT_T0_E_clISt17integral_constantIbLb1EES16_EEDaS11_S12_EUlS11_E_NS1_11comp_targetILNS1_3genE2ELNS1_11target_archE906ELNS1_3gpuE6ELNS1_3repE0EEENS1_30default_config_static_selectorELNS0_4arch9wavefront6targetE0EEEvT1_
	.globl	_ZN7rocprim17ROCPRIM_400000_NS6detail17trampoline_kernelINS0_14default_configENS1_25partition_config_selectorILNS1_17partition_subalgoE6ExNS0_10empty_typeEbEEZZNS1_14partition_implILS5_6ELb0ES3_mN6thrust23THRUST_200600_302600_NS6detail15normal_iteratorINSA_10device_ptrIxEEEEPS6_SG_NS0_5tupleIJSF_S6_EEENSH_IJSG_SG_EEES6_PlJ5mod_3IxEEEE10hipError_tPvRmT3_T4_T5_T6_T7_T9_mT8_P12ihipStream_tbDpT10_ENKUlT_T0_E_clISt17integral_constantIbLb1EES16_EEDaS11_S12_EUlS11_E_NS1_11comp_targetILNS1_3genE2ELNS1_11target_archE906ELNS1_3gpuE6ELNS1_3repE0EEENS1_30default_config_static_selectorELNS0_4arch9wavefront6targetE0EEEvT1_
	.p2align	8
	.type	_ZN7rocprim17ROCPRIM_400000_NS6detail17trampoline_kernelINS0_14default_configENS1_25partition_config_selectorILNS1_17partition_subalgoE6ExNS0_10empty_typeEbEEZZNS1_14partition_implILS5_6ELb0ES3_mN6thrust23THRUST_200600_302600_NS6detail15normal_iteratorINSA_10device_ptrIxEEEEPS6_SG_NS0_5tupleIJSF_S6_EEENSH_IJSG_SG_EEES6_PlJ5mod_3IxEEEE10hipError_tPvRmT3_T4_T5_T6_T7_T9_mT8_P12ihipStream_tbDpT10_ENKUlT_T0_E_clISt17integral_constantIbLb1EES16_EEDaS11_S12_EUlS11_E_NS1_11comp_targetILNS1_3genE2ELNS1_11target_archE906ELNS1_3gpuE6ELNS1_3repE0EEENS1_30default_config_static_selectorELNS0_4arch9wavefront6targetE0EEEvT1_,@function
_ZN7rocprim17ROCPRIM_400000_NS6detail17trampoline_kernelINS0_14default_configENS1_25partition_config_selectorILNS1_17partition_subalgoE6ExNS0_10empty_typeEbEEZZNS1_14partition_implILS5_6ELb0ES3_mN6thrust23THRUST_200600_302600_NS6detail15normal_iteratorINSA_10device_ptrIxEEEEPS6_SG_NS0_5tupleIJSF_S6_EEENSH_IJSG_SG_EEES6_PlJ5mod_3IxEEEE10hipError_tPvRmT3_T4_T5_T6_T7_T9_mT8_P12ihipStream_tbDpT10_ENKUlT_T0_E_clISt17integral_constantIbLb1EES16_EEDaS11_S12_EUlS11_E_NS1_11comp_targetILNS1_3genE2ELNS1_11target_archE906ELNS1_3gpuE6ELNS1_3repE0EEENS1_30default_config_static_selectorELNS0_4arch9wavefront6targetE0EEEvT1_: ; @_ZN7rocprim17ROCPRIM_400000_NS6detail17trampoline_kernelINS0_14default_configENS1_25partition_config_selectorILNS1_17partition_subalgoE6ExNS0_10empty_typeEbEEZZNS1_14partition_implILS5_6ELb0ES3_mN6thrust23THRUST_200600_302600_NS6detail15normal_iteratorINSA_10device_ptrIxEEEEPS6_SG_NS0_5tupleIJSF_S6_EEENSH_IJSG_SG_EEES6_PlJ5mod_3IxEEEE10hipError_tPvRmT3_T4_T5_T6_T7_T9_mT8_P12ihipStream_tbDpT10_ENKUlT_T0_E_clISt17integral_constantIbLb1EES16_EEDaS11_S12_EUlS11_E_NS1_11comp_targetILNS1_3genE2ELNS1_11target_archE906ELNS1_3gpuE6ELNS1_3repE0EEENS1_30default_config_static_selectorELNS0_4arch9wavefront6targetE0EEEvT1_
; %bb.0:
	.section	.rodata,"a",@progbits
	.p2align	6, 0x0
	.amdhsa_kernel _ZN7rocprim17ROCPRIM_400000_NS6detail17trampoline_kernelINS0_14default_configENS1_25partition_config_selectorILNS1_17partition_subalgoE6ExNS0_10empty_typeEbEEZZNS1_14partition_implILS5_6ELb0ES3_mN6thrust23THRUST_200600_302600_NS6detail15normal_iteratorINSA_10device_ptrIxEEEEPS6_SG_NS0_5tupleIJSF_S6_EEENSH_IJSG_SG_EEES6_PlJ5mod_3IxEEEE10hipError_tPvRmT3_T4_T5_T6_T7_T9_mT8_P12ihipStream_tbDpT10_ENKUlT_T0_E_clISt17integral_constantIbLb1EES16_EEDaS11_S12_EUlS11_E_NS1_11comp_targetILNS1_3genE2ELNS1_11target_archE906ELNS1_3gpuE6ELNS1_3repE0EEENS1_30default_config_static_selectorELNS0_4arch9wavefront6targetE0EEEvT1_
		.amdhsa_group_segment_fixed_size 0
		.amdhsa_private_segment_fixed_size 0
		.amdhsa_kernarg_size 128
		.amdhsa_user_sgpr_count 15
		.amdhsa_user_sgpr_dispatch_ptr 0
		.amdhsa_user_sgpr_queue_ptr 0
		.amdhsa_user_sgpr_kernarg_segment_ptr 1
		.amdhsa_user_sgpr_dispatch_id 0
		.amdhsa_user_sgpr_private_segment_size 0
		.amdhsa_wavefront_size32 1
		.amdhsa_uses_dynamic_stack 0
		.amdhsa_enable_private_segment 0
		.amdhsa_system_sgpr_workgroup_id_x 1
		.amdhsa_system_sgpr_workgroup_id_y 0
		.amdhsa_system_sgpr_workgroup_id_z 0
		.amdhsa_system_sgpr_workgroup_info 0
		.amdhsa_system_vgpr_workitem_id 0
		.amdhsa_next_free_vgpr 1
		.amdhsa_next_free_sgpr 1
		.amdhsa_reserve_vcc 0
		.amdhsa_float_round_mode_32 0
		.amdhsa_float_round_mode_16_64 0
		.amdhsa_float_denorm_mode_32 3
		.amdhsa_float_denorm_mode_16_64 3
		.amdhsa_dx10_clamp 1
		.amdhsa_ieee_mode 1
		.amdhsa_fp16_overflow 0
		.amdhsa_workgroup_processor_mode 1
		.amdhsa_memory_ordered 1
		.amdhsa_forward_progress 0
		.amdhsa_shared_vgpr_count 0
		.amdhsa_exception_fp_ieee_invalid_op 0
		.amdhsa_exception_fp_denorm_src 0
		.amdhsa_exception_fp_ieee_div_zero 0
		.amdhsa_exception_fp_ieee_overflow 0
		.amdhsa_exception_fp_ieee_underflow 0
		.amdhsa_exception_fp_ieee_inexact 0
		.amdhsa_exception_int_div_zero 0
	.end_amdhsa_kernel
	.section	.text._ZN7rocprim17ROCPRIM_400000_NS6detail17trampoline_kernelINS0_14default_configENS1_25partition_config_selectorILNS1_17partition_subalgoE6ExNS0_10empty_typeEbEEZZNS1_14partition_implILS5_6ELb0ES3_mN6thrust23THRUST_200600_302600_NS6detail15normal_iteratorINSA_10device_ptrIxEEEEPS6_SG_NS0_5tupleIJSF_S6_EEENSH_IJSG_SG_EEES6_PlJ5mod_3IxEEEE10hipError_tPvRmT3_T4_T5_T6_T7_T9_mT8_P12ihipStream_tbDpT10_ENKUlT_T0_E_clISt17integral_constantIbLb1EES16_EEDaS11_S12_EUlS11_E_NS1_11comp_targetILNS1_3genE2ELNS1_11target_archE906ELNS1_3gpuE6ELNS1_3repE0EEENS1_30default_config_static_selectorELNS0_4arch9wavefront6targetE0EEEvT1_,"axG",@progbits,_ZN7rocprim17ROCPRIM_400000_NS6detail17trampoline_kernelINS0_14default_configENS1_25partition_config_selectorILNS1_17partition_subalgoE6ExNS0_10empty_typeEbEEZZNS1_14partition_implILS5_6ELb0ES3_mN6thrust23THRUST_200600_302600_NS6detail15normal_iteratorINSA_10device_ptrIxEEEEPS6_SG_NS0_5tupleIJSF_S6_EEENSH_IJSG_SG_EEES6_PlJ5mod_3IxEEEE10hipError_tPvRmT3_T4_T5_T6_T7_T9_mT8_P12ihipStream_tbDpT10_ENKUlT_T0_E_clISt17integral_constantIbLb1EES16_EEDaS11_S12_EUlS11_E_NS1_11comp_targetILNS1_3genE2ELNS1_11target_archE906ELNS1_3gpuE6ELNS1_3repE0EEENS1_30default_config_static_selectorELNS0_4arch9wavefront6targetE0EEEvT1_,comdat
.Lfunc_end564:
	.size	_ZN7rocprim17ROCPRIM_400000_NS6detail17trampoline_kernelINS0_14default_configENS1_25partition_config_selectorILNS1_17partition_subalgoE6ExNS0_10empty_typeEbEEZZNS1_14partition_implILS5_6ELb0ES3_mN6thrust23THRUST_200600_302600_NS6detail15normal_iteratorINSA_10device_ptrIxEEEEPS6_SG_NS0_5tupleIJSF_S6_EEENSH_IJSG_SG_EEES6_PlJ5mod_3IxEEEE10hipError_tPvRmT3_T4_T5_T6_T7_T9_mT8_P12ihipStream_tbDpT10_ENKUlT_T0_E_clISt17integral_constantIbLb1EES16_EEDaS11_S12_EUlS11_E_NS1_11comp_targetILNS1_3genE2ELNS1_11target_archE906ELNS1_3gpuE6ELNS1_3repE0EEENS1_30default_config_static_selectorELNS0_4arch9wavefront6targetE0EEEvT1_, .Lfunc_end564-_ZN7rocprim17ROCPRIM_400000_NS6detail17trampoline_kernelINS0_14default_configENS1_25partition_config_selectorILNS1_17partition_subalgoE6ExNS0_10empty_typeEbEEZZNS1_14partition_implILS5_6ELb0ES3_mN6thrust23THRUST_200600_302600_NS6detail15normal_iteratorINSA_10device_ptrIxEEEEPS6_SG_NS0_5tupleIJSF_S6_EEENSH_IJSG_SG_EEES6_PlJ5mod_3IxEEEE10hipError_tPvRmT3_T4_T5_T6_T7_T9_mT8_P12ihipStream_tbDpT10_ENKUlT_T0_E_clISt17integral_constantIbLb1EES16_EEDaS11_S12_EUlS11_E_NS1_11comp_targetILNS1_3genE2ELNS1_11target_archE906ELNS1_3gpuE6ELNS1_3repE0EEENS1_30default_config_static_selectorELNS0_4arch9wavefront6targetE0EEEvT1_
                                        ; -- End function
	.section	.AMDGPU.csdata,"",@progbits
; Kernel info:
; codeLenInByte = 0
; NumSgprs: 0
; NumVgprs: 0
; ScratchSize: 0
; MemoryBound: 0
; FloatMode: 240
; IeeeMode: 1
; LDSByteSize: 0 bytes/workgroup (compile time only)
; SGPRBlocks: 0
; VGPRBlocks: 0
; NumSGPRsForWavesPerEU: 1
; NumVGPRsForWavesPerEU: 1
; Occupancy: 16
; WaveLimiterHint : 0
; COMPUTE_PGM_RSRC2:SCRATCH_EN: 0
; COMPUTE_PGM_RSRC2:USER_SGPR: 15
; COMPUTE_PGM_RSRC2:TRAP_HANDLER: 0
; COMPUTE_PGM_RSRC2:TGID_X_EN: 1
; COMPUTE_PGM_RSRC2:TGID_Y_EN: 0
; COMPUTE_PGM_RSRC2:TGID_Z_EN: 0
; COMPUTE_PGM_RSRC2:TIDIG_COMP_CNT: 0
	.section	.text._ZN7rocprim17ROCPRIM_400000_NS6detail17trampoline_kernelINS0_14default_configENS1_25partition_config_selectorILNS1_17partition_subalgoE6ExNS0_10empty_typeEbEEZZNS1_14partition_implILS5_6ELb0ES3_mN6thrust23THRUST_200600_302600_NS6detail15normal_iteratorINSA_10device_ptrIxEEEEPS6_SG_NS0_5tupleIJSF_S6_EEENSH_IJSG_SG_EEES6_PlJ5mod_3IxEEEE10hipError_tPvRmT3_T4_T5_T6_T7_T9_mT8_P12ihipStream_tbDpT10_ENKUlT_T0_E_clISt17integral_constantIbLb1EES16_EEDaS11_S12_EUlS11_E_NS1_11comp_targetILNS1_3genE10ELNS1_11target_archE1200ELNS1_3gpuE4ELNS1_3repE0EEENS1_30default_config_static_selectorELNS0_4arch9wavefront6targetE0EEEvT1_,"axG",@progbits,_ZN7rocprim17ROCPRIM_400000_NS6detail17trampoline_kernelINS0_14default_configENS1_25partition_config_selectorILNS1_17partition_subalgoE6ExNS0_10empty_typeEbEEZZNS1_14partition_implILS5_6ELb0ES3_mN6thrust23THRUST_200600_302600_NS6detail15normal_iteratorINSA_10device_ptrIxEEEEPS6_SG_NS0_5tupleIJSF_S6_EEENSH_IJSG_SG_EEES6_PlJ5mod_3IxEEEE10hipError_tPvRmT3_T4_T5_T6_T7_T9_mT8_P12ihipStream_tbDpT10_ENKUlT_T0_E_clISt17integral_constantIbLb1EES16_EEDaS11_S12_EUlS11_E_NS1_11comp_targetILNS1_3genE10ELNS1_11target_archE1200ELNS1_3gpuE4ELNS1_3repE0EEENS1_30default_config_static_selectorELNS0_4arch9wavefront6targetE0EEEvT1_,comdat
	.protected	_ZN7rocprim17ROCPRIM_400000_NS6detail17trampoline_kernelINS0_14default_configENS1_25partition_config_selectorILNS1_17partition_subalgoE6ExNS0_10empty_typeEbEEZZNS1_14partition_implILS5_6ELb0ES3_mN6thrust23THRUST_200600_302600_NS6detail15normal_iteratorINSA_10device_ptrIxEEEEPS6_SG_NS0_5tupleIJSF_S6_EEENSH_IJSG_SG_EEES6_PlJ5mod_3IxEEEE10hipError_tPvRmT3_T4_T5_T6_T7_T9_mT8_P12ihipStream_tbDpT10_ENKUlT_T0_E_clISt17integral_constantIbLb1EES16_EEDaS11_S12_EUlS11_E_NS1_11comp_targetILNS1_3genE10ELNS1_11target_archE1200ELNS1_3gpuE4ELNS1_3repE0EEENS1_30default_config_static_selectorELNS0_4arch9wavefront6targetE0EEEvT1_ ; -- Begin function _ZN7rocprim17ROCPRIM_400000_NS6detail17trampoline_kernelINS0_14default_configENS1_25partition_config_selectorILNS1_17partition_subalgoE6ExNS0_10empty_typeEbEEZZNS1_14partition_implILS5_6ELb0ES3_mN6thrust23THRUST_200600_302600_NS6detail15normal_iteratorINSA_10device_ptrIxEEEEPS6_SG_NS0_5tupleIJSF_S6_EEENSH_IJSG_SG_EEES6_PlJ5mod_3IxEEEE10hipError_tPvRmT3_T4_T5_T6_T7_T9_mT8_P12ihipStream_tbDpT10_ENKUlT_T0_E_clISt17integral_constantIbLb1EES16_EEDaS11_S12_EUlS11_E_NS1_11comp_targetILNS1_3genE10ELNS1_11target_archE1200ELNS1_3gpuE4ELNS1_3repE0EEENS1_30default_config_static_selectorELNS0_4arch9wavefront6targetE0EEEvT1_
	.globl	_ZN7rocprim17ROCPRIM_400000_NS6detail17trampoline_kernelINS0_14default_configENS1_25partition_config_selectorILNS1_17partition_subalgoE6ExNS0_10empty_typeEbEEZZNS1_14partition_implILS5_6ELb0ES3_mN6thrust23THRUST_200600_302600_NS6detail15normal_iteratorINSA_10device_ptrIxEEEEPS6_SG_NS0_5tupleIJSF_S6_EEENSH_IJSG_SG_EEES6_PlJ5mod_3IxEEEE10hipError_tPvRmT3_T4_T5_T6_T7_T9_mT8_P12ihipStream_tbDpT10_ENKUlT_T0_E_clISt17integral_constantIbLb1EES16_EEDaS11_S12_EUlS11_E_NS1_11comp_targetILNS1_3genE10ELNS1_11target_archE1200ELNS1_3gpuE4ELNS1_3repE0EEENS1_30default_config_static_selectorELNS0_4arch9wavefront6targetE0EEEvT1_
	.p2align	8
	.type	_ZN7rocprim17ROCPRIM_400000_NS6detail17trampoline_kernelINS0_14default_configENS1_25partition_config_selectorILNS1_17partition_subalgoE6ExNS0_10empty_typeEbEEZZNS1_14partition_implILS5_6ELb0ES3_mN6thrust23THRUST_200600_302600_NS6detail15normal_iteratorINSA_10device_ptrIxEEEEPS6_SG_NS0_5tupleIJSF_S6_EEENSH_IJSG_SG_EEES6_PlJ5mod_3IxEEEE10hipError_tPvRmT3_T4_T5_T6_T7_T9_mT8_P12ihipStream_tbDpT10_ENKUlT_T0_E_clISt17integral_constantIbLb1EES16_EEDaS11_S12_EUlS11_E_NS1_11comp_targetILNS1_3genE10ELNS1_11target_archE1200ELNS1_3gpuE4ELNS1_3repE0EEENS1_30default_config_static_selectorELNS0_4arch9wavefront6targetE0EEEvT1_,@function
_ZN7rocprim17ROCPRIM_400000_NS6detail17trampoline_kernelINS0_14default_configENS1_25partition_config_selectorILNS1_17partition_subalgoE6ExNS0_10empty_typeEbEEZZNS1_14partition_implILS5_6ELb0ES3_mN6thrust23THRUST_200600_302600_NS6detail15normal_iteratorINSA_10device_ptrIxEEEEPS6_SG_NS0_5tupleIJSF_S6_EEENSH_IJSG_SG_EEES6_PlJ5mod_3IxEEEE10hipError_tPvRmT3_T4_T5_T6_T7_T9_mT8_P12ihipStream_tbDpT10_ENKUlT_T0_E_clISt17integral_constantIbLb1EES16_EEDaS11_S12_EUlS11_E_NS1_11comp_targetILNS1_3genE10ELNS1_11target_archE1200ELNS1_3gpuE4ELNS1_3repE0EEENS1_30default_config_static_selectorELNS0_4arch9wavefront6targetE0EEEvT1_: ; @_ZN7rocprim17ROCPRIM_400000_NS6detail17trampoline_kernelINS0_14default_configENS1_25partition_config_selectorILNS1_17partition_subalgoE6ExNS0_10empty_typeEbEEZZNS1_14partition_implILS5_6ELb0ES3_mN6thrust23THRUST_200600_302600_NS6detail15normal_iteratorINSA_10device_ptrIxEEEEPS6_SG_NS0_5tupleIJSF_S6_EEENSH_IJSG_SG_EEES6_PlJ5mod_3IxEEEE10hipError_tPvRmT3_T4_T5_T6_T7_T9_mT8_P12ihipStream_tbDpT10_ENKUlT_T0_E_clISt17integral_constantIbLb1EES16_EEDaS11_S12_EUlS11_E_NS1_11comp_targetILNS1_3genE10ELNS1_11target_archE1200ELNS1_3gpuE4ELNS1_3repE0EEENS1_30default_config_static_selectorELNS0_4arch9wavefront6targetE0EEEvT1_
; %bb.0:
	.section	.rodata,"a",@progbits
	.p2align	6, 0x0
	.amdhsa_kernel _ZN7rocprim17ROCPRIM_400000_NS6detail17trampoline_kernelINS0_14default_configENS1_25partition_config_selectorILNS1_17partition_subalgoE6ExNS0_10empty_typeEbEEZZNS1_14partition_implILS5_6ELb0ES3_mN6thrust23THRUST_200600_302600_NS6detail15normal_iteratorINSA_10device_ptrIxEEEEPS6_SG_NS0_5tupleIJSF_S6_EEENSH_IJSG_SG_EEES6_PlJ5mod_3IxEEEE10hipError_tPvRmT3_T4_T5_T6_T7_T9_mT8_P12ihipStream_tbDpT10_ENKUlT_T0_E_clISt17integral_constantIbLb1EES16_EEDaS11_S12_EUlS11_E_NS1_11comp_targetILNS1_3genE10ELNS1_11target_archE1200ELNS1_3gpuE4ELNS1_3repE0EEENS1_30default_config_static_selectorELNS0_4arch9wavefront6targetE0EEEvT1_
		.amdhsa_group_segment_fixed_size 0
		.amdhsa_private_segment_fixed_size 0
		.amdhsa_kernarg_size 128
		.amdhsa_user_sgpr_count 15
		.amdhsa_user_sgpr_dispatch_ptr 0
		.amdhsa_user_sgpr_queue_ptr 0
		.amdhsa_user_sgpr_kernarg_segment_ptr 1
		.amdhsa_user_sgpr_dispatch_id 0
		.amdhsa_user_sgpr_private_segment_size 0
		.amdhsa_wavefront_size32 1
		.amdhsa_uses_dynamic_stack 0
		.amdhsa_enable_private_segment 0
		.amdhsa_system_sgpr_workgroup_id_x 1
		.amdhsa_system_sgpr_workgroup_id_y 0
		.amdhsa_system_sgpr_workgroup_id_z 0
		.amdhsa_system_sgpr_workgroup_info 0
		.amdhsa_system_vgpr_workitem_id 0
		.amdhsa_next_free_vgpr 1
		.amdhsa_next_free_sgpr 1
		.amdhsa_reserve_vcc 0
		.amdhsa_float_round_mode_32 0
		.amdhsa_float_round_mode_16_64 0
		.amdhsa_float_denorm_mode_32 3
		.amdhsa_float_denorm_mode_16_64 3
		.amdhsa_dx10_clamp 1
		.amdhsa_ieee_mode 1
		.amdhsa_fp16_overflow 0
		.amdhsa_workgroup_processor_mode 1
		.amdhsa_memory_ordered 1
		.amdhsa_forward_progress 0
		.amdhsa_shared_vgpr_count 0
		.amdhsa_exception_fp_ieee_invalid_op 0
		.amdhsa_exception_fp_denorm_src 0
		.amdhsa_exception_fp_ieee_div_zero 0
		.amdhsa_exception_fp_ieee_overflow 0
		.amdhsa_exception_fp_ieee_underflow 0
		.amdhsa_exception_fp_ieee_inexact 0
		.amdhsa_exception_int_div_zero 0
	.end_amdhsa_kernel
	.section	.text._ZN7rocprim17ROCPRIM_400000_NS6detail17trampoline_kernelINS0_14default_configENS1_25partition_config_selectorILNS1_17partition_subalgoE6ExNS0_10empty_typeEbEEZZNS1_14partition_implILS5_6ELb0ES3_mN6thrust23THRUST_200600_302600_NS6detail15normal_iteratorINSA_10device_ptrIxEEEEPS6_SG_NS0_5tupleIJSF_S6_EEENSH_IJSG_SG_EEES6_PlJ5mod_3IxEEEE10hipError_tPvRmT3_T4_T5_T6_T7_T9_mT8_P12ihipStream_tbDpT10_ENKUlT_T0_E_clISt17integral_constantIbLb1EES16_EEDaS11_S12_EUlS11_E_NS1_11comp_targetILNS1_3genE10ELNS1_11target_archE1200ELNS1_3gpuE4ELNS1_3repE0EEENS1_30default_config_static_selectorELNS0_4arch9wavefront6targetE0EEEvT1_,"axG",@progbits,_ZN7rocprim17ROCPRIM_400000_NS6detail17trampoline_kernelINS0_14default_configENS1_25partition_config_selectorILNS1_17partition_subalgoE6ExNS0_10empty_typeEbEEZZNS1_14partition_implILS5_6ELb0ES3_mN6thrust23THRUST_200600_302600_NS6detail15normal_iteratorINSA_10device_ptrIxEEEEPS6_SG_NS0_5tupleIJSF_S6_EEENSH_IJSG_SG_EEES6_PlJ5mod_3IxEEEE10hipError_tPvRmT3_T4_T5_T6_T7_T9_mT8_P12ihipStream_tbDpT10_ENKUlT_T0_E_clISt17integral_constantIbLb1EES16_EEDaS11_S12_EUlS11_E_NS1_11comp_targetILNS1_3genE10ELNS1_11target_archE1200ELNS1_3gpuE4ELNS1_3repE0EEENS1_30default_config_static_selectorELNS0_4arch9wavefront6targetE0EEEvT1_,comdat
.Lfunc_end565:
	.size	_ZN7rocprim17ROCPRIM_400000_NS6detail17trampoline_kernelINS0_14default_configENS1_25partition_config_selectorILNS1_17partition_subalgoE6ExNS0_10empty_typeEbEEZZNS1_14partition_implILS5_6ELb0ES3_mN6thrust23THRUST_200600_302600_NS6detail15normal_iteratorINSA_10device_ptrIxEEEEPS6_SG_NS0_5tupleIJSF_S6_EEENSH_IJSG_SG_EEES6_PlJ5mod_3IxEEEE10hipError_tPvRmT3_T4_T5_T6_T7_T9_mT8_P12ihipStream_tbDpT10_ENKUlT_T0_E_clISt17integral_constantIbLb1EES16_EEDaS11_S12_EUlS11_E_NS1_11comp_targetILNS1_3genE10ELNS1_11target_archE1200ELNS1_3gpuE4ELNS1_3repE0EEENS1_30default_config_static_selectorELNS0_4arch9wavefront6targetE0EEEvT1_, .Lfunc_end565-_ZN7rocprim17ROCPRIM_400000_NS6detail17trampoline_kernelINS0_14default_configENS1_25partition_config_selectorILNS1_17partition_subalgoE6ExNS0_10empty_typeEbEEZZNS1_14partition_implILS5_6ELb0ES3_mN6thrust23THRUST_200600_302600_NS6detail15normal_iteratorINSA_10device_ptrIxEEEEPS6_SG_NS0_5tupleIJSF_S6_EEENSH_IJSG_SG_EEES6_PlJ5mod_3IxEEEE10hipError_tPvRmT3_T4_T5_T6_T7_T9_mT8_P12ihipStream_tbDpT10_ENKUlT_T0_E_clISt17integral_constantIbLb1EES16_EEDaS11_S12_EUlS11_E_NS1_11comp_targetILNS1_3genE10ELNS1_11target_archE1200ELNS1_3gpuE4ELNS1_3repE0EEENS1_30default_config_static_selectorELNS0_4arch9wavefront6targetE0EEEvT1_
                                        ; -- End function
	.section	.AMDGPU.csdata,"",@progbits
; Kernel info:
; codeLenInByte = 0
; NumSgprs: 0
; NumVgprs: 0
; ScratchSize: 0
; MemoryBound: 0
; FloatMode: 240
; IeeeMode: 1
; LDSByteSize: 0 bytes/workgroup (compile time only)
; SGPRBlocks: 0
; VGPRBlocks: 0
; NumSGPRsForWavesPerEU: 1
; NumVGPRsForWavesPerEU: 1
; Occupancy: 16
; WaveLimiterHint : 0
; COMPUTE_PGM_RSRC2:SCRATCH_EN: 0
; COMPUTE_PGM_RSRC2:USER_SGPR: 15
; COMPUTE_PGM_RSRC2:TRAP_HANDLER: 0
; COMPUTE_PGM_RSRC2:TGID_X_EN: 1
; COMPUTE_PGM_RSRC2:TGID_Y_EN: 0
; COMPUTE_PGM_RSRC2:TGID_Z_EN: 0
; COMPUTE_PGM_RSRC2:TIDIG_COMP_CNT: 0
	.section	.text._ZN7rocprim17ROCPRIM_400000_NS6detail17trampoline_kernelINS0_14default_configENS1_25partition_config_selectorILNS1_17partition_subalgoE6ExNS0_10empty_typeEbEEZZNS1_14partition_implILS5_6ELb0ES3_mN6thrust23THRUST_200600_302600_NS6detail15normal_iteratorINSA_10device_ptrIxEEEEPS6_SG_NS0_5tupleIJSF_S6_EEENSH_IJSG_SG_EEES6_PlJ5mod_3IxEEEE10hipError_tPvRmT3_T4_T5_T6_T7_T9_mT8_P12ihipStream_tbDpT10_ENKUlT_T0_E_clISt17integral_constantIbLb1EES16_EEDaS11_S12_EUlS11_E_NS1_11comp_targetILNS1_3genE9ELNS1_11target_archE1100ELNS1_3gpuE3ELNS1_3repE0EEENS1_30default_config_static_selectorELNS0_4arch9wavefront6targetE0EEEvT1_,"axG",@progbits,_ZN7rocprim17ROCPRIM_400000_NS6detail17trampoline_kernelINS0_14default_configENS1_25partition_config_selectorILNS1_17partition_subalgoE6ExNS0_10empty_typeEbEEZZNS1_14partition_implILS5_6ELb0ES3_mN6thrust23THRUST_200600_302600_NS6detail15normal_iteratorINSA_10device_ptrIxEEEEPS6_SG_NS0_5tupleIJSF_S6_EEENSH_IJSG_SG_EEES6_PlJ5mod_3IxEEEE10hipError_tPvRmT3_T4_T5_T6_T7_T9_mT8_P12ihipStream_tbDpT10_ENKUlT_T0_E_clISt17integral_constantIbLb1EES16_EEDaS11_S12_EUlS11_E_NS1_11comp_targetILNS1_3genE9ELNS1_11target_archE1100ELNS1_3gpuE3ELNS1_3repE0EEENS1_30default_config_static_selectorELNS0_4arch9wavefront6targetE0EEEvT1_,comdat
	.protected	_ZN7rocprim17ROCPRIM_400000_NS6detail17trampoline_kernelINS0_14default_configENS1_25partition_config_selectorILNS1_17partition_subalgoE6ExNS0_10empty_typeEbEEZZNS1_14partition_implILS5_6ELb0ES3_mN6thrust23THRUST_200600_302600_NS6detail15normal_iteratorINSA_10device_ptrIxEEEEPS6_SG_NS0_5tupleIJSF_S6_EEENSH_IJSG_SG_EEES6_PlJ5mod_3IxEEEE10hipError_tPvRmT3_T4_T5_T6_T7_T9_mT8_P12ihipStream_tbDpT10_ENKUlT_T0_E_clISt17integral_constantIbLb1EES16_EEDaS11_S12_EUlS11_E_NS1_11comp_targetILNS1_3genE9ELNS1_11target_archE1100ELNS1_3gpuE3ELNS1_3repE0EEENS1_30default_config_static_selectorELNS0_4arch9wavefront6targetE0EEEvT1_ ; -- Begin function _ZN7rocprim17ROCPRIM_400000_NS6detail17trampoline_kernelINS0_14default_configENS1_25partition_config_selectorILNS1_17partition_subalgoE6ExNS0_10empty_typeEbEEZZNS1_14partition_implILS5_6ELb0ES3_mN6thrust23THRUST_200600_302600_NS6detail15normal_iteratorINSA_10device_ptrIxEEEEPS6_SG_NS0_5tupleIJSF_S6_EEENSH_IJSG_SG_EEES6_PlJ5mod_3IxEEEE10hipError_tPvRmT3_T4_T5_T6_T7_T9_mT8_P12ihipStream_tbDpT10_ENKUlT_T0_E_clISt17integral_constantIbLb1EES16_EEDaS11_S12_EUlS11_E_NS1_11comp_targetILNS1_3genE9ELNS1_11target_archE1100ELNS1_3gpuE3ELNS1_3repE0EEENS1_30default_config_static_selectorELNS0_4arch9wavefront6targetE0EEEvT1_
	.globl	_ZN7rocprim17ROCPRIM_400000_NS6detail17trampoline_kernelINS0_14default_configENS1_25partition_config_selectorILNS1_17partition_subalgoE6ExNS0_10empty_typeEbEEZZNS1_14partition_implILS5_6ELb0ES3_mN6thrust23THRUST_200600_302600_NS6detail15normal_iteratorINSA_10device_ptrIxEEEEPS6_SG_NS0_5tupleIJSF_S6_EEENSH_IJSG_SG_EEES6_PlJ5mod_3IxEEEE10hipError_tPvRmT3_T4_T5_T6_T7_T9_mT8_P12ihipStream_tbDpT10_ENKUlT_T0_E_clISt17integral_constantIbLb1EES16_EEDaS11_S12_EUlS11_E_NS1_11comp_targetILNS1_3genE9ELNS1_11target_archE1100ELNS1_3gpuE3ELNS1_3repE0EEENS1_30default_config_static_selectorELNS0_4arch9wavefront6targetE0EEEvT1_
	.p2align	8
	.type	_ZN7rocprim17ROCPRIM_400000_NS6detail17trampoline_kernelINS0_14default_configENS1_25partition_config_selectorILNS1_17partition_subalgoE6ExNS0_10empty_typeEbEEZZNS1_14partition_implILS5_6ELb0ES3_mN6thrust23THRUST_200600_302600_NS6detail15normal_iteratorINSA_10device_ptrIxEEEEPS6_SG_NS0_5tupleIJSF_S6_EEENSH_IJSG_SG_EEES6_PlJ5mod_3IxEEEE10hipError_tPvRmT3_T4_T5_T6_T7_T9_mT8_P12ihipStream_tbDpT10_ENKUlT_T0_E_clISt17integral_constantIbLb1EES16_EEDaS11_S12_EUlS11_E_NS1_11comp_targetILNS1_3genE9ELNS1_11target_archE1100ELNS1_3gpuE3ELNS1_3repE0EEENS1_30default_config_static_selectorELNS0_4arch9wavefront6targetE0EEEvT1_,@function
_ZN7rocprim17ROCPRIM_400000_NS6detail17trampoline_kernelINS0_14default_configENS1_25partition_config_selectorILNS1_17partition_subalgoE6ExNS0_10empty_typeEbEEZZNS1_14partition_implILS5_6ELb0ES3_mN6thrust23THRUST_200600_302600_NS6detail15normal_iteratorINSA_10device_ptrIxEEEEPS6_SG_NS0_5tupleIJSF_S6_EEENSH_IJSG_SG_EEES6_PlJ5mod_3IxEEEE10hipError_tPvRmT3_T4_T5_T6_T7_T9_mT8_P12ihipStream_tbDpT10_ENKUlT_T0_E_clISt17integral_constantIbLb1EES16_EEDaS11_S12_EUlS11_E_NS1_11comp_targetILNS1_3genE9ELNS1_11target_archE1100ELNS1_3gpuE3ELNS1_3repE0EEENS1_30default_config_static_selectorELNS0_4arch9wavefront6targetE0EEEvT1_: ; @_ZN7rocprim17ROCPRIM_400000_NS6detail17trampoline_kernelINS0_14default_configENS1_25partition_config_selectorILNS1_17partition_subalgoE6ExNS0_10empty_typeEbEEZZNS1_14partition_implILS5_6ELb0ES3_mN6thrust23THRUST_200600_302600_NS6detail15normal_iteratorINSA_10device_ptrIxEEEEPS6_SG_NS0_5tupleIJSF_S6_EEENSH_IJSG_SG_EEES6_PlJ5mod_3IxEEEE10hipError_tPvRmT3_T4_T5_T6_T7_T9_mT8_P12ihipStream_tbDpT10_ENKUlT_T0_E_clISt17integral_constantIbLb1EES16_EEDaS11_S12_EUlS11_E_NS1_11comp_targetILNS1_3genE9ELNS1_11target_archE1100ELNS1_3gpuE3ELNS1_3repE0EEENS1_30default_config_static_selectorELNS0_4arch9wavefront6targetE0EEEvT1_
; %bb.0:
	s_clause 0x3
	s_load_b64 s[12:13], s[0:1], 0x28
	s_load_b128 s[8:11], s[0:1], 0x40
	s_load_b64 s[16:17], s[0:1], 0x50
	s_load_b64 s[14:15], s[0:1], 0x60
	v_cmp_eq_u32_e64 s2, 0, v0
	s_delay_alu instid0(VALU_DEP_1)
	s_and_saveexec_b32 s3, s2
	s_cbranch_execz .LBB566_4
; %bb.1:
	s_mov_b32 s5, exec_lo
	s_mov_b32 s4, exec_lo
	v_mbcnt_lo_u32_b32 v1, s5, 0
                                        ; implicit-def: $vgpr2
	s_delay_alu instid0(VALU_DEP_1)
	v_cmpx_eq_u32_e32 0, v1
	s_cbranch_execz .LBB566_3
; %bb.2:
	s_load_b64 s[6:7], s[0:1], 0x70
	s_bcnt1_i32_b32 s5, s5
	s_delay_alu instid0(SALU_CYCLE_1)
	v_dual_mov_b32 v2, 0 :: v_dual_mov_b32 v3, s5
	s_waitcnt lgkmcnt(0)
	global_atomic_add_u32 v2, v2, v3, s[6:7] glc
.LBB566_3:
	s_or_b32 exec_lo, exec_lo, s4
	s_waitcnt vmcnt(0)
	v_readfirstlane_b32 s4, v2
	s_delay_alu instid0(VALU_DEP_1)
	v_dual_mov_b32 v2, 0 :: v_dual_add_nc_u32 v1, s4, v1
	ds_store_b32 v2, v1
.LBB566_4:
	s_or_b32 exec_lo, exec_lo, s3
	v_mov_b32_e32 v2, 0
	s_clause 0x1
	s_load_b128 s[4:7], s[0:1], 0x8
	s_load_b32 s0, s[0:1], 0x68
	s_waitcnt lgkmcnt(0)
	s_barrier
	buffer_gl0_inv
	ds_load_b32 v1, v2
	s_waitcnt lgkmcnt(0)
	s_barrier
	buffer_gl0_inv
	global_load_b64 v[21:22], v2, s[10:11]
	s_lshl_b64 s[10:11], s[6:7], 3
	s_delay_alu instid0(SALU_CYCLE_1)
	s_add_u32 s1, s4, s10
	s_mul_i32 s4, s0, 0x900
	s_addc_u32 s3, s5, s11
	v_readfirstlane_b32 s10, v1
	v_mul_lo_u32 v1, 0x900, v1
	s_add_i32 s5, s4, s6
	s_add_i32 s11, s0, -1
	s_sub_i32 s0, s16, s5
	s_add_u32 s4, s6, s4
	s_addc_u32 s5, s7, 0
	s_cmp_eq_u32 s10, s11
	v_cmp_ge_u64_e64 s4, s[4:5], s[16:17]
	v_lshlrev_b64 v[1:2], 3, v[1:2]
	s_cselect_b32 s5, -1, 0
	s_delay_alu instid0(VALU_DEP_2) | instid1(SALU_CYCLE_1)
	s_and_b32 s4, s4, s5
	s_delay_alu instid0(VALU_DEP_1) | instskip(NEXT) | instid1(VALU_DEP_2)
	v_add_co_u32 v17, vcc_lo, s1, v1
	v_add_co_ci_u32_e32 v18, vcc_lo, s3, v2, vcc_lo
	s_xor_b32 s6, s4, -1
	s_mov_b32 s1, -1
	s_and_b32 vcc_lo, exec_lo, s6
	s_cbranch_vccz .LBB566_6
; %bb.5:
	v_lshlrev_b32_e32 v13, 3, v0
	s_mov_b32 s1, 0
	s_delay_alu instid0(VALU_DEP_1) | instskip(SKIP_1) | instid1(VALU_DEP_2)
	v_add_co_u32 v1, vcc_lo, v17, v13
	v_add_co_ci_u32_e32 v2, vcc_lo, 0, v18, vcc_lo
	v_add_co_u32 v3, vcc_lo, 0x1000, v1
	s_delay_alu instid0(VALU_DEP_2)
	v_add_co_ci_u32_e32 v4, vcc_lo, 0, v2, vcc_lo
	v_add_co_u32 v5, vcc_lo, 0x2000, v1
	v_add_co_ci_u32_e32 v6, vcc_lo, 0, v2, vcc_lo
	v_add_co_u32 v7, vcc_lo, 0x3000, v1
	v_add_co_ci_u32_e32 v8, vcc_lo, 0, v2, vcc_lo
	s_clause 0x5
	flat_load_b64 v[9:10], v[1:2]
	flat_load_b64 v[1:2], v[1:2] offset:3072
	flat_load_b64 v[3:4], v[3:4] offset:2048
	;; [unrolled: 1-line block ×3, first 2 shown]
	flat_load_b64 v[11:12], v[7:8]
	flat_load_b64 v[7:8], v[7:8] offset:3072
	s_waitcnt vmcnt(4) lgkmcnt(4)
	ds_store_2addr_stride64_b64 v13, v[9:10], v[1:2] offset1:6
	s_waitcnt vmcnt(2) lgkmcnt(3)
	ds_store_2addr_stride64_b64 v13, v[3:4], v[5:6] offset0:12 offset1:18
	s_waitcnt vmcnt(0) lgkmcnt(2)
	ds_store_2addr_stride64_b64 v13, v[11:12], v[7:8] offset0:24 offset1:30
	s_waitcnt lgkmcnt(0)
	s_barrier
.LBB566_6:
	s_and_not1_b32 vcc_lo, exec_lo, s1
	s_addk_i32 s0, 0x900
	s_cbranch_vccnz .LBB566_20
; %bb.7:
	s_mov_b32 s1, exec_lo
                                        ; implicit-def: $vgpr1_vgpr2_vgpr3_vgpr4_vgpr5_vgpr6_vgpr7_vgpr8_vgpr9_vgpr10_vgpr11_vgpr12_vgpr13_vgpr14_vgpr15_vgpr16
	v_cmpx_gt_u32_e64 s0, v0
	s_cbranch_execz .LBB566_9
; %bb.8:
	v_lshlrev_b32_e32 v1, 3, v0
	s_delay_alu instid0(VALU_DEP_1)
	v_add_co_u32 v1, vcc_lo, v17, v1
	v_add_co_ci_u32_e32 v2, vcc_lo, 0, v18, vcc_lo
	flat_load_b64 v[1:2], v[1:2]
.LBB566_9:
	s_or_b32 exec_lo, exec_lo, s1
	v_add_nc_u32_e32 v13, 0x180, v0
	s_mov_b32 s1, exec_lo
	s_delay_alu instid0(VALU_DEP_1)
	v_cmpx_gt_u32_e64 s0, v13
	s_cbranch_execz .LBB566_11
; %bb.10:
	v_lshlrev_b32_e32 v3, 3, v0
	s_delay_alu instid0(VALU_DEP_1)
	v_add_co_u32 v3, vcc_lo, v17, v3
	v_add_co_ci_u32_e32 v4, vcc_lo, 0, v18, vcc_lo
	flat_load_b64 v[3:4], v[3:4] offset:3072
.LBB566_11:
	s_or_b32 exec_lo, exec_lo, s1
	v_add_nc_u32_e32 v13, 0x300, v0
	s_mov_b32 s1, exec_lo
	s_delay_alu instid0(VALU_DEP_1)
	v_cmpx_gt_u32_e64 s0, v13
	s_cbranch_execz .LBB566_13
; %bb.12:
	v_lshlrev_b32_e32 v5, 3, v13
	s_delay_alu instid0(VALU_DEP_1)
	v_add_co_u32 v5, vcc_lo, v17, v5
	v_add_co_ci_u32_e32 v6, vcc_lo, 0, v18, vcc_lo
	flat_load_b64 v[5:6], v[5:6]
.LBB566_13:
	s_or_b32 exec_lo, exec_lo, s1
	v_add_nc_u32_e32 v13, 0x480, v0
	s_mov_b32 s1, exec_lo
	s_delay_alu instid0(VALU_DEP_1)
	v_cmpx_gt_u32_e64 s0, v13
	s_cbranch_execz .LBB566_15
; %bb.14:
	v_lshlrev_b32_e32 v7, 3, v13
	s_delay_alu instid0(VALU_DEP_1)
	v_add_co_u32 v7, vcc_lo, v17, v7
	v_add_co_ci_u32_e32 v8, vcc_lo, 0, v18, vcc_lo
	flat_load_b64 v[7:8], v[7:8]
.LBB566_15:
	s_or_b32 exec_lo, exec_lo, s1
	v_or_b32_e32 v13, 0x600, v0
	s_mov_b32 s1, exec_lo
	s_delay_alu instid0(VALU_DEP_1)
	v_cmpx_gt_u32_e64 s0, v13
	s_cbranch_execz .LBB566_17
; %bb.16:
	v_lshlrev_b32_e32 v9, 3, v13
	s_delay_alu instid0(VALU_DEP_1)
	v_add_co_u32 v9, vcc_lo, v17, v9
	v_add_co_ci_u32_e32 v10, vcc_lo, 0, v18, vcc_lo
	flat_load_b64 v[9:10], v[9:10]
.LBB566_17:
	s_or_b32 exec_lo, exec_lo, s1
	v_add_nc_u32_e32 v13, 0x780, v0
	s_mov_b32 s1, exec_lo
	s_delay_alu instid0(VALU_DEP_1)
	v_cmpx_gt_u32_e64 s0, v13
	s_cbranch_execz .LBB566_19
; %bb.18:
	v_lshlrev_b32_e32 v11, 3, v13
	s_delay_alu instid0(VALU_DEP_1)
	v_add_co_u32 v11, vcc_lo, v17, v11
	v_add_co_ci_u32_e32 v12, vcc_lo, 0, v18, vcc_lo
	flat_load_b64 v[11:12], v[11:12]
.LBB566_19:
	s_or_b32 exec_lo, exec_lo, s1
	v_lshlrev_b32_e32 v13, 3, v0
	s_waitcnt vmcnt(0) lgkmcnt(0)
	ds_store_2addr_stride64_b64 v13, v[1:2], v[3:4] offset1:6
	ds_store_2addr_stride64_b64 v13, v[5:6], v[7:8] offset0:12 offset1:18
	ds_store_2addr_stride64_b64 v13, v[9:10], v[11:12] offset0:24 offset1:30
	s_waitcnt lgkmcnt(0)
	s_barrier
.LBB566_20:
	v_mul_u32_u24_e32 v13, 6, v0
	s_waitcnt vmcnt(0)
	buffer_gl0_inv
	s_and_not1_b32 vcc_lo, exec_lo, s6
	v_lshlrev_b32_e32 v37, 3, v13
	ds_load_b128 v[9:12], v37
	ds_load_b128 v[5:8], v37 offset:16
	ds_load_b128 v[1:4], v37 offset:32
	s_waitcnt lgkmcnt(0)
	s_barrier
	buffer_gl0_inv
	s_cbranch_vccnz .LBB566_22
; %bb.21:
	v_mul_lo_u32 v14, 0xaaaaaaab, v11
	v_mul_lo_u32 v15, 0xaaaaaaab, v7
	;; [unrolled: 1-line block ×5, first 2 shown]
	v_cmp_lt_u32_e32 vcc_lo, 0x55555555, v14
	v_cndmask_b32_e64 v14, 0, 1, vcc_lo
	v_cmp_lt_u32_e32 vcc_lo, 0x55555555, v15
	s_delay_alu instid0(VALU_DEP_2) | instskip(SKIP_2) | instid1(VALU_DEP_2)
	v_lshlrev_b16 v14, 8, v14
	v_cndmask_b32_e64 v15, 0, 1, vcc_lo
	v_cmp_lt_u32_e32 vcc_lo, 0x55555555, v16
	v_lshlrev_b16 v15, 8, v15
	v_cndmask_b32_e64 v16, 0, 1, vcc_lo
	v_cmp_lt_u32_e32 vcc_lo, 0x55555555, v17
	s_delay_alu instid0(VALU_DEP_2) | instskip(SKIP_3) | instid1(VALU_DEP_4)
	v_or_b32_e32 v14, v16, v14
	v_cndmask_b32_e64 v17, 0, 1, vcc_lo
	v_mul_lo_u32 v16, 0xaaaaaaab, v3
	v_cmp_lt_u32_e32 vcc_lo, 0x55555555, v18
	v_and_b32_e32 v14, 0xffff, v14
	s_delay_alu instid0(VALU_DEP_4) | instskip(SKIP_2) | instid1(VALU_DEP_3)
	v_or_b32_e32 v15, v17, v15
	v_cndmask_b32_e64 v34, 0, 1, vcc_lo
	v_cmp_lt_u32_e32 vcc_lo, 0x55555555, v16
	v_lshlrev_b32_e32 v15, 16, v15
	v_cndmask_b32_e64 v33, 0, 1, vcc_lo
	s_delay_alu instid0(VALU_DEP_2)
	v_or_b32_e32 v35, v14, v15
	s_cbranch_execz .LBB566_23
	s_branch .LBB566_36
.LBB566_22:
                                        ; implicit-def: $vgpr33
                                        ; implicit-def: $vgpr34
                                        ; implicit-def: $vgpr35
.LBB566_23:
	v_dual_mov_b32 v15, 0 :: v_dual_mov_b32 v14, 0
	s_mov_b32 s1, exec_lo
	v_cmpx_gt_u32_e64 s0, v13
; %bb.24:
	v_mul_lo_u32 v14, 0xaaaaaaab, v9
	s_delay_alu instid0(VALU_DEP_1)
	v_cmp_lt_u32_e32 vcc_lo, 0x55555555, v14
	v_cndmask_b32_e64 v14, 0, 1, vcc_lo
; %bb.25:
	s_or_b32 exec_lo, exec_lo, s1
	v_or_b32_e32 v16, 1, v13
	s_mov_b32 s1, exec_lo
	s_delay_alu instid0(VALU_DEP_1)
	v_cmpx_gt_u32_e64 s0, v16
; %bb.26:
	v_mul_lo_u32 v15, 0xaaaaaaab, v11
	s_delay_alu instid0(VALU_DEP_1)
	v_cmp_lt_u32_e32 vcc_lo, 0x55555555, v15
	v_cndmask_b32_e64 v15, 0, 1, vcc_lo
; %bb.27:
	s_or_b32 exec_lo, exec_lo, s1
	v_dual_mov_b32 v17, 0 :: v_dual_add_nc_u32 v16, 2, v13
	s_delay_alu instid0(VALU_DEP_1)
	v_cmp_gt_u32_e32 vcc_lo, s0, v16
	v_mov_b32_e32 v16, 0
	s_and_saveexec_b32 s1, vcc_lo
; %bb.28:
	v_mul_lo_u32 v16, 0xaaaaaaab, v5
	s_delay_alu instid0(VALU_DEP_1)
	v_cmp_lt_u32_e32 vcc_lo, 0x55555555, v16
	v_cndmask_b32_e64 v16, 0, 1, vcc_lo
; %bb.29:
	s_or_b32 exec_lo, exec_lo, s1
	v_add_nc_u32_e32 v18, 3, v13
	s_mov_b32 s1, exec_lo
	s_delay_alu instid0(VALU_DEP_1)
	v_cmpx_gt_u32_e64 s0, v18
; %bb.30:
	v_mul_lo_u32 v17, 0xaaaaaaab, v7
	s_delay_alu instid0(VALU_DEP_1)
	v_cmp_lt_u32_e32 vcc_lo, 0x55555555, v17
	v_cndmask_b32_e64 v17, 0, 1, vcc_lo
; %bb.31:
	s_or_b32 exec_lo, exec_lo, s1
	v_dual_mov_b32 v33, 0 :: v_dual_add_nc_u32 v18, 4, v13
	v_mov_b32_e32 v34, 0
	s_mov_b32 s1, exec_lo
	s_delay_alu instid0(VALU_DEP_2)
	v_cmpx_gt_u32_e64 s0, v18
; %bb.32:
	v_mul_lo_u32 v18, 0xaaaaaaab, v1
	s_delay_alu instid0(VALU_DEP_1)
	v_cmp_lt_u32_e32 vcc_lo, 0x55555555, v18
	v_cndmask_b32_e64 v34, 0, 1, vcc_lo
; %bb.33:
	s_or_b32 exec_lo, exec_lo, s1
	v_add_nc_u32_e32 v13, 5, v13
	s_delay_alu instid0(VALU_DEP_1)
	v_cmp_gt_u32_e32 vcc_lo, s0, v13
	s_and_saveexec_b32 s0, vcc_lo
; %bb.34:
	v_mul_lo_u32 v13, 0xaaaaaaab, v3
	s_delay_alu instid0(VALU_DEP_1)
	v_cmp_lt_u32_e32 vcc_lo, 0x55555555, v13
	v_cndmask_b32_e64 v33, 0, 1, vcc_lo
; %bb.35:
	s_or_b32 exec_lo, exec_lo, s0
	v_lshlrev_b16 v13, 8, v15
	v_lshlrev_b16 v15, 8, v17
	s_delay_alu instid0(VALU_DEP_2) | instskip(NEXT) | instid1(VALU_DEP_2)
	v_or_b32_e32 v13, v14, v13
	v_or_b32_e32 v14, v16, v15
	s_delay_alu instid0(VALU_DEP_2) | instskip(NEXT) | instid1(VALU_DEP_2)
	v_and_b32_e32 v13, 0xffff, v13
	v_lshlrev_b32_e32 v14, 16, v14
	s_delay_alu instid0(VALU_DEP_1)
	v_or_b32_e32 v35, v13, v14
.LBB566_36:
	s_delay_alu instid0(VALU_DEP_1)
	v_dual_mov_b32 v14, 0 :: v_dual_and_b32 v41, 0xff, v35
	v_bfe_u32 v40, v35, 8, 8
	v_bfe_u32 v39, v35, 16, 8
	v_lshrrev_b32_e32 v36, 24, v35
	v_and_b32_e32 v38, 0xff, v34
	v_mbcnt_lo_u32_b32 v42, -1, 0
	v_add_co_u32 v13, s0, v40, v41
	s_delay_alu instid0(VALU_DEP_1) | instskip(SKIP_1) | instid1(VALU_DEP_3)
	v_add_co_ci_u32_e64 v15, null, 0, 0, s0
	v_and_b32_e32 v16, 0xff, v33
	v_add_co_u32 v13, vcc_lo, v13, v39
	s_delay_alu instid0(VALU_DEP_3) | instskip(SKIP_1) | instid1(VALU_DEP_3)
	v_add_co_ci_u32_e32 v15, vcc_lo, 0, v15, vcc_lo
	v_and_b32_e32 v43, 15, v42
	v_add_co_u32 v13, vcc_lo, v13, v36
	s_delay_alu instid0(VALU_DEP_3) | instskip(NEXT) | instid1(VALU_DEP_3)
	v_add_co_ci_u32_e32 v15, vcc_lo, 0, v15, vcc_lo
	v_cmp_ne_u32_e64 s0, 0, v43
	s_delay_alu instid0(VALU_DEP_3) | instskip(NEXT) | instid1(VALU_DEP_3)
	v_add_co_u32 v13, vcc_lo, v13, v38
	v_add_co_ci_u32_e32 v15, vcc_lo, 0, v15, vcc_lo
	s_cmp_lg_u32 s10, 0
	s_delay_alu instid0(VALU_DEP_2) | instskip(NEXT) | instid1(VALU_DEP_2)
	v_add_co_u32 v23, vcc_lo, v13, v16
	v_add_co_ci_u32_e32 v24, vcc_lo, 0, v15, vcc_lo
	s_mov_b32 s1, -1
	s_cbranch_scc0 .LBB566_105
; %bb.37:
	s_delay_alu instid0(VALU_DEP_2)
	v_mov_b32_e32 v15, v23
	v_mov_b32_dpp v13, v23 row_shr:1 row_mask:0xf bank_mask:0xf
	v_mov_b32_dpp v18, v14 row_shr:1 row_mask:0xf bank_mask:0xf
	v_dual_mov_b32 v17, v23 :: v_dual_mov_b32 v16, v24
	s_and_saveexec_b32 s1, s0
; %bb.38:
	s_delay_alu instid0(VALU_DEP_3) | instskip(SKIP_1) | instid1(VALU_DEP_2)
	v_add_co_u32 v17, vcc_lo, v23, v13
	v_add_co_ci_u32_e32 v14, vcc_lo, 0, v24, vcc_lo
	v_add_co_u32 v13, vcc_lo, 0, v17
	s_delay_alu instid0(VALU_DEP_2) | instskip(NEXT) | instid1(VALU_DEP_1)
	v_add_co_ci_u32_e32 v14, vcc_lo, v18, v14, vcc_lo
	v_dual_mov_b32 v16, v14 :: v_dual_mov_b32 v15, v13
; %bb.39:
	s_or_b32 exec_lo, exec_lo, s1
	v_mov_b32_dpp v13, v17 row_shr:2 row_mask:0xf bank_mask:0xf
	v_mov_b32_dpp v18, v14 row_shr:2 row_mask:0xf bank_mask:0xf
	v_cmp_lt_u32_e32 vcc_lo, 1, v43
	s_and_saveexec_b32 s3, vcc_lo
; %bb.40:
	s_delay_alu instid0(VALU_DEP_3) | instskip(NEXT) | instid1(VALU_DEP_1)
	v_add_co_u32 v17, s1, v15, v13
	v_add_co_ci_u32_e64 v14, s1, 0, v16, s1
	s_delay_alu instid0(VALU_DEP_2) | instskip(NEXT) | instid1(VALU_DEP_1)
	v_add_co_u32 v13, s1, 0, v17
	v_add_co_ci_u32_e64 v14, s1, v18, v14, s1
	s_delay_alu instid0(VALU_DEP_1)
	v_dual_mov_b32 v16, v14 :: v_dual_mov_b32 v15, v13
; %bb.41:
	s_or_b32 exec_lo, exec_lo, s3
	v_mov_b32_dpp v13, v17 row_shr:4 row_mask:0xf bank_mask:0xf
	v_mov_b32_dpp v18, v14 row_shr:4 row_mask:0xf bank_mask:0xf
	v_cmp_lt_u32_e64 s1, 3, v43
	s_delay_alu instid0(VALU_DEP_1)
	s_and_saveexec_b32 s4, s1
; %bb.42:
	s_delay_alu instid0(VALU_DEP_3) | instskip(NEXT) | instid1(VALU_DEP_1)
	v_add_co_u32 v17, s3, v15, v13
	v_add_co_ci_u32_e64 v14, s3, 0, v16, s3
	s_delay_alu instid0(VALU_DEP_2) | instskip(NEXT) | instid1(VALU_DEP_1)
	v_add_co_u32 v13, s3, 0, v17
	v_add_co_ci_u32_e64 v14, s3, v18, v14, s3
	s_delay_alu instid0(VALU_DEP_1)
	v_dual_mov_b32 v16, v14 :: v_dual_mov_b32 v15, v13
; %bb.43:
	s_or_b32 exec_lo, exec_lo, s4
	v_mov_b32_dpp v18, v17 row_shr:8 row_mask:0xf bank_mask:0xf
	v_mov_b32_dpp v13, v14 row_shr:8 row_mask:0xf bank_mask:0xf
	v_cmp_lt_u32_e64 s3, 7, v43
	s_delay_alu instid0(VALU_DEP_1)
	s_and_saveexec_b32 s7, s3
; %bb.44:
	s_delay_alu instid0(VALU_DEP_3) | instskip(NEXT) | instid1(VALU_DEP_1)
	v_add_co_u32 v17, s4, v15, v18
	v_add_co_ci_u32_e64 v14, s4, 0, v16, s4
	s_delay_alu instid0(VALU_DEP_2) | instskip(NEXT) | instid1(VALU_DEP_1)
	v_add_co_u32 v15, s4, 0, v17
	v_add_co_ci_u32_e64 v16, s4, v13, v14, s4
	s_delay_alu instid0(VALU_DEP_1)
	v_mov_b32_e32 v14, v16
; %bb.45:
	s_or_b32 exec_lo, exec_lo, s7
	ds_swizzle_b32 v13, v17 offset:swizzle(BROADCAST,32,15)
	ds_swizzle_b32 v18, v14 offset:swizzle(BROADCAST,32,15)
	v_and_b32_e32 v19, 16, v42
	s_mov_b32 s7, exec_lo
	s_delay_alu instid0(VALU_DEP_1)
	v_cmpx_ne_u32_e32 0, v19
	s_cbranch_execz .LBB566_47
; %bb.46:
	s_waitcnt lgkmcnt(1)
	v_add_co_u32 v17, s4, v15, v13
	s_delay_alu instid0(VALU_DEP_1) | instskip(NEXT) | instid1(VALU_DEP_2)
	v_add_co_ci_u32_e64 v14, s4, 0, v16, s4
	v_add_co_u32 v13, s4, 0, v17
	s_waitcnt lgkmcnt(0)
	s_delay_alu instid0(VALU_DEP_2) | instskip(NEXT) | instid1(VALU_DEP_1)
	v_add_co_ci_u32_e64 v14, s4, v18, v14, s4
	v_dual_mov_b32 v16, v14 :: v_dual_mov_b32 v15, v13
.LBB566_47:
	s_or_b32 exec_lo, exec_lo, s7
	s_waitcnt lgkmcnt(1)
	v_and_b32_e32 v13, 0x1e0, v0
	s_mov_b32 s7, exec_lo
	s_delay_alu instid0(VALU_DEP_1) | instskip(SKIP_1) | instid1(VALU_DEP_1)
	v_min_u32_e32 v13, 0x160, v13
	s_waitcnt lgkmcnt(0)
	v_or_b32_e32 v18, 31, v13
	v_lshrrev_b32_e32 v13, 5, v0
	s_delay_alu instid0(VALU_DEP_2)
	v_cmpx_eq_u32_e64 v18, v0
	s_cbranch_execz .LBB566_49
; %bb.48:
	s_delay_alu instid0(VALU_DEP_2)
	v_lshlrev_b32_e32 v18, 3, v13
	ds_store_b64 v18, v[15:16]
.LBB566_49:
	s_or_b32 exec_lo, exec_lo, s7
	s_delay_alu instid0(SALU_CYCLE_1)
	s_mov_b32 s7, exec_lo
	s_waitcnt lgkmcnt(0)
	s_barrier
	buffer_gl0_inv
	v_cmpx_gt_u32_e32 12, v0
	s_cbranch_execz .LBB566_59
; %bb.50:
	v_lshlrev_b32_e32 v18, 3, v0
	ds_load_b64 v[15:16], v18
	s_waitcnt lgkmcnt(0)
	v_mov_b32_e32 v19, v15
	v_mov_b32_dpp v25, v15 row_shr:1 row_mask:0xf bank_mask:0xf
	v_mov_b32_dpp v20, v16 row_shr:1 row_mask:0xf bank_mask:0xf
	s_and_saveexec_b32 s11, s0
; %bb.51:
	s_delay_alu instid0(VALU_DEP_2) | instskip(NEXT) | instid1(VALU_DEP_1)
	v_add_co_u32 v19, s4, v15, v25
	v_add_co_ci_u32_e64 v16, s4, 0, v16, s4
	s_delay_alu instid0(VALU_DEP_2) | instskip(NEXT) | instid1(VALU_DEP_1)
	v_add_co_u32 v15, s4, 0, v19
	v_add_co_ci_u32_e64 v16, s4, v20, v16, s4
; %bb.52:
	s_or_b32 exec_lo, exec_lo, s11
	v_mov_b32_dpp v25, v19 row_shr:2 row_mask:0xf bank_mask:0xf
	s_delay_alu instid0(VALU_DEP_2)
	v_mov_b32_dpp v20, v16 row_shr:2 row_mask:0xf bank_mask:0xf
	s_and_saveexec_b32 s4, vcc_lo
; %bb.53:
	s_delay_alu instid0(VALU_DEP_2) | instskip(SKIP_1) | instid1(VALU_DEP_2)
	v_add_co_u32 v19, vcc_lo, v15, v25
	v_add_co_ci_u32_e32 v16, vcc_lo, 0, v16, vcc_lo
	v_add_co_u32 v15, vcc_lo, 0, v19
	s_delay_alu instid0(VALU_DEP_2)
	v_add_co_ci_u32_e32 v16, vcc_lo, v20, v16, vcc_lo
; %bb.54:
	s_or_b32 exec_lo, exec_lo, s4
	v_mov_b32_dpp v25, v19 row_shr:4 row_mask:0xf bank_mask:0xf
	s_delay_alu instid0(VALU_DEP_2)
	v_mov_b32_dpp v20, v16 row_shr:4 row_mask:0xf bank_mask:0xf
	s_and_saveexec_b32 s4, s1
; %bb.55:
	s_delay_alu instid0(VALU_DEP_2) | instskip(SKIP_1) | instid1(VALU_DEP_2)
	v_add_co_u32 v19, vcc_lo, v15, v25
	v_add_co_ci_u32_e32 v16, vcc_lo, 0, v16, vcc_lo
	v_add_co_u32 v15, vcc_lo, 0, v19
	s_delay_alu instid0(VALU_DEP_2)
	v_add_co_ci_u32_e32 v16, vcc_lo, v20, v16, vcc_lo
; %bb.56:
	s_or_b32 exec_lo, exec_lo, s4
	v_mov_b32_dpp v20, v19 row_shr:8 row_mask:0xf bank_mask:0xf
	s_delay_alu instid0(VALU_DEP_2)
	v_mov_b32_dpp v19, v16 row_shr:8 row_mask:0xf bank_mask:0xf
	s_and_saveexec_b32 s1, s3
; %bb.57:
	s_delay_alu instid0(VALU_DEP_2) | instskip(SKIP_1) | instid1(VALU_DEP_2)
	v_add_co_u32 v15, vcc_lo, v15, v20
	v_add_co_ci_u32_e32 v16, vcc_lo, 0, v16, vcc_lo
	v_add_co_u32 v15, vcc_lo, v15, 0
	s_delay_alu instid0(VALU_DEP_2)
	v_add_co_ci_u32_e32 v16, vcc_lo, v16, v19, vcc_lo
; %bb.58:
	s_or_b32 exec_lo, exec_lo, s1
	ds_store_b64 v18, v[15:16]
.LBB566_59:
	s_or_b32 exec_lo, exec_lo, s7
	v_cmp_gt_u32_e32 vcc_lo, 32, v0
	s_mov_b32 s3, exec_lo
	s_waitcnt lgkmcnt(0)
	s_barrier
	buffer_gl0_inv
                                        ; implicit-def: $vgpr25_vgpr26
	v_cmpx_lt_u32_e32 31, v0
	s_cbranch_execz .LBB566_61
; %bb.60:
	v_lshl_add_u32 v13, v13, 3, -8
	ds_load_b64 v[25:26], v13
	s_waitcnt lgkmcnt(0)
	v_add_co_u32 v17, s1, v17, v25
	s_delay_alu instid0(VALU_DEP_1)
	v_add_co_ci_u32_e64 v14, s1, v14, v26, s1
.LBB566_61:
	s_or_b32 exec_lo, exec_lo, s3
	v_add_nc_u32_e32 v13, -1, v42
	s_delay_alu instid0(VALU_DEP_1) | instskip(NEXT) | instid1(VALU_DEP_1)
	v_cmp_gt_i32_e64 s1, 0, v13
	v_cndmask_b32_e64 v13, v13, v42, s1
	v_cmp_eq_u32_e64 s1, 0, v42
	s_delay_alu instid0(VALU_DEP_2)
	v_lshlrev_b32_e32 v13, 2, v13
	ds_bpermute_b32 v31, v13, v17
	ds_bpermute_b32 v32, v13, v14
	s_and_saveexec_b32 s3, vcc_lo
	s_cbranch_execz .LBB566_104
; %bb.62:
	v_mov_b32_e32 v16, 0
	ds_load_b64 v[13:14], v16 offset:88
	s_and_saveexec_b32 s4, s1
	s_cbranch_execz .LBB566_64
; %bb.63:
	s_add_i32 s16, s10, 32
	s_mov_b32 s17, 0
	s_delay_alu instid0(SALU_CYCLE_1) | instskip(NEXT) | instid1(SALU_CYCLE_1)
	s_lshl_b64 s[16:17], s[16:17], 4
	s_add_u32 s16, s14, s16
	s_addc_u32 s17, s15, s17
	s_delay_alu instid0(SALU_CYCLE_1)
	v_dual_mov_b32 v15, 1 :: v_dual_mov_b32 v18, s17
	v_mov_b32_e32 v17, s16
	s_waitcnt lgkmcnt(0)
	;;#ASMSTART
	global_store_dwordx4 v[17:18], v[13:16] off	
s_waitcnt vmcnt(0)
	;;#ASMEND
.LBB566_64:
	s_or_b32 exec_lo, exec_lo, s4
	v_xad_u32 v27, v42, -1, s10
	s_mov_b32 s7, 0
	s_mov_b32 s4, exec_lo
	s_delay_alu instid0(VALU_DEP_1) | instskip(NEXT) | instid1(VALU_DEP_1)
	v_add_nc_u32_e32 v15, 32, v27
	v_lshlrev_b64 v[15:16], 4, v[15:16]
	s_delay_alu instid0(VALU_DEP_1) | instskip(NEXT) | instid1(VALU_DEP_2)
	v_add_co_u32 v15, vcc_lo, s14, v15
	v_add_co_ci_u32_e32 v16, vcc_lo, s15, v16, vcc_lo
	;;#ASMSTART
	global_load_dwordx4 v[17:20], v[15:16] off glc	
s_waitcnt vmcnt(0)
	;;#ASMEND
	v_and_b32_e32 v20, 0xff, v18
	v_and_b32_e32 v28, 0xff00, v18
	v_or3_b32 v17, v17, 0, 0
	v_and_b32_e32 v29, 0xff000000, v18
	v_and_b32_e32 v18, 0xff0000, v18
	s_delay_alu instid0(VALU_DEP_4) | instskip(SKIP_2) | instid1(VALU_DEP_3)
	v_or3_b32 v20, 0, v20, v28
	v_and_b32_e32 v28, 0xff, v19
	v_or3_b32 v17, v17, 0, 0
	v_or3_b32 v18, v20, v18, v29
	s_delay_alu instid0(VALU_DEP_3)
	v_cmpx_eq_u16_e32 0, v28
	s_cbranch_execz .LBB566_70
; %bb.65:
	s_mov_b32 s11, 1
	.p2align	6
.LBB566_66:                             ; =>This Loop Header: Depth=1
                                        ;     Child Loop BB566_67 Depth 2
	s_delay_alu instid0(SALU_CYCLE_1)
	s_max_u32 s16, s11, 1
.LBB566_67:                             ;   Parent Loop BB566_66 Depth=1
                                        ; =>  This Inner Loop Header: Depth=2
	s_delay_alu instid0(SALU_CYCLE_1)
	s_add_i32 s16, s16, -1
	s_sleep 1
	s_cmp_eq_u32 s16, 0
	s_cbranch_scc0 .LBB566_67
; %bb.68:                               ;   in Loop: Header=BB566_66 Depth=1
	;;#ASMSTART
	global_load_dwordx4 v[17:20], v[15:16] off glc	
s_waitcnt vmcnt(0)
	;;#ASMEND
	v_and_b32_e32 v20, 0xff, v19
	s_cmp_lt_u32 s11, 32
	s_cselect_b32 s16, -1, 0
	s_delay_alu instid0(SALU_CYCLE_1) | instskip(NEXT) | instid1(VALU_DEP_1)
	s_cmp_lg_u32 s16, 0
	v_cmp_ne_u16_e32 vcc_lo, 0, v20
	s_addc_u32 s11, s11, 0
	s_or_b32 s7, vcc_lo, s7
	s_delay_alu instid0(SALU_CYCLE_1)
	s_and_not1_b32 exec_lo, exec_lo, s7
	s_cbranch_execnz .LBB566_66
; %bb.69:
	s_or_b32 exec_lo, exec_lo, s7
.LBB566_70:
	s_delay_alu instid0(SALU_CYCLE_1)
	s_or_b32 exec_lo, exec_lo, s4
	v_cmp_ne_u32_e32 vcc_lo, 31, v42
	v_and_b32_e32 v16, 0xff, v19
	v_lshlrev_b32_e64 v45, v42, -1
	s_mov_b32 s4, exec_lo
	v_add_co_ci_u32_e32 v15, vcc_lo, 0, v42, vcc_lo
	s_delay_alu instid0(VALU_DEP_3) | instskip(SKIP_1) | instid1(VALU_DEP_3)
	v_cmp_eq_u16_e32 vcc_lo, 2, v16
	v_mov_b32_e32 v16, v17
	v_lshlrev_b32_e32 v44, 2, v15
	v_and_or_b32 v15, vcc_lo, v45, 0x80000000
	ds_bpermute_b32 v28, v44, v17
	ds_bpermute_b32 v20, v44, v18
	v_ctz_i32_b32_e32 v15, v15
	s_delay_alu instid0(VALU_DEP_1)
	v_cmpx_lt_u32_e64 v42, v15
	s_cbranch_execz .LBB566_72
; %bb.71:
	s_waitcnt lgkmcnt(1)
	v_add_co_u32 v16, vcc_lo, v17, v28
	v_add_co_ci_u32_e32 v18, vcc_lo, 0, v18, vcc_lo
	s_delay_alu instid0(VALU_DEP_2) | instskip(SKIP_1) | instid1(VALU_DEP_2)
	v_add_co_u32 v17, vcc_lo, 0, v16
	s_waitcnt lgkmcnt(0)
	v_add_co_ci_u32_e32 v18, vcc_lo, v20, v18, vcc_lo
.LBB566_72:
	s_or_b32 exec_lo, exec_lo, s4
	v_cmp_gt_u32_e32 vcc_lo, 30, v42
	v_add_nc_u32_e32 v47, 2, v42
	s_mov_b32 s4, exec_lo
	s_waitcnt lgkmcnt(0)
	v_cndmask_b32_e64 v20, 0, 1, vcc_lo
	s_delay_alu instid0(VALU_DEP_1) | instskip(NEXT) | instid1(VALU_DEP_1)
	v_lshlrev_b32_e32 v20, 1, v20
	v_add_lshl_u32 v46, v20, v42, 2
	ds_bpermute_b32 v28, v46, v16
	ds_bpermute_b32 v20, v46, v18
	v_cmpx_le_u32_e64 v47, v15
	s_cbranch_execz .LBB566_74
; %bb.73:
	s_waitcnt lgkmcnt(1)
	v_add_co_u32 v16, vcc_lo, v17, v28
	v_add_co_ci_u32_e32 v18, vcc_lo, 0, v18, vcc_lo
	s_delay_alu instid0(VALU_DEP_2) | instskip(SKIP_1) | instid1(VALU_DEP_2)
	v_add_co_u32 v17, vcc_lo, 0, v16
	s_waitcnt lgkmcnt(0)
	v_add_co_ci_u32_e32 v18, vcc_lo, v20, v18, vcc_lo
.LBB566_74:
	s_or_b32 exec_lo, exec_lo, s4
	v_cmp_gt_u32_e32 vcc_lo, 28, v42
	v_add_nc_u32_e32 v49, 4, v42
	s_mov_b32 s4, exec_lo
	s_waitcnt lgkmcnt(0)
	v_cndmask_b32_e64 v20, 0, 1, vcc_lo
	s_delay_alu instid0(VALU_DEP_1) | instskip(NEXT) | instid1(VALU_DEP_1)
	v_lshlrev_b32_e32 v20, 2, v20
	v_add_lshl_u32 v48, v20, v42, 2
	ds_bpermute_b32 v28, v48, v16
	ds_bpermute_b32 v20, v48, v18
	v_cmpx_le_u32_e64 v49, v15
	;; [unrolled: 22-line block ×4, first 2 shown]
	s_cbranch_execz .LBB566_80
; %bb.79:
	s_waitcnt lgkmcnt(1)
	v_add_co_u32 v15, vcc_lo, v17, v20
	v_add_co_ci_u32_e32 v18, vcc_lo, 0, v18, vcc_lo
	s_delay_alu instid0(VALU_DEP_2) | instskip(SKIP_1) | instid1(VALU_DEP_2)
	v_add_co_u32 v17, vcc_lo, v15, 0
	s_waitcnt lgkmcnt(0)
	v_add_co_ci_u32_e32 v18, vcc_lo, v18, v16, vcc_lo
.LBB566_80:
	s_or_b32 exec_lo, exec_lo, s4
	v_mov_b32_e32 v28, 0
	s_branch .LBB566_82
.LBB566_81:                             ;   in Loop: Header=BB566_82 Depth=1
	s_or_b32 exec_lo, exec_lo, s4
	v_add_co_u32 v17, vcc_lo, v17, v15
	v_subrev_nc_u32_e32 v27, 32, v27
	v_add_co_ci_u32_e32 v18, vcc_lo, v18, v16, vcc_lo
.LBB566_82:                             ; =>This Loop Header: Depth=1
                                        ;     Child Loop BB566_85 Depth 2
                                        ;       Child Loop BB566_86 Depth 3
	v_and_b32_e32 v15, 0xff, v19
	s_delay_alu instid0(VALU_DEP_1) | instskip(SKIP_2) | instid1(VALU_DEP_1)
	v_cmp_ne_u16_e32 vcc_lo, 2, v15
	v_cndmask_b32_e64 v15, 0, 1, vcc_lo
	;;#ASMSTART
	;;#ASMEND
	v_cmp_ne_u32_e32 vcc_lo, 0, v15
	s_waitcnt lgkmcnt(0)
	v_dual_mov_b32 v15, v17 :: v_dual_mov_b32 v16, v18
	s_cmp_lg_u32 vcc_lo, exec_lo
	s_cbranch_scc1 .LBB566_99
; %bb.83:                               ;   in Loop: Header=BB566_82 Depth=1
	v_lshlrev_b64 v[17:18], 4, v[27:28]
	s_mov_b32 s4, exec_lo
	s_delay_alu instid0(VALU_DEP_1) | instskip(NEXT) | instid1(VALU_DEP_2)
	v_add_co_u32 v29, vcc_lo, s14, v17
	v_add_co_ci_u32_e32 v30, vcc_lo, s15, v18, vcc_lo
	;;#ASMSTART
	global_load_dwordx4 v[17:20], v[29:30] off glc	
s_waitcnt vmcnt(0)
	;;#ASMEND
	v_and_b32_e32 v20, 0xff, v18
	v_and_b32_e32 v54, 0xff00, v18
	v_or3_b32 v17, v17, 0, 0
	v_and_b32_e32 v55, 0xff000000, v18
	v_and_b32_e32 v18, 0xff0000, v18
	s_delay_alu instid0(VALU_DEP_4) | instskip(SKIP_2) | instid1(VALU_DEP_3)
	v_or3_b32 v20, 0, v20, v54
	v_and_b32_e32 v54, 0xff, v19
	v_or3_b32 v17, v17, 0, 0
	v_or3_b32 v18, v20, v18, v55
	s_delay_alu instid0(VALU_DEP_3)
	v_cmpx_eq_u16_e32 0, v54
	s_cbranch_execz .LBB566_89
; %bb.84:                               ;   in Loop: Header=BB566_82 Depth=1
	s_mov_b32 s11, 1
	s_mov_b32 s7, 0
	.p2align	6
.LBB566_85:                             ;   Parent Loop BB566_82 Depth=1
                                        ; =>  This Loop Header: Depth=2
                                        ;       Child Loop BB566_86 Depth 3
	s_max_u32 s16, s11, 1
.LBB566_86:                             ;   Parent Loop BB566_82 Depth=1
                                        ;     Parent Loop BB566_85 Depth=2
                                        ; =>    This Inner Loop Header: Depth=3
	s_delay_alu instid0(SALU_CYCLE_1)
	s_add_i32 s16, s16, -1
	s_sleep 1
	s_cmp_eq_u32 s16, 0
	s_cbranch_scc0 .LBB566_86
; %bb.87:                               ;   in Loop: Header=BB566_85 Depth=2
	;;#ASMSTART
	global_load_dwordx4 v[17:20], v[29:30] off glc	
s_waitcnt vmcnt(0)
	;;#ASMEND
	v_and_b32_e32 v20, 0xff, v19
	s_cmp_lt_u32 s11, 32
	s_cselect_b32 s16, -1, 0
	s_delay_alu instid0(SALU_CYCLE_1) | instskip(NEXT) | instid1(VALU_DEP_1)
	s_cmp_lg_u32 s16, 0
	v_cmp_ne_u16_e32 vcc_lo, 0, v20
	s_addc_u32 s11, s11, 0
	s_or_b32 s7, vcc_lo, s7
	s_delay_alu instid0(SALU_CYCLE_1)
	s_and_not1_b32 exec_lo, exec_lo, s7
	s_cbranch_execnz .LBB566_85
; %bb.88:                               ;   in Loop: Header=BB566_82 Depth=1
	s_or_b32 exec_lo, exec_lo, s7
.LBB566_89:                             ;   in Loop: Header=BB566_82 Depth=1
	s_delay_alu instid0(SALU_CYCLE_1)
	s_or_b32 exec_lo, exec_lo, s4
	v_dual_mov_b32 v29, v17 :: v_dual_and_b32 v20, 0xff, v19
	ds_bpermute_b32 v54, v44, v17
	ds_bpermute_b32 v30, v44, v18
	s_mov_b32 s4, exec_lo
	v_cmp_eq_u16_e32 vcc_lo, 2, v20
	v_and_or_b32 v20, vcc_lo, v45, 0x80000000
	s_delay_alu instid0(VALU_DEP_1) | instskip(NEXT) | instid1(VALU_DEP_1)
	v_ctz_i32_b32_e32 v20, v20
	v_cmpx_lt_u32_e64 v42, v20
	s_cbranch_execz .LBB566_91
; %bb.90:                               ;   in Loop: Header=BB566_82 Depth=1
	s_waitcnt lgkmcnt(1)
	v_add_co_u32 v29, vcc_lo, v17, v54
	v_add_co_ci_u32_e32 v18, vcc_lo, 0, v18, vcc_lo
	s_delay_alu instid0(VALU_DEP_2) | instskip(SKIP_1) | instid1(VALU_DEP_2)
	v_add_co_u32 v17, vcc_lo, 0, v29
	s_waitcnt lgkmcnt(0)
	v_add_co_ci_u32_e32 v18, vcc_lo, v30, v18, vcc_lo
.LBB566_91:                             ;   in Loop: Header=BB566_82 Depth=1
	s_or_b32 exec_lo, exec_lo, s4
	s_waitcnt lgkmcnt(1)
	ds_bpermute_b32 v54, v46, v29
	s_waitcnt lgkmcnt(1)
	ds_bpermute_b32 v30, v46, v18
	s_mov_b32 s4, exec_lo
	v_cmpx_le_u32_e64 v47, v20
	s_cbranch_execz .LBB566_93
; %bb.92:                               ;   in Loop: Header=BB566_82 Depth=1
	s_waitcnt lgkmcnt(1)
	v_add_co_u32 v29, vcc_lo, v17, v54
	v_add_co_ci_u32_e32 v18, vcc_lo, 0, v18, vcc_lo
	s_delay_alu instid0(VALU_DEP_2) | instskip(SKIP_1) | instid1(VALU_DEP_2)
	v_add_co_u32 v17, vcc_lo, 0, v29
	s_waitcnt lgkmcnt(0)
	v_add_co_ci_u32_e32 v18, vcc_lo, v30, v18, vcc_lo
.LBB566_93:                             ;   in Loop: Header=BB566_82 Depth=1
	s_or_b32 exec_lo, exec_lo, s4
	s_waitcnt lgkmcnt(1)
	ds_bpermute_b32 v54, v48, v29
	s_waitcnt lgkmcnt(1)
	ds_bpermute_b32 v30, v48, v18
	s_mov_b32 s4, exec_lo
	v_cmpx_le_u32_e64 v49, v20
	s_cbranch_execz .LBB566_95
; %bb.94:                               ;   in Loop: Header=BB566_82 Depth=1
	s_waitcnt lgkmcnt(1)
	v_add_co_u32 v29, vcc_lo, v17, v54
	v_add_co_ci_u32_e32 v18, vcc_lo, 0, v18, vcc_lo
	s_delay_alu instid0(VALU_DEP_2) | instskip(SKIP_1) | instid1(VALU_DEP_2)
	v_add_co_u32 v17, vcc_lo, 0, v29
	s_waitcnt lgkmcnt(0)
	v_add_co_ci_u32_e32 v18, vcc_lo, v30, v18, vcc_lo
.LBB566_95:                             ;   in Loop: Header=BB566_82 Depth=1
	s_or_b32 exec_lo, exec_lo, s4
	s_waitcnt lgkmcnt(1)
	ds_bpermute_b32 v54, v50, v29
	s_waitcnt lgkmcnt(1)
	ds_bpermute_b32 v30, v50, v18
	s_mov_b32 s4, exec_lo
	v_cmpx_le_u32_e64 v51, v20
	s_cbranch_execz .LBB566_97
; %bb.96:                               ;   in Loop: Header=BB566_82 Depth=1
	s_waitcnt lgkmcnt(1)
	v_add_co_u32 v29, vcc_lo, v17, v54
	v_add_co_ci_u32_e32 v18, vcc_lo, 0, v18, vcc_lo
	s_delay_alu instid0(VALU_DEP_2) | instskip(SKIP_1) | instid1(VALU_DEP_2)
	v_add_co_u32 v17, vcc_lo, 0, v29
	s_waitcnt lgkmcnt(0)
	v_add_co_ci_u32_e32 v18, vcc_lo, v30, v18, vcc_lo
.LBB566_97:                             ;   in Loop: Header=BB566_82 Depth=1
	s_or_b32 exec_lo, exec_lo, s4
	s_waitcnt lgkmcnt(0)
	ds_bpermute_b32 v30, v52, v29
	ds_bpermute_b32 v29, v52, v18
	s_mov_b32 s4, exec_lo
	v_cmpx_le_u32_e64 v53, v20
	s_cbranch_execz .LBB566_81
; %bb.98:                               ;   in Loop: Header=BB566_82 Depth=1
	s_waitcnt lgkmcnt(1)
	v_add_co_u32 v17, vcc_lo, v17, v30
	v_add_co_ci_u32_e32 v18, vcc_lo, 0, v18, vcc_lo
	s_delay_alu instid0(VALU_DEP_2) | instskip(SKIP_1) | instid1(VALU_DEP_2)
	v_add_co_u32 v17, vcc_lo, v17, 0
	s_waitcnt lgkmcnt(0)
	v_add_co_ci_u32_e32 v18, vcc_lo, v18, v29, vcc_lo
	s_branch .LBB566_81
.LBB566_99:                             ;   in Loop: Header=BB566_82 Depth=1
                                        ; implicit-def: $vgpr17_vgpr18
	s_cbranch_execz .LBB566_82
; %bb.100:
	s_and_saveexec_b32 s4, s1
	s_cbranch_execz .LBB566_102
; %bb.101:
	s_add_i32 s10, s10, 32
	s_mov_b32 s11, 0
	v_add_co_u32 v17, vcc_lo, v15, v13
	s_lshl_b64 s[10:11], s[10:11], 4
	v_dual_mov_b32 v19, 2 :: v_dual_mov_b32 v20, 0
	s_add_u32 s10, s14, s10
	s_addc_u32 s11, s15, s11
	v_add_co_ci_u32_e32 v18, vcc_lo, v16, v14, vcc_lo
	v_dual_mov_b32 v28, s11 :: v_dual_mov_b32 v27, s10
	;;#ASMSTART
	global_store_dwordx4 v[27:28], v[17:20] off	
s_waitcnt vmcnt(0)
	;;#ASMEND
	ds_store_b128 v20, v[13:16] offset:18432
.LBB566_102:
	s_or_b32 exec_lo, exec_lo, s4
	s_delay_alu instid0(SALU_CYCLE_1)
	s_and_b32 exec_lo, exec_lo, s2
	s_cbranch_execz .LBB566_104
; %bb.103:
	v_mov_b32_e32 v13, 0
	ds_store_b64 v13, v[15:16] offset:88
.LBB566_104:
	s_or_b32 exec_lo, exec_lo, s3
	v_mov_b32_e32 v15, 0
	s_waitcnt lgkmcnt(0)
	s_barrier
	buffer_gl0_inv
	v_cndmask_b32_e64 v16, v31, v25, s1
	ds_load_b64 v[13:14], v15 offset:88
	v_cndmask_b32_e64 v17, v32, v26, s1
	s_waitcnt lgkmcnt(0)
	s_barrier
	v_cndmask_b32_e64 v16, v16, 0, s2
	buffer_gl0_inv
	v_cndmask_b32_e64 v17, v17, 0, s2
	v_add_co_u32 v31, vcc_lo, v13, v16
	s_delay_alu instid0(VALU_DEP_2) | instskip(SKIP_3) | instid1(VALU_DEP_2)
	v_add_co_ci_u32_e32 v32, vcc_lo, v14, v17, vcc_lo
	ds_load_b128 v[13:16], v15 offset:18432
	v_add_co_u32 v29, vcc_lo, v31, v41
	v_add_co_ci_u32_e32 v30, vcc_lo, 0, v32, vcc_lo
	v_add_co_u32 v27, vcc_lo, v29, v40
	s_delay_alu instid0(VALU_DEP_2) | instskip(NEXT) | instid1(VALU_DEP_2)
	v_add_co_ci_u32_e32 v28, vcc_lo, 0, v30, vcc_lo
	v_add_co_u32 v25, vcc_lo, v27, v39
	s_delay_alu instid0(VALU_DEP_2) | instskip(NEXT) | instid1(VALU_DEP_2)
	;; [unrolled: 3-line block ×3, first 2 shown]
	v_add_co_ci_u32_e32 v20, vcc_lo, 0, v26, vcc_lo
	v_add_co_u32 v17, vcc_lo, v19, v38
	s_delay_alu instid0(VALU_DEP_2)
	v_add_co_ci_u32_e32 v18, vcc_lo, 0, v20, vcc_lo
	s_branch .LBB566_133
.LBB566_105:
                                        ; implicit-def: $vgpr17_vgpr18
                                        ; implicit-def: $vgpr19_vgpr20
                                        ; implicit-def: $vgpr25_vgpr26
                                        ; implicit-def: $vgpr27_vgpr28
                                        ; implicit-def: $vgpr29_vgpr30
                                        ; implicit-def: $vgpr31_vgpr32
                                        ; implicit-def: $vgpr15_vgpr16
	s_and_b32 vcc_lo, exec_lo, s1
	s_cbranch_vccz .LBB566_133
; %bb.106:
	s_waitcnt lgkmcnt(0)
	v_dual_mov_b32 v14, 0 :: v_dual_mov_b32 v15, v23
	v_mov_b32_dpp v16, v23 row_shr:1 row_mask:0xf bank_mask:0xf
	s_delay_alu instid0(VALU_DEP_2)
	v_mov_b32_dpp v13, v14 row_shr:1 row_mask:0xf bank_mask:0xf
	s_and_saveexec_b32 s1, s0
; %bb.107:
	s_delay_alu instid0(VALU_DEP_2) | instskip(SKIP_1) | instid1(VALU_DEP_2)
	v_add_co_u32 v15, vcc_lo, v23, v16
	v_add_co_ci_u32_e32 v14, vcc_lo, 0, v24, vcc_lo
	v_add_co_u32 v23, vcc_lo, 0, v15
	s_delay_alu instid0(VALU_DEP_2) | instskip(NEXT) | instid1(VALU_DEP_1)
	v_add_co_ci_u32_e32 v24, vcc_lo, v13, v14, vcc_lo
	v_mov_b32_e32 v14, v24
; %bb.108:
	s_or_b32 exec_lo, exec_lo, s1
	v_mov_b32_dpp v13, v15 row_shr:2 row_mask:0xf bank_mask:0xf
	s_delay_alu instid0(VALU_DEP_2)
	v_mov_b32_dpp v16, v14 row_shr:2 row_mask:0xf bank_mask:0xf
	v_cmp_lt_u32_e32 vcc_lo, 1, v43
	s_and_saveexec_b32 s3, vcc_lo
; %bb.109:
	s_delay_alu instid0(VALU_DEP_3) | instskip(NEXT) | instid1(VALU_DEP_1)
	v_add_co_u32 v15, s1, v23, v13
	v_add_co_ci_u32_e64 v14, s1, 0, v24, s1
	s_delay_alu instid0(VALU_DEP_2) | instskip(NEXT) | instid1(VALU_DEP_1)
	v_add_co_u32 v13, s1, 0, v15
	v_add_co_ci_u32_e64 v14, s1, v16, v14, s1
	s_delay_alu instid0(VALU_DEP_1)
	v_dual_mov_b32 v24, v14 :: v_dual_mov_b32 v23, v13
; %bb.110:
	s_or_b32 exec_lo, exec_lo, s3
	v_mov_b32_dpp v13, v15 row_shr:4 row_mask:0xf bank_mask:0xf
	v_mov_b32_dpp v16, v14 row_shr:4 row_mask:0xf bank_mask:0xf
	v_cmp_lt_u32_e64 s1, 3, v43
	s_delay_alu instid0(VALU_DEP_1)
	s_and_saveexec_b32 s4, s1
; %bb.111:
	s_delay_alu instid0(VALU_DEP_3) | instskip(NEXT) | instid1(VALU_DEP_1)
	v_add_co_u32 v15, s3, v23, v13
	v_add_co_ci_u32_e64 v14, s3, 0, v24, s3
	s_delay_alu instid0(VALU_DEP_2) | instskip(NEXT) | instid1(VALU_DEP_1)
	v_add_co_u32 v13, s3, 0, v15
	v_add_co_ci_u32_e64 v14, s3, v16, v14, s3
	s_delay_alu instid0(VALU_DEP_1)
	v_dual_mov_b32 v24, v14 :: v_dual_mov_b32 v23, v13
; %bb.112:
	s_or_b32 exec_lo, exec_lo, s4
	v_mov_b32_dpp v16, v15 row_shr:8 row_mask:0xf bank_mask:0xf
	v_mov_b32_dpp v13, v14 row_shr:8 row_mask:0xf bank_mask:0xf
	v_cmp_lt_u32_e64 s3, 7, v43
	s_delay_alu instid0(VALU_DEP_1)
	s_and_saveexec_b32 s7, s3
; %bb.113:
	s_delay_alu instid0(VALU_DEP_3) | instskip(NEXT) | instid1(VALU_DEP_1)
	v_add_co_u32 v15, s4, v23, v16
	v_add_co_ci_u32_e64 v14, s4, 0, v24, s4
	s_delay_alu instid0(VALU_DEP_2) | instskip(NEXT) | instid1(VALU_DEP_1)
	v_add_co_u32 v23, s4, 0, v15
	v_add_co_ci_u32_e64 v24, s4, v13, v14, s4
	s_delay_alu instid0(VALU_DEP_1)
	v_mov_b32_e32 v14, v24
; %bb.114:
	s_or_b32 exec_lo, exec_lo, s7
	ds_swizzle_b32 v15, v15 offset:swizzle(BROADCAST,32,15)
	ds_swizzle_b32 v13, v14 offset:swizzle(BROADCAST,32,15)
	v_and_b32_e32 v14, 16, v42
	s_mov_b32 s7, exec_lo
	s_delay_alu instid0(VALU_DEP_1)
	v_cmpx_ne_u32_e32 0, v14
	s_cbranch_execz .LBB566_116
; %bb.115:
	s_waitcnt lgkmcnt(1)
	v_add_co_u32 v14, s4, v23, v15
	s_delay_alu instid0(VALU_DEP_1) | instskip(NEXT) | instid1(VALU_DEP_2)
	v_add_co_ci_u32_e64 v15, s4, 0, v24, s4
	v_add_co_u32 v23, s4, v14, 0
	s_waitcnt lgkmcnt(0)
	s_delay_alu instid0(VALU_DEP_2)
	v_add_co_ci_u32_e64 v24, s4, v15, v13, s4
.LBB566_116:
	s_or_b32 exec_lo, exec_lo, s7
	s_waitcnt lgkmcnt(0)
	v_and_b32_e32 v13, 0x1e0, v0
	v_lshrrev_b32_e32 v15, 5, v0
	s_mov_b32 s7, exec_lo
	s_delay_alu instid0(VALU_DEP_2) | instskip(NEXT) | instid1(VALU_DEP_1)
	v_min_u32_e32 v13, 0x160, v13
	v_or_b32_e32 v13, 31, v13
	s_delay_alu instid0(VALU_DEP_1)
	v_cmpx_eq_u32_e64 v13, v0
	s_cbranch_execz .LBB566_118
; %bb.117:
	v_lshlrev_b32_e32 v13, 3, v15
	ds_store_b64 v13, v[23:24]
.LBB566_118:
	s_or_b32 exec_lo, exec_lo, s7
	s_delay_alu instid0(SALU_CYCLE_1)
	s_mov_b32 s7, exec_lo
	s_waitcnt lgkmcnt(0)
	s_barrier
	buffer_gl0_inv
	v_cmpx_gt_u32_e32 12, v0
	s_cbranch_execz .LBB566_128
; %bb.119:
	v_mad_i32_i24 v13, 0xffffffd8, v0, v37
	ds_load_b64 v[13:14], v13
	s_waitcnt lgkmcnt(0)
	v_mov_b32_dpp v18, v13 row_shr:1 row_mask:0xf bank_mask:0xf
	v_mov_b32_dpp v17, v14 row_shr:1 row_mask:0xf bank_mask:0xf
	v_mov_b32_e32 v16, v13
	s_and_saveexec_b32 s4, s0
; %bb.120:
	s_delay_alu instid0(VALU_DEP_3) | instskip(NEXT) | instid1(VALU_DEP_1)
	v_add_co_u32 v16, s0, v13, v18
	v_add_co_ci_u32_e64 v14, s0, 0, v14, s0
	s_delay_alu instid0(VALU_DEP_2) | instskip(NEXT) | instid1(VALU_DEP_1)
	v_add_co_u32 v13, s0, 0, v16
	v_add_co_ci_u32_e64 v14, s0, v17, v14, s0
; %bb.121:
	s_or_b32 exec_lo, exec_lo, s4
	v_mov_b32_dpp v18, v16 row_shr:2 row_mask:0xf bank_mask:0xf
	s_delay_alu instid0(VALU_DEP_2)
	v_mov_b32_dpp v17, v14 row_shr:2 row_mask:0xf bank_mask:0xf
	s_and_saveexec_b32 s0, vcc_lo
; %bb.122:
	s_delay_alu instid0(VALU_DEP_2) | instskip(SKIP_1) | instid1(VALU_DEP_2)
	v_add_co_u32 v16, vcc_lo, v13, v18
	v_add_co_ci_u32_e32 v14, vcc_lo, 0, v14, vcc_lo
	v_add_co_u32 v13, vcc_lo, 0, v16
	s_delay_alu instid0(VALU_DEP_2)
	v_add_co_ci_u32_e32 v14, vcc_lo, v17, v14, vcc_lo
; %bb.123:
	s_or_b32 exec_lo, exec_lo, s0
	v_mov_b32_dpp v18, v16 row_shr:4 row_mask:0xf bank_mask:0xf
	s_delay_alu instid0(VALU_DEP_2)
	v_mov_b32_dpp v17, v14 row_shr:4 row_mask:0xf bank_mask:0xf
	s_and_saveexec_b32 s0, s1
; %bb.124:
	s_delay_alu instid0(VALU_DEP_2) | instskip(SKIP_1) | instid1(VALU_DEP_2)
	v_add_co_u32 v16, vcc_lo, v13, v18
	v_add_co_ci_u32_e32 v14, vcc_lo, 0, v14, vcc_lo
	v_add_co_u32 v13, vcc_lo, 0, v16
	s_delay_alu instid0(VALU_DEP_2)
	v_add_co_ci_u32_e32 v14, vcc_lo, v17, v14, vcc_lo
; %bb.125:
	s_or_b32 exec_lo, exec_lo, s0
	v_mul_i32_i24_e32 v17, 0xffffffd8, v0
	v_mov_b32_dpp v18, v16 row_shr:8 row_mask:0xf bank_mask:0xf
	s_delay_alu instid0(VALU_DEP_3)
	v_mov_b32_dpp v16, v14 row_shr:8 row_mask:0xf bank_mask:0xf
	s_and_saveexec_b32 s0, s3
; %bb.126:
	s_delay_alu instid0(VALU_DEP_2) | instskip(SKIP_1) | instid1(VALU_DEP_2)
	v_add_co_u32 v13, vcc_lo, v13, v18
	v_add_co_ci_u32_e32 v14, vcc_lo, 0, v14, vcc_lo
	v_add_co_u32 v13, vcc_lo, v13, 0
	s_delay_alu instid0(VALU_DEP_2)
	v_add_co_ci_u32_e32 v14, vcc_lo, v14, v16, vcc_lo
; %bb.127:
	s_or_b32 exec_lo, exec_lo, s0
	v_add_nc_u32_e32 v16, v37, v17
	ds_store_b64 v16, v[13:14]
.LBB566_128:
	s_or_b32 exec_lo, exec_lo, s7
	v_mov_b32_e32 v17, 0
	v_mov_b32_e32 v18, 0
	s_mov_b32 s0, exec_lo
	s_waitcnt lgkmcnt(0)
	s_barrier
	buffer_gl0_inv
	v_cmpx_lt_u32_e32 31, v0
	s_cbranch_execz .LBB566_130
; %bb.129:
	v_lshl_add_u32 v13, v15, 3, -8
	ds_load_b64 v[17:18], v13
.LBB566_130:
	s_or_b32 exec_lo, exec_lo, s0
	v_dual_mov_b32 v16, 0 :: v_dual_add_nc_u32 v13, -1, v42
	s_delay_alu instid0(VALU_DEP_1) | instskip(SKIP_4) | instid1(VALU_DEP_3)
	v_cmp_gt_i32_e32 vcc_lo, 0, v13
	v_cndmask_b32_e32 v13, v13, v42, vcc_lo
	s_waitcnt lgkmcnt(0)
	v_add_co_u32 v14, vcc_lo, v17, v23
	v_add_co_ci_u32_e32 v15, vcc_lo, v18, v24, vcc_lo
	v_lshlrev_b32_e32 v13, 2, v13
	ds_bpermute_b32 v19, v13, v14
	ds_bpermute_b32 v20, v13, v15
	ds_load_b64 v[13:14], v16 offset:88
	s_and_saveexec_b32 s0, s2
	s_cbranch_execz .LBB566_132
; %bb.131:
	s_add_u32 s10, s14, 0x200
	s_addc_u32 s11, s15, 0
	s_delay_alu instid0(SALU_CYCLE_1)
	v_dual_mov_b32 v15, 2 :: v_dual_mov_b32 v24, s11
	v_mov_b32_e32 v23, s10
	s_waitcnt lgkmcnt(0)
	;;#ASMSTART
	global_store_dwordx4 v[23:24], v[13:16] off	
s_waitcnt vmcnt(0)
	;;#ASMEND
.LBB566_132:
	s_or_b32 exec_lo, exec_lo, s0
	v_cmp_eq_u32_e32 vcc_lo, 0, v42
	s_waitcnt lgkmcnt(0)
	s_barrier
	buffer_gl0_inv
	v_dual_cndmask_b32 v15, v19, v17 :: v_dual_cndmask_b32 v16, v20, v18
	s_delay_alu instid0(VALU_DEP_1) | instskip(NEXT) | instid1(VALU_DEP_2)
	v_cndmask_b32_e64 v31, v15, 0, s2
	v_cndmask_b32_e64 v32, v16, 0, s2
	v_mov_b32_e32 v15, 0
	v_mov_b32_e32 v16, 0
	s_delay_alu instid0(VALU_DEP_4) | instskip(NEXT) | instid1(VALU_DEP_4)
	v_add_co_u32 v29, vcc_lo, v31, v41
	v_add_co_ci_u32_e32 v30, vcc_lo, 0, v32, vcc_lo
	s_delay_alu instid0(VALU_DEP_2) | instskip(NEXT) | instid1(VALU_DEP_2)
	v_add_co_u32 v27, vcc_lo, v29, v40
	v_add_co_ci_u32_e32 v28, vcc_lo, 0, v30, vcc_lo
	s_delay_alu instid0(VALU_DEP_2) | instskip(NEXT) | instid1(VALU_DEP_2)
	v_add_co_u32 v25, vcc_lo, v27, v39
	v_add_co_ci_u32_e32 v26, vcc_lo, 0, v28, vcc_lo
	s_delay_alu instid0(VALU_DEP_2) | instskip(NEXT) | instid1(VALU_DEP_2)
	v_add_co_u32 v19, vcc_lo, v25, v36
	v_add_co_ci_u32_e32 v20, vcc_lo, 0, v26, vcc_lo
	s_delay_alu instid0(VALU_DEP_2) | instskip(NEXT) | instid1(VALU_DEP_2)
	v_add_co_u32 v17, vcc_lo, v19, v38
	v_add_co_ci_u32_e32 v18, vcc_lo, 0, v20, vcc_lo
.LBB566_133:
	s_waitcnt lgkmcnt(0)
	v_cmp_gt_u64_e32 vcc_lo, 0x181, v[13:14]
	v_lshrrev_b32_e32 v38, 8, v35
	v_lshrrev_b32_e32 v37, 16, v35
	s_mov_b32 s0, -1
	s_cbranch_vccnz .LBB566_137
; %bb.134:
	s_and_b32 vcc_lo, exec_lo, s0
	s_cbranch_vccnz .LBB566_156
.LBB566_135:
	s_and_b32 s0, s2, s5
	s_delay_alu instid0(SALU_CYCLE_1)
	s_and_saveexec_b32 s1, s0
	s_cbranch_execnz .LBB566_172
.LBB566_136:
	s_nop 0
	s_sendmsg sendmsg(MSG_DEALLOC_VGPRS)
	s_endpgm
.LBB566_137:
	v_add_co_u32 v23, vcc_lo, v15, v13
	v_add_co_ci_u32_e32 v24, vcc_lo, v16, v14, vcc_lo
	v_lshlrev_b64 v[39:40], 3, v[21:22]
	s_delay_alu instid0(VALU_DEP_2) | instskip(NEXT) | instid1(VALU_DEP_2)
	v_cmp_lt_u64_e32 vcc_lo, v[31:32], v[23:24]
	v_add_co_u32 v39, s0, s12, v39
	s_delay_alu instid0(VALU_DEP_1) | instskip(SKIP_1) | instid1(SALU_CYCLE_1)
	v_add_co_ci_u32_e64 v40, s0, s13, v40, s0
	s_or_b32 s1, s6, vcc_lo
	s_and_saveexec_b32 s0, s1
	s_cbranch_execz .LBB566_140
; %bb.138:
	v_and_b32_e32 v41, 1, v35
	s_delay_alu instid0(VALU_DEP_1)
	v_cmp_eq_u32_e32 vcc_lo, 1, v41
	s_and_b32 exec_lo, exec_lo, vcc_lo
	s_cbranch_execz .LBB566_140
; %bb.139:
	v_lshlrev_b64 v[41:42], 3, v[31:32]
	s_delay_alu instid0(VALU_DEP_1) | instskip(NEXT) | instid1(VALU_DEP_2)
	v_add_co_u32 v41, vcc_lo, v39, v41
	v_add_co_ci_u32_e32 v42, vcc_lo, v40, v42, vcc_lo
	global_store_b64 v[41:42], v[9:10], off
.LBB566_140:
	s_or_b32 exec_lo, exec_lo, s0
	v_cmp_lt_u64_e32 vcc_lo, v[29:30], v[23:24]
	s_or_b32 s1, s6, vcc_lo
	s_delay_alu instid0(SALU_CYCLE_1)
	s_and_saveexec_b32 s0, s1
	s_cbranch_execz .LBB566_143
; %bb.141:
	v_and_b32_e32 v32, 1, v38
	s_delay_alu instid0(VALU_DEP_1)
	v_cmp_eq_u32_e32 vcc_lo, 1, v32
	s_and_b32 exec_lo, exec_lo, vcc_lo
	s_cbranch_execz .LBB566_143
; %bb.142:
	v_lshlrev_b64 v[41:42], 3, v[29:30]
	s_delay_alu instid0(VALU_DEP_1) | instskip(NEXT) | instid1(VALU_DEP_2)
	v_add_co_u32 v41, vcc_lo, v39, v41
	v_add_co_ci_u32_e32 v42, vcc_lo, v40, v42, vcc_lo
	global_store_b64 v[41:42], v[11:12], off
.LBB566_143:
	s_or_b32 exec_lo, exec_lo, s0
	v_cmp_lt_u64_e32 vcc_lo, v[27:28], v[23:24]
	s_or_b32 s1, s6, vcc_lo
	s_delay_alu instid0(SALU_CYCLE_1)
	s_and_saveexec_b32 s0, s1
	s_cbranch_execz .LBB566_146
; %bb.144:
	v_and_b32_e32 v30, 1, v37
	s_delay_alu instid0(VALU_DEP_1)
	v_cmp_eq_u32_e32 vcc_lo, 1, v30
	s_and_b32 exec_lo, exec_lo, vcc_lo
	s_cbranch_execz .LBB566_146
; %bb.145:
	v_lshlrev_b64 v[41:42], 3, v[27:28]
	s_delay_alu instid0(VALU_DEP_1) | instskip(NEXT) | instid1(VALU_DEP_2)
	v_add_co_u32 v41, vcc_lo, v39, v41
	v_add_co_ci_u32_e32 v42, vcc_lo, v40, v42, vcc_lo
	global_store_b64 v[41:42], v[5:6], off
.LBB566_146:
	s_or_b32 exec_lo, exec_lo, s0
	v_cmp_lt_u64_e32 vcc_lo, v[25:26], v[23:24]
	s_or_b32 s1, s6, vcc_lo
	s_delay_alu instid0(SALU_CYCLE_1)
	s_and_saveexec_b32 s0, s1
	s_cbranch_execz .LBB566_149
; %bb.147:
	v_and_b32_e32 v28, 1, v36
	s_delay_alu instid0(VALU_DEP_1)
	v_cmp_eq_u32_e32 vcc_lo, 1, v28
	s_and_b32 exec_lo, exec_lo, vcc_lo
	s_cbranch_execz .LBB566_149
; %bb.148:
	v_lshlrev_b64 v[41:42], 3, v[25:26]
	s_delay_alu instid0(VALU_DEP_1) | instskip(NEXT) | instid1(VALU_DEP_2)
	v_add_co_u32 v41, vcc_lo, v39, v41
	v_add_co_ci_u32_e32 v42, vcc_lo, v40, v42, vcc_lo
	global_store_b64 v[41:42], v[7:8], off
.LBB566_149:
	s_or_b32 exec_lo, exec_lo, s0
	v_cmp_lt_u64_e32 vcc_lo, v[19:20], v[23:24]
	s_or_b32 s1, s6, vcc_lo
	s_delay_alu instid0(SALU_CYCLE_1)
	s_and_saveexec_b32 s0, s1
	s_cbranch_execz .LBB566_152
; %bb.150:
	v_and_b32_e32 v26, 1, v34
	s_delay_alu instid0(VALU_DEP_1)
	v_cmp_eq_u32_e32 vcc_lo, 1, v26
	s_and_b32 exec_lo, exec_lo, vcc_lo
	s_cbranch_execz .LBB566_152
; %bb.151:
	v_lshlrev_b64 v[41:42], 3, v[19:20]
	s_delay_alu instid0(VALU_DEP_1) | instskip(NEXT) | instid1(VALU_DEP_2)
	v_add_co_u32 v41, vcc_lo, v39, v41
	v_add_co_ci_u32_e32 v42, vcc_lo, v40, v42, vcc_lo
	global_store_b64 v[41:42], v[1:2], off
.LBB566_152:
	s_or_b32 exec_lo, exec_lo, s0
	v_cmp_lt_u64_e32 vcc_lo, v[17:18], v[23:24]
	s_or_b32 s1, s6, vcc_lo
	s_delay_alu instid0(SALU_CYCLE_1)
	s_and_saveexec_b32 s0, s1
	s_cbranch_execz .LBB566_155
; %bb.153:
	v_and_b32_e32 v20, 1, v33
	s_delay_alu instid0(VALU_DEP_1)
	v_cmp_eq_u32_e32 vcc_lo, 1, v20
	s_and_b32 exec_lo, exec_lo, vcc_lo
	s_cbranch_execz .LBB566_155
; %bb.154:
	v_lshlrev_b64 v[23:24], 3, v[17:18]
	s_delay_alu instid0(VALU_DEP_1) | instskip(NEXT) | instid1(VALU_DEP_2)
	v_add_co_u32 v23, vcc_lo, v39, v23
	v_add_co_ci_u32_e32 v24, vcc_lo, v40, v24, vcc_lo
	global_store_b64 v[23:24], v[3:4], off
.LBB566_155:
	s_or_b32 exec_lo, exec_lo, s0
	s_branch .LBB566_135
.LBB566_156:
	v_and_b32_e32 v18, 1, v35
	s_mov_b32 s0, exec_lo
	s_delay_alu instid0(VALU_DEP_1)
	v_cmpx_eq_u32_e32 1, v18
	s_cbranch_execz .LBB566_158
; %bb.157:
	v_sub_nc_u32_e32 v18, v31, v15
	s_delay_alu instid0(VALU_DEP_1)
	v_lshlrev_b32_e32 v18, 3, v18
	ds_store_b64 v18, v[9:10]
.LBB566_158:
	s_or_b32 exec_lo, exec_lo, s0
	v_and_b32_e32 v9, 1, v38
	s_mov_b32 s0, exec_lo
	s_delay_alu instid0(VALU_DEP_1)
	v_cmpx_eq_u32_e32 1, v9
	s_cbranch_execz .LBB566_160
; %bb.159:
	v_sub_nc_u32_e32 v9, v29, v15
	s_delay_alu instid0(VALU_DEP_1)
	v_lshlrev_b32_e32 v9, 3, v9
	ds_store_b64 v9, v[11:12]
.LBB566_160:
	s_or_b32 exec_lo, exec_lo, s0
	;; [unrolled: 12-line block ×6, first 2 shown]
	v_mov_b32_e32 v1, 0
	s_mov_b32 s1, exec_lo
	s_waitcnt lgkmcnt(0)
	s_waitcnt_vscnt null, 0x0
	s_barrier
	buffer_gl0_inv
	v_cmpx_gt_u64_e64 v[13:14], v[0:1]
	s_cbranch_execz .LBB566_171
; %bb.169:
	v_lshlrev_b64 v[2:3], 3, v[15:16]
	v_lshlrev_b64 v[4:5], 3, v[21:22]
	s_mov_b32 s3, 0
	s_delay_alu instid0(VALU_DEP_2) | instskip(NEXT) | instid1(VALU_DEP_3)
	v_add_co_u32 v6, vcc_lo, s12, v2
	v_add_co_ci_u32_e32 v7, vcc_lo, s13, v3, vcc_lo
	v_dual_mov_b32 v3, v1 :: v_dual_mov_b32 v2, v0
	s_delay_alu instid0(VALU_DEP_3) | instskip(NEXT) | instid1(VALU_DEP_3)
	v_add_co_u32 v4, vcc_lo, v6, v4
	v_add_co_ci_u32_e32 v5, vcc_lo, v7, v5, vcc_lo
	v_add_nc_u32_e32 v0, 0x180, v0
	.p2align	6
.LBB566_170:                            ; =>This Inner Loop Header: Depth=1
	s_delay_alu instid0(VALU_DEP_4) | instskip(SKIP_2) | instid1(VALU_DEP_4)
	v_lshlrev_b32_e32 v6, 3, v2
	v_lshlrev_b64 v[8:9], 3, v[2:3]
	v_mov_b32_e32 v3, v1
	v_cmp_le_u64_e32 vcc_lo, v[13:14], v[0:1]
	v_mov_b32_e32 v2, v0
	ds_load_b64 v[6:7], v6
	v_add_nc_u32_e32 v0, 0x180, v0
	v_add_co_u32 v8, s0, v4, v8
	s_delay_alu instid0(VALU_DEP_1)
	v_add_co_ci_u32_e64 v9, s0, v5, v9, s0
	s_or_b32 s3, vcc_lo, s3
	s_waitcnt lgkmcnt(0)
	global_store_b64 v[8:9], v[6:7], off
	s_and_not1_b32 exec_lo, exec_lo, s3
	s_cbranch_execnz .LBB566_170
.LBB566_171:
	s_or_b32 exec_lo, exec_lo, s1
	s_and_b32 s0, s2, s5
	s_delay_alu instid0(SALU_CYCLE_1)
	s_and_saveexec_b32 s1, s0
	s_cbranch_execz .LBB566_136
.LBB566_172:
	v_add_co_u32 v0, vcc_lo, v15, v13
	v_add_co_ci_u32_e32 v1, vcc_lo, v16, v14, vcc_lo
	v_mov_b32_e32 v2, 0
	s_delay_alu instid0(VALU_DEP_3) | instskip(NEXT) | instid1(VALU_DEP_3)
	v_add_co_u32 v0, vcc_lo, v0, v21
	v_add_co_ci_u32_e32 v1, vcc_lo, v1, v22, vcc_lo
	global_store_b64 v2, v[0:1], s[8:9]
	s_nop 0
	s_sendmsg sendmsg(MSG_DEALLOC_VGPRS)
	s_endpgm
	.section	.rodata,"a",@progbits
	.p2align	6, 0x0
	.amdhsa_kernel _ZN7rocprim17ROCPRIM_400000_NS6detail17trampoline_kernelINS0_14default_configENS1_25partition_config_selectorILNS1_17partition_subalgoE6ExNS0_10empty_typeEbEEZZNS1_14partition_implILS5_6ELb0ES3_mN6thrust23THRUST_200600_302600_NS6detail15normal_iteratorINSA_10device_ptrIxEEEEPS6_SG_NS0_5tupleIJSF_S6_EEENSH_IJSG_SG_EEES6_PlJ5mod_3IxEEEE10hipError_tPvRmT3_T4_T5_T6_T7_T9_mT8_P12ihipStream_tbDpT10_ENKUlT_T0_E_clISt17integral_constantIbLb1EES16_EEDaS11_S12_EUlS11_E_NS1_11comp_targetILNS1_3genE9ELNS1_11target_archE1100ELNS1_3gpuE3ELNS1_3repE0EEENS1_30default_config_static_selectorELNS0_4arch9wavefront6targetE0EEEvT1_
		.amdhsa_group_segment_fixed_size 18448
		.amdhsa_private_segment_fixed_size 0
		.amdhsa_kernarg_size 128
		.amdhsa_user_sgpr_count 15
		.amdhsa_user_sgpr_dispatch_ptr 0
		.amdhsa_user_sgpr_queue_ptr 0
		.amdhsa_user_sgpr_kernarg_segment_ptr 1
		.amdhsa_user_sgpr_dispatch_id 0
		.amdhsa_user_sgpr_private_segment_size 0
		.amdhsa_wavefront_size32 1
		.amdhsa_uses_dynamic_stack 0
		.amdhsa_enable_private_segment 0
		.amdhsa_system_sgpr_workgroup_id_x 1
		.amdhsa_system_sgpr_workgroup_id_y 0
		.amdhsa_system_sgpr_workgroup_id_z 0
		.amdhsa_system_sgpr_workgroup_info 0
		.amdhsa_system_vgpr_workitem_id 0
		.amdhsa_next_free_vgpr 56
		.amdhsa_next_free_sgpr 18
		.amdhsa_reserve_vcc 1
		.amdhsa_float_round_mode_32 0
		.amdhsa_float_round_mode_16_64 0
		.amdhsa_float_denorm_mode_32 3
		.amdhsa_float_denorm_mode_16_64 3
		.amdhsa_dx10_clamp 1
		.amdhsa_ieee_mode 1
		.amdhsa_fp16_overflow 0
		.amdhsa_workgroup_processor_mode 1
		.amdhsa_memory_ordered 1
		.amdhsa_forward_progress 0
		.amdhsa_shared_vgpr_count 0
		.amdhsa_exception_fp_ieee_invalid_op 0
		.amdhsa_exception_fp_denorm_src 0
		.amdhsa_exception_fp_ieee_div_zero 0
		.amdhsa_exception_fp_ieee_overflow 0
		.amdhsa_exception_fp_ieee_underflow 0
		.amdhsa_exception_fp_ieee_inexact 0
		.amdhsa_exception_int_div_zero 0
	.end_amdhsa_kernel
	.section	.text._ZN7rocprim17ROCPRIM_400000_NS6detail17trampoline_kernelINS0_14default_configENS1_25partition_config_selectorILNS1_17partition_subalgoE6ExNS0_10empty_typeEbEEZZNS1_14partition_implILS5_6ELb0ES3_mN6thrust23THRUST_200600_302600_NS6detail15normal_iteratorINSA_10device_ptrIxEEEEPS6_SG_NS0_5tupleIJSF_S6_EEENSH_IJSG_SG_EEES6_PlJ5mod_3IxEEEE10hipError_tPvRmT3_T4_T5_T6_T7_T9_mT8_P12ihipStream_tbDpT10_ENKUlT_T0_E_clISt17integral_constantIbLb1EES16_EEDaS11_S12_EUlS11_E_NS1_11comp_targetILNS1_3genE9ELNS1_11target_archE1100ELNS1_3gpuE3ELNS1_3repE0EEENS1_30default_config_static_selectorELNS0_4arch9wavefront6targetE0EEEvT1_,"axG",@progbits,_ZN7rocprim17ROCPRIM_400000_NS6detail17trampoline_kernelINS0_14default_configENS1_25partition_config_selectorILNS1_17partition_subalgoE6ExNS0_10empty_typeEbEEZZNS1_14partition_implILS5_6ELb0ES3_mN6thrust23THRUST_200600_302600_NS6detail15normal_iteratorINSA_10device_ptrIxEEEEPS6_SG_NS0_5tupleIJSF_S6_EEENSH_IJSG_SG_EEES6_PlJ5mod_3IxEEEE10hipError_tPvRmT3_T4_T5_T6_T7_T9_mT8_P12ihipStream_tbDpT10_ENKUlT_T0_E_clISt17integral_constantIbLb1EES16_EEDaS11_S12_EUlS11_E_NS1_11comp_targetILNS1_3genE9ELNS1_11target_archE1100ELNS1_3gpuE3ELNS1_3repE0EEENS1_30default_config_static_selectorELNS0_4arch9wavefront6targetE0EEEvT1_,comdat
.Lfunc_end566:
	.size	_ZN7rocprim17ROCPRIM_400000_NS6detail17trampoline_kernelINS0_14default_configENS1_25partition_config_selectorILNS1_17partition_subalgoE6ExNS0_10empty_typeEbEEZZNS1_14partition_implILS5_6ELb0ES3_mN6thrust23THRUST_200600_302600_NS6detail15normal_iteratorINSA_10device_ptrIxEEEEPS6_SG_NS0_5tupleIJSF_S6_EEENSH_IJSG_SG_EEES6_PlJ5mod_3IxEEEE10hipError_tPvRmT3_T4_T5_T6_T7_T9_mT8_P12ihipStream_tbDpT10_ENKUlT_T0_E_clISt17integral_constantIbLb1EES16_EEDaS11_S12_EUlS11_E_NS1_11comp_targetILNS1_3genE9ELNS1_11target_archE1100ELNS1_3gpuE3ELNS1_3repE0EEENS1_30default_config_static_selectorELNS0_4arch9wavefront6targetE0EEEvT1_, .Lfunc_end566-_ZN7rocprim17ROCPRIM_400000_NS6detail17trampoline_kernelINS0_14default_configENS1_25partition_config_selectorILNS1_17partition_subalgoE6ExNS0_10empty_typeEbEEZZNS1_14partition_implILS5_6ELb0ES3_mN6thrust23THRUST_200600_302600_NS6detail15normal_iteratorINSA_10device_ptrIxEEEEPS6_SG_NS0_5tupleIJSF_S6_EEENSH_IJSG_SG_EEES6_PlJ5mod_3IxEEEE10hipError_tPvRmT3_T4_T5_T6_T7_T9_mT8_P12ihipStream_tbDpT10_ENKUlT_T0_E_clISt17integral_constantIbLb1EES16_EEDaS11_S12_EUlS11_E_NS1_11comp_targetILNS1_3genE9ELNS1_11target_archE1100ELNS1_3gpuE3ELNS1_3repE0EEENS1_30default_config_static_selectorELNS0_4arch9wavefront6targetE0EEEvT1_
                                        ; -- End function
	.section	.AMDGPU.csdata,"",@progbits
; Kernel info:
; codeLenInByte = 7088
; NumSgprs: 20
; NumVgprs: 56
; ScratchSize: 0
; MemoryBound: 0
; FloatMode: 240
; IeeeMode: 1
; LDSByteSize: 18448 bytes/workgroup (compile time only)
; SGPRBlocks: 2
; VGPRBlocks: 6
; NumSGPRsForWavesPerEU: 20
; NumVGPRsForWavesPerEU: 56
; Occupancy: 15
; WaveLimiterHint : 1
; COMPUTE_PGM_RSRC2:SCRATCH_EN: 0
; COMPUTE_PGM_RSRC2:USER_SGPR: 15
; COMPUTE_PGM_RSRC2:TRAP_HANDLER: 0
; COMPUTE_PGM_RSRC2:TGID_X_EN: 1
; COMPUTE_PGM_RSRC2:TGID_Y_EN: 0
; COMPUTE_PGM_RSRC2:TGID_Z_EN: 0
; COMPUTE_PGM_RSRC2:TIDIG_COMP_CNT: 0
	.section	.text._ZN7rocprim17ROCPRIM_400000_NS6detail17trampoline_kernelINS0_14default_configENS1_25partition_config_selectorILNS1_17partition_subalgoE6ExNS0_10empty_typeEbEEZZNS1_14partition_implILS5_6ELb0ES3_mN6thrust23THRUST_200600_302600_NS6detail15normal_iteratorINSA_10device_ptrIxEEEEPS6_SG_NS0_5tupleIJSF_S6_EEENSH_IJSG_SG_EEES6_PlJ5mod_3IxEEEE10hipError_tPvRmT3_T4_T5_T6_T7_T9_mT8_P12ihipStream_tbDpT10_ENKUlT_T0_E_clISt17integral_constantIbLb1EES16_EEDaS11_S12_EUlS11_E_NS1_11comp_targetILNS1_3genE8ELNS1_11target_archE1030ELNS1_3gpuE2ELNS1_3repE0EEENS1_30default_config_static_selectorELNS0_4arch9wavefront6targetE0EEEvT1_,"axG",@progbits,_ZN7rocprim17ROCPRIM_400000_NS6detail17trampoline_kernelINS0_14default_configENS1_25partition_config_selectorILNS1_17partition_subalgoE6ExNS0_10empty_typeEbEEZZNS1_14partition_implILS5_6ELb0ES3_mN6thrust23THRUST_200600_302600_NS6detail15normal_iteratorINSA_10device_ptrIxEEEEPS6_SG_NS0_5tupleIJSF_S6_EEENSH_IJSG_SG_EEES6_PlJ5mod_3IxEEEE10hipError_tPvRmT3_T4_T5_T6_T7_T9_mT8_P12ihipStream_tbDpT10_ENKUlT_T0_E_clISt17integral_constantIbLb1EES16_EEDaS11_S12_EUlS11_E_NS1_11comp_targetILNS1_3genE8ELNS1_11target_archE1030ELNS1_3gpuE2ELNS1_3repE0EEENS1_30default_config_static_selectorELNS0_4arch9wavefront6targetE0EEEvT1_,comdat
	.protected	_ZN7rocprim17ROCPRIM_400000_NS6detail17trampoline_kernelINS0_14default_configENS1_25partition_config_selectorILNS1_17partition_subalgoE6ExNS0_10empty_typeEbEEZZNS1_14partition_implILS5_6ELb0ES3_mN6thrust23THRUST_200600_302600_NS6detail15normal_iteratorINSA_10device_ptrIxEEEEPS6_SG_NS0_5tupleIJSF_S6_EEENSH_IJSG_SG_EEES6_PlJ5mod_3IxEEEE10hipError_tPvRmT3_T4_T5_T6_T7_T9_mT8_P12ihipStream_tbDpT10_ENKUlT_T0_E_clISt17integral_constantIbLb1EES16_EEDaS11_S12_EUlS11_E_NS1_11comp_targetILNS1_3genE8ELNS1_11target_archE1030ELNS1_3gpuE2ELNS1_3repE0EEENS1_30default_config_static_selectorELNS0_4arch9wavefront6targetE0EEEvT1_ ; -- Begin function _ZN7rocprim17ROCPRIM_400000_NS6detail17trampoline_kernelINS0_14default_configENS1_25partition_config_selectorILNS1_17partition_subalgoE6ExNS0_10empty_typeEbEEZZNS1_14partition_implILS5_6ELb0ES3_mN6thrust23THRUST_200600_302600_NS6detail15normal_iteratorINSA_10device_ptrIxEEEEPS6_SG_NS0_5tupleIJSF_S6_EEENSH_IJSG_SG_EEES6_PlJ5mod_3IxEEEE10hipError_tPvRmT3_T4_T5_T6_T7_T9_mT8_P12ihipStream_tbDpT10_ENKUlT_T0_E_clISt17integral_constantIbLb1EES16_EEDaS11_S12_EUlS11_E_NS1_11comp_targetILNS1_3genE8ELNS1_11target_archE1030ELNS1_3gpuE2ELNS1_3repE0EEENS1_30default_config_static_selectorELNS0_4arch9wavefront6targetE0EEEvT1_
	.globl	_ZN7rocprim17ROCPRIM_400000_NS6detail17trampoline_kernelINS0_14default_configENS1_25partition_config_selectorILNS1_17partition_subalgoE6ExNS0_10empty_typeEbEEZZNS1_14partition_implILS5_6ELb0ES3_mN6thrust23THRUST_200600_302600_NS6detail15normal_iteratorINSA_10device_ptrIxEEEEPS6_SG_NS0_5tupleIJSF_S6_EEENSH_IJSG_SG_EEES6_PlJ5mod_3IxEEEE10hipError_tPvRmT3_T4_T5_T6_T7_T9_mT8_P12ihipStream_tbDpT10_ENKUlT_T0_E_clISt17integral_constantIbLb1EES16_EEDaS11_S12_EUlS11_E_NS1_11comp_targetILNS1_3genE8ELNS1_11target_archE1030ELNS1_3gpuE2ELNS1_3repE0EEENS1_30default_config_static_selectorELNS0_4arch9wavefront6targetE0EEEvT1_
	.p2align	8
	.type	_ZN7rocprim17ROCPRIM_400000_NS6detail17trampoline_kernelINS0_14default_configENS1_25partition_config_selectorILNS1_17partition_subalgoE6ExNS0_10empty_typeEbEEZZNS1_14partition_implILS5_6ELb0ES3_mN6thrust23THRUST_200600_302600_NS6detail15normal_iteratorINSA_10device_ptrIxEEEEPS6_SG_NS0_5tupleIJSF_S6_EEENSH_IJSG_SG_EEES6_PlJ5mod_3IxEEEE10hipError_tPvRmT3_T4_T5_T6_T7_T9_mT8_P12ihipStream_tbDpT10_ENKUlT_T0_E_clISt17integral_constantIbLb1EES16_EEDaS11_S12_EUlS11_E_NS1_11comp_targetILNS1_3genE8ELNS1_11target_archE1030ELNS1_3gpuE2ELNS1_3repE0EEENS1_30default_config_static_selectorELNS0_4arch9wavefront6targetE0EEEvT1_,@function
_ZN7rocprim17ROCPRIM_400000_NS6detail17trampoline_kernelINS0_14default_configENS1_25partition_config_selectorILNS1_17partition_subalgoE6ExNS0_10empty_typeEbEEZZNS1_14partition_implILS5_6ELb0ES3_mN6thrust23THRUST_200600_302600_NS6detail15normal_iteratorINSA_10device_ptrIxEEEEPS6_SG_NS0_5tupleIJSF_S6_EEENSH_IJSG_SG_EEES6_PlJ5mod_3IxEEEE10hipError_tPvRmT3_T4_T5_T6_T7_T9_mT8_P12ihipStream_tbDpT10_ENKUlT_T0_E_clISt17integral_constantIbLb1EES16_EEDaS11_S12_EUlS11_E_NS1_11comp_targetILNS1_3genE8ELNS1_11target_archE1030ELNS1_3gpuE2ELNS1_3repE0EEENS1_30default_config_static_selectorELNS0_4arch9wavefront6targetE0EEEvT1_: ; @_ZN7rocprim17ROCPRIM_400000_NS6detail17trampoline_kernelINS0_14default_configENS1_25partition_config_selectorILNS1_17partition_subalgoE6ExNS0_10empty_typeEbEEZZNS1_14partition_implILS5_6ELb0ES3_mN6thrust23THRUST_200600_302600_NS6detail15normal_iteratorINSA_10device_ptrIxEEEEPS6_SG_NS0_5tupleIJSF_S6_EEENSH_IJSG_SG_EEES6_PlJ5mod_3IxEEEE10hipError_tPvRmT3_T4_T5_T6_T7_T9_mT8_P12ihipStream_tbDpT10_ENKUlT_T0_E_clISt17integral_constantIbLb1EES16_EEDaS11_S12_EUlS11_E_NS1_11comp_targetILNS1_3genE8ELNS1_11target_archE1030ELNS1_3gpuE2ELNS1_3repE0EEENS1_30default_config_static_selectorELNS0_4arch9wavefront6targetE0EEEvT1_
; %bb.0:
	.section	.rodata,"a",@progbits
	.p2align	6, 0x0
	.amdhsa_kernel _ZN7rocprim17ROCPRIM_400000_NS6detail17trampoline_kernelINS0_14default_configENS1_25partition_config_selectorILNS1_17partition_subalgoE6ExNS0_10empty_typeEbEEZZNS1_14partition_implILS5_6ELb0ES3_mN6thrust23THRUST_200600_302600_NS6detail15normal_iteratorINSA_10device_ptrIxEEEEPS6_SG_NS0_5tupleIJSF_S6_EEENSH_IJSG_SG_EEES6_PlJ5mod_3IxEEEE10hipError_tPvRmT3_T4_T5_T6_T7_T9_mT8_P12ihipStream_tbDpT10_ENKUlT_T0_E_clISt17integral_constantIbLb1EES16_EEDaS11_S12_EUlS11_E_NS1_11comp_targetILNS1_3genE8ELNS1_11target_archE1030ELNS1_3gpuE2ELNS1_3repE0EEENS1_30default_config_static_selectorELNS0_4arch9wavefront6targetE0EEEvT1_
		.amdhsa_group_segment_fixed_size 0
		.amdhsa_private_segment_fixed_size 0
		.amdhsa_kernarg_size 128
		.amdhsa_user_sgpr_count 15
		.amdhsa_user_sgpr_dispatch_ptr 0
		.amdhsa_user_sgpr_queue_ptr 0
		.amdhsa_user_sgpr_kernarg_segment_ptr 1
		.amdhsa_user_sgpr_dispatch_id 0
		.amdhsa_user_sgpr_private_segment_size 0
		.amdhsa_wavefront_size32 1
		.amdhsa_uses_dynamic_stack 0
		.amdhsa_enable_private_segment 0
		.amdhsa_system_sgpr_workgroup_id_x 1
		.amdhsa_system_sgpr_workgroup_id_y 0
		.amdhsa_system_sgpr_workgroup_id_z 0
		.amdhsa_system_sgpr_workgroup_info 0
		.amdhsa_system_vgpr_workitem_id 0
		.amdhsa_next_free_vgpr 1
		.amdhsa_next_free_sgpr 1
		.amdhsa_reserve_vcc 0
		.amdhsa_float_round_mode_32 0
		.amdhsa_float_round_mode_16_64 0
		.amdhsa_float_denorm_mode_32 3
		.amdhsa_float_denorm_mode_16_64 3
		.amdhsa_dx10_clamp 1
		.amdhsa_ieee_mode 1
		.amdhsa_fp16_overflow 0
		.amdhsa_workgroup_processor_mode 1
		.amdhsa_memory_ordered 1
		.amdhsa_forward_progress 0
		.amdhsa_shared_vgpr_count 0
		.amdhsa_exception_fp_ieee_invalid_op 0
		.amdhsa_exception_fp_denorm_src 0
		.amdhsa_exception_fp_ieee_div_zero 0
		.amdhsa_exception_fp_ieee_overflow 0
		.amdhsa_exception_fp_ieee_underflow 0
		.amdhsa_exception_fp_ieee_inexact 0
		.amdhsa_exception_int_div_zero 0
	.end_amdhsa_kernel
	.section	.text._ZN7rocprim17ROCPRIM_400000_NS6detail17trampoline_kernelINS0_14default_configENS1_25partition_config_selectorILNS1_17partition_subalgoE6ExNS0_10empty_typeEbEEZZNS1_14partition_implILS5_6ELb0ES3_mN6thrust23THRUST_200600_302600_NS6detail15normal_iteratorINSA_10device_ptrIxEEEEPS6_SG_NS0_5tupleIJSF_S6_EEENSH_IJSG_SG_EEES6_PlJ5mod_3IxEEEE10hipError_tPvRmT3_T4_T5_T6_T7_T9_mT8_P12ihipStream_tbDpT10_ENKUlT_T0_E_clISt17integral_constantIbLb1EES16_EEDaS11_S12_EUlS11_E_NS1_11comp_targetILNS1_3genE8ELNS1_11target_archE1030ELNS1_3gpuE2ELNS1_3repE0EEENS1_30default_config_static_selectorELNS0_4arch9wavefront6targetE0EEEvT1_,"axG",@progbits,_ZN7rocprim17ROCPRIM_400000_NS6detail17trampoline_kernelINS0_14default_configENS1_25partition_config_selectorILNS1_17partition_subalgoE6ExNS0_10empty_typeEbEEZZNS1_14partition_implILS5_6ELb0ES3_mN6thrust23THRUST_200600_302600_NS6detail15normal_iteratorINSA_10device_ptrIxEEEEPS6_SG_NS0_5tupleIJSF_S6_EEENSH_IJSG_SG_EEES6_PlJ5mod_3IxEEEE10hipError_tPvRmT3_T4_T5_T6_T7_T9_mT8_P12ihipStream_tbDpT10_ENKUlT_T0_E_clISt17integral_constantIbLb1EES16_EEDaS11_S12_EUlS11_E_NS1_11comp_targetILNS1_3genE8ELNS1_11target_archE1030ELNS1_3gpuE2ELNS1_3repE0EEENS1_30default_config_static_selectorELNS0_4arch9wavefront6targetE0EEEvT1_,comdat
.Lfunc_end567:
	.size	_ZN7rocprim17ROCPRIM_400000_NS6detail17trampoline_kernelINS0_14default_configENS1_25partition_config_selectorILNS1_17partition_subalgoE6ExNS0_10empty_typeEbEEZZNS1_14partition_implILS5_6ELb0ES3_mN6thrust23THRUST_200600_302600_NS6detail15normal_iteratorINSA_10device_ptrIxEEEEPS6_SG_NS0_5tupleIJSF_S6_EEENSH_IJSG_SG_EEES6_PlJ5mod_3IxEEEE10hipError_tPvRmT3_T4_T5_T6_T7_T9_mT8_P12ihipStream_tbDpT10_ENKUlT_T0_E_clISt17integral_constantIbLb1EES16_EEDaS11_S12_EUlS11_E_NS1_11comp_targetILNS1_3genE8ELNS1_11target_archE1030ELNS1_3gpuE2ELNS1_3repE0EEENS1_30default_config_static_selectorELNS0_4arch9wavefront6targetE0EEEvT1_, .Lfunc_end567-_ZN7rocprim17ROCPRIM_400000_NS6detail17trampoline_kernelINS0_14default_configENS1_25partition_config_selectorILNS1_17partition_subalgoE6ExNS0_10empty_typeEbEEZZNS1_14partition_implILS5_6ELb0ES3_mN6thrust23THRUST_200600_302600_NS6detail15normal_iteratorINSA_10device_ptrIxEEEEPS6_SG_NS0_5tupleIJSF_S6_EEENSH_IJSG_SG_EEES6_PlJ5mod_3IxEEEE10hipError_tPvRmT3_T4_T5_T6_T7_T9_mT8_P12ihipStream_tbDpT10_ENKUlT_T0_E_clISt17integral_constantIbLb1EES16_EEDaS11_S12_EUlS11_E_NS1_11comp_targetILNS1_3genE8ELNS1_11target_archE1030ELNS1_3gpuE2ELNS1_3repE0EEENS1_30default_config_static_selectorELNS0_4arch9wavefront6targetE0EEEvT1_
                                        ; -- End function
	.section	.AMDGPU.csdata,"",@progbits
; Kernel info:
; codeLenInByte = 0
; NumSgprs: 0
; NumVgprs: 0
; ScratchSize: 0
; MemoryBound: 0
; FloatMode: 240
; IeeeMode: 1
; LDSByteSize: 0 bytes/workgroup (compile time only)
; SGPRBlocks: 0
; VGPRBlocks: 0
; NumSGPRsForWavesPerEU: 1
; NumVGPRsForWavesPerEU: 1
; Occupancy: 16
; WaveLimiterHint : 0
; COMPUTE_PGM_RSRC2:SCRATCH_EN: 0
; COMPUTE_PGM_RSRC2:USER_SGPR: 15
; COMPUTE_PGM_RSRC2:TRAP_HANDLER: 0
; COMPUTE_PGM_RSRC2:TGID_X_EN: 1
; COMPUTE_PGM_RSRC2:TGID_Y_EN: 0
; COMPUTE_PGM_RSRC2:TGID_Z_EN: 0
; COMPUTE_PGM_RSRC2:TIDIG_COMP_CNT: 0
	.section	.text._ZN7rocprim17ROCPRIM_400000_NS6detail17trampoline_kernelINS0_14default_configENS1_25partition_config_selectorILNS1_17partition_subalgoE6ExNS0_10empty_typeEbEEZZNS1_14partition_implILS5_6ELb0ES3_mN6thrust23THRUST_200600_302600_NS6detail15normal_iteratorINSA_10device_ptrIxEEEEPS6_SG_NS0_5tupleIJSF_S6_EEENSH_IJSG_SG_EEES6_PlJ5mod_3IxEEEE10hipError_tPvRmT3_T4_T5_T6_T7_T9_mT8_P12ihipStream_tbDpT10_ENKUlT_T0_E_clISt17integral_constantIbLb1EES15_IbLb0EEEEDaS11_S12_EUlS11_E_NS1_11comp_targetILNS1_3genE0ELNS1_11target_archE4294967295ELNS1_3gpuE0ELNS1_3repE0EEENS1_30default_config_static_selectorELNS0_4arch9wavefront6targetE0EEEvT1_,"axG",@progbits,_ZN7rocprim17ROCPRIM_400000_NS6detail17trampoline_kernelINS0_14default_configENS1_25partition_config_selectorILNS1_17partition_subalgoE6ExNS0_10empty_typeEbEEZZNS1_14partition_implILS5_6ELb0ES3_mN6thrust23THRUST_200600_302600_NS6detail15normal_iteratorINSA_10device_ptrIxEEEEPS6_SG_NS0_5tupleIJSF_S6_EEENSH_IJSG_SG_EEES6_PlJ5mod_3IxEEEE10hipError_tPvRmT3_T4_T5_T6_T7_T9_mT8_P12ihipStream_tbDpT10_ENKUlT_T0_E_clISt17integral_constantIbLb1EES15_IbLb0EEEEDaS11_S12_EUlS11_E_NS1_11comp_targetILNS1_3genE0ELNS1_11target_archE4294967295ELNS1_3gpuE0ELNS1_3repE0EEENS1_30default_config_static_selectorELNS0_4arch9wavefront6targetE0EEEvT1_,comdat
	.protected	_ZN7rocprim17ROCPRIM_400000_NS6detail17trampoline_kernelINS0_14default_configENS1_25partition_config_selectorILNS1_17partition_subalgoE6ExNS0_10empty_typeEbEEZZNS1_14partition_implILS5_6ELb0ES3_mN6thrust23THRUST_200600_302600_NS6detail15normal_iteratorINSA_10device_ptrIxEEEEPS6_SG_NS0_5tupleIJSF_S6_EEENSH_IJSG_SG_EEES6_PlJ5mod_3IxEEEE10hipError_tPvRmT3_T4_T5_T6_T7_T9_mT8_P12ihipStream_tbDpT10_ENKUlT_T0_E_clISt17integral_constantIbLb1EES15_IbLb0EEEEDaS11_S12_EUlS11_E_NS1_11comp_targetILNS1_3genE0ELNS1_11target_archE4294967295ELNS1_3gpuE0ELNS1_3repE0EEENS1_30default_config_static_selectorELNS0_4arch9wavefront6targetE0EEEvT1_ ; -- Begin function _ZN7rocprim17ROCPRIM_400000_NS6detail17trampoline_kernelINS0_14default_configENS1_25partition_config_selectorILNS1_17partition_subalgoE6ExNS0_10empty_typeEbEEZZNS1_14partition_implILS5_6ELb0ES3_mN6thrust23THRUST_200600_302600_NS6detail15normal_iteratorINSA_10device_ptrIxEEEEPS6_SG_NS0_5tupleIJSF_S6_EEENSH_IJSG_SG_EEES6_PlJ5mod_3IxEEEE10hipError_tPvRmT3_T4_T5_T6_T7_T9_mT8_P12ihipStream_tbDpT10_ENKUlT_T0_E_clISt17integral_constantIbLb1EES15_IbLb0EEEEDaS11_S12_EUlS11_E_NS1_11comp_targetILNS1_3genE0ELNS1_11target_archE4294967295ELNS1_3gpuE0ELNS1_3repE0EEENS1_30default_config_static_selectorELNS0_4arch9wavefront6targetE0EEEvT1_
	.globl	_ZN7rocprim17ROCPRIM_400000_NS6detail17trampoline_kernelINS0_14default_configENS1_25partition_config_selectorILNS1_17partition_subalgoE6ExNS0_10empty_typeEbEEZZNS1_14partition_implILS5_6ELb0ES3_mN6thrust23THRUST_200600_302600_NS6detail15normal_iteratorINSA_10device_ptrIxEEEEPS6_SG_NS0_5tupleIJSF_S6_EEENSH_IJSG_SG_EEES6_PlJ5mod_3IxEEEE10hipError_tPvRmT3_T4_T5_T6_T7_T9_mT8_P12ihipStream_tbDpT10_ENKUlT_T0_E_clISt17integral_constantIbLb1EES15_IbLb0EEEEDaS11_S12_EUlS11_E_NS1_11comp_targetILNS1_3genE0ELNS1_11target_archE4294967295ELNS1_3gpuE0ELNS1_3repE0EEENS1_30default_config_static_selectorELNS0_4arch9wavefront6targetE0EEEvT1_
	.p2align	8
	.type	_ZN7rocprim17ROCPRIM_400000_NS6detail17trampoline_kernelINS0_14default_configENS1_25partition_config_selectorILNS1_17partition_subalgoE6ExNS0_10empty_typeEbEEZZNS1_14partition_implILS5_6ELb0ES3_mN6thrust23THRUST_200600_302600_NS6detail15normal_iteratorINSA_10device_ptrIxEEEEPS6_SG_NS0_5tupleIJSF_S6_EEENSH_IJSG_SG_EEES6_PlJ5mod_3IxEEEE10hipError_tPvRmT3_T4_T5_T6_T7_T9_mT8_P12ihipStream_tbDpT10_ENKUlT_T0_E_clISt17integral_constantIbLb1EES15_IbLb0EEEEDaS11_S12_EUlS11_E_NS1_11comp_targetILNS1_3genE0ELNS1_11target_archE4294967295ELNS1_3gpuE0ELNS1_3repE0EEENS1_30default_config_static_selectorELNS0_4arch9wavefront6targetE0EEEvT1_,@function
_ZN7rocprim17ROCPRIM_400000_NS6detail17trampoline_kernelINS0_14default_configENS1_25partition_config_selectorILNS1_17partition_subalgoE6ExNS0_10empty_typeEbEEZZNS1_14partition_implILS5_6ELb0ES3_mN6thrust23THRUST_200600_302600_NS6detail15normal_iteratorINSA_10device_ptrIxEEEEPS6_SG_NS0_5tupleIJSF_S6_EEENSH_IJSG_SG_EEES6_PlJ5mod_3IxEEEE10hipError_tPvRmT3_T4_T5_T6_T7_T9_mT8_P12ihipStream_tbDpT10_ENKUlT_T0_E_clISt17integral_constantIbLb1EES15_IbLb0EEEEDaS11_S12_EUlS11_E_NS1_11comp_targetILNS1_3genE0ELNS1_11target_archE4294967295ELNS1_3gpuE0ELNS1_3repE0EEENS1_30default_config_static_selectorELNS0_4arch9wavefront6targetE0EEEvT1_: ; @_ZN7rocprim17ROCPRIM_400000_NS6detail17trampoline_kernelINS0_14default_configENS1_25partition_config_selectorILNS1_17partition_subalgoE6ExNS0_10empty_typeEbEEZZNS1_14partition_implILS5_6ELb0ES3_mN6thrust23THRUST_200600_302600_NS6detail15normal_iteratorINSA_10device_ptrIxEEEEPS6_SG_NS0_5tupleIJSF_S6_EEENSH_IJSG_SG_EEES6_PlJ5mod_3IxEEEE10hipError_tPvRmT3_T4_T5_T6_T7_T9_mT8_P12ihipStream_tbDpT10_ENKUlT_T0_E_clISt17integral_constantIbLb1EES15_IbLb0EEEEDaS11_S12_EUlS11_E_NS1_11comp_targetILNS1_3genE0ELNS1_11target_archE4294967295ELNS1_3gpuE0ELNS1_3repE0EEENS1_30default_config_static_selectorELNS0_4arch9wavefront6targetE0EEEvT1_
; %bb.0:
	.section	.rodata,"a",@progbits
	.p2align	6, 0x0
	.amdhsa_kernel _ZN7rocprim17ROCPRIM_400000_NS6detail17trampoline_kernelINS0_14default_configENS1_25partition_config_selectorILNS1_17partition_subalgoE6ExNS0_10empty_typeEbEEZZNS1_14partition_implILS5_6ELb0ES3_mN6thrust23THRUST_200600_302600_NS6detail15normal_iteratorINSA_10device_ptrIxEEEEPS6_SG_NS0_5tupleIJSF_S6_EEENSH_IJSG_SG_EEES6_PlJ5mod_3IxEEEE10hipError_tPvRmT3_T4_T5_T6_T7_T9_mT8_P12ihipStream_tbDpT10_ENKUlT_T0_E_clISt17integral_constantIbLb1EES15_IbLb0EEEEDaS11_S12_EUlS11_E_NS1_11comp_targetILNS1_3genE0ELNS1_11target_archE4294967295ELNS1_3gpuE0ELNS1_3repE0EEENS1_30default_config_static_selectorELNS0_4arch9wavefront6targetE0EEEvT1_
		.amdhsa_group_segment_fixed_size 0
		.amdhsa_private_segment_fixed_size 0
		.amdhsa_kernarg_size 112
		.amdhsa_user_sgpr_count 15
		.amdhsa_user_sgpr_dispatch_ptr 0
		.amdhsa_user_sgpr_queue_ptr 0
		.amdhsa_user_sgpr_kernarg_segment_ptr 1
		.amdhsa_user_sgpr_dispatch_id 0
		.amdhsa_user_sgpr_private_segment_size 0
		.amdhsa_wavefront_size32 1
		.amdhsa_uses_dynamic_stack 0
		.amdhsa_enable_private_segment 0
		.amdhsa_system_sgpr_workgroup_id_x 1
		.amdhsa_system_sgpr_workgroup_id_y 0
		.amdhsa_system_sgpr_workgroup_id_z 0
		.amdhsa_system_sgpr_workgroup_info 0
		.amdhsa_system_vgpr_workitem_id 0
		.amdhsa_next_free_vgpr 1
		.amdhsa_next_free_sgpr 1
		.amdhsa_reserve_vcc 0
		.amdhsa_float_round_mode_32 0
		.amdhsa_float_round_mode_16_64 0
		.amdhsa_float_denorm_mode_32 3
		.amdhsa_float_denorm_mode_16_64 3
		.amdhsa_dx10_clamp 1
		.amdhsa_ieee_mode 1
		.amdhsa_fp16_overflow 0
		.amdhsa_workgroup_processor_mode 1
		.amdhsa_memory_ordered 1
		.amdhsa_forward_progress 0
		.amdhsa_shared_vgpr_count 0
		.amdhsa_exception_fp_ieee_invalid_op 0
		.amdhsa_exception_fp_denorm_src 0
		.amdhsa_exception_fp_ieee_div_zero 0
		.amdhsa_exception_fp_ieee_overflow 0
		.amdhsa_exception_fp_ieee_underflow 0
		.amdhsa_exception_fp_ieee_inexact 0
		.amdhsa_exception_int_div_zero 0
	.end_amdhsa_kernel
	.section	.text._ZN7rocprim17ROCPRIM_400000_NS6detail17trampoline_kernelINS0_14default_configENS1_25partition_config_selectorILNS1_17partition_subalgoE6ExNS0_10empty_typeEbEEZZNS1_14partition_implILS5_6ELb0ES3_mN6thrust23THRUST_200600_302600_NS6detail15normal_iteratorINSA_10device_ptrIxEEEEPS6_SG_NS0_5tupleIJSF_S6_EEENSH_IJSG_SG_EEES6_PlJ5mod_3IxEEEE10hipError_tPvRmT3_T4_T5_T6_T7_T9_mT8_P12ihipStream_tbDpT10_ENKUlT_T0_E_clISt17integral_constantIbLb1EES15_IbLb0EEEEDaS11_S12_EUlS11_E_NS1_11comp_targetILNS1_3genE0ELNS1_11target_archE4294967295ELNS1_3gpuE0ELNS1_3repE0EEENS1_30default_config_static_selectorELNS0_4arch9wavefront6targetE0EEEvT1_,"axG",@progbits,_ZN7rocprim17ROCPRIM_400000_NS6detail17trampoline_kernelINS0_14default_configENS1_25partition_config_selectorILNS1_17partition_subalgoE6ExNS0_10empty_typeEbEEZZNS1_14partition_implILS5_6ELb0ES3_mN6thrust23THRUST_200600_302600_NS6detail15normal_iteratorINSA_10device_ptrIxEEEEPS6_SG_NS0_5tupleIJSF_S6_EEENSH_IJSG_SG_EEES6_PlJ5mod_3IxEEEE10hipError_tPvRmT3_T4_T5_T6_T7_T9_mT8_P12ihipStream_tbDpT10_ENKUlT_T0_E_clISt17integral_constantIbLb1EES15_IbLb0EEEEDaS11_S12_EUlS11_E_NS1_11comp_targetILNS1_3genE0ELNS1_11target_archE4294967295ELNS1_3gpuE0ELNS1_3repE0EEENS1_30default_config_static_selectorELNS0_4arch9wavefront6targetE0EEEvT1_,comdat
.Lfunc_end568:
	.size	_ZN7rocprim17ROCPRIM_400000_NS6detail17trampoline_kernelINS0_14default_configENS1_25partition_config_selectorILNS1_17partition_subalgoE6ExNS0_10empty_typeEbEEZZNS1_14partition_implILS5_6ELb0ES3_mN6thrust23THRUST_200600_302600_NS6detail15normal_iteratorINSA_10device_ptrIxEEEEPS6_SG_NS0_5tupleIJSF_S6_EEENSH_IJSG_SG_EEES6_PlJ5mod_3IxEEEE10hipError_tPvRmT3_T4_T5_T6_T7_T9_mT8_P12ihipStream_tbDpT10_ENKUlT_T0_E_clISt17integral_constantIbLb1EES15_IbLb0EEEEDaS11_S12_EUlS11_E_NS1_11comp_targetILNS1_3genE0ELNS1_11target_archE4294967295ELNS1_3gpuE0ELNS1_3repE0EEENS1_30default_config_static_selectorELNS0_4arch9wavefront6targetE0EEEvT1_, .Lfunc_end568-_ZN7rocprim17ROCPRIM_400000_NS6detail17trampoline_kernelINS0_14default_configENS1_25partition_config_selectorILNS1_17partition_subalgoE6ExNS0_10empty_typeEbEEZZNS1_14partition_implILS5_6ELb0ES3_mN6thrust23THRUST_200600_302600_NS6detail15normal_iteratorINSA_10device_ptrIxEEEEPS6_SG_NS0_5tupleIJSF_S6_EEENSH_IJSG_SG_EEES6_PlJ5mod_3IxEEEE10hipError_tPvRmT3_T4_T5_T6_T7_T9_mT8_P12ihipStream_tbDpT10_ENKUlT_T0_E_clISt17integral_constantIbLb1EES15_IbLb0EEEEDaS11_S12_EUlS11_E_NS1_11comp_targetILNS1_3genE0ELNS1_11target_archE4294967295ELNS1_3gpuE0ELNS1_3repE0EEENS1_30default_config_static_selectorELNS0_4arch9wavefront6targetE0EEEvT1_
                                        ; -- End function
	.section	.AMDGPU.csdata,"",@progbits
; Kernel info:
; codeLenInByte = 0
; NumSgprs: 0
; NumVgprs: 0
; ScratchSize: 0
; MemoryBound: 0
; FloatMode: 240
; IeeeMode: 1
; LDSByteSize: 0 bytes/workgroup (compile time only)
; SGPRBlocks: 0
; VGPRBlocks: 0
; NumSGPRsForWavesPerEU: 1
; NumVGPRsForWavesPerEU: 1
; Occupancy: 16
; WaveLimiterHint : 0
; COMPUTE_PGM_RSRC2:SCRATCH_EN: 0
; COMPUTE_PGM_RSRC2:USER_SGPR: 15
; COMPUTE_PGM_RSRC2:TRAP_HANDLER: 0
; COMPUTE_PGM_RSRC2:TGID_X_EN: 1
; COMPUTE_PGM_RSRC2:TGID_Y_EN: 0
; COMPUTE_PGM_RSRC2:TGID_Z_EN: 0
; COMPUTE_PGM_RSRC2:TIDIG_COMP_CNT: 0
	.section	.text._ZN7rocprim17ROCPRIM_400000_NS6detail17trampoline_kernelINS0_14default_configENS1_25partition_config_selectorILNS1_17partition_subalgoE6ExNS0_10empty_typeEbEEZZNS1_14partition_implILS5_6ELb0ES3_mN6thrust23THRUST_200600_302600_NS6detail15normal_iteratorINSA_10device_ptrIxEEEEPS6_SG_NS0_5tupleIJSF_S6_EEENSH_IJSG_SG_EEES6_PlJ5mod_3IxEEEE10hipError_tPvRmT3_T4_T5_T6_T7_T9_mT8_P12ihipStream_tbDpT10_ENKUlT_T0_E_clISt17integral_constantIbLb1EES15_IbLb0EEEEDaS11_S12_EUlS11_E_NS1_11comp_targetILNS1_3genE5ELNS1_11target_archE942ELNS1_3gpuE9ELNS1_3repE0EEENS1_30default_config_static_selectorELNS0_4arch9wavefront6targetE0EEEvT1_,"axG",@progbits,_ZN7rocprim17ROCPRIM_400000_NS6detail17trampoline_kernelINS0_14default_configENS1_25partition_config_selectorILNS1_17partition_subalgoE6ExNS0_10empty_typeEbEEZZNS1_14partition_implILS5_6ELb0ES3_mN6thrust23THRUST_200600_302600_NS6detail15normal_iteratorINSA_10device_ptrIxEEEEPS6_SG_NS0_5tupleIJSF_S6_EEENSH_IJSG_SG_EEES6_PlJ5mod_3IxEEEE10hipError_tPvRmT3_T4_T5_T6_T7_T9_mT8_P12ihipStream_tbDpT10_ENKUlT_T0_E_clISt17integral_constantIbLb1EES15_IbLb0EEEEDaS11_S12_EUlS11_E_NS1_11comp_targetILNS1_3genE5ELNS1_11target_archE942ELNS1_3gpuE9ELNS1_3repE0EEENS1_30default_config_static_selectorELNS0_4arch9wavefront6targetE0EEEvT1_,comdat
	.protected	_ZN7rocprim17ROCPRIM_400000_NS6detail17trampoline_kernelINS0_14default_configENS1_25partition_config_selectorILNS1_17partition_subalgoE6ExNS0_10empty_typeEbEEZZNS1_14partition_implILS5_6ELb0ES3_mN6thrust23THRUST_200600_302600_NS6detail15normal_iteratorINSA_10device_ptrIxEEEEPS6_SG_NS0_5tupleIJSF_S6_EEENSH_IJSG_SG_EEES6_PlJ5mod_3IxEEEE10hipError_tPvRmT3_T4_T5_T6_T7_T9_mT8_P12ihipStream_tbDpT10_ENKUlT_T0_E_clISt17integral_constantIbLb1EES15_IbLb0EEEEDaS11_S12_EUlS11_E_NS1_11comp_targetILNS1_3genE5ELNS1_11target_archE942ELNS1_3gpuE9ELNS1_3repE0EEENS1_30default_config_static_selectorELNS0_4arch9wavefront6targetE0EEEvT1_ ; -- Begin function _ZN7rocprim17ROCPRIM_400000_NS6detail17trampoline_kernelINS0_14default_configENS1_25partition_config_selectorILNS1_17partition_subalgoE6ExNS0_10empty_typeEbEEZZNS1_14partition_implILS5_6ELb0ES3_mN6thrust23THRUST_200600_302600_NS6detail15normal_iteratorINSA_10device_ptrIxEEEEPS6_SG_NS0_5tupleIJSF_S6_EEENSH_IJSG_SG_EEES6_PlJ5mod_3IxEEEE10hipError_tPvRmT3_T4_T5_T6_T7_T9_mT8_P12ihipStream_tbDpT10_ENKUlT_T0_E_clISt17integral_constantIbLb1EES15_IbLb0EEEEDaS11_S12_EUlS11_E_NS1_11comp_targetILNS1_3genE5ELNS1_11target_archE942ELNS1_3gpuE9ELNS1_3repE0EEENS1_30default_config_static_selectorELNS0_4arch9wavefront6targetE0EEEvT1_
	.globl	_ZN7rocprim17ROCPRIM_400000_NS6detail17trampoline_kernelINS0_14default_configENS1_25partition_config_selectorILNS1_17partition_subalgoE6ExNS0_10empty_typeEbEEZZNS1_14partition_implILS5_6ELb0ES3_mN6thrust23THRUST_200600_302600_NS6detail15normal_iteratorINSA_10device_ptrIxEEEEPS6_SG_NS0_5tupleIJSF_S6_EEENSH_IJSG_SG_EEES6_PlJ5mod_3IxEEEE10hipError_tPvRmT3_T4_T5_T6_T7_T9_mT8_P12ihipStream_tbDpT10_ENKUlT_T0_E_clISt17integral_constantIbLb1EES15_IbLb0EEEEDaS11_S12_EUlS11_E_NS1_11comp_targetILNS1_3genE5ELNS1_11target_archE942ELNS1_3gpuE9ELNS1_3repE0EEENS1_30default_config_static_selectorELNS0_4arch9wavefront6targetE0EEEvT1_
	.p2align	8
	.type	_ZN7rocprim17ROCPRIM_400000_NS6detail17trampoline_kernelINS0_14default_configENS1_25partition_config_selectorILNS1_17partition_subalgoE6ExNS0_10empty_typeEbEEZZNS1_14partition_implILS5_6ELb0ES3_mN6thrust23THRUST_200600_302600_NS6detail15normal_iteratorINSA_10device_ptrIxEEEEPS6_SG_NS0_5tupleIJSF_S6_EEENSH_IJSG_SG_EEES6_PlJ5mod_3IxEEEE10hipError_tPvRmT3_T4_T5_T6_T7_T9_mT8_P12ihipStream_tbDpT10_ENKUlT_T0_E_clISt17integral_constantIbLb1EES15_IbLb0EEEEDaS11_S12_EUlS11_E_NS1_11comp_targetILNS1_3genE5ELNS1_11target_archE942ELNS1_3gpuE9ELNS1_3repE0EEENS1_30default_config_static_selectorELNS0_4arch9wavefront6targetE0EEEvT1_,@function
_ZN7rocprim17ROCPRIM_400000_NS6detail17trampoline_kernelINS0_14default_configENS1_25partition_config_selectorILNS1_17partition_subalgoE6ExNS0_10empty_typeEbEEZZNS1_14partition_implILS5_6ELb0ES3_mN6thrust23THRUST_200600_302600_NS6detail15normal_iteratorINSA_10device_ptrIxEEEEPS6_SG_NS0_5tupleIJSF_S6_EEENSH_IJSG_SG_EEES6_PlJ5mod_3IxEEEE10hipError_tPvRmT3_T4_T5_T6_T7_T9_mT8_P12ihipStream_tbDpT10_ENKUlT_T0_E_clISt17integral_constantIbLb1EES15_IbLb0EEEEDaS11_S12_EUlS11_E_NS1_11comp_targetILNS1_3genE5ELNS1_11target_archE942ELNS1_3gpuE9ELNS1_3repE0EEENS1_30default_config_static_selectorELNS0_4arch9wavefront6targetE0EEEvT1_: ; @_ZN7rocprim17ROCPRIM_400000_NS6detail17trampoline_kernelINS0_14default_configENS1_25partition_config_selectorILNS1_17partition_subalgoE6ExNS0_10empty_typeEbEEZZNS1_14partition_implILS5_6ELb0ES3_mN6thrust23THRUST_200600_302600_NS6detail15normal_iteratorINSA_10device_ptrIxEEEEPS6_SG_NS0_5tupleIJSF_S6_EEENSH_IJSG_SG_EEES6_PlJ5mod_3IxEEEE10hipError_tPvRmT3_T4_T5_T6_T7_T9_mT8_P12ihipStream_tbDpT10_ENKUlT_T0_E_clISt17integral_constantIbLb1EES15_IbLb0EEEEDaS11_S12_EUlS11_E_NS1_11comp_targetILNS1_3genE5ELNS1_11target_archE942ELNS1_3gpuE9ELNS1_3repE0EEENS1_30default_config_static_selectorELNS0_4arch9wavefront6targetE0EEEvT1_
; %bb.0:
	.section	.rodata,"a",@progbits
	.p2align	6, 0x0
	.amdhsa_kernel _ZN7rocprim17ROCPRIM_400000_NS6detail17trampoline_kernelINS0_14default_configENS1_25partition_config_selectorILNS1_17partition_subalgoE6ExNS0_10empty_typeEbEEZZNS1_14partition_implILS5_6ELb0ES3_mN6thrust23THRUST_200600_302600_NS6detail15normal_iteratorINSA_10device_ptrIxEEEEPS6_SG_NS0_5tupleIJSF_S6_EEENSH_IJSG_SG_EEES6_PlJ5mod_3IxEEEE10hipError_tPvRmT3_T4_T5_T6_T7_T9_mT8_P12ihipStream_tbDpT10_ENKUlT_T0_E_clISt17integral_constantIbLb1EES15_IbLb0EEEEDaS11_S12_EUlS11_E_NS1_11comp_targetILNS1_3genE5ELNS1_11target_archE942ELNS1_3gpuE9ELNS1_3repE0EEENS1_30default_config_static_selectorELNS0_4arch9wavefront6targetE0EEEvT1_
		.amdhsa_group_segment_fixed_size 0
		.amdhsa_private_segment_fixed_size 0
		.amdhsa_kernarg_size 112
		.amdhsa_user_sgpr_count 15
		.amdhsa_user_sgpr_dispatch_ptr 0
		.amdhsa_user_sgpr_queue_ptr 0
		.amdhsa_user_sgpr_kernarg_segment_ptr 1
		.amdhsa_user_sgpr_dispatch_id 0
		.amdhsa_user_sgpr_private_segment_size 0
		.amdhsa_wavefront_size32 1
		.amdhsa_uses_dynamic_stack 0
		.amdhsa_enable_private_segment 0
		.amdhsa_system_sgpr_workgroup_id_x 1
		.amdhsa_system_sgpr_workgroup_id_y 0
		.amdhsa_system_sgpr_workgroup_id_z 0
		.amdhsa_system_sgpr_workgroup_info 0
		.amdhsa_system_vgpr_workitem_id 0
		.amdhsa_next_free_vgpr 1
		.amdhsa_next_free_sgpr 1
		.amdhsa_reserve_vcc 0
		.amdhsa_float_round_mode_32 0
		.amdhsa_float_round_mode_16_64 0
		.amdhsa_float_denorm_mode_32 3
		.amdhsa_float_denorm_mode_16_64 3
		.amdhsa_dx10_clamp 1
		.amdhsa_ieee_mode 1
		.amdhsa_fp16_overflow 0
		.amdhsa_workgroup_processor_mode 1
		.amdhsa_memory_ordered 1
		.amdhsa_forward_progress 0
		.amdhsa_shared_vgpr_count 0
		.amdhsa_exception_fp_ieee_invalid_op 0
		.amdhsa_exception_fp_denorm_src 0
		.amdhsa_exception_fp_ieee_div_zero 0
		.amdhsa_exception_fp_ieee_overflow 0
		.amdhsa_exception_fp_ieee_underflow 0
		.amdhsa_exception_fp_ieee_inexact 0
		.amdhsa_exception_int_div_zero 0
	.end_amdhsa_kernel
	.section	.text._ZN7rocprim17ROCPRIM_400000_NS6detail17trampoline_kernelINS0_14default_configENS1_25partition_config_selectorILNS1_17partition_subalgoE6ExNS0_10empty_typeEbEEZZNS1_14partition_implILS5_6ELb0ES3_mN6thrust23THRUST_200600_302600_NS6detail15normal_iteratorINSA_10device_ptrIxEEEEPS6_SG_NS0_5tupleIJSF_S6_EEENSH_IJSG_SG_EEES6_PlJ5mod_3IxEEEE10hipError_tPvRmT3_T4_T5_T6_T7_T9_mT8_P12ihipStream_tbDpT10_ENKUlT_T0_E_clISt17integral_constantIbLb1EES15_IbLb0EEEEDaS11_S12_EUlS11_E_NS1_11comp_targetILNS1_3genE5ELNS1_11target_archE942ELNS1_3gpuE9ELNS1_3repE0EEENS1_30default_config_static_selectorELNS0_4arch9wavefront6targetE0EEEvT1_,"axG",@progbits,_ZN7rocprim17ROCPRIM_400000_NS6detail17trampoline_kernelINS0_14default_configENS1_25partition_config_selectorILNS1_17partition_subalgoE6ExNS0_10empty_typeEbEEZZNS1_14partition_implILS5_6ELb0ES3_mN6thrust23THRUST_200600_302600_NS6detail15normal_iteratorINSA_10device_ptrIxEEEEPS6_SG_NS0_5tupleIJSF_S6_EEENSH_IJSG_SG_EEES6_PlJ5mod_3IxEEEE10hipError_tPvRmT3_T4_T5_T6_T7_T9_mT8_P12ihipStream_tbDpT10_ENKUlT_T0_E_clISt17integral_constantIbLb1EES15_IbLb0EEEEDaS11_S12_EUlS11_E_NS1_11comp_targetILNS1_3genE5ELNS1_11target_archE942ELNS1_3gpuE9ELNS1_3repE0EEENS1_30default_config_static_selectorELNS0_4arch9wavefront6targetE0EEEvT1_,comdat
.Lfunc_end569:
	.size	_ZN7rocprim17ROCPRIM_400000_NS6detail17trampoline_kernelINS0_14default_configENS1_25partition_config_selectorILNS1_17partition_subalgoE6ExNS0_10empty_typeEbEEZZNS1_14partition_implILS5_6ELb0ES3_mN6thrust23THRUST_200600_302600_NS6detail15normal_iteratorINSA_10device_ptrIxEEEEPS6_SG_NS0_5tupleIJSF_S6_EEENSH_IJSG_SG_EEES6_PlJ5mod_3IxEEEE10hipError_tPvRmT3_T4_T5_T6_T7_T9_mT8_P12ihipStream_tbDpT10_ENKUlT_T0_E_clISt17integral_constantIbLb1EES15_IbLb0EEEEDaS11_S12_EUlS11_E_NS1_11comp_targetILNS1_3genE5ELNS1_11target_archE942ELNS1_3gpuE9ELNS1_3repE0EEENS1_30default_config_static_selectorELNS0_4arch9wavefront6targetE0EEEvT1_, .Lfunc_end569-_ZN7rocprim17ROCPRIM_400000_NS6detail17trampoline_kernelINS0_14default_configENS1_25partition_config_selectorILNS1_17partition_subalgoE6ExNS0_10empty_typeEbEEZZNS1_14partition_implILS5_6ELb0ES3_mN6thrust23THRUST_200600_302600_NS6detail15normal_iteratorINSA_10device_ptrIxEEEEPS6_SG_NS0_5tupleIJSF_S6_EEENSH_IJSG_SG_EEES6_PlJ5mod_3IxEEEE10hipError_tPvRmT3_T4_T5_T6_T7_T9_mT8_P12ihipStream_tbDpT10_ENKUlT_T0_E_clISt17integral_constantIbLb1EES15_IbLb0EEEEDaS11_S12_EUlS11_E_NS1_11comp_targetILNS1_3genE5ELNS1_11target_archE942ELNS1_3gpuE9ELNS1_3repE0EEENS1_30default_config_static_selectorELNS0_4arch9wavefront6targetE0EEEvT1_
                                        ; -- End function
	.section	.AMDGPU.csdata,"",@progbits
; Kernel info:
; codeLenInByte = 0
; NumSgprs: 0
; NumVgprs: 0
; ScratchSize: 0
; MemoryBound: 0
; FloatMode: 240
; IeeeMode: 1
; LDSByteSize: 0 bytes/workgroup (compile time only)
; SGPRBlocks: 0
; VGPRBlocks: 0
; NumSGPRsForWavesPerEU: 1
; NumVGPRsForWavesPerEU: 1
; Occupancy: 16
; WaveLimiterHint : 0
; COMPUTE_PGM_RSRC2:SCRATCH_EN: 0
; COMPUTE_PGM_RSRC2:USER_SGPR: 15
; COMPUTE_PGM_RSRC2:TRAP_HANDLER: 0
; COMPUTE_PGM_RSRC2:TGID_X_EN: 1
; COMPUTE_PGM_RSRC2:TGID_Y_EN: 0
; COMPUTE_PGM_RSRC2:TGID_Z_EN: 0
; COMPUTE_PGM_RSRC2:TIDIG_COMP_CNT: 0
	.section	.text._ZN7rocprim17ROCPRIM_400000_NS6detail17trampoline_kernelINS0_14default_configENS1_25partition_config_selectorILNS1_17partition_subalgoE6ExNS0_10empty_typeEbEEZZNS1_14partition_implILS5_6ELb0ES3_mN6thrust23THRUST_200600_302600_NS6detail15normal_iteratorINSA_10device_ptrIxEEEEPS6_SG_NS0_5tupleIJSF_S6_EEENSH_IJSG_SG_EEES6_PlJ5mod_3IxEEEE10hipError_tPvRmT3_T4_T5_T6_T7_T9_mT8_P12ihipStream_tbDpT10_ENKUlT_T0_E_clISt17integral_constantIbLb1EES15_IbLb0EEEEDaS11_S12_EUlS11_E_NS1_11comp_targetILNS1_3genE4ELNS1_11target_archE910ELNS1_3gpuE8ELNS1_3repE0EEENS1_30default_config_static_selectorELNS0_4arch9wavefront6targetE0EEEvT1_,"axG",@progbits,_ZN7rocprim17ROCPRIM_400000_NS6detail17trampoline_kernelINS0_14default_configENS1_25partition_config_selectorILNS1_17partition_subalgoE6ExNS0_10empty_typeEbEEZZNS1_14partition_implILS5_6ELb0ES3_mN6thrust23THRUST_200600_302600_NS6detail15normal_iteratorINSA_10device_ptrIxEEEEPS6_SG_NS0_5tupleIJSF_S6_EEENSH_IJSG_SG_EEES6_PlJ5mod_3IxEEEE10hipError_tPvRmT3_T4_T5_T6_T7_T9_mT8_P12ihipStream_tbDpT10_ENKUlT_T0_E_clISt17integral_constantIbLb1EES15_IbLb0EEEEDaS11_S12_EUlS11_E_NS1_11comp_targetILNS1_3genE4ELNS1_11target_archE910ELNS1_3gpuE8ELNS1_3repE0EEENS1_30default_config_static_selectorELNS0_4arch9wavefront6targetE0EEEvT1_,comdat
	.protected	_ZN7rocprim17ROCPRIM_400000_NS6detail17trampoline_kernelINS0_14default_configENS1_25partition_config_selectorILNS1_17partition_subalgoE6ExNS0_10empty_typeEbEEZZNS1_14partition_implILS5_6ELb0ES3_mN6thrust23THRUST_200600_302600_NS6detail15normal_iteratorINSA_10device_ptrIxEEEEPS6_SG_NS0_5tupleIJSF_S6_EEENSH_IJSG_SG_EEES6_PlJ5mod_3IxEEEE10hipError_tPvRmT3_T4_T5_T6_T7_T9_mT8_P12ihipStream_tbDpT10_ENKUlT_T0_E_clISt17integral_constantIbLb1EES15_IbLb0EEEEDaS11_S12_EUlS11_E_NS1_11comp_targetILNS1_3genE4ELNS1_11target_archE910ELNS1_3gpuE8ELNS1_3repE0EEENS1_30default_config_static_selectorELNS0_4arch9wavefront6targetE0EEEvT1_ ; -- Begin function _ZN7rocprim17ROCPRIM_400000_NS6detail17trampoline_kernelINS0_14default_configENS1_25partition_config_selectorILNS1_17partition_subalgoE6ExNS0_10empty_typeEbEEZZNS1_14partition_implILS5_6ELb0ES3_mN6thrust23THRUST_200600_302600_NS6detail15normal_iteratorINSA_10device_ptrIxEEEEPS6_SG_NS0_5tupleIJSF_S6_EEENSH_IJSG_SG_EEES6_PlJ5mod_3IxEEEE10hipError_tPvRmT3_T4_T5_T6_T7_T9_mT8_P12ihipStream_tbDpT10_ENKUlT_T0_E_clISt17integral_constantIbLb1EES15_IbLb0EEEEDaS11_S12_EUlS11_E_NS1_11comp_targetILNS1_3genE4ELNS1_11target_archE910ELNS1_3gpuE8ELNS1_3repE0EEENS1_30default_config_static_selectorELNS0_4arch9wavefront6targetE0EEEvT1_
	.globl	_ZN7rocprim17ROCPRIM_400000_NS6detail17trampoline_kernelINS0_14default_configENS1_25partition_config_selectorILNS1_17partition_subalgoE6ExNS0_10empty_typeEbEEZZNS1_14partition_implILS5_6ELb0ES3_mN6thrust23THRUST_200600_302600_NS6detail15normal_iteratorINSA_10device_ptrIxEEEEPS6_SG_NS0_5tupleIJSF_S6_EEENSH_IJSG_SG_EEES6_PlJ5mod_3IxEEEE10hipError_tPvRmT3_T4_T5_T6_T7_T9_mT8_P12ihipStream_tbDpT10_ENKUlT_T0_E_clISt17integral_constantIbLb1EES15_IbLb0EEEEDaS11_S12_EUlS11_E_NS1_11comp_targetILNS1_3genE4ELNS1_11target_archE910ELNS1_3gpuE8ELNS1_3repE0EEENS1_30default_config_static_selectorELNS0_4arch9wavefront6targetE0EEEvT1_
	.p2align	8
	.type	_ZN7rocprim17ROCPRIM_400000_NS6detail17trampoline_kernelINS0_14default_configENS1_25partition_config_selectorILNS1_17partition_subalgoE6ExNS0_10empty_typeEbEEZZNS1_14partition_implILS5_6ELb0ES3_mN6thrust23THRUST_200600_302600_NS6detail15normal_iteratorINSA_10device_ptrIxEEEEPS6_SG_NS0_5tupleIJSF_S6_EEENSH_IJSG_SG_EEES6_PlJ5mod_3IxEEEE10hipError_tPvRmT3_T4_T5_T6_T7_T9_mT8_P12ihipStream_tbDpT10_ENKUlT_T0_E_clISt17integral_constantIbLb1EES15_IbLb0EEEEDaS11_S12_EUlS11_E_NS1_11comp_targetILNS1_3genE4ELNS1_11target_archE910ELNS1_3gpuE8ELNS1_3repE0EEENS1_30default_config_static_selectorELNS0_4arch9wavefront6targetE0EEEvT1_,@function
_ZN7rocprim17ROCPRIM_400000_NS6detail17trampoline_kernelINS0_14default_configENS1_25partition_config_selectorILNS1_17partition_subalgoE6ExNS0_10empty_typeEbEEZZNS1_14partition_implILS5_6ELb0ES3_mN6thrust23THRUST_200600_302600_NS6detail15normal_iteratorINSA_10device_ptrIxEEEEPS6_SG_NS0_5tupleIJSF_S6_EEENSH_IJSG_SG_EEES6_PlJ5mod_3IxEEEE10hipError_tPvRmT3_T4_T5_T6_T7_T9_mT8_P12ihipStream_tbDpT10_ENKUlT_T0_E_clISt17integral_constantIbLb1EES15_IbLb0EEEEDaS11_S12_EUlS11_E_NS1_11comp_targetILNS1_3genE4ELNS1_11target_archE910ELNS1_3gpuE8ELNS1_3repE0EEENS1_30default_config_static_selectorELNS0_4arch9wavefront6targetE0EEEvT1_: ; @_ZN7rocprim17ROCPRIM_400000_NS6detail17trampoline_kernelINS0_14default_configENS1_25partition_config_selectorILNS1_17partition_subalgoE6ExNS0_10empty_typeEbEEZZNS1_14partition_implILS5_6ELb0ES3_mN6thrust23THRUST_200600_302600_NS6detail15normal_iteratorINSA_10device_ptrIxEEEEPS6_SG_NS0_5tupleIJSF_S6_EEENSH_IJSG_SG_EEES6_PlJ5mod_3IxEEEE10hipError_tPvRmT3_T4_T5_T6_T7_T9_mT8_P12ihipStream_tbDpT10_ENKUlT_T0_E_clISt17integral_constantIbLb1EES15_IbLb0EEEEDaS11_S12_EUlS11_E_NS1_11comp_targetILNS1_3genE4ELNS1_11target_archE910ELNS1_3gpuE8ELNS1_3repE0EEENS1_30default_config_static_selectorELNS0_4arch9wavefront6targetE0EEEvT1_
; %bb.0:
	.section	.rodata,"a",@progbits
	.p2align	6, 0x0
	.amdhsa_kernel _ZN7rocprim17ROCPRIM_400000_NS6detail17trampoline_kernelINS0_14default_configENS1_25partition_config_selectorILNS1_17partition_subalgoE6ExNS0_10empty_typeEbEEZZNS1_14partition_implILS5_6ELb0ES3_mN6thrust23THRUST_200600_302600_NS6detail15normal_iteratorINSA_10device_ptrIxEEEEPS6_SG_NS0_5tupleIJSF_S6_EEENSH_IJSG_SG_EEES6_PlJ5mod_3IxEEEE10hipError_tPvRmT3_T4_T5_T6_T7_T9_mT8_P12ihipStream_tbDpT10_ENKUlT_T0_E_clISt17integral_constantIbLb1EES15_IbLb0EEEEDaS11_S12_EUlS11_E_NS1_11comp_targetILNS1_3genE4ELNS1_11target_archE910ELNS1_3gpuE8ELNS1_3repE0EEENS1_30default_config_static_selectorELNS0_4arch9wavefront6targetE0EEEvT1_
		.amdhsa_group_segment_fixed_size 0
		.amdhsa_private_segment_fixed_size 0
		.amdhsa_kernarg_size 112
		.amdhsa_user_sgpr_count 15
		.amdhsa_user_sgpr_dispatch_ptr 0
		.amdhsa_user_sgpr_queue_ptr 0
		.amdhsa_user_sgpr_kernarg_segment_ptr 1
		.amdhsa_user_sgpr_dispatch_id 0
		.amdhsa_user_sgpr_private_segment_size 0
		.amdhsa_wavefront_size32 1
		.amdhsa_uses_dynamic_stack 0
		.amdhsa_enable_private_segment 0
		.amdhsa_system_sgpr_workgroup_id_x 1
		.amdhsa_system_sgpr_workgroup_id_y 0
		.amdhsa_system_sgpr_workgroup_id_z 0
		.amdhsa_system_sgpr_workgroup_info 0
		.amdhsa_system_vgpr_workitem_id 0
		.amdhsa_next_free_vgpr 1
		.amdhsa_next_free_sgpr 1
		.amdhsa_reserve_vcc 0
		.amdhsa_float_round_mode_32 0
		.amdhsa_float_round_mode_16_64 0
		.amdhsa_float_denorm_mode_32 3
		.amdhsa_float_denorm_mode_16_64 3
		.amdhsa_dx10_clamp 1
		.amdhsa_ieee_mode 1
		.amdhsa_fp16_overflow 0
		.amdhsa_workgroup_processor_mode 1
		.amdhsa_memory_ordered 1
		.amdhsa_forward_progress 0
		.amdhsa_shared_vgpr_count 0
		.amdhsa_exception_fp_ieee_invalid_op 0
		.amdhsa_exception_fp_denorm_src 0
		.amdhsa_exception_fp_ieee_div_zero 0
		.amdhsa_exception_fp_ieee_overflow 0
		.amdhsa_exception_fp_ieee_underflow 0
		.amdhsa_exception_fp_ieee_inexact 0
		.amdhsa_exception_int_div_zero 0
	.end_amdhsa_kernel
	.section	.text._ZN7rocprim17ROCPRIM_400000_NS6detail17trampoline_kernelINS0_14default_configENS1_25partition_config_selectorILNS1_17partition_subalgoE6ExNS0_10empty_typeEbEEZZNS1_14partition_implILS5_6ELb0ES3_mN6thrust23THRUST_200600_302600_NS6detail15normal_iteratorINSA_10device_ptrIxEEEEPS6_SG_NS0_5tupleIJSF_S6_EEENSH_IJSG_SG_EEES6_PlJ5mod_3IxEEEE10hipError_tPvRmT3_T4_T5_T6_T7_T9_mT8_P12ihipStream_tbDpT10_ENKUlT_T0_E_clISt17integral_constantIbLb1EES15_IbLb0EEEEDaS11_S12_EUlS11_E_NS1_11comp_targetILNS1_3genE4ELNS1_11target_archE910ELNS1_3gpuE8ELNS1_3repE0EEENS1_30default_config_static_selectorELNS0_4arch9wavefront6targetE0EEEvT1_,"axG",@progbits,_ZN7rocprim17ROCPRIM_400000_NS6detail17trampoline_kernelINS0_14default_configENS1_25partition_config_selectorILNS1_17partition_subalgoE6ExNS0_10empty_typeEbEEZZNS1_14partition_implILS5_6ELb0ES3_mN6thrust23THRUST_200600_302600_NS6detail15normal_iteratorINSA_10device_ptrIxEEEEPS6_SG_NS0_5tupleIJSF_S6_EEENSH_IJSG_SG_EEES6_PlJ5mod_3IxEEEE10hipError_tPvRmT3_T4_T5_T6_T7_T9_mT8_P12ihipStream_tbDpT10_ENKUlT_T0_E_clISt17integral_constantIbLb1EES15_IbLb0EEEEDaS11_S12_EUlS11_E_NS1_11comp_targetILNS1_3genE4ELNS1_11target_archE910ELNS1_3gpuE8ELNS1_3repE0EEENS1_30default_config_static_selectorELNS0_4arch9wavefront6targetE0EEEvT1_,comdat
.Lfunc_end570:
	.size	_ZN7rocprim17ROCPRIM_400000_NS6detail17trampoline_kernelINS0_14default_configENS1_25partition_config_selectorILNS1_17partition_subalgoE6ExNS0_10empty_typeEbEEZZNS1_14partition_implILS5_6ELb0ES3_mN6thrust23THRUST_200600_302600_NS6detail15normal_iteratorINSA_10device_ptrIxEEEEPS6_SG_NS0_5tupleIJSF_S6_EEENSH_IJSG_SG_EEES6_PlJ5mod_3IxEEEE10hipError_tPvRmT3_T4_T5_T6_T7_T9_mT8_P12ihipStream_tbDpT10_ENKUlT_T0_E_clISt17integral_constantIbLb1EES15_IbLb0EEEEDaS11_S12_EUlS11_E_NS1_11comp_targetILNS1_3genE4ELNS1_11target_archE910ELNS1_3gpuE8ELNS1_3repE0EEENS1_30default_config_static_selectorELNS0_4arch9wavefront6targetE0EEEvT1_, .Lfunc_end570-_ZN7rocprim17ROCPRIM_400000_NS6detail17trampoline_kernelINS0_14default_configENS1_25partition_config_selectorILNS1_17partition_subalgoE6ExNS0_10empty_typeEbEEZZNS1_14partition_implILS5_6ELb0ES3_mN6thrust23THRUST_200600_302600_NS6detail15normal_iteratorINSA_10device_ptrIxEEEEPS6_SG_NS0_5tupleIJSF_S6_EEENSH_IJSG_SG_EEES6_PlJ5mod_3IxEEEE10hipError_tPvRmT3_T4_T5_T6_T7_T9_mT8_P12ihipStream_tbDpT10_ENKUlT_T0_E_clISt17integral_constantIbLb1EES15_IbLb0EEEEDaS11_S12_EUlS11_E_NS1_11comp_targetILNS1_3genE4ELNS1_11target_archE910ELNS1_3gpuE8ELNS1_3repE0EEENS1_30default_config_static_selectorELNS0_4arch9wavefront6targetE0EEEvT1_
                                        ; -- End function
	.section	.AMDGPU.csdata,"",@progbits
; Kernel info:
; codeLenInByte = 0
; NumSgprs: 0
; NumVgprs: 0
; ScratchSize: 0
; MemoryBound: 0
; FloatMode: 240
; IeeeMode: 1
; LDSByteSize: 0 bytes/workgroup (compile time only)
; SGPRBlocks: 0
; VGPRBlocks: 0
; NumSGPRsForWavesPerEU: 1
; NumVGPRsForWavesPerEU: 1
; Occupancy: 16
; WaveLimiterHint : 0
; COMPUTE_PGM_RSRC2:SCRATCH_EN: 0
; COMPUTE_PGM_RSRC2:USER_SGPR: 15
; COMPUTE_PGM_RSRC2:TRAP_HANDLER: 0
; COMPUTE_PGM_RSRC2:TGID_X_EN: 1
; COMPUTE_PGM_RSRC2:TGID_Y_EN: 0
; COMPUTE_PGM_RSRC2:TGID_Z_EN: 0
; COMPUTE_PGM_RSRC2:TIDIG_COMP_CNT: 0
	.section	.text._ZN7rocprim17ROCPRIM_400000_NS6detail17trampoline_kernelINS0_14default_configENS1_25partition_config_selectorILNS1_17partition_subalgoE6ExNS0_10empty_typeEbEEZZNS1_14partition_implILS5_6ELb0ES3_mN6thrust23THRUST_200600_302600_NS6detail15normal_iteratorINSA_10device_ptrIxEEEEPS6_SG_NS0_5tupleIJSF_S6_EEENSH_IJSG_SG_EEES6_PlJ5mod_3IxEEEE10hipError_tPvRmT3_T4_T5_T6_T7_T9_mT8_P12ihipStream_tbDpT10_ENKUlT_T0_E_clISt17integral_constantIbLb1EES15_IbLb0EEEEDaS11_S12_EUlS11_E_NS1_11comp_targetILNS1_3genE3ELNS1_11target_archE908ELNS1_3gpuE7ELNS1_3repE0EEENS1_30default_config_static_selectorELNS0_4arch9wavefront6targetE0EEEvT1_,"axG",@progbits,_ZN7rocprim17ROCPRIM_400000_NS6detail17trampoline_kernelINS0_14default_configENS1_25partition_config_selectorILNS1_17partition_subalgoE6ExNS0_10empty_typeEbEEZZNS1_14partition_implILS5_6ELb0ES3_mN6thrust23THRUST_200600_302600_NS6detail15normal_iteratorINSA_10device_ptrIxEEEEPS6_SG_NS0_5tupleIJSF_S6_EEENSH_IJSG_SG_EEES6_PlJ5mod_3IxEEEE10hipError_tPvRmT3_T4_T5_T6_T7_T9_mT8_P12ihipStream_tbDpT10_ENKUlT_T0_E_clISt17integral_constantIbLb1EES15_IbLb0EEEEDaS11_S12_EUlS11_E_NS1_11comp_targetILNS1_3genE3ELNS1_11target_archE908ELNS1_3gpuE7ELNS1_3repE0EEENS1_30default_config_static_selectorELNS0_4arch9wavefront6targetE0EEEvT1_,comdat
	.protected	_ZN7rocprim17ROCPRIM_400000_NS6detail17trampoline_kernelINS0_14default_configENS1_25partition_config_selectorILNS1_17partition_subalgoE6ExNS0_10empty_typeEbEEZZNS1_14partition_implILS5_6ELb0ES3_mN6thrust23THRUST_200600_302600_NS6detail15normal_iteratorINSA_10device_ptrIxEEEEPS6_SG_NS0_5tupleIJSF_S6_EEENSH_IJSG_SG_EEES6_PlJ5mod_3IxEEEE10hipError_tPvRmT3_T4_T5_T6_T7_T9_mT8_P12ihipStream_tbDpT10_ENKUlT_T0_E_clISt17integral_constantIbLb1EES15_IbLb0EEEEDaS11_S12_EUlS11_E_NS1_11comp_targetILNS1_3genE3ELNS1_11target_archE908ELNS1_3gpuE7ELNS1_3repE0EEENS1_30default_config_static_selectorELNS0_4arch9wavefront6targetE0EEEvT1_ ; -- Begin function _ZN7rocprim17ROCPRIM_400000_NS6detail17trampoline_kernelINS0_14default_configENS1_25partition_config_selectorILNS1_17partition_subalgoE6ExNS0_10empty_typeEbEEZZNS1_14partition_implILS5_6ELb0ES3_mN6thrust23THRUST_200600_302600_NS6detail15normal_iteratorINSA_10device_ptrIxEEEEPS6_SG_NS0_5tupleIJSF_S6_EEENSH_IJSG_SG_EEES6_PlJ5mod_3IxEEEE10hipError_tPvRmT3_T4_T5_T6_T7_T9_mT8_P12ihipStream_tbDpT10_ENKUlT_T0_E_clISt17integral_constantIbLb1EES15_IbLb0EEEEDaS11_S12_EUlS11_E_NS1_11comp_targetILNS1_3genE3ELNS1_11target_archE908ELNS1_3gpuE7ELNS1_3repE0EEENS1_30default_config_static_selectorELNS0_4arch9wavefront6targetE0EEEvT1_
	.globl	_ZN7rocprim17ROCPRIM_400000_NS6detail17trampoline_kernelINS0_14default_configENS1_25partition_config_selectorILNS1_17partition_subalgoE6ExNS0_10empty_typeEbEEZZNS1_14partition_implILS5_6ELb0ES3_mN6thrust23THRUST_200600_302600_NS6detail15normal_iteratorINSA_10device_ptrIxEEEEPS6_SG_NS0_5tupleIJSF_S6_EEENSH_IJSG_SG_EEES6_PlJ5mod_3IxEEEE10hipError_tPvRmT3_T4_T5_T6_T7_T9_mT8_P12ihipStream_tbDpT10_ENKUlT_T0_E_clISt17integral_constantIbLb1EES15_IbLb0EEEEDaS11_S12_EUlS11_E_NS1_11comp_targetILNS1_3genE3ELNS1_11target_archE908ELNS1_3gpuE7ELNS1_3repE0EEENS1_30default_config_static_selectorELNS0_4arch9wavefront6targetE0EEEvT1_
	.p2align	8
	.type	_ZN7rocprim17ROCPRIM_400000_NS6detail17trampoline_kernelINS0_14default_configENS1_25partition_config_selectorILNS1_17partition_subalgoE6ExNS0_10empty_typeEbEEZZNS1_14partition_implILS5_6ELb0ES3_mN6thrust23THRUST_200600_302600_NS6detail15normal_iteratorINSA_10device_ptrIxEEEEPS6_SG_NS0_5tupleIJSF_S6_EEENSH_IJSG_SG_EEES6_PlJ5mod_3IxEEEE10hipError_tPvRmT3_T4_T5_T6_T7_T9_mT8_P12ihipStream_tbDpT10_ENKUlT_T0_E_clISt17integral_constantIbLb1EES15_IbLb0EEEEDaS11_S12_EUlS11_E_NS1_11comp_targetILNS1_3genE3ELNS1_11target_archE908ELNS1_3gpuE7ELNS1_3repE0EEENS1_30default_config_static_selectorELNS0_4arch9wavefront6targetE0EEEvT1_,@function
_ZN7rocprim17ROCPRIM_400000_NS6detail17trampoline_kernelINS0_14default_configENS1_25partition_config_selectorILNS1_17partition_subalgoE6ExNS0_10empty_typeEbEEZZNS1_14partition_implILS5_6ELb0ES3_mN6thrust23THRUST_200600_302600_NS6detail15normal_iteratorINSA_10device_ptrIxEEEEPS6_SG_NS0_5tupleIJSF_S6_EEENSH_IJSG_SG_EEES6_PlJ5mod_3IxEEEE10hipError_tPvRmT3_T4_T5_T6_T7_T9_mT8_P12ihipStream_tbDpT10_ENKUlT_T0_E_clISt17integral_constantIbLb1EES15_IbLb0EEEEDaS11_S12_EUlS11_E_NS1_11comp_targetILNS1_3genE3ELNS1_11target_archE908ELNS1_3gpuE7ELNS1_3repE0EEENS1_30default_config_static_selectorELNS0_4arch9wavefront6targetE0EEEvT1_: ; @_ZN7rocprim17ROCPRIM_400000_NS6detail17trampoline_kernelINS0_14default_configENS1_25partition_config_selectorILNS1_17partition_subalgoE6ExNS0_10empty_typeEbEEZZNS1_14partition_implILS5_6ELb0ES3_mN6thrust23THRUST_200600_302600_NS6detail15normal_iteratorINSA_10device_ptrIxEEEEPS6_SG_NS0_5tupleIJSF_S6_EEENSH_IJSG_SG_EEES6_PlJ5mod_3IxEEEE10hipError_tPvRmT3_T4_T5_T6_T7_T9_mT8_P12ihipStream_tbDpT10_ENKUlT_T0_E_clISt17integral_constantIbLb1EES15_IbLb0EEEEDaS11_S12_EUlS11_E_NS1_11comp_targetILNS1_3genE3ELNS1_11target_archE908ELNS1_3gpuE7ELNS1_3repE0EEENS1_30default_config_static_selectorELNS0_4arch9wavefront6targetE0EEEvT1_
; %bb.0:
	.section	.rodata,"a",@progbits
	.p2align	6, 0x0
	.amdhsa_kernel _ZN7rocprim17ROCPRIM_400000_NS6detail17trampoline_kernelINS0_14default_configENS1_25partition_config_selectorILNS1_17partition_subalgoE6ExNS0_10empty_typeEbEEZZNS1_14partition_implILS5_6ELb0ES3_mN6thrust23THRUST_200600_302600_NS6detail15normal_iteratorINSA_10device_ptrIxEEEEPS6_SG_NS0_5tupleIJSF_S6_EEENSH_IJSG_SG_EEES6_PlJ5mod_3IxEEEE10hipError_tPvRmT3_T4_T5_T6_T7_T9_mT8_P12ihipStream_tbDpT10_ENKUlT_T0_E_clISt17integral_constantIbLb1EES15_IbLb0EEEEDaS11_S12_EUlS11_E_NS1_11comp_targetILNS1_3genE3ELNS1_11target_archE908ELNS1_3gpuE7ELNS1_3repE0EEENS1_30default_config_static_selectorELNS0_4arch9wavefront6targetE0EEEvT1_
		.amdhsa_group_segment_fixed_size 0
		.amdhsa_private_segment_fixed_size 0
		.amdhsa_kernarg_size 112
		.amdhsa_user_sgpr_count 15
		.amdhsa_user_sgpr_dispatch_ptr 0
		.amdhsa_user_sgpr_queue_ptr 0
		.amdhsa_user_sgpr_kernarg_segment_ptr 1
		.amdhsa_user_sgpr_dispatch_id 0
		.amdhsa_user_sgpr_private_segment_size 0
		.amdhsa_wavefront_size32 1
		.amdhsa_uses_dynamic_stack 0
		.amdhsa_enable_private_segment 0
		.amdhsa_system_sgpr_workgroup_id_x 1
		.amdhsa_system_sgpr_workgroup_id_y 0
		.amdhsa_system_sgpr_workgroup_id_z 0
		.amdhsa_system_sgpr_workgroup_info 0
		.amdhsa_system_vgpr_workitem_id 0
		.amdhsa_next_free_vgpr 1
		.amdhsa_next_free_sgpr 1
		.amdhsa_reserve_vcc 0
		.amdhsa_float_round_mode_32 0
		.amdhsa_float_round_mode_16_64 0
		.amdhsa_float_denorm_mode_32 3
		.amdhsa_float_denorm_mode_16_64 3
		.amdhsa_dx10_clamp 1
		.amdhsa_ieee_mode 1
		.amdhsa_fp16_overflow 0
		.amdhsa_workgroup_processor_mode 1
		.amdhsa_memory_ordered 1
		.amdhsa_forward_progress 0
		.amdhsa_shared_vgpr_count 0
		.amdhsa_exception_fp_ieee_invalid_op 0
		.amdhsa_exception_fp_denorm_src 0
		.amdhsa_exception_fp_ieee_div_zero 0
		.amdhsa_exception_fp_ieee_overflow 0
		.amdhsa_exception_fp_ieee_underflow 0
		.amdhsa_exception_fp_ieee_inexact 0
		.amdhsa_exception_int_div_zero 0
	.end_amdhsa_kernel
	.section	.text._ZN7rocprim17ROCPRIM_400000_NS6detail17trampoline_kernelINS0_14default_configENS1_25partition_config_selectorILNS1_17partition_subalgoE6ExNS0_10empty_typeEbEEZZNS1_14partition_implILS5_6ELb0ES3_mN6thrust23THRUST_200600_302600_NS6detail15normal_iteratorINSA_10device_ptrIxEEEEPS6_SG_NS0_5tupleIJSF_S6_EEENSH_IJSG_SG_EEES6_PlJ5mod_3IxEEEE10hipError_tPvRmT3_T4_T5_T6_T7_T9_mT8_P12ihipStream_tbDpT10_ENKUlT_T0_E_clISt17integral_constantIbLb1EES15_IbLb0EEEEDaS11_S12_EUlS11_E_NS1_11comp_targetILNS1_3genE3ELNS1_11target_archE908ELNS1_3gpuE7ELNS1_3repE0EEENS1_30default_config_static_selectorELNS0_4arch9wavefront6targetE0EEEvT1_,"axG",@progbits,_ZN7rocprim17ROCPRIM_400000_NS6detail17trampoline_kernelINS0_14default_configENS1_25partition_config_selectorILNS1_17partition_subalgoE6ExNS0_10empty_typeEbEEZZNS1_14partition_implILS5_6ELb0ES3_mN6thrust23THRUST_200600_302600_NS6detail15normal_iteratorINSA_10device_ptrIxEEEEPS6_SG_NS0_5tupleIJSF_S6_EEENSH_IJSG_SG_EEES6_PlJ5mod_3IxEEEE10hipError_tPvRmT3_T4_T5_T6_T7_T9_mT8_P12ihipStream_tbDpT10_ENKUlT_T0_E_clISt17integral_constantIbLb1EES15_IbLb0EEEEDaS11_S12_EUlS11_E_NS1_11comp_targetILNS1_3genE3ELNS1_11target_archE908ELNS1_3gpuE7ELNS1_3repE0EEENS1_30default_config_static_selectorELNS0_4arch9wavefront6targetE0EEEvT1_,comdat
.Lfunc_end571:
	.size	_ZN7rocprim17ROCPRIM_400000_NS6detail17trampoline_kernelINS0_14default_configENS1_25partition_config_selectorILNS1_17partition_subalgoE6ExNS0_10empty_typeEbEEZZNS1_14partition_implILS5_6ELb0ES3_mN6thrust23THRUST_200600_302600_NS6detail15normal_iteratorINSA_10device_ptrIxEEEEPS6_SG_NS0_5tupleIJSF_S6_EEENSH_IJSG_SG_EEES6_PlJ5mod_3IxEEEE10hipError_tPvRmT3_T4_T5_T6_T7_T9_mT8_P12ihipStream_tbDpT10_ENKUlT_T0_E_clISt17integral_constantIbLb1EES15_IbLb0EEEEDaS11_S12_EUlS11_E_NS1_11comp_targetILNS1_3genE3ELNS1_11target_archE908ELNS1_3gpuE7ELNS1_3repE0EEENS1_30default_config_static_selectorELNS0_4arch9wavefront6targetE0EEEvT1_, .Lfunc_end571-_ZN7rocprim17ROCPRIM_400000_NS6detail17trampoline_kernelINS0_14default_configENS1_25partition_config_selectorILNS1_17partition_subalgoE6ExNS0_10empty_typeEbEEZZNS1_14partition_implILS5_6ELb0ES3_mN6thrust23THRUST_200600_302600_NS6detail15normal_iteratorINSA_10device_ptrIxEEEEPS6_SG_NS0_5tupleIJSF_S6_EEENSH_IJSG_SG_EEES6_PlJ5mod_3IxEEEE10hipError_tPvRmT3_T4_T5_T6_T7_T9_mT8_P12ihipStream_tbDpT10_ENKUlT_T0_E_clISt17integral_constantIbLb1EES15_IbLb0EEEEDaS11_S12_EUlS11_E_NS1_11comp_targetILNS1_3genE3ELNS1_11target_archE908ELNS1_3gpuE7ELNS1_3repE0EEENS1_30default_config_static_selectorELNS0_4arch9wavefront6targetE0EEEvT1_
                                        ; -- End function
	.section	.AMDGPU.csdata,"",@progbits
; Kernel info:
; codeLenInByte = 0
; NumSgprs: 0
; NumVgprs: 0
; ScratchSize: 0
; MemoryBound: 0
; FloatMode: 240
; IeeeMode: 1
; LDSByteSize: 0 bytes/workgroup (compile time only)
; SGPRBlocks: 0
; VGPRBlocks: 0
; NumSGPRsForWavesPerEU: 1
; NumVGPRsForWavesPerEU: 1
; Occupancy: 16
; WaveLimiterHint : 0
; COMPUTE_PGM_RSRC2:SCRATCH_EN: 0
; COMPUTE_PGM_RSRC2:USER_SGPR: 15
; COMPUTE_PGM_RSRC2:TRAP_HANDLER: 0
; COMPUTE_PGM_RSRC2:TGID_X_EN: 1
; COMPUTE_PGM_RSRC2:TGID_Y_EN: 0
; COMPUTE_PGM_RSRC2:TGID_Z_EN: 0
; COMPUTE_PGM_RSRC2:TIDIG_COMP_CNT: 0
	.section	.text._ZN7rocprim17ROCPRIM_400000_NS6detail17trampoline_kernelINS0_14default_configENS1_25partition_config_selectorILNS1_17partition_subalgoE6ExNS0_10empty_typeEbEEZZNS1_14partition_implILS5_6ELb0ES3_mN6thrust23THRUST_200600_302600_NS6detail15normal_iteratorINSA_10device_ptrIxEEEEPS6_SG_NS0_5tupleIJSF_S6_EEENSH_IJSG_SG_EEES6_PlJ5mod_3IxEEEE10hipError_tPvRmT3_T4_T5_T6_T7_T9_mT8_P12ihipStream_tbDpT10_ENKUlT_T0_E_clISt17integral_constantIbLb1EES15_IbLb0EEEEDaS11_S12_EUlS11_E_NS1_11comp_targetILNS1_3genE2ELNS1_11target_archE906ELNS1_3gpuE6ELNS1_3repE0EEENS1_30default_config_static_selectorELNS0_4arch9wavefront6targetE0EEEvT1_,"axG",@progbits,_ZN7rocprim17ROCPRIM_400000_NS6detail17trampoline_kernelINS0_14default_configENS1_25partition_config_selectorILNS1_17partition_subalgoE6ExNS0_10empty_typeEbEEZZNS1_14partition_implILS5_6ELb0ES3_mN6thrust23THRUST_200600_302600_NS6detail15normal_iteratorINSA_10device_ptrIxEEEEPS6_SG_NS0_5tupleIJSF_S6_EEENSH_IJSG_SG_EEES6_PlJ5mod_3IxEEEE10hipError_tPvRmT3_T4_T5_T6_T7_T9_mT8_P12ihipStream_tbDpT10_ENKUlT_T0_E_clISt17integral_constantIbLb1EES15_IbLb0EEEEDaS11_S12_EUlS11_E_NS1_11comp_targetILNS1_3genE2ELNS1_11target_archE906ELNS1_3gpuE6ELNS1_3repE0EEENS1_30default_config_static_selectorELNS0_4arch9wavefront6targetE0EEEvT1_,comdat
	.protected	_ZN7rocprim17ROCPRIM_400000_NS6detail17trampoline_kernelINS0_14default_configENS1_25partition_config_selectorILNS1_17partition_subalgoE6ExNS0_10empty_typeEbEEZZNS1_14partition_implILS5_6ELb0ES3_mN6thrust23THRUST_200600_302600_NS6detail15normal_iteratorINSA_10device_ptrIxEEEEPS6_SG_NS0_5tupleIJSF_S6_EEENSH_IJSG_SG_EEES6_PlJ5mod_3IxEEEE10hipError_tPvRmT3_T4_T5_T6_T7_T9_mT8_P12ihipStream_tbDpT10_ENKUlT_T0_E_clISt17integral_constantIbLb1EES15_IbLb0EEEEDaS11_S12_EUlS11_E_NS1_11comp_targetILNS1_3genE2ELNS1_11target_archE906ELNS1_3gpuE6ELNS1_3repE0EEENS1_30default_config_static_selectorELNS0_4arch9wavefront6targetE0EEEvT1_ ; -- Begin function _ZN7rocprim17ROCPRIM_400000_NS6detail17trampoline_kernelINS0_14default_configENS1_25partition_config_selectorILNS1_17partition_subalgoE6ExNS0_10empty_typeEbEEZZNS1_14partition_implILS5_6ELb0ES3_mN6thrust23THRUST_200600_302600_NS6detail15normal_iteratorINSA_10device_ptrIxEEEEPS6_SG_NS0_5tupleIJSF_S6_EEENSH_IJSG_SG_EEES6_PlJ5mod_3IxEEEE10hipError_tPvRmT3_T4_T5_T6_T7_T9_mT8_P12ihipStream_tbDpT10_ENKUlT_T0_E_clISt17integral_constantIbLb1EES15_IbLb0EEEEDaS11_S12_EUlS11_E_NS1_11comp_targetILNS1_3genE2ELNS1_11target_archE906ELNS1_3gpuE6ELNS1_3repE0EEENS1_30default_config_static_selectorELNS0_4arch9wavefront6targetE0EEEvT1_
	.globl	_ZN7rocprim17ROCPRIM_400000_NS6detail17trampoline_kernelINS0_14default_configENS1_25partition_config_selectorILNS1_17partition_subalgoE6ExNS0_10empty_typeEbEEZZNS1_14partition_implILS5_6ELb0ES3_mN6thrust23THRUST_200600_302600_NS6detail15normal_iteratorINSA_10device_ptrIxEEEEPS6_SG_NS0_5tupleIJSF_S6_EEENSH_IJSG_SG_EEES6_PlJ5mod_3IxEEEE10hipError_tPvRmT3_T4_T5_T6_T7_T9_mT8_P12ihipStream_tbDpT10_ENKUlT_T0_E_clISt17integral_constantIbLb1EES15_IbLb0EEEEDaS11_S12_EUlS11_E_NS1_11comp_targetILNS1_3genE2ELNS1_11target_archE906ELNS1_3gpuE6ELNS1_3repE0EEENS1_30default_config_static_selectorELNS0_4arch9wavefront6targetE0EEEvT1_
	.p2align	8
	.type	_ZN7rocprim17ROCPRIM_400000_NS6detail17trampoline_kernelINS0_14default_configENS1_25partition_config_selectorILNS1_17partition_subalgoE6ExNS0_10empty_typeEbEEZZNS1_14partition_implILS5_6ELb0ES3_mN6thrust23THRUST_200600_302600_NS6detail15normal_iteratorINSA_10device_ptrIxEEEEPS6_SG_NS0_5tupleIJSF_S6_EEENSH_IJSG_SG_EEES6_PlJ5mod_3IxEEEE10hipError_tPvRmT3_T4_T5_T6_T7_T9_mT8_P12ihipStream_tbDpT10_ENKUlT_T0_E_clISt17integral_constantIbLb1EES15_IbLb0EEEEDaS11_S12_EUlS11_E_NS1_11comp_targetILNS1_3genE2ELNS1_11target_archE906ELNS1_3gpuE6ELNS1_3repE0EEENS1_30default_config_static_selectorELNS0_4arch9wavefront6targetE0EEEvT1_,@function
_ZN7rocprim17ROCPRIM_400000_NS6detail17trampoline_kernelINS0_14default_configENS1_25partition_config_selectorILNS1_17partition_subalgoE6ExNS0_10empty_typeEbEEZZNS1_14partition_implILS5_6ELb0ES3_mN6thrust23THRUST_200600_302600_NS6detail15normal_iteratorINSA_10device_ptrIxEEEEPS6_SG_NS0_5tupleIJSF_S6_EEENSH_IJSG_SG_EEES6_PlJ5mod_3IxEEEE10hipError_tPvRmT3_T4_T5_T6_T7_T9_mT8_P12ihipStream_tbDpT10_ENKUlT_T0_E_clISt17integral_constantIbLb1EES15_IbLb0EEEEDaS11_S12_EUlS11_E_NS1_11comp_targetILNS1_3genE2ELNS1_11target_archE906ELNS1_3gpuE6ELNS1_3repE0EEENS1_30default_config_static_selectorELNS0_4arch9wavefront6targetE0EEEvT1_: ; @_ZN7rocprim17ROCPRIM_400000_NS6detail17trampoline_kernelINS0_14default_configENS1_25partition_config_selectorILNS1_17partition_subalgoE6ExNS0_10empty_typeEbEEZZNS1_14partition_implILS5_6ELb0ES3_mN6thrust23THRUST_200600_302600_NS6detail15normal_iteratorINSA_10device_ptrIxEEEEPS6_SG_NS0_5tupleIJSF_S6_EEENSH_IJSG_SG_EEES6_PlJ5mod_3IxEEEE10hipError_tPvRmT3_T4_T5_T6_T7_T9_mT8_P12ihipStream_tbDpT10_ENKUlT_T0_E_clISt17integral_constantIbLb1EES15_IbLb0EEEEDaS11_S12_EUlS11_E_NS1_11comp_targetILNS1_3genE2ELNS1_11target_archE906ELNS1_3gpuE6ELNS1_3repE0EEENS1_30default_config_static_selectorELNS0_4arch9wavefront6targetE0EEEvT1_
; %bb.0:
	.section	.rodata,"a",@progbits
	.p2align	6, 0x0
	.amdhsa_kernel _ZN7rocprim17ROCPRIM_400000_NS6detail17trampoline_kernelINS0_14default_configENS1_25partition_config_selectorILNS1_17partition_subalgoE6ExNS0_10empty_typeEbEEZZNS1_14partition_implILS5_6ELb0ES3_mN6thrust23THRUST_200600_302600_NS6detail15normal_iteratorINSA_10device_ptrIxEEEEPS6_SG_NS0_5tupleIJSF_S6_EEENSH_IJSG_SG_EEES6_PlJ5mod_3IxEEEE10hipError_tPvRmT3_T4_T5_T6_T7_T9_mT8_P12ihipStream_tbDpT10_ENKUlT_T0_E_clISt17integral_constantIbLb1EES15_IbLb0EEEEDaS11_S12_EUlS11_E_NS1_11comp_targetILNS1_3genE2ELNS1_11target_archE906ELNS1_3gpuE6ELNS1_3repE0EEENS1_30default_config_static_selectorELNS0_4arch9wavefront6targetE0EEEvT1_
		.amdhsa_group_segment_fixed_size 0
		.amdhsa_private_segment_fixed_size 0
		.amdhsa_kernarg_size 112
		.amdhsa_user_sgpr_count 15
		.amdhsa_user_sgpr_dispatch_ptr 0
		.amdhsa_user_sgpr_queue_ptr 0
		.amdhsa_user_sgpr_kernarg_segment_ptr 1
		.amdhsa_user_sgpr_dispatch_id 0
		.amdhsa_user_sgpr_private_segment_size 0
		.amdhsa_wavefront_size32 1
		.amdhsa_uses_dynamic_stack 0
		.amdhsa_enable_private_segment 0
		.amdhsa_system_sgpr_workgroup_id_x 1
		.amdhsa_system_sgpr_workgroup_id_y 0
		.amdhsa_system_sgpr_workgroup_id_z 0
		.amdhsa_system_sgpr_workgroup_info 0
		.amdhsa_system_vgpr_workitem_id 0
		.amdhsa_next_free_vgpr 1
		.amdhsa_next_free_sgpr 1
		.amdhsa_reserve_vcc 0
		.amdhsa_float_round_mode_32 0
		.amdhsa_float_round_mode_16_64 0
		.amdhsa_float_denorm_mode_32 3
		.amdhsa_float_denorm_mode_16_64 3
		.amdhsa_dx10_clamp 1
		.amdhsa_ieee_mode 1
		.amdhsa_fp16_overflow 0
		.amdhsa_workgroup_processor_mode 1
		.amdhsa_memory_ordered 1
		.amdhsa_forward_progress 0
		.amdhsa_shared_vgpr_count 0
		.amdhsa_exception_fp_ieee_invalid_op 0
		.amdhsa_exception_fp_denorm_src 0
		.amdhsa_exception_fp_ieee_div_zero 0
		.amdhsa_exception_fp_ieee_overflow 0
		.amdhsa_exception_fp_ieee_underflow 0
		.amdhsa_exception_fp_ieee_inexact 0
		.amdhsa_exception_int_div_zero 0
	.end_amdhsa_kernel
	.section	.text._ZN7rocprim17ROCPRIM_400000_NS6detail17trampoline_kernelINS0_14default_configENS1_25partition_config_selectorILNS1_17partition_subalgoE6ExNS0_10empty_typeEbEEZZNS1_14partition_implILS5_6ELb0ES3_mN6thrust23THRUST_200600_302600_NS6detail15normal_iteratorINSA_10device_ptrIxEEEEPS6_SG_NS0_5tupleIJSF_S6_EEENSH_IJSG_SG_EEES6_PlJ5mod_3IxEEEE10hipError_tPvRmT3_T4_T5_T6_T7_T9_mT8_P12ihipStream_tbDpT10_ENKUlT_T0_E_clISt17integral_constantIbLb1EES15_IbLb0EEEEDaS11_S12_EUlS11_E_NS1_11comp_targetILNS1_3genE2ELNS1_11target_archE906ELNS1_3gpuE6ELNS1_3repE0EEENS1_30default_config_static_selectorELNS0_4arch9wavefront6targetE0EEEvT1_,"axG",@progbits,_ZN7rocprim17ROCPRIM_400000_NS6detail17trampoline_kernelINS0_14default_configENS1_25partition_config_selectorILNS1_17partition_subalgoE6ExNS0_10empty_typeEbEEZZNS1_14partition_implILS5_6ELb0ES3_mN6thrust23THRUST_200600_302600_NS6detail15normal_iteratorINSA_10device_ptrIxEEEEPS6_SG_NS0_5tupleIJSF_S6_EEENSH_IJSG_SG_EEES6_PlJ5mod_3IxEEEE10hipError_tPvRmT3_T4_T5_T6_T7_T9_mT8_P12ihipStream_tbDpT10_ENKUlT_T0_E_clISt17integral_constantIbLb1EES15_IbLb0EEEEDaS11_S12_EUlS11_E_NS1_11comp_targetILNS1_3genE2ELNS1_11target_archE906ELNS1_3gpuE6ELNS1_3repE0EEENS1_30default_config_static_selectorELNS0_4arch9wavefront6targetE0EEEvT1_,comdat
.Lfunc_end572:
	.size	_ZN7rocprim17ROCPRIM_400000_NS6detail17trampoline_kernelINS0_14default_configENS1_25partition_config_selectorILNS1_17partition_subalgoE6ExNS0_10empty_typeEbEEZZNS1_14partition_implILS5_6ELb0ES3_mN6thrust23THRUST_200600_302600_NS6detail15normal_iteratorINSA_10device_ptrIxEEEEPS6_SG_NS0_5tupleIJSF_S6_EEENSH_IJSG_SG_EEES6_PlJ5mod_3IxEEEE10hipError_tPvRmT3_T4_T5_T6_T7_T9_mT8_P12ihipStream_tbDpT10_ENKUlT_T0_E_clISt17integral_constantIbLb1EES15_IbLb0EEEEDaS11_S12_EUlS11_E_NS1_11comp_targetILNS1_3genE2ELNS1_11target_archE906ELNS1_3gpuE6ELNS1_3repE0EEENS1_30default_config_static_selectorELNS0_4arch9wavefront6targetE0EEEvT1_, .Lfunc_end572-_ZN7rocprim17ROCPRIM_400000_NS6detail17trampoline_kernelINS0_14default_configENS1_25partition_config_selectorILNS1_17partition_subalgoE6ExNS0_10empty_typeEbEEZZNS1_14partition_implILS5_6ELb0ES3_mN6thrust23THRUST_200600_302600_NS6detail15normal_iteratorINSA_10device_ptrIxEEEEPS6_SG_NS0_5tupleIJSF_S6_EEENSH_IJSG_SG_EEES6_PlJ5mod_3IxEEEE10hipError_tPvRmT3_T4_T5_T6_T7_T9_mT8_P12ihipStream_tbDpT10_ENKUlT_T0_E_clISt17integral_constantIbLb1EES15_IbLb0EEEEDaS11_S12_EUlS11_E_NS1_11comp_targetILNS1_3genE2ELNS1_11target_archE906ELNS1_3gpuE6ELNS1_3repE0EEENS1_30default_config_static_selectorELNS0_4arch9wavefront6targetE0EEEvT1_
                                        ; -- End function
	.section	.AMDGPU.csdata,"",@progbits
; Kernel info:
; codeLenInByte = 0
; NumSgprs: 0
; NumVgprs: 0
; ScratchSize: 0
; MemoryBound: 0
; FloatMode: 240
; IeeeMode: 1
; LDSByteSize: 0 bytes/workgroup (compile time only)
; SGPRBlocks: 0
; VGPRBlocks: 0
; NumSGPRsForWavesPerEU: 1
; NumVGPRsForWavesPerEU: 1
; Occupancy: 16
; WaveLimiterHint : 0
; COMPUTE_PGM_RSRC2:SCRATCH_EN: 0
; COMPUTE_PGM_RSRC2:USER_SGPR: 15
; COMPUTE_PGM_RSRC2:TRAP_HANDLER: 0
; COMPUTE_PGM_RSRC2:TGID_X_EN: 1
; COMPUTE_PGM_RSRC2:TGID_Y_EN: 0
; COMPUTE_PGM_RSRC2:TGID_Z_EN: 0
; COMPUTE_PGM_RSRC2:TIDIG_COMP_CNT: 0
	.section	.text._ZN7rocprim17ROCPRIM_400000_NS6detail17trampoline_kernelINS0_14default_configENS1_25partition_config_selectorILNS1_17partition_subalgoE6ExNS0_10empty_typeEbEEZZNS1_14partition_implILS5_6ELb0ES3_mN6thrust23THRUST_200600_302600_NS6detail15normal_iteratorINSA_10device_ptrIxEEEEPS6_SG_NS0_5tupleIJSF_S6_EEENSH_IJSG_SG_EEES6_PlJ5mod_3IxEEEE10hipError_tPvRmT3_T4_T5_T6_T7_T9_mT8_P12ihipStream_tbDpT10_ENKUlT_T0_E_clISt17integral_constantIbLb1EES15_IbLb0EEEEDaS11_S12_EUlS11_E_NS1_11comp_targetILNS1_3genE10ELNS1_11target_archE1200ELNS1_3gpuE4ELNS1_3repE0EEENS1_30default_config_static_selectorELNS0_4arch9wavefront6targetE0EEEvT1_,"axG",@progbits,_ZN7rocprim17ROCPRIM_400000_NS6detail17trampoline_kernelINS0_14default_configENS1_25partition_config_selectorILNS1_17partition_subalgoE6ExNS0_10empty_typeEbEEZZNS1_14partition_implILS5_6ELb0ES3_mN6thrust23THRUST_200600_302600_NS6detail15normal_iteratorINSA_10device_ptrIxEEEEPS6_SG_NS0_5tupleIJSF_S6_EEENSH_IJSG_SG_EEES6_PlJ5mod_3IxEEEE10hipError_tPvRmT3_T4_T5_T6_T7_T9_mT8_P12ihipStream_tbDpT10_ENKUlT_T0_E_clISt17integral_constantIbLb1EES15_IbLb0EEEEDaS11_S12_EUlS11_E_NS1_11comp_targetILNS1_3genE10ELNS1_11target_archE1200ELNS1_3gpuE4ELNS1_3repE0EEENS1_30default_config_static_selectorELNS0_4arch9wavefront6targetE0EEEvT1_,comdat
	.protected	_ZN7rocprim17ROCPRIM_400000_NS6detail17trampoline_kernelINS0_14default_configENS1_25partition_config_selectorILNS1_17partition_subalgoE6ExNS0_10empty_typeEbEEZZNS1_14partition_implILS5_6ELb0ES3_mN6thrust23THRUST_200600_302600_NS6detail15normal_iteratorINSA_10device_ptrIxEEEEPS6_SG_NS0_5tupleIJSF_S6_EEENSH_IJSG_SG_EEES6_PlJ5mod_3IxEEEE10hipError_tPvRmT3_T4_T5_T6_T7_T9_mT8_P12ihipStream_tbDpT10_ENKUlT_T0_E_clISt17integral_constantIbLb1EES15_IbLb0EEEEDaS11_S12_EUlS11_E_NS1_11comp_targetILNS1_3genE10ELNS1_11target_archE1200ELNS1_3gpuE4ELNS1_3repE0EEENS1_30default_config_static_selectorELNS0_4arch9wavefront6targetE0EEEvT1_ ; -- Begin function _ZN7rocprim17ROCPRIM_400000_NS6detail17trampoline_kernelINS0_14default_configENS1_25partition_config_selectorILNS1_17partition_subalgoE6ExNS0_10empty_typeEbEEZZNS1_14partition_implILS5_6ELb0ES3_mN6thrust23THRUST_200600_302600_NS6detail15normal_iteratorINSA_10device_ptrIxEEEEPS6_SG_NS0_5tupleIJSF_S6_EEENSH_IJSG_SG_EEES6_PlJ5mod_3IxEEEE10hipError_tPvRmT3_T4_T5_T6_T7_T9_mT8_P12ihipStream_tbDpT10_ENKUlT_T0_E_clISt17integral_constantIbLb1EES15_IbLb0EEEEDaS11_S12_EUlS11_E_NS1_11comp_targetILNS1_3genE10ELNS1_11target_archE1200ELNS1_3gpuE4ELNS1_3repE0EEENS1_30default_config_static_selectorELNS0_4arch9wavefront6targetE0EEEvT1_
	.globl	_ZN7rocprim17ROCPRIM_400000_NS6detail17trampoline_kernelINS0_14default_configENS1_25partition_config_selectorILNS1_17partition_subalgoE6ExNS0_10empty_typeEbEEZZNS1_14partition_implILS5_6ELb0ES3_mN6thrust23THRUST_200600_302600_NS6detail15normal_iteratorINSA_10device_ptrIxEEEEPS6_SG_NS0_5tupleIJSF_S6_EEENSH_IJSG_SG_EEES6_PlJ5mod_3IxEEEE10hipError_tPvRmT3_T4_T5_T6_T7_T9_mT8_P12ihipStream_tbDpT10_ENKUlT_T0_E_clISt17integral_constantIbLb1EES15_IbLb0EEEEDaS11_S12_EUlS11_E_NS1_11comp_targetILNS1_3genE10ELNS1_11target_archE1200ELNS1_3gpuE4ELNS1_3repE0EEENS1_30default_config_static_selectorELNS0_4arch9wavefront6targetE0EEEvT1_
	.p2align	8
	.type	_ZN7rocprim17ROCPRIM_400000_NS6detail17trampoline_kernelINS0_14default_configENS1_25partition_config_selectorILNS1_17partition_subalgoE6ExNS0_10empty_typeEbEEZZNS1_14partition_implILS5_6ELb0ES3_mN6thrust23THRUST_200600_302600_NS6detail15normal_iteratorINSA_10device_ptrIxEEEEPS6_SG_NS0_5tupleIJSF_S6_EEENSH_IJSG_SG_EEES6_PlJ5mod_3IxEEEE10hipError_tPvRmT3_T4_T5_T6_T7_T9_mT8_P12ihipStream_tbDpT10_ENKUlT_T0_E_clISt17integral_constantIbLb1EES15_IbLb0EEEEDaS11_S12_EUlS11_E_NS1_11comp_targetILNS1_3genE10ELNS1_11target_archE1200ELNS1_3gpuE4ELNS1_3repE0EEENS1_30default_config_static_selectorELNS0_4arch9wavefront6targetE0EEEvT1_,@function
_ZN7rocprim17ROCPRIM_400000_NS6detail17trampoline_kernelINS0_14default_configENS1_25partition_config_selectorILNS1_17partition_subalgoE6ExNS0_10empty_typeEbEEZZNS1_14partition_implILS5_6ELb0ES3_mN6thrust23THRUST_200600_302600_NS6detail15normal_iteratorINSA_10device_ptrIxEEEEPS6_SG_NS0_5tupleIJSF_S6_EEENSH_IJSG_SG_EEES6_PlJ5mod_3IxEEEE10hipError_tPvRmT3_T4_T5_T6_T7_T9_mT8_P12ihipStream_tbDpT10_ENKUlT_T0_E_clISt17integral_constantIbLb1EES15_IbLb0EEEEDaS11_S12_EUlS11_E_NS1_11comp_targetILNS1_3genE10ELNS1_11target_archE1200ELNS1_3gpuE4ELNS1_3repE0EEENS1_30default_config_static_selectorELNS0_4arch9wavefront6targetE0EEEvT1_: ; @_ZN7rocprim17ROCPRIM_400000_NS6detail17trampoline_kernelINS0_14default_configENS1_25partition_config_selectorILNS1_17partition_subalgoE6ExNS0_10empty_typeEbEEZZNS1_14partition_implILS5_6ELb0ES3_mN6thrust23THRUST_200600_302600_NS6detail15normal_iteratorINSA_10device_ptrIxEEEEPS6_SG_NS0_5tupleIJSF_S6_EEENSH_IJSG_SG_EEES6_PlJ5mod_3IxEEEE10hipError_tPvRmT3_T4_T5_T6_T7_T9_mT8_P12ihipStream_tbDpT10_ENKUlT_T0_E_clISt17integral_constantIbLb1EES15_IbLb0EEEEDaS11_S12_EUlS11_E_NS1_11comp_targetILNS1_3genE10ELNS1_11target_archE1200ELNS1_3gpuE4ELNS1_3repE0EEENS1_30default_config_static_selectorELNS0_4arch9wavefront6targetE0EEEvT1_
; %bb.0:
	.section	.rodata,"a",@progbits
	.p2align	6, 0x0
	.amdhsa_kernel _ZN7rocprim17ROCPRIM_400000_NS6detail17trampoline_kernelINS0_14default_configENS1_25partition_config_selectorILNS1_17partition_subalgoE6ExNS0_10empty_typeEbEEZZNS1_14partition_implILS5_6ELb0ES3_mN6thrust23THRUST_200600_302600_NS6detail15normal_iteratorINSA_10device_ptrIxEEEEPS6_SG_NS0_5tupleIJSF_S6_EEENSH_IJSG_SG_EEES6_PlJ5mod_3IxEEEE10hipError_tPvRmT3_T4_T5_T6_T7_T9_mT8_P12ihipStream_tbDpT10_ENKUlT_T0_E_clISt17integral_constantIbLb1EES15_IbLb0EEEEDaS11_S12_EUlS11_E_NS1_11comp_targetILNS1_3genE10ELNS1_11target_archE1200ELNS1_3gpuE4ELNS1_3repE0EEENS1_30default_config_static_selectorELNS0_4arch9wavefront6targetE0EEEvT1_
		.amdhsa_group_segment_fixed_size 0
		.amdhsa_private_segment_fixed_size 0
		.amdhsa_kernarg_size 112
		.amdhsa_user_sgpr_count 15
		.amdhsa_user_sgpr_dispatch_ptr 0
		.amdhsa_user_sgpr_queue_ptr 0
		.amdhsa_user_sgpr_kernarg_segment_ptr 1
		.amdhsa_user_sgpr_dispatch_id 0
		.amdhsa_user_sgpr_private_segment_size 0
		.amdhsa_wavefront_size32 1
		.amdhsa_uses_dynamic_stack 0
		.amdhsa_enable_private_segment 0
		.amdhsa_system_sgpr_workgroup_id_x 1
		.amdhsa_system_sgpr_workgroup_id_y 0
		.amdhsa_system_sgpr_workgroup_id_z 0
		.amdhsa_system_sgpr_workgroup_info 0
		.amdhsa_system_vgpr_workitem_id 0
		.amdhsa_next_free_vgpr 1
		.amdhsa_next_free_sgpr 1
		.amdhsa_reserve_vcc 0
		.amdhsa_float_round_mode_32 0
		.amdhsa_float_round_mode_16_64 0
		.amdhsa_float_denorm_mode_32 3
		.amdhsa_float_denorm_mode_16_64 3
		.amdhsa_dx10_clamp 1
		.amdhsa_ieee_mode 1
		.amdhsa_fp16_overflow 0
		.amdhsa_workgroup_processor_mode 1
		.amdhsa_memory_ordered 1
		.amdhsa_forward_progress 0
		.amdhsa_shared_vgpr_count 0
		.amdhsa_exception_fp_ieee_invalid_op 0
		.amdhsa_exception_fp_denorm_src 0
		.amdhsa_exception_fp_ieee_div_zero 0
		.amdhsa_exception_fp_ieee_overflow 0
		.amdhsa_exception_fp_ieee_underflow 0
		.amdhsa_exception_fp_ieee_inexact 0
		.amdhsa_exception_int_div_zero 0
	.end_amdhsa_kernel
	.section	.text._ZN7rocprim17ROCPRIM_400000_NS6detail17trampoline_kernelINS0_14default_configENS1_25partition_config_selectorILNS1_17partition_subalgoE6ExNS0_10empty_typeEbEEZZNS1_14partition_implILS5_6ELb0ES3_mN6thrust23THRUST_200600_302600_NS6detail15normal_iteratorINSA_10device_ptrIxEEEEPS6_SG_NS0_5tupleIJSF_S6_EEENSH_IJSG_SG_EEES6_PlJ5mod_3IxEEEE10hipError_tPvRmT3_T4_T5_T6_T7_T9_mT8_P12ihipStream_tbDpT10_ENKUlT_T0_E_clISt17integral_constantIbLb1EES15_IbLb0EEEEDaS11_S12_EUlS11_E_NS1_11comp_targetILNS1_3genE10ELNS1_11target_archE1200ELNS1_3gpuE4ELNS1_3repE0EEENS1_30default_config_static_selectorELNS0_4arch9wavefront6targetE0EEEvT1_,"axG",@progbits,_ZN7rocprim17ROCPRIM_400000_NS6detail17trampoline_kernelINS0_14default_configENS1_25partition_config_selectorILNS1_17partition_subalgoE6ExNS0_10empty_typeEbEEZZNS1_14partition_implILS5_6ELb0ES3_mN6thrust23THRUST_200600_302600_NS6detail15normal_iteratorINSA_10device_ptrIxEEEEPS6_SG_NS0_5tupleIJSF_S6_EEENSH_IJSG_SG_EEES6_PlJ5mod_3IxEEEE10hipError_tPvRmT3_T4_T5_T6_T7_T9_mT8_P12ihipStream_tbDpT10_ENKUlT_T0_E_clISt17integral_constantIbLb1EES15_IbLb0EEEEDaS11_S12_EUlS11_E_NS1_11comp_targetILNS1_3genE10ELNS1_11target_archE1200ELNS1_3gpuE4ELNS1_3repE0EEENS1_30default_config_static_selectorELNS0_4arch9wavefront6targetE0EEEvT1_,comdat
.Lfunc_end573:
	.size	_ZN7rocprim17ROCPRIM_400000_NS6detail17trampoline_kernelINS0_14default_configENS1_25partition_config_selectorILNS1_17partition_subalgoE6ExNS0_10empty_typeEbEEZZNS1_14partition_implILS5_6ELb0ES3_mN6thrust23THRUST_200600_302600_NS6detail15normal_iteratorINSA_10device_ptrIxEEEEPS6_SG_NS0_5tupleIJSF_S6_EEENSH_IJSG_SG_EEES6_PlJ5mod_3IxEEEE10hipError_tPvRmT3_T4_T5_T6_T7_T9_mT8_P12ihipStream_tbDpT10_ENKUlT_T0_E_clISt17integral_constantIbLb1EES15_IbLb0EEEEDaS11_S12_EUlS11_E_NS1_11comp_targetILNS1_3genE10ELNS1_11target_archE1200ELNS1_3gpuE4ELNS1_3repE0EEENS1_30default_config_static_selectorELNS0_4arch9wavefront6targetE0EEEvT1_, .Lfunc_end573-_ZN7rocprim17ROCPRIM_400000_NS6detail17trampoline_kernelINS0_14default_configENS1_25partition_config_selectorILNS1_17partition_subalgoE6ExNS0_10empty_typeEbEEZZNS1_14partition_implILS5_6ELb0ES3_mN6thrust23THRUST_200600_302600_NS6detail15normal_iteratorINSA_10device_ptrIxEEEEPS6_SG_NS0_5tupleIJSF_S6_EEENSH_IJSG_SG_EEES6_PlJ5mod_3IxEEEE10hipError_tPvRmT3_T4_T5_T6_T7_T9_mT8_P12ihipStream_tbDpT10_ENKUlT_T0_E_clISt17integral_constantIbLb1EES15_IbLb0EEEEDaS11_S12_EUlS11_E_NS1_11comp_targetILNS1_3genE10ELNS1_11target_archE1200ELNS1_3gpuE4ELNS1_3repE0EEENS1_30default_config_static_selectorELNS0_4arch9wavefront6targetE0EEEvT1_
                                        ; -- End function
	.section	.AMDGPU.csdata,"",@progbits
; Kernel info:
; codeLenInByte = 0
; NumSgprs: 0
; NumVgprs: 0
; ScratchSize: 0
; MemoryBound: 0
; FloatMode: 240
; IeeeMode: 1
; LDSByteSize: 0 bytes/workgroup (compile time only)
; SGPRBlocks: 0
; VGPRBlocks: 0
; NumSGPRsForWavesPerEU: 1
; NumVGPRsForWavesPerEU: 1
; Occupancy: 16
; WaveLimiterHint : 0
; COMPUTE_PGM_RSRC2:SCRATCH_EN: 0
; COMPUTE_PGM_RSRC2:USER_SGPR: 15
; COMPUTE_PGM_RSRC2:TRAP_HANDLER: 0
; COMPUTE_PGM_RSRC2:TGID_X_EN: 1
; COMPUTE_PGM_RSRC2:TGID_Y_EN: 0
; COMPUTE_PGM_RSRC2:TGID_Z_EN: 0
; COMPUTE_PGM_RSRC2:TIDIG_COMP_CNT: 0
	.section	.text._ZN7rocprim17ROCPRIM_400000_NS6detail17trampoline_kernelINS0_14default_configENS1_25partition_config_selectorILNS1_17partition_subalgoE6ExNS0_10empty_typeEbEEZZNS1_14partition_implILS5_6ELb0ES3_mN6thrust23THRUST_200600_302600_NS6detail15normal_iteratorINSA_10device_ptrIxEEEEPS6_SG_NS0_5tupleIJSF_S6_EEENSH_IJSG_SG_EEES6_PlJ5mod_3IxEEEE10hipError_tPvRmT3_T4_T5_T6_T7_T9_mT8_P12ihipStream_tbDpT10_ENKUlT_T0_E_clISt17integral_constantIbLb1EES15_IbLb0EEEEDaS11_S12_EUlS11_E_NS1_11comp_targetILNS1_3genE9ELNS1_11target_archE1100ELNS1_3gpuE3ELNS1_3repE0EEENS1_30default_config_static_selectorELNS0_4arch9wavefront6targetE0EEEvT1_,"axG",@progbits,_ZN7rocprim17ROCPRIM_400000_NS6detail17trampoline_kernelINS0_14default_configENS1_25partition_config_selectorILNS1_17partition_subalgoE6ExNS0_10empty_typeEbEEZZNS1_14partition_implILS5_6ELb0ES3_mN6thrust23THRUST_200600_302600_NS6detail15normal_iteratorINSA_10device_ptrIxEEEEPS6_SG_NS0_5tupleIJSF_S6_EEENSH_IJSG_SG_EEES6_PlJ5mod_3IxEEEE10hipError_tPvRmT3_T4_T5_T6_T7_T9_mT8_P12ihipStream_tbDpT10_ENKUlT_T0_E_clISt17integral_constantIbLb1EES15_IbLb0EEEEDaS11_S12_EUlS11_E_NS1_11comp_targetILNS1_3genE9ELNS1_11target_archE1100ELNS1_3gpuE3ELNS1_3repE0EEENS1_30default_config_static_selectorELNS0_4arch9wavefront6targetE0EEEvT1_,comdat
	.protected	_ZN7rocprim17ROCPRIM_400000_NS6detail17trampoline_kernelINS0_14default_configENS1_25partition_config_selectorILNS1_17partition_subalgoE6ExNS0_10empty_typeEbEEZZNS1_14partition_implILS5_6ELb0ES3_mN6thrust23THRUST_200600_302600_NS6detail15normal_iteratorINSA_10device_ptrIxEEEEPS6_SG_NS0_5tupleIJSF_S6_EEENSH_IJSG_SG_EEES6_PlJ5mod_3IxEEEE10hipError_tPvRmT3_T4_T5_T6_T7_T9_mT8_P12ihipStream_tbDpT10_ENKUlT_T0_E_clISt17integral_constantIbLb1EES15_IbLb0EEEEDaS11_S12_EUlS11_E_NS1_11comp_targetILNS1_3genE9ELNS1_11target_archE1100ELNS1_3gpuE3ELNS1_3repE0EEENS1_30default_config_static_selectorELNS0_4arch9wavefront6targetE0EEEvT1_ ; -- Begin function _ZN7rocprim17ROCPRIM_400000_NS6detail17trampoline_kernelINS0_14default_configENS1_25partition_config_selectorILNS1_17partition_subalgoE6ExNS0_10empty_typeEbEEZZNS1_14partition_implILS5_6ELb0ES3_mN6thrust23THRUST_200600_302600_NS6detail15normal_iteratorINSA_10device_ptrIxEEEEPS6_SG_NS0_5tupleIJSF_S6_EEENSH_IJSG_SG_EEES6_PlJ5mod_3IxEEEE10hipError_tPvRmT3_T4_T5_T6_T7_T9_mT8_P12ihipStream_tbDpT10_ENKUlT_T0_E_clISt17integral_constantIbLb1EES15_IbLb0EEEEDaS11_S12_EUlS11_E_NS1_11comp_targetILNS1_3genE9ELNS1_11target_archE1100ELNS1_3gpuE3ELNS1_3repE0EEENS1_30default_config_static_selectorELNS0_4arch9wavefront6targetE0EEEvT1_
	.globl	_ZN7rocprim17ROCPRIM_400000_NS6detail17trampoline_kernelINS0_14default_configENS1_25partition_config_selectorILNS1_17partition_subalgoE6ExNS0_10empty_typeEbEEZZNS1_14partition_implILS5_6ELb0ES3_mN6thrust23THRUST_200600_302600_NS6detail15normal_iteratorINSA_10device_ptrIxEEEEPS6_SG_NS0_5tupleIJSF_S6_EEENSH_IJSG_SG_EEES6_PlJ5mod_3IxEEEE10hipError_tPvRmT3_T4_T5_T6_T7_T9_mT8_P12ihipStream_tbDpT10_ENKUlT_T0_E_clISt17integral_constantIbLb1EES15_IbLb0EEEEDaS11_S12_EUlS11_E_NS1_11comp_targetILNS1_3genE9ELNS1_11target_archE1100ELNS1_3gpuE3ELNS1_3repE0EEENS1_30default_config_static_selectorELNS0_4arch9wavefront6targetE0EEEvT1_
	.p2align	8
	.type	_ZN7rocprim17ROCPRIM_400000_NS6detail17trampoline_kernelINS0_14default_configENS1_25partition_config_selectorILNS1_17partition_subalgoE6ExNS0_10empty_typeEbEEZZNS1_14partition_implILS5_6ELb0ES3_mN6thrust23THRUST_200600_302600_NS6detail15normal_iteratorINSA_10device_ptrIxEEEEPS6_SG_NS0_5tupleIJSF_S6_EEENSH_IJSG_SG_EEES6_PlJ5mod_3IxEEEE10hipError_tPvRmT3_T4_T5_T6_T7_T9_mT8_P12ihipStream_tbDpT10_ENKUlT_T0_E_clISt17integral_constantIbLb1EES15_IbLb0EEEEDaS11_S12_EUlS11_E_NS1_11comp_targetILNS1_3genE9ELNS1_11target_archE1100ELNS1_3gpuE3ELNS1_3repE0EEENS1_30default_config_static_selectorELNS0_4arch9wavefront6targetE0EEEvT1_,@function
_ZN7rocprim17ROCPRIM_400000_NS6detail17trampoline_kernelINS0_14default_configENS1_25partition_config_selectorILNS1_17partition_subalgoE6ExNS0_10empty_typeEbEEZZNS1_14partition_implILS5_6ELb0ES3_mN6thrust23THRUST_200600_302600_NS6detail15normal_iteratorINSA_10device_ptrIxEEEEPS6_SG_NS0_5tupleIJSF_S6_EEENSH_IJSG_SG_EEES6_PlJ5mod_3IxEEEE10hipError_tPvRmT3_T4_T5_T6_T7_T9_mT8_P12ihipStream_tbDpT10_ENKUlT_T0_E_clISt17integral_constantIbLb1EES15_IbLb0EEEEDaS11_S12_EUlS11_E_NS1_11comp_targetILNS1_3genE9ELNS1_11target_archE1100ELNS1_3gpuE3ELNS1_3repE0EEENS1_30default_config_static_selectorELNS0_4arch9wavefront6targetE0EEEvT1_: ; @_ZN7rocprim17ROCPRIM_400000_NS6detail17trampoline_kernelINS0_14default_configENS1_25partition_config_selectorILNS1_17partition_subalgoE6ExNS0_10empty_typeEbEEZZNS1_14partition_implILS5_6ELb0ES3_mN6thrust23THRUST_200600_302600_NS6detail15normal_iteratorINSA_10device_ptrIxEEEEPS6_SG_NS0_5tupleIJSF_S6_EEENSH_IJSG_SG_EEES6_PlJ5mod_3IxEEEE10hipError_tPvRmT3_T4_T5_T6_T7_T9_mT8_P12ihipStream_tbDpT10_ENKUlT_T0_E_clISt17integral_constantIbLb1EES15_IbLb0EEEEDaS11_S12_EUlS11_E_NS1_11comp_targetILNS1_3genE9ELNS1_11target_archE1100ELNS1_3gpuE3ELNS1_3repE0EEENS1_30default_config_static_selectorELNS0_4arch9wavefront6targetE0EEEvT1_
; %bb.0:
	s_clause 0x3
	s_load_b128 s[8:11], s[0:1], 0x8
	s_load_b128 s[4:7], s[0:1], 0x40
	s_load_b32 s14, s[0:1], 0x68
	s_load_b64 s[12:13], s[0:1], 0x50
	s_waitcnt lgkmcnt(0)
	s_lshl_b64 s[2:3], s[10:11], 3
	s_load_b64 s[6:7], s[6:7], 0x0
	s_mul_i32 s16, s14, 0x900
	s_add_u32 s17, s8, s2
	s_addc_u32 s18, s9, s3
	s_add_i32 s2, s16, s10
	s_add_i32 s14, s14, -1
	s_sub_i32 s2, s12, s2
	s_add_u32 s8, s10, s16
	s_addc_u32 s9, s11, 0
	s_cmp_eq_u32 s15, s14
	v_cmp_ge_u64_e64 s3, s[8:9], s[12:13]
	s_cselect_b32 s12, -1, 0
	s_mov_b32 s9, 0
	s_mul_i32 s8, s15, 0x900
	s_delay_alu instid0(SALU_CYCLE_1) | instskip(NEXT) | instid1(VALU_DEP_1)
	s_lshl_b64 s[8:9], s[8:9], 3
	s_and_b32 s3, s12, s3
	s_delay_alu instid0(SALU_CYCLE_1)
	s_xor_b32 s13, s3, -1
	s_add_u32 s3, s17, s8
	s_addc_u32 s8, s18, s9
	s_and_b32 vcc_lo, exec_lo, s13
	s_mov_b32 s9, -1
	s_cbranch_vccz .LBB574_2
; %bb.1:
	v_lshlrev_b32_e32 v13, 3, v0
	s_delay_alu instid0(VALU_DEP_1) | instskip(NEXT) | instid1(VALU_DEP_1)
	v_add_co_u32 v1, s9, s3, v13
	v_add_co_ci_u32_e64 v2, null, s8, 0, s9
	s_mov_b32 s9, 0
	s_delay_alu instid0(VALU_DEP_2) | instskip(NEXT) | instid1(VALU_DEP_2)
	v_add_co_u32 v3, vcc_lo, 0x1000, v1
	v_add_co_ci_u32_e32 v4, vcc_lo, 0, v2, vcc_lo
	v_add_co_u32 v5, vcc_lo, 0x2000, v1
	v_add_co_ci_u32_e32 v6, vcc_lo, 0, v2, vcc_lo
	;; [unrolled: 2-line block ×3, first 2 shown]
	s_clause 0x5
	flat_load_b64 v[9:10], v[1:2]
	flat_load_b64 v[1:2], v[1:2] offset:3072
	flat_load_b64 v[3:4], v[3:4] offset:2048
	;; [unrolled: 1-line block ×3, first 2 shown]
	flat_load_b64 v[11:12], v[7:8]
	flat_load_b64 v[7:8], v[7:8] offset:3072
	s_waitcnt vmcnt(4) lgkmcnt(0)
	ds_store_2addr_stride64_b64 v13, v[9:10], v[1:2] offset1:6
	s_waitcnt vmcnt(2)
	ds_store_2addr_stride64_b64 v13, v[3:4], v[5:6] offset0:12 offset1:18
	s_waitcnt vmcnt(0)
	ds_store_2addr_stride64_b64 v13, v[11:12], v[7:8] offset0:24 offset1:30
	s_waitcnt lgkmcnt(0)
	s_barrier
.LBB574_2:
	s_and_not1_b32 vcc_lo, exec_lo, s9
	s_addk_i32 s2, 0x900
	s_cbranch_vccnz .LBB574_16
; %bb.3:
	s_mov_b32 s9, exec_lo
                                        ; implicit-def: $vgpr1_vgpr2_vgpr3_vgpr4_vgpr5_vgpr6_vgpr7_vgpr8_vgpr9_vgpr10_vgpr11_vgpr12_vgpr13_vgpr14_vgpr15_vgpr16
	v_cmpx_gt_u32_e64 s2, v0
	s_cbranch_execz .LBB574_5
; %bb.4:
	v_lshlrev_b32_e32 v1, 3, v0
	s_delay_alu instid0(VALU_DEP_1) | instskip(NEXT) | instid1(VALU_DEP_1)
	v_add_co_u32 v1, s10, s3, v1
	v_add_co_ci_u32_e64 v2, null, s8, 0, s10
	flat_load_b64 v[1:2], v[1:2]
.LBB574_5:
	s_or_b32 exec_lo, exec_lo, s9
	v_add_nc_u32_e32 v13, 0x180, v0
	s_mov_b32 s9, exec_lo
	s_delay_alu instid0(VALU_DEP_1)
	v_cmpx_gt_u32_e64 s2, v13
	s_cbranch_execz .LBB574_7
; %bb.6:
	v_lshlrev_b32_e32 v3, 3, v0
	s_delay_alu instid0(VALU_DEP_1) | instskip(NEXT) | instid1(VALU_DEP_1)
	v_add_co_u32 v3, s10, s3, v3
	v_add_co_ci_u32_e64 v4, null, s8, 0, s10
	flat_load_b64 v[3:4], v[3:4] offset:3072
.LBB574_7:
	s_or_b32 exec_lo, exec_lo, s9
	v_add_nc_u32_e32 v13, 0x300, v0
	s_mov_b32 s9, exec_lo
	s_delay_alu instid0(VALU_DEP_1)
	v_cmpx_gt_u32_e64 s2, v13
	s_cbranch_execz .LBB574_9
; %bb.8:
	v_lshlrev_b32_e32 v5, 3, v13
	s_delay_alu instid0(VALU_DEP_1) | instskip(NEXT) | instid1(VALU_DEP_1)
	v_add_co_u32 v5, s10, s3, v5
	v_add_co_ci_u32_e64 v6, null, s8, 0, s10
	flat_load_b64 v[5:6], v[5:6]
.LBB574_9:
	s_or_b32 exec_lo, exec_lo, s9
	v_add_nc_u32_e32 v13, 0x480, v0
	s_mov_b32 s9, exec_lo
	s_delay_alu instid0(VALU_DEP_1)
	v_cmpx_gt_u32_e64 s2, v13
	s_cbranch_execz .LBB574_11
; %bb.10:
	v_lshlrev_b32_e32 v7, 3, v13
	s_delay_alu instid0(VALU_DEP_1) | instskip(NEXT) | instid1(VALU_DEP_1)
	v_add_co_u32 v7, s10, s3, v7
	v_add_co_ci_u32_e64 v8, null, s8, 0, s10
	flat_load_b64 v[7:8], v[7:8]
.LBB574_11:
	s_or_b32 exec_lo, exec_lo, s9
	v_or_b32_e32 v13, 0x600, v0
	s_mov_b32 s9, exec_lo
	s_delay_alu instid0(VALU_DEP_1)
	v_cmpx_gt_u32_e64 s2, v13
	s_cbranch_execz .LBB574_13
; %bb.12:
	v_lshlrev_b32_e32 v9, 3, v13
	s_delay_alu instid0(VALU_DEP_1) | instskip(NEXT) | instid1(VALU_DEP_1)
	v_add_co_u32 v9, s10, s3, v9
	v_add_co_ci_u32_e64 v10, null, s8, 0, s10
	flat_load_b64 v[9:10], v[9:10]
.LBB574_13:
	s_or_b32 exec_lo, exec_lo, s9
	v_add_nc_u32_e32 v13, 0x780, v0
	s_mov_b32 s9, exec_lo
	s_delay_alu instid0(VALU_DEP_1)
	v_cmpx_gt_u32_e64 s2, v13
	s_cbranch_execz .LBB574_15
; %bb.14:
	v_lshlrev_b32_e32 v11, 3, v13
	s_delay_alu instid0(VALU_DEP_1) | instskip(NEXT) | instid1(VALU_DEP_1)
	v_add_co_u32 v11, s3, s3, v11
	v_add_co_ci_u32_e64 v12, null, s8, 0, s3
	flat_load_b64 v[11:12], v[11:12]
.LBB574_15:
	s_or_b32 exec_lo, exec_lo, s9
	v_lshlrev_b32_e32 v13, 3, v0
	s_waitcnt vmcnt(0) lgkmcnt(0)
	ds_store_2addr_stride64_b64 v13, v[1:2], v[3:4] offset1:6
	ds_store_2addr_stride64_b64 v13, v[5:6], v[7:8] offset0:12 offset1:18
	ds_store_2addr_stride64_b64 v13, v[9:10], v[11:12] offset0:24 offset1:30
	s_waitcnt lgkmcnt(0)
	s_barrier
.LBB574_16:
	v_mul_u32_u24_e32 v13, 6, v0
	s_waitcnt lgkmcnt(0)
	buffer_gl0_inv
	s_and_not1_b32 vcc_lo, exec_lo, s13
	v_lshlrev_b32_e32 v35, 3, v13
	ds_load_b128 v[9:12], v35
	ds_load_b128 v[5:8], v35 offset:16
	ds_load_b128 v[1:4], v35 offset:32
	s_waitcnt lgkmcnt(0)
	s_barrier
	buffer_gl0_inv
	s_cbranch_vccnz .LBB574_18
; %bb.17:
	v_mul_lo_u32 v14, 0xaaaaaaab, v11
	v_mul_lo_u32 v15, 0xaaaaaaab, v7
	v_mul_lo_u32 v16, 0xaaaaaaab, v9
	v_mul_lo_u32 v17, 0xaaaaaaab, v5
	v_mul_lo_u32 v18, 0xaaaaaaab, v1
	v_cmp_lt_u32_e32 vcc_lo, 0x55555555, v14
	v_cndmask_b32_e64 v14, 0, 1, vcc_lo
	v_cmp_lt_u32_e32 vcc_lo, 0x55555555, v15
	s_delay_alu instid0(VALU_DEP_2) | instskip(SKIP_2) | instid1(VALU_DEP_2)
	v_lshlrev_b16 v14, 8, v14
	v_cndmask_b32_e64 v15, 0, 1, vcc_lo
	v_cmp_lt_u32_e32 vcc_lo, 0x55555555, v16
	v_lshlrev_b16 v15, 8, v15
	v_cndmask_b32_e64 v16, 0, 1, vcc_lo
	v_cmp_lt_u32_e32 vcc_lo, 0x55555555, v17
	s_delay_alu instid0(VALU_DEP_2) | instskip(SKIP_3) | instid1(VALU_DEP_4)
	v_or_b32_e32 v14, v16, v14
	v_cndmask_b32_e64 v17, 0, 1, vcc_lo
	v_mul_lo_u32 v16, 0xaaaaaaab, v3
	v_cmp_lt_u32_e32 vcc_lo, 0x55555555, v18
	v_and_b32_e32 v14, 0xffff, v14
	s_delay_alu instid0(VALU_DEP_4) | instskip(SKIP_2) | instid1(VALU_DEP_3)
	v_or_b32_e32 v15, v17, v15
	v_cndmask_b32_e64 v32, 0, 1, vcc_lo
	v_cmp_lt_u32_e32 vcc_lo, 0x55555555, v16
	v_lshlrev_b32_e32 v15, 16, v15
	v_cndmask_b32_e64 v31, 0, 1, vcc_lo
	s_delay_alu instid0(VALU_DEP_2)
	v_or_b32_e32 v33, v14, v15
	s_clause 0x1
	s_load_b64 s[8:9], s[0:1], 0x28
	s_load_b64 s[10:11], s[0:1], 0x60
	s_cbranch_execz .LBB574_19
	s_branch .LBB574_32
.LBB574_18:
                                        ; implicit-def: $vgpr31
                                        ; implicit-def: $vgpr32
                                        ; implicit-def: $vgpr33
	s_clause 0x1
	s_load_b64 s[8:9], s[0:1], 0x28
	s_load_b64 s[10:11], s[0:1], 0x60
.LBB574_19:
	v_dual_mov_b32 v15, 0 :: v_dual_mov_b32 v14, 0
	s_mov_b32 s0, exec_lo
	v_cmpx_gt_u32_e64 s2, v13
; %bb.20:
	v_mul_lo_u32 v14, 0xaaaaaaab, v9
	s_delay_alu instid0(VALU_DEP_1)
	v_cmp_lt_u32_e32 vcc_lo, 0x55555555, v14
	v_cndmask_b32_e64 v14, 0, 1, vcc_lo
; %bb.21:
	s_or_b32 exec_lo, exec_lo, s0
	v_or_b32_e32 v16, 1, v13
	s_mov_b32 s0, exec_lo
	s_delay_alu instid0(VALU_DEP_1)
	v_cmpx_gt_u32_e64 s2, v16
; %bb.22:
	v_mul_lo_u32 v15, 0xaaaaaaab, v11
	s_delay_alu instid0(VALU_DEP_1)
	v_cmp_lt_u32_e32 vcc_lo, 0x55555555, v15
	v_cndmask_b32_e64 v15, 0, 1, vcc_lo
; %bb.23:
	s_or_b32 exec_lo, exec_lo, s0
	v_dual_mov_b32 v17, 0 :: v_dual_add_nc_u32 v16, 2, v13
	s_delay_alu instid0(VALU_DEP_1)
	v_cmp_gt_u32_e32 vcc_lo, s2, v16
	v_mov_b32_e32 v16, 0
	s_and_saveexec_b32 s0, vcc_lo
; %bb.24:
	v_mul_lo_u32 v16, 0xaaaaaaab, v5
	s_delay_alu instid0(VALU_DEP_1)
	v_cmp_lt_u32_e32 vcc_lo, 0x55555555, v16
	v_cndmask_b32_e64 v16, 0, 1, vcc_lo
; %bb.25:
	s_or_b32 exec_lo, exec_lo, s0
	v_add_nc_u32_e32 v18, 3, v13
	s_mov_b32 s0, exec_lo
	s_delay_alu instid0(VALU_DEP_1)
	v_cmpx_gt_u32_e64 s2, v18
; %bb.26:
	v_mul_lo_u32 v17, 0xaaaaaaab, v7
	s_delay_alu instid0(VALU_DEP_1)
	v_cmp_lt_u32_e32 vcc_lo, 0x55555555, v17
	v_cndmask_b32_e64 v17, 0, 1, vcc_lo
; %bb.27:
	s_or_b32 exec_lo, exec_lo, s0
	v_dual_mov_b32 v31, 0 :: v_dual_add_nc_u32 v18, 4, v13
	v_mov_b32_e32 v32, 0
	s_mov_b32 s0, exec_lo
	s_delay_alu instid0(VALU_DEP_2)
	v_cmpx_gt_u32_e64 s2, v18
; %bb.28:
	v_mul_lo_u32 v18, 0xaaaaaaab, v1
	s_delay_alu instid0(VALU_DEP_1)
	v_cmp_lt_u32_e32 vcc_lo, 0x55555555, v18
	v_cndmask_b32_e64 v32, 0, 1, vcc_lo
; %bb.29:
	s_or_b32 exec_lo, exec_lo, s0
	v_add_nc_u32_e32 v13, 5, v13
	s_mov_b32 s0, exec_lo
	s_delay_alu instid0(VALU_DEP_1)
	v_cmpx_gt_u32_e64 s2, v13
; %bb.30:
	v_mul_lo_u32 v13, 0xaaaaaaab, v3
	s_delay_alu instid0(VALU_DEP_1)
	v_cmp_lt_u32_e32 vcc_lo, 0x55555555, v13
	v_cndmask_b32_e64 v31, 0, 1, vcc_lo
; %bb.31:
	s_or_b32 exec_lo, exec_lo, s0
	v_lshlrev_b16 v13, 8, v15
	v_lshlrev_b16 v15, 8, v17
	s_delay_alu instid0(VALU_DEP_2) | instskip(NEXT) | instid1(VALU_DEP_2)
	v_or_b32_e32 v13, v14, v13
	v_or_b32_e32 v14, v16, v15
	s_delay_alu instid0(VALU_DEP_2) | instskip(NEXT) | instid1(VALU_DEP_2)
	v_and_b32_e32 v13, 0xffff, v13
	v_lshlrev_b32_e32 v14, 16, v14
	s_delay_alu instid0(VALU_DEP_1)
	v_or_b32_e32 v33, v13, v14
.LBB574_32:
	s_delay_alu instid0(VALU_DEP_1)
	v_dual_mov_b32 v14, 0 :: v_dual_and_b32 v39, 0xff, v33
	v_bfe_u32 v38, v33, 8, 8
	v_bfe_u32 v37, v33, 16, 8
	v_lshrrev_b32_e32 v34, 24, v33
	v_and_b32_e32 v36, 0xff, v32
	v_mbcnt_lo_u32_b32 v40, -1, 0
	v_add_co_u32 v13, s0, v38, v39
	s_delay_alu instid0(VALU_DEP_1) | instskip(SKIP_1) | instid1(VALU_DEP_3)
	v_add_co_ci_u32_e64 v15, null, 0, 0, s0
	v_and_b32_e32 v16, 0xff, v31
	v_add_co_u32 v13, vcc_lo, v13, v37
	s_delay_alu instid0(VALU_DEP_3) | instskip(SKIP_1) | instid1(VALU_DEP_3)
	v_add_co_ci_u32_e32 v15, vcc_lo, 0, v15, vcc_lo
	v_and_b32_e32 v41, 15, v40
	v_add_co_u32 v13, vcc_lo, v13, v34
	s_delay_alu instid0(VALU_DEP_3) | instskip(NEXT) | instid1(VALU_DEP_3)
	v_add_co_ci_u32_e32 v15, vcc_lo, 0, v15, vcc_lo
	v_cmp_ne_u32_e64 s0, 0, v41
	s_delay_alu instid0(VALU_DEP_3) | instskip(NEXT) | instid1(VALU_DEP_3)
	v_add_co_u32 v13, vcc_lo, v13, v36
	v_add_co_ci_u32_e32 v15, vcc_lo, 0, v15, vcc_lo
	s_cmp_lg_u32 s15, 0
	s_delay_alu instid0(VALU_DEP_2) | instskip(NEXT) | instid1(VALU_DEP_2)
	v_add_co_u32 v21, vcc_lo, v13, v16
	v_add_co_ci_u32_e32 v22, vcc_lo, 0, v15, vcc_lo
	s_mov_b32 s1, -1
	s_cbranch_scc0 .LBB574_101
; %bb.33:
	s_delay_alu instid0(VALU_DEP_2)
	v_mov_b32_e32 v15, v21
	v_mov_b32_dpp v13, v21 row_shr:1 row_mask:0xf bank_mask:0xf
	v_mov_b32_dpp v18, v14 row_shr:1 row_mask:0xf bank_mask:0xf
	v_dual_mov_b32 v17, v21 :: v_dual_mov_b32 v16, v22
	s_and_saveexec_b32 s1, s0
; %bb.34:
	s_delay_alu instid0(VALU_DEP_3) | instskip(SKIP_1) | instid1(VALU_DEP_2)
	v_add_co_u32 v17, vcc_lo, v21, v13
	v_add_co_ci_u32_e32 v14, vcc_lo, 0, v22, vcc_lo
	v_add_co_u32 v13, vcc_lo, 0, v17
	s_delay_alu instid0(VALU_DEP_2) | instskip(NEXT) | instid1(VALU_DEP_1)
	v_add_co_ci_u32_e32 v14, vcc_lo, v18, v14, vcc_lo
	v_dual_mov_b32 v16, v14 :: v_dual_mov_b32 v15, v13
; %bb.35:
	s_or_b32 exec_lo, exec_lo, s1
	v_mov_b32_dpp v13, v17 row_shr:2 row_mask:0xf bank_mask:0xf
	v_mov_b32_dpp v18, v14 row_shr:2 row_mask:0xf bank_mask:0xf
	v_cmp_lt_u32_e32 vcc_lo, 1, v41
	s_and_saveexec_b32 s2, vcc_lo
; %bb.36:
	s_delay_alu instid0(VALU_DEP_3) | instskip(NEXT) | instid1(VALU_DEP_1)
	v_add_co_u32 v17, s1, v15, v13
	v_add_co_ci_u32_e64 v14, s1, 0, v16, s1
	s_delay_alu instid0(VALU_DEP_2) | instskip(NEXT) | instid1(VALU_DEP_1)
	v_add_co_u32 v13, s1, 0, v17
	v_add_co_ci_u32_e64 v14, s1, v18, v14, s1
	s_delay_alu instid0(VALU_DEP_1)
	v_dual_mov_b32 v16, v14 :: v_dual_mov_b32 v15, v13
; %bb.37:
	s_or_b32 exec_lo, exec_lo, s2
	v_mov_b32_dpp v13, v17 row_shr:4 row_mask:0xf bank_mask:0xf
	v_mov_b32_dpp v18, v14 row_shr:4 row_mask:0xf bank_mask:0xf
	v_cmp_lt_u32_e64 s1, 3, v41
	s_delay_alu instid0(VALU_DEP_1)
	s_and_saveexec_b32 s3, s1
; %bb.38:
	s_delay_alu instid0(VALU_DEP_3) | instskip(NEXT) | instid1(VALU_DEP_1)
	v_add_co_u32 v17, s2, v15, v13
	v_add_co_ci_u32_e64 v14, s2, 0, v16, s2
	s_delay_alu instid0(VALU_DEP_2) | instskip(NEXT) | instid1(VALU_DEP_1)
	v_add_co_u32 v13, s2, 0, v17
	v_add_co_ci_u32_e64 v14, s2, v18, v14, s2
	s_delay_alu instid0(VALU_DEP_1)
	v_dual_mov_b32 v16, v14 :: v_dual_mov_b32 v15, v13
; %bb.39:
	s_or_b32 exec_lo, exec_lo, s3
	v_mov_b32_dpp v18, v17 row_shr:8 row_mask:0xf bank_mask:0xf
	v_mov_b32_dpp v13, v14 row_shr:8 row_mask:0xf bank_mask:0xf
	v_cmp_lt_u32_e64 s2, 7, v41
	s_delay_alu instid0(VALU_DEP_1)
	s_and_saveexec_b32 s14, s2
; %bb.40:
	s_delay_alu instid0(VALU_DEP_3) | instskip(NEXT) | instid1(VALU_DEP_1)
	v_add_co_u32 v17, s3, v15, v18
	v_add_co_ci_u32_e64 v14, s3, 0, v16, s3
	s_delay_alu instid0(VALU_DEP_2) | instskip(NEXT) | instid1(VALU_DEP_1)
	v_add_co_u32 v15, s3, 0, v17
	v_add_co_ci_u32_e64 v16, s3, v13, v14, s3
	s_delay_alu instid0(VALU_DEP_1)
	v_mov_b32_e32 v14, v16
; %bb.41:
	s_or_b32 exec_lo, exec_lo, s14
	ds_swizzle_b32 v13, v17 offset:swizzle(BROADCAST,32,15)
	ds_swizzle_b32 v18, v14 offset:swizzle(BROADCAST,32,15)
	v_and_b32_e32 v19, 16, v40
	s_mov_b32 s14, exec_lo
	s_delay_alu instid0(VALU_DEP_1)
	v_cmpx_ne_u32_e32 0, v19
	s_cbranch_execz .LBB574_43
; %bb.42:
	s_waitcnt lgkmcnt(0)
	v_add_co_u32 v17, s3, v15, v13
	s_delay_alu instid0(VALU_DEP_1) | instskip(NEXT) | instid1(VALU_DEP_2)
	v_add_co_ci_u32_e64 v14, s3, 0, v16, s3
	v_add_co_u32 v13, s3, 0, v17
	s_delay_alu instid0(VALU_DEP_1) | instskip(NEXT) | instid1(VALU_DEP_1)
	v_add_co_ci_u32_e64 v14, s3, v18, v14, s3
	v_dual_mov_b32 v16, v14 :: v_dual_mov_b32 v15, v13
.LBB574_43:
	s_or_b32 exec_lo, exec_lo, s14
	s_waitcnt lgkmcnt(0)
	v_and_b32_e32 v13, 0x1e0, v0
	s_mov_b32 s14, exec_lo
	s_delay_alu instid0(VALU_DEP_1) | instskip(NEXT) | instid1(VALU_DEP_1)
	v_min_u32_e32 v13, 0x160, v13
	v_or_b32_e32 v18, 31, v13
	v_lshrrev_b32_e32 v13, 5, v0
	s_delay_alu instid0(VALU_DEP_2)
	v_cmpx_eq_u32_e64 v18, v0
	s_cbranch_execz .LBB574_45
; %bb.44:
	s_delay_alu instid0(VALU_DEP_2)
	v_lshlrev_b32_e32 v18, 3, v13
	ds_store_b64 v18, v[15:16]
.LBB574_45:
	s_or_b32 exec_lo, exec_lo, s14
	s_delay_alu instid0(SALU_CYCLE_1)
	s_mov_b32 s14, exec_lo
	s_waitcnt lgkmcnt(0)
	s_barrier
	buffer_gl0_inv
	v_cmpx_gt_u32_e32 12, v0
	s_cbranch_execz .LBB574_55
; %bb.46:
	v_lshlrev_b32_e32 v18, 3, v0
	ds_load_b64 v[15:16], v18
	s_waitcnt lgkmcnt(0)
	v_mov_b32_e32 v19, v15
	v_mov_b32_dpp v23, v15 row_shr:1 row_mask:0xf bank_mask:0xf
	v_mov_b32_dpp v20, v16 row_shr:1 row_mask:0xf bank_mask:0xf
	s_and_saveexec_b32 s16, s0
; %bb.47:
	s_delay_alu instid0(VALU_DEP_2) | instskip(NEXT) | instid1(VALU_DEP_1)
	v_add_co_u32 v19, s3, v15, v23
	v_add_co_ci_u32_e64 v16, s3, 0, v16, s3
	s_delay_alu instid0(VALU_DEP_2) | instskip(NEXT) | instid1(VALU_DEP_1)
	v_add_co_u32 v15, s3, 0, v19
	v_add_co_ci_u32_e64 v16, s3, v20, v16, s3
; %bb.48:
	s_or_b32 exec_lo, exec_lo, s16
	v_mov_b32_dpp v23, v19 row_shr:2 row_mask:0xf bank_mask:0xf
	s_delay_alu instid0(VALU_DEP_2)
	v_mov_b32_dpp v20, v16 row_shr:2 row_mask:0xf bank_mask:0xf
	s_and_saveexec_b32 s3, vcc_lo
; %bb.49:
	s_delay_alu instid0(VALU_DEP_2) | instskip(SKIP_1) | instid1(VALU_DEP_2)
	v_add_co_u32 v19, vcc_lo, v15, v23
	v_add_co_ci_u32_e32 v16, vcc_lo, 0, v16, vcc_lo
	v_add_co_u32 v15, vcc_lo, 0, v19
	s_delay_alu instid0(VALU_DEP_2)
	v_add_co_ci_u32_e32 v16, vcc_lo, v20, v16, vcc_lo
; %bb.50:
	s_or_b32 exec_lo, exec_lo, s3
	v_mov_b32_dpp v23, v19 row_shr:4 row_mask:0xf bank_mask:0xf
	s_delay_alu instid0(VALU_DEP_2)
	v_mov_b32_dpp v20, v16 row_shr:4 row_mask:0xf bank_mask:0xf
	s_and_saveexec_b32 s3, s1
; %bb.51:
	s_delay_alu instid0(VALU_DEP_2) | instskip(SKIP_1) | instid1(VALU_DEP_2)
	v_add_co_u32 v19, vcc_lo, v15, v23
	v_add_co_ci_u32_e32 v16, vcc_lo, 0, v16, vcc_lo
	v_add_co_u32 v15, vcc_lo, 0, v19
	s_delay_alu instid0(VALU_DEP_2)
	v_add_co_ci_u32_e32 v16, vcc_lo, v20, v16, vcc_lo
; %bb.52:
	s_or_b32 exec_lo, exec_lo, s3
	v_mov_b32_dpp v20, v19 row_shr:8 row_mask:0xf bank_mask:0xf
	s_delay_alu instid0(VALU_DEP_2)
	v_mov_b32_dpp v19, v16 row_shr:8 row_mask:0xf bank_mask:0xf
	s_and_saveexec_b32 s1, s2
; %bb.53:
	s_delay_alu instid0(VALU_DEP_2) | instskip(SKIP_1) | instid1(VALU_DEP_2)
	v_add_co_u32 v15, vcc_lo, v15, v20
	v_add_co_ci_u32_e32 v16, vcc_lo, 0, v16, vcc_lo
	v_add_co_u32 v15, vcc_lo, v15, 0
	s_delay_alu instid0(VALU_DEP_2)
	v_add_co_ci_u32_e32 v16, vcc_lo, v16, v19, vcc_lo
; %bb.54:
	s_or_b32 exec_lo, exec_lo, s1
	ds_store_b64 v18, v[15:16]
.LBB574_55:
	s_or_b32 exec_lo, exec_lo, s14
	v_cmp_gt_u32_e32 vcc_lo, 32, v0
	s_mov_b32 s2, exec_lo
	s_waitcnt lgkmcnt(0)
	s_barrier
	buffer_gl0_inv
                                        ; implicit-def: $vgpr23_vgpr24
	v_cmpx_lt_u32_e32 31, v0
	s_cbranch_execz .LBB574_57
; %bb.56:
	v_lshl_add_u32 v13, v13, 3, -8
	ds_load_b64 v[23:24], v13
	s_waitcnt lgkmcnt(0)
	v_add_co_u32 v17, s1, v17, v23
	s_delay_alu instid0(VALU_DEP_1)
	v_add_co_ci_u32_e64 v14, s1, v14, v24, s1
.LBB574_57:
	s_or_b32 exec_lo, exec_lo, s2
	v_add_nc_u32_e32 v13, -1, v40
	s_delay_alu instid0(VALU_DEP_1) | instskip(NEXT) | instid1(VALU_DEP_1)
	v_cmp_gt_i32_e64 s1, 0, v13
	v_cndmask_b32_e64 v13, v13, v40, s1
	v_cmp_eq_u32_e64 s1, 0, v40
	s_delay_alu instid0(VALU_DEP_2)
	v_lshlrev_b32_e32 v13, 2, v13
	ds_bpermute_b32 v29, v13, v17
	ds_bpermute_b32 v30, v13, v14
	s_and_saveexec_b32 s2, vcc_lo
	s_cbranch_execz .LBB574_100
; %bb.58:
	v_mov_b32_e32 v16, 0
	ds_load_b64 v[13:14], v16 offset:88
	s_and_saveexec_b32 s3, s1
	s_cbranch_execz .LBB574_60
; %bb.59:
	s_add_i32 s16, s15, 32
	s_mov_b32 s17, 0
	s_delay_alu instid0(SALU_CYCLE_1) | instskip(NEXT) | instid1(SALU_CYCLE_1)
	s_lshl_b64 s[16:17], s[16:17], 4
	s_add_u32 s16, s10, s16
	s_addc_u32 s17, s11, s17
	s_delay_alu instid0(SALU_CYCLE_1)
	v_dual_mov_b32 v15, 1 :: v_dual_mov_b32 v18, s17
	v_mov_b32_e32 v17, s16
	s_waitcnt lgkmcnt(0)
	;;#ASMSTART
	global_store_dwordx4 v[17:18], v[13:16] off	
s_waitcnt vmcnt(0)
	;;#ASMEND
.LBB574_60:
	s_or_b32 exec_lo, exec_lo, s3
	v_xad_u32 v25, v40, -1, s15
	s_mov_b32 s14, 0
	s_mov_b32 s3, exec_lo
	s_delay_alu instid0(VALU_DEP_1) | instskip(NEXT) | instid1(VALU_DEP_1)
	v_add_nc_u32_e32 v15, 32, v25
	v_lshlrev_b64 v[15:16], 4, v[15:16]
	s_delay_alu instid0(VALU_DEP_1) | instskip(NEXT) | instid1(VALU_DEP_2)
	v_add_co_u32 v15, vcc_lo, s10, v15
	v_add_co_ci_u32_e32 v16, vcc_lo, s11, v16, vcc_lo
	;;#ASMSTART
	global_load_dwordx4 v[17:20], v[15:16] off glc	
s_waitcnt vmcnt(0)
	;;#ASMEND
	v_and_b32_e32 v20, 0xff, v18
	v_and_b32_e32 v26, 0xff00, v18
	v_or3_b32 v17, v17, 0, 0
	v_and_b32_e32 v27, 0xff000000, v18
	v_and_b32_e32 v18, 0xff0000, v18
	s_delay_alu instid0(VALU_DEP_4) | instskip(SKIP_2) | instid1(VALU_DEP_3)
	v_or3_b32 v20, 0, v20, v26
	v_and_b32_e32 v26, 0xff, v19
	v_or3_b32 v17, v17, 0, 0
	v_or3_b32 v18, v20, v18, v27
	s_delay_alu instid0(VALU_DEP_3)
	v_cmpx_eq_u16_e32 0, v26
	s_cbranch_execz .LBB574_66
; %bb.61:
	s_mov_b32 s16, 1
	.p2align	6
.LBB574_62:                             ; =>This Loop Header: Depth=1
                                        ;     Child Loop BB574_63 Depth 2
	s_delay_alu instid0(SALU_CYCLE_1)
	s_max_u32 s17, s16, 1
.LBB574_63:                             ;   Parent Loop BB574_62 Depth=1
                                        ; =>  This Inner Loop Header: Depth=2
	s_delay_alu instid0(SALU_CYCLE_1)
	s_add_i32 s17, s17, -1
	s_sleep 1
	s_cmp_eq_u32 s17, 0
	s_cbranch_scc0 .LBB574_63
; %bb.64:                               ;   in Loop: Header=BB574_62 Depth=1
	;;#ASMSTART
	global_load_dwordx4 v[17:20], v[15:16] off glc	
s_waitcnt vmcnt(0)
	;;#ASMEND
	v_and_b32_e32 v20, 0xff, v19
	s_cmp_lt_u32 s16, 32
	s_cselect_b32 s17, -1, 0
	s_delay_alu instid0(SALU_CYCLE_1) | instskip(NEXT) | instid1(VALU_DEP_1)
	s_cmp_lg_u32 s17, 0
	v_cmp_ne_u16_e32 vcc_lo, 0, v20
	s_addc_u32 s16, s16, 0
	s_or_b32 s14, vcc_lo, s14
	s_delay_alu instid0(SALU_CYCLE_1)
	s_and_not1_b32 exec_lo, exec_lo, s14
	s_cbranch_execnz .LBB574_62
; %bb.65:
	s_or_b32 exec_lo, exec_lo, s14
.LBB574_66:
	s_delay_alu instid0(SALU_CYCLE_1)
	s_or_b32 exec_lo, exec_lo, s3
	v_cmp_ne_u32_e32 vcc_lo, 31, v40
	v_and_b32_e32 v16, 0xff, v19
	v_lshlrev_b32_e64 v43, v40, -1
	s_mov_b32 s3, exec_lo
	v_add_co_ci_u32_e32 v15, vcc_lo, 0, v40, vcc_lo
	s_delay_alu instid0(VALU_DEP_3) | instskip(SKIP_1) | instid1(VALU_DEP_3)
	v_cmp_eq_u16_e32 vcc_lo, 2, v16
	v_mov_b32_e32 v16, v17
	v_lshlrev_b32_e32 v42, 2, v15
	v_and_or_b32 v15, vcc_lo, v43, 0x80000000
	ds_bpermute_b32 v26, v42, v17
	ds_bpermute_b32 v20, v42, v18
	v_ctz_i32_b32_e32 v15, v15
	s_delay_alu instid0(VALU_DEP_1)
	v_cmpx_lt_u32_e64 v40, v15
	s_cbranch_execz .LBB574_68
; %bb.67:
	s_waitcnt lgkmcnt(1)
	v_add_co_u32 v16, vcc_lo, v17, v26
	v_add_co_ci_u32_e32 v18, vcc_lo, 0, v18, vcc_lo
	s_delay_alu instid0(VALU_DEP_2) | instskip(SKIP_1) | instid1(VALU_DEP_2)
	v_add_co_u32 v17, vcc_lo, 0, v16
	s_waitcnt lgkmcnt(0)
	v_add_co_ci_u32_e32 v18, vcc_lo, v20, v18, vcc_lo
.LBB574_68:
	s_or_b32 exec_lo, exec_lo, s3
	v_cmp_gt_u32_e32 vcc_lo, 30, v40
	v_add_nc_u32_e32 v45, 2, v40
	s_mov_b32 s3, exec_lo
	s_waitcnt lgkmcnt(0)
	v_cndmask_b32_e64 v20, 0, 1, vcc_lo
	s_delay_alu instid0(VALU_DEP_1) | instskip(NEXT) | instid1(VALU_DEP_1)
	v_lshlrev_b32_e32 v20, 1, v20
	v_add_lshl_u32 v44, v20, v40, 2
	ds_bpermute_b32 v26, v44, v16
	ds_bpermute_b32 v20, v44, v18
	v_cmpx_le_u32_e64 v45, v15
	s_cbranch_execz .LBB574_70
; %bb.69:
	s_waitcnt lgkmcnt(1)
	v_add_co_u32 v16, vcc_lo, v17, v26
	v_add_co_ci_u32_e32 v18, vcc_lo, 0, v18, vcc_lo
	s_delay_alu instid0(VALU_DEP_2) | instskip(SKIP_1) | instid1(VALU_DEP_2)
	v_add_co_u32 v17, vcc_lo, 0, v16
	s_waitcnt lgkmcnt(0)
	v_add_co_ci_u32_e32 v18, vcc_lo, v20, v18, vcc_lo
.LBB574_70:
	s_or_b32 exec_lo, exec_lo, s3
	v_cmp_gt_u32_e32 vcc_lo, 28, v40
	v_add_nc_u32_e32 v47, 4, v40
	s_mov_b32 s3, exec_lo
	s_waitcnt lgkmcnt(0)
	v_cndmask_b32_e64 v20, 0, 1, vcc_lo
	s_delay_alu instid0(VALU_DEP_1) | instskip(NEXT) | instid1(VALU_DEP_1)
	v_lshlrev_b32_e32 v20, 2, v20
	v_add_lshl_u32 v46, v20, v40, 2
	ds_bpermute_b32 v26, v46, v16
	ds_bpermute_b32 v20, v46, v18
	v_cmpx_le_u32_e64 v47, v15
	;; [unrolled: 22-line block ×4, first 2 shown]
	s_cbranch_execz .LBB574_76
; %bb.75:
	s_waitcnt lgkmcnt(1)
	v_add_co_u32 v15, vcc_lo, v17, v20
	v_add_co_ci_u32_e32 v18, vcc_lo, 0, v18, vcc_lo
	s_delay_alu instid0(VALU_DEP_2) | instskip(SKIP_1) | instid1(VALU_DEP_2)
	v_add_co_u32 v17, vcc_lo, v15, 0
	s_waitcnt lgkmcnt(0)
	v_add_co_ci_u32_e32 v18, vcc_lo, v18, v16, vcc_lo
.LBB574_76:
	s_or_b32 exec_lo, exec_lo, s3
	v_mov_b32_e32 v26, 0
	s_branch .LBB574_78
.LBB574_77:                             ;   in Loop: Header=BB574_78 Depth=1
	s_or_b32 exec_lo, exec_lo, s3
	v_add_co_u32 v17, vcc_lo, v17, v15
	v_subrev_nc_u32_e32 v25, 32, v25
	v_add_co_ci_u32_e32 v18, vcc_lo, v18, v16, vcc_lo
.LBB574_78:                             ; =>This Loop Header: Depth=1
                                        ;     Child Loop BB574_81 Depth 2
                                        ;       Child Loop BB574_82 Depth 3
	v_and_b32_e32 v15, 0xff, v19
	s_delay_alu instid0(VALU_DEP_1) | instskip(SKIP_2) | instid1(VALU_DEP_1)
	v_cmp_ne_u16_e32 vcc_lo, 2, v15
	v_cndmask_b32_e64 v15, 0, 1, vcc_lo
	;;#ASMSTART
	;;#ASMEND
	v_cmp_ne_u32_e32 vcc_lo, 0, v15
	s_waitcnt lgkmcnt(0)
	v_dual_mov_b32 v15, v17 :: v_dual_mov_b32 v16, v18
	s_cmp_lg_u32 vcc_lo, exec_lo
	s_cbranch_scc1 .LBB574_95
; %bb.79:                               ;   in Loop: Header=BB574_78 Depth=1
	v_lshlrev_b64 v[17:18], 4, v[25:26]
	s_mov_b32 s3, exec_lo
	s_delay_alu instid0(VALU_DEP_1) | instskip(NEXT) | instid1(VALU_DEP_2)
	v_add_co_u32 v27, vcc_lo, s10, v17
	v_add_co_ci_u32_e32 v28, vcc_lo, s11, v18, vcc_lo
	;;#ASMSTART
	global_load_dwordx4 v[17:20], v[27:28] off glc	
s_waitcnt vmcnt(0)
	;;#ASMEND
	v_and_b32_e32 v20, 0xff, v18
	v_and_b32_e32 v52, 0xff00, v18
	v_or3_b32 v17, v17, 0, 0
	v_and_b32_e32 v53, 0xff000000, v18
	v_and_b32_e32 v18, 0xff0000, v18
	s_delay_alu instid0(VALU_DEP_4) | instskip(SKIP_2) | instid1(VALU_DEP_3)
	v_or3_b32 v20, 0, v20, v52
	v_and_b32_e32 v52, 0xff, v19
	v_or3_b32 v17, v17, 0, 0
	v_or3_b32 v18, v20, v18, v53
	s_delay_alu instid0(VALU_DEP_3)
	v_cmpx_eq_u16_e32 0, v52
	s_cbranch_execz .LBB574_85
; %bb.80:                               ;   in Loop: Header=BB574_78 Depth=1
	s_mov_b32 s16, 1
	s_mov_b32 s14, 0
	.p2align	6
.LBB574_81:                             ;   Parent Loop BB574_78 Depth=1
                                        ; =>  This Loop Header: Depth=2
                                        ;       Child Loop BB574_82 Depth 3
	s_max_u32 s17, s16, 1
.LBB574_82:                             ;   Parent Loop BB574_78 Depth=1
                                        ;     Parent Loop BB574_81 Depth=2
                                        ; =>    This Inner Loop Header: Depth=3
	s_delay_alu instid0(SALU_CYCLE_1)
	s_add_i32 s17, s17, -1
	s_sleep 1
	s_cmp_eq_u32 s17, 0
	s_cbranch_scc0 .LBB574_82
; %bb.83:                               ;   in Loop: Header=BB574_81 Depth=2
	;;#ASMSTART
	global_load_dwordx4 v[17:20], v[27:28] off glc	
s_waitcnt vmcnt(0)
	;;#ASMEND
	v_and_b32_e32 v20, 0xff, v19
	s_cmp_lt_u32 s16, 32
	s_cselect_b32 s17, -1, 0
	s_delay_alu instid0(SALU_CYCLE_1) | instskip(NEXT) | instid1(VALU_DEP_1)
	s_cmp_lg_u32 s17, 0
	v_cmp_ne_u16_e32 vcc_lo, 0, v20
	s_addc_u32 s16, s16, 0
	s_or_b32 s14, vcc_lo, s14
	s_delay_alu instid0(SALU_CYCLE_1)
	s_and_not1_b32 exec_lo, exec_lo, s14
	s_cbranch_execnz .LBB574_81
; %bb.84:                               ;   in Loop: Header=BB574_78 Depth=1
	s_or_b32 exec_lo, exec_lo, s14
.LBB574_85:                             ;   in Loop: Header=BB574_78 Depth=1
	s_delay_alu instid0(SALU_CYCLE_1)
	s_or_b32 exec_lo, exec_lo, s3
	v_dual_mov_b32 v27, v17 :: v_dual_and_b32 v20, 0xff, v19
	ds_bpermute_b32 v52, v42, v17
	ds_bpermute_b32 v28, v42, v18
	s_mov_b32 s3, exec_lo
	v_cmp_eq_u16_e32 vcc_lo, 2, v20
	v_and_or_b32 v20, vcc_lo, v43, 0x80000000
	s_delay_alu instid0(VALU_DEP_1) | instskip(NEXT) | instid1(VALU_DEP_1)
	v_ctz_i32_b32_e32 v20, v20
	v_cmpx_lt_u32_e64 v40, v20
	s_cbranch_execz .LBB574_87
; %bb.86:                               ;   in Loop: Header=BB574_78 Depth=1
	s_waitcnt lgkmcnt(1)
	v_add_co_u32 v27, vcc_lo, v17, v52
	v_add_co_ci_u32_e32 v18, vcc_lo, 0, v18, vcc_lo
	s_delay_alu instid0(VALU_DEP_2) | instskip(SKIP_1) | instid1(VALU_DEP_2)
	v_add_co_u32 v17, vcc_lo, 0, v27
	s_waitcnt lgkmcnt(0)
	v_add_co_ci_u32_e32 v18, vcc_lo, v28, v18, vcc_lo
.LBB574_87:                             ;   in Loop: Header=BB574_78 Depth=1
	s_or_b32 exec_lo, exec_lo, s3
	s_waitcnt lgkmcnt(1)
	ds_bpermute_b32 v52, v44, v27
	s_waitcnt lgkmcnt(1)
	ds_bpermute_b32 v28, v44, v18
	s_mov_b32 s3, exec_lo
	v_cmpx_le_u32_e64 v45, v20
	s_cbranch_execz .LBB574_89
; %bb.88:                               ;   in Loop: Header=BB574_78 Depth=1
	s_waitcnt lgkmcnt(1)
	v_add_co_u32 v27, vcc_lo, v17, v52
	v_add_co_ci_u32_e32 v18, vcc_lo, 0, v18, vcc_lo
	s_delay_alu instid0(VALU_DEP_2) | instskip(SKIP_1) | instid1(VALU_DEP_2)
	v_add_co_u32 v17, vcc_lo, 0, v27
	s_waitcnt lgkmcnt(0)
	v_add_co_ci_u32_e32 v18, vcc_lo, v28, v18, vcc_lo
.LBB574_89:                             ;   in Loop: Header=BB574_78 Depth=1
	s_or_b32 exec_lo, exec_lo, s3
	s_waitcnt lgkmcnt(1)
	ds_bpermute_b32 v52, v46, v27
	s_waitcnt lgkmcnt(1)
	ds_bpermute_b32 v28, v46, v18
	s_mov_b32 s3, exec_lo
	v_cmpx_le_u32_e64 v47, v20
	;; [unrolled: 17-line block ×3, first 2 shown]
	s_cbranch_execz .LBB574_93
; %bb.92:                               ;   in Loop: Header=BB574_78 Depth=1
	s_waitcnt lgkmcnt(1)
	v_add_co_u32 v27, vcc_lo, v17, v52
	v_add_co_ci_u32_e32 v18, vcc_lo, 0, v18, vcc_lo
	s_delay_alu instid0(VALU_DEP_2) | instskip(SKIP_1) | instid1(VALU_DEP_2)
	v_add_co_u32 v17, vcc_lo, 0, v27
	s_waitcnt lgkmcnt(0)
	v_add_co_ci_u32_e32 v18, vcc_lo, v28, v18, vcc_lo
.LBB574_93:                             ;   in Loop: Header=BB574_78 Depth=1
	s_or_b32 exec_lo, exec_lo, s3
	s_waitcnt lgkmcnt(0)
	ds_bpermute_b32 v28, v50, v27
	ds_bpermute_b32 v27, v50, v18
	s_mov_b32 s3, exec_lo
	v_cmpx_le_u32_e64 v51, v20
	s_cbranch_execz .LBB574_77
; %bb.94:                               ;   in Loop: Header=BB574_78 Depth=1
	s_waitcnt lgkmcnt(1)
	v_add_co_u32 v17, vcc_lo, v17, v28
	v_add_co_ci_u32_e32 v18, vcc_lo, 0, v18, vcc_lo
	s_delay_alu instid0(VALU_DEP_2) | instskip(SKIP_1) | instid1(VALU_DEP_2)
	v_add_co_u32 v17, vcc_lo, v17, 0
	s_waitcnt lgkmcnt(0)
	v_add_co_ci_u32_e32 v18, vcc_lo, v18, v27, vcc_lo
	s_branch .LBB574_77
.LBB574_95:                             ;   in Loop: Header=BB574_78 Depth=1
                                        ; implicit-def: $vgpr17_vgpr18
	s_cbranch_execz .LBB574_78
; %bb.96:
	s_and_saveexec_b32 s3, s1
	s_cbranch_execz .LBB574_98
; %bb.97:
	s_add_i32 s14, s15, 32
	s_mov_b32 s15, 0
	v_add_co_u32 v17, vcc_lo, v15, v13
	s_lshl_b64 s[14:15], s[14:15], 4
	v_dual_mov_b32 v19, 2 :: v_dual_mov_b32 v20, 0
	s_add_u32 s14, s10, s14
	s_addc_u32 s15, s11, s15
	v_add_co_ci_u32_e32 v18, vcc_lo, v16, v14, vcc_lo
	v_dual_mov_b32 v26, s15 :: v_dual_mov_b32 v25, s14
	;;#ASMSTART
	global_store_dwordx4 v[25:26], v[17:20] off	
s_waitcnt vmcnt(0)
	;;#ASMEND
	ds_store_b128 v20, v[13:16] offset:18432
.LBB574_98:
	s_or_b32 exec_lo, exec_lo, s3
	v_cmp_eq_u32_e32 vcc_lo, 0, v0
	s_and_b32 exec_lo, exec_lo, vcc_lo
	s_cbranch_execz .LBB574_100
; %bb.99:
	v_mov_b32_e32 v13, 0
	ds_store_b64 v13, v[15:16] offset:88
.LBB574_100:
	s_or_b32 exec_lo, exec_lo, s2
	s_waitcnt lgkmcnt(1)
	v_cndmask_b32_e64 v16, v29, v23, s1
	v_cmp_ne_u32_e32 vcc_lo, 0, v0
	v_mov_b32_e32 v15, 0
	s_waitcnt lgkmcnt(0)
	s_barrier
	buffer_gl0_inv
	v_cndmask_b32_e32 v16, 0, v16, vcc_lo
	ds_load_b64 v[13:14], v15 offset:88
	v_cndmask_b32_e64 v17, v30, v24, s1
	s_waitcnt lgkmcnt(0)
	s_barrier
	buffer_gl0_inv
	v_cndmask_b32_e32 v17, 0, v17, vcc_lo
	v_add_co_u32 v29, vcc_lo, v13, v16
	s_delay_alu instid0(VALU_DEP_2) | instskip(SKIP_3) | instid1(VALU_DEP_2)
	v_add_co_ci_u32_e32 v30, vcc_lo, v14, v17, vcc_lo
	ds_load_b128 v[13:16], v15 offset:18432
	v_add_co_u32 v27, vcc_lo, v29, v39
	v_add_co_ci_u32_e32 v28, vcc_lo, 0, v30, vcc_lo
	v_add_co_u32 v25, vcc_lo, v27, v38
	s_delay_alu instid0(VALU_DEP_2) | instskip(NEXT) | instid1(VALU_DEP_2)
	v_add_co_ci_u32_e32 v26, vcc_lo, 0, v28, vcc_lo
	v_add_co_u32 v23, vcc_lo, v25, v37
	s_delay_alu instid0(VALU_DEP_2) | instskip(NEXT) | instid1(VALU_DEP_2)
	;; [unrolled: 3-line block ×3, first 2 shown]
	v_add_co_ci_u32_e32 v20, vcc_lo, 0, v24, vcc_lo
	v_add_co_u32 v17, vcc_lo, v19, v36
	s_delay_alu instid0(VALU_DEP_2)
	v_add_co_ci_u32_e32 v18, vcc_lo, 0, v20, vcc_lo
	s_branch .LBB574_129
.LBB574_101:
                                        ; implicit-def: $vgpr17_vgpr18
                                        ; implicit-def: $vgpr19_vgpr20
                                        ; implicit-def: $vgpr23_vgpr24
                                        ; implicit-def: $vgpr25_vgpr26
                                        ; implicit-def: $vgpr27_vgpr28
                                        ; implicit-def: $vgpr29_vgpr30
                                        ; implicit-def: $vgpr15_vgpr16
	s_and_b32 vcc_lo, exec_lo, s1
	s_cbranch_vccz .LBB574_129
; %bb.102:
	s_waitcnt lgkmcnt(0)
	v_dual_mov_b32 v14, 0 :: v_dual_mov_b32 v15, v21
	v_mov_b32_dpp v16, v21 row_shr:1 row_mask:0xf bank_mask:0xf
	s_delay_alu instid0(VALU_DEP_2)
	v_mov_b32_dpp v13, v14 row_shr:1 row_mask:0xf bank_mask:0xf
	s_and_saveexec_b32 s1, s0
; %bb.103:
	s_delay_alu instid0(VALU_DEP_2) | instskip(SKIP_1) | instid1(VALU_DEP_2)
	v_add_co_u32 v15, vcc_lo, v21, v16
	v_add_co_ci_u32_e32 v14, vcc_lo, 0, v22, vcc_lo
	v_add_co_u32 v21, vcc_lo, 0, v15
	s_delay_alu instid0(VALU_DEP_2) | instskip(NEXT) | instid1(VALU_DEP_1)
	v_add_co_ci_u32_e32 v22, vcc_lo, v13, v14, vcc_lo
	v_mov_b32_e32 v14, v22
; %bb.104:
	s_or_b32 exec_lo, exec_lo, s1
	v_mov_b32_dpp v13, v15 row_shr:2 row_mask:0xf bank_mask:0xf
	s_delay_alu instid0(VALU_DEP_2)
	v_mov_b32_dpp v16, v14 row_shr:2 row_mask:0xf bank_mask:0xf
	v_cmp_lt_u32_e32 vcc_lo, 1, v41
	s_and_saveexec_b32 s2, vcc_lo
; %bb.105:
	s_delay_alu instid0(VALU_DEP_3) | instskip(NEXT) | instid1(VALU_DEP_1)
	v_add_co_u32 v15, s1, v21, v13
	v_add_co_ci_u32_e64 v14, s1, 0, v22, s1
	s_delay_alu instid0(VALU_DEP_2) | instskip(NEXT) | instid1(VALU_DEP_1)
	v_add_co_u32 v13, s1, 0, v15
	v_add_co_ci_u32_e64 v14, s1, v16, v14, s1
	s_delay_alu instid0(VALU_DEP_1)
	v_dual_mov_b32 v22, v14 :: v_dual_mov_b32 v21, v13
; %bb.106:
	s_or_b32 exec_lo, exec_lo, s2
	v_mov_b32_dpp v13, v15 row_shr:4 row_mask:0xf bank_mask:0xf
	v_mov_b32_dpp v16, v14 row_shr:4 row_mask:0xf bank_mask:0xf
	v_cmp_lt_u32_e64 s1, 3, v41
	s_delay_alu instid0(VALU_DEP_1)
	s_and_saveexec_b32 s3, s1
; %bb.107:
	s_delay_alu instid0(VALU_DEP_3) | instskip(NEXT) | instid1(VALU_DEP_1)
	v_add_co_u32 v15, s2, v21, v13
	v_add_co_ci_u32_e64 v14, s2, 0, v22, s2
	s_delay_alu instid0(VALU_DEP_2) | instskip(NEXT) | instid1(VALU_DEP_1)
	v_add_co_u32 v13, s2, 0, v15
	v_add_co_ci_u32_e64 v14, s2, v16, v14, s2
	s_delay_alu instid0(VALU_DEP_1)
	v_dual_mov_b32 v22, v14 :: v_dual_mov_b32 v21, v13
; %bb.108:
	s_or_b32 exec_lo, exec_lo, s3
	v_mov_b32_dpp v16, v15 row_shr:8 row_mask:0xf bank_mask:0xf
	v_mov_b32_dpp v13, v14 row_shr:8 row_mask:0xf bank_mask:0xf
	v_cmp_lt_u32_e64 s2, 7, v41
	s_delay_alu instid0(VALU_DEP_1)
	s_and_saveexec_b32 s14, s2
; %bb.109:
	s_delay_alu instid0(VALU_DEP_3) | instskip(NEXT) | instid1(VALU_DEP_1)
	v_add_co_u32 v15, s3, v21, v16
	v_add_co_ci_u32_e64 v14, s3, 0, v22, s3
	s_delay_alu instid0(VALU_DEP_2) | instskip(NEXT) | instid1(VALU_DEP_1)
	v_add_co_u32 v21, s3, 0, v15
	v_add_co_ci_u32_e64 v22, s3, v13, v14, s3
	s_delay_alu instid0(VALU_DEP_1)
	v_mov_b32_e32 v14, v22
; %bb.110:
	s_or_b32 exec_lo, exec_lo, s14
	ds_swizzle_b32 v15, v15 offset:swizzle(BROADCAST,32,15)
	ds_swizzle_b32 v13, v14 offset:swizzle(BROADCAST,32,15)
	v_and_b32_e32 v14, 16, v40
	s_mov_b32 s14, exec_lo
	s_delay_alu instid0(VALU_DEP_1)
	v_cmpx_ne_u32_e32 0, v14
	s_cbranch_execz .LBB574_112
; %bb.111:
	s_waitcnt lgkmcnt(1)
	v_add_co_u32 v14, s3, v21, v15
	s_delay_alu instid0(VALU_DEP_1) | instskip(NEXT) | instid1(VALU_DEP_2)
	v_add_co_ci_u32_e64 v15, s3, 0, v22, s3
	v_add_co_u32 v21, s3, v14, 0
	s_waitcnt lgkmcnt(0)
	s_delay_alu instid0(VALU_DEP_2)
	v_add_co_ci_u32_e64 v22, s3, v15, v13, s3
.LBB574_112:
	s_or_b32 exec_lo, exec_lo, s14
	s_waitcnt lgkmcnt(0)
	v_and_b32_e32 v13, 0x1e0, v0
	v_lshrrev_b32_e32 v15, 5, v0
	s_mov_b32 s14, exec_lo
	s_delay_alu instid0(VALU_DEP_2) | instskip(NEXT) | instid1(VALU_DEP_1)
	v_min_u32_e32 v13, 0x160, v13
	v_or_b32_e32 v13, 31, v13
	s_delay_alu instid0(VALU_DEP_1)
	v_cmpx_eq_u32_e64 v13, v0
	s_cbranch_execz .LBB574_114
; %bb.113:
	v_lshlrev_b32_e32 v13, 3, v15
	ds_store_b64 v13, v[21:22]
.LBB574_114:
	s_or_b32 exec_lo, exec_lo, s14
	s_delay_alu instid0(SALU_CYCLE_1)
	s_mov_b32 s14, exec_lo
	s_waitcnt lgkmcnt(0)
	s_barrier
	buffer_gl0_inv
	v_cmpx_gt_u32_e32 12, v0
	s_cbranch_execz .LBB574_124
; %bb.115:
	v_mad_i32_i24 v13, 0xffffffd8, v0, v35
	ds_load_b64 v[13:14], v13
	s_waitcnt lgkmcnt(0)
	v_mov_b32_dpp v18, v13 row_shr:1 row_mask:0xf bank_mask:0xf
	v_mov_b32_dpp v17, v14 row_shr:1 row_mask:0xf bank_mask:0xf
	v_mov_b32_e32 v16, v13
	s_and_saveexec_b32 s3, s0
; %bb.116:
	s_delay_alu instid0(VALU_DEP_3) | instskip(NEXT) | instid1(VALU_DEP_1)
	v_add_co_u32 v16, s0, v13, v18
	v_add_co_ci_u32_e64 v14, s0, 0, v14, s0
	s_delay_alu instid0(VALU_DEP_2) | instskip(NEXT) | instid1(VALU_DEP_1)
	v_add_co_u32 v13, s0, 0, v16
	v_add_co_ci_u32_e64 v14, s0, v17, v14, s0
; %bb.117:
	s_or_b32 exec_lo, exec_lo, s3
	v_mov_b32_dpp v18, v16 row_shr:2 row_mask:0xf bank_mask:0xf
	s_delay_alu instid0(VALU_DEP_2)
	v_mov_b32_dpp v17, v14 row_shr:2 row_mask:0xf bank_mask:0xf
	s_and_saveexec_b32 s0, vcc_lo
; %bb.118:
	s_delay_alu instid0(VALU_DEP_2) | instskip(SKIP_1) | instid1(VALU_DEP_2)
	v_add_co_u32 v16, vcc_lo, v13, v18
	v_add_co_ci_u32_e32 v14, vcc_lo, 0, v14, vcc_lo
	v_add_co_u32 v13, vcc_lo, 0, v16
	s_delay_alu instid0(VALU_DEP_2)
	v_add_co_ci_u32_e32 v14, vcc_lo, v17, v14, vcc_lo
; %bb.119:
	s_or_b32 exec_lo, exec_lo, s0
	v_mov_b32_dpp v18, v16 row_shr:4 row_mask:0xf bank_mask:0xf
	s_delay_alu instid0(VALU_DEP_2)
	v_mov_b32_dpp v17, v14 row_shr:4 row_mask:0xf bank_mask:0xf
	s_and_saveexec_b32 s0, s1
; %bb.120:
	s_delay_alu instid0(VALU_DEP_2) | instskip(SKIP_1) | instid1(VALU_DEP_2)
	v_add_co_u32 v16, vcc_lo, v13, v18
	v_add_co_ci_u32_e32 v14, vcc_lo, 0, v14, vcc_lo
	v_add_co_u32 v13, vcc_lo, 0, v16
	s_delay_alu instid0(VALU_DEP_2)
	v_add_co_ci_u32_e32 v14, vcc_lo, v17, v14, vcc_lo
; %bb.121:
	s_or_b32 exec_lo, exec_lo, s0
	v_mul_i32_i24_e32 v17, 0xffffffd8, v0
	v_mov_b32_dpp v18, v16 row_shr:8 row_mask:0xf bank_mask:0xf
	s_delay_alu instid0(VALU_DEP_3)
	v_mov_b32_dpp v16, v14 row_shr:8 row_mask:0xf bank_mask:0xf
	s_and_saveexec_b32 s0, s2
; %bb.122:
	s_delay_alu instid0(VALU_DEP_2) | instskip(SKIP_1) | instid1(VALU_DEP_2)
	v_add_co_u32 v13, vcc_lo, v13, v18
	v_add_co_ci_u32_e32 v14, vcc_lo, 0, v14, vcc_lo
	v_add_co_u32 v13, vcc_lo, v13, 0
	s_delay_alu instid0(VALU_DEP_2)
	v_add_co_ci_u32_e32 v14, vcc_lo, v14, v16, vcc_lo
; %bb.123:
	s_or_b32 exec_lo, exec_lo, s0
	v_add_nc_u32_e32 v16, v35, v17
	ds_store_b64 v16, v[13:14]
.LBB574_124:
	s_or_b32 exec_lo, exec_lo, s14
	v_mov_b32_e32 v17, 0
	v_mov_b32_e32 v18, 0
	s_mov_b32 s0, exec_lo
	s_waitcnt lgkmcnt(0)
	s_barrier
	buffer_gl0_inv
	v_cmpx_lt_u32_e32 31, v0
	s_cbranch_execz .LBB574_126
; %bb.125:
	v_lshl_add_u32 v13, v15, 3, -8
	ds_load_b64 v[17:18], v13
.LBB574_126:
	s_or_b32 exec_lo, exec_lo, s0
	v_dual_mov_b32 v16, 0 :: v_dual_add_nc_u32 v13, -1, v40
	s_delay_alu instid0(VALU_DEP_1) | instskip(SKIP_4) | instid1(VALU_DEP_3)
	v_cmp_gt_i32_e32 vcc_lo, 0, v13
	v_cndmask_b32_e32 v13, v13, v40, vcc_lo
	s_waitcnt lgkmcnt(0)
	v_add_co_u32 v14, vcc_lo, v17, v21
	v_add_co_ci_u32_e32 v15, vcc_lo, v18, v22, vcc_lo
	v_lshlrev_b32_e32 v13, 2, v13
	v_cmp_eq_u32_e32 vcc_lo, 0, v0
	ds_bpermute_b32 v19, v13, v14
	ds_bpermute_b32 v20, v13, v15
	ds_load_b64 v[13:14], v16 offset:88
	s_and_saveexec_b32 s0, vcc_lo
	s_cbranch_execz .LBB574_128
; %bb.127:
	s_add_u32 s2, s10, 0x200
	s_addc_u32 s3, s11, 0
	s_delay_alu instid0(SALU_CYCLE_1)
	v_dual_mov_b32 v15, 2 :: v_dual_mov_b32 v22, s3
	v_mov_b32_e32 v21, s2
	s_waitcnt lgkmcnt(0)
	;;#ASMSTART
	global_store_dwordx4 v[21:22], v[13:16] off	
s_waitcnt vmcnt(0)
	;;#ASMEND
.LBB574_128:
	s_or_b32 exec_lo, exec_lo, s0
	v_cmp_eq_u32_e64 s0, 0, v40
	s_waitcnt lgkmcnt(0)
	s_barrier
	buffer_gl0_inv
	v_cndmask_b32_e64 v15, v19, v17, s0
	v_cndmask_b32_e64 v16, v20, v18, s0
	s_delay_alu instid0(VALU_DEP_2) | instskip(NEXT) | instid1(VALU_DEP_2)
	v_cndmask_b32_e64 v29, v15, 0, vcc_lo
	v_cndmask_b32_e64 v30, v16, 0, vcc_lo
	v_mov_b32_e32 v15, 0
	v_mov_b32_e32 v16, 0
	s_delay_alu instid0(VALU_DEP_4) | instskip(NEXT) | instid1(VALU_DEP_4)
	v_add_co_u32 v27, vcc_lo, v29, v39
	v_add_co_ci_u32_e32 v28, vcc_lo, 0, v30, vcc_lo
	s_delay_alu instid0(VALU_DEP_2) | instskip(NEXT) | instid1(VALU_DEP_2)
	v_add_co_u32 v25, vcc_lo, v27, v38
	v_add_co_ci_u32_e32 v26, vcc_lo, 0, v28, vcc_lo
	s_delay_alu instid0(VALU_DEP_2) | instskip(NEXT) | instid1(VALU_DEP_2)
	v_add_co_u32 v23, vcc_lo, v25, v37
	v_add_co_ci_u32_e32 v24, vcc_lo, 0, v26, vcc_lo
	s_delay_alu instid0(VALU_DEP_2) | instskip(NEXT) | instid1(VALU_DEP_2)
	v_add_co_u32 v19, vcc_lo, v23, v34
	v_add_co_ci_u32_e32 v20, vcc_lo, 0, v24, vcc_lo
	s_delay_alu instid0(VALU_DEP_2) | instskip(NEXT) | instid1(VALU_DEP_2)
	v_add_co_u32 v17, vcc_lo, v19, v36
	v_add_co_ci_u32_e32 v18, vcc_lo, 0, v20, vcc_lo
.LBB574_129:
	s_waitcnt lgkmcnt(0)
	v_cmp_gt_u64_e32 vcc_lo, 0x181, v[13:14]
	v_lshrrev_b32_e32 v36, 8, v33
	v_lshrrev_b32_e32 v35, 16, v33
	s_mov_b32 s0, -1
	s_cbranch_vccnz .LBB574_133
; %bb.130:
	s_and_b32 vcc_lo, exec_lo, s0
	s_cbranch_vccnz .LBB574_152
.LBB574_131:
	v_cmp_eq_u32_e32 vcc_lo, 0, v0
	s_and_b32 s0, vcc_lo, s12
	s_delay_alu instid0(SALU_CYCLE_1)
	s_and_saveexec_b32 s1, s0
	s_cbranch_execnz .LBB574_168
.LBB574_132:
	s_nop 0
	s_sendmsg sendmsg(MSG_DEALLOC_VGPRS)
	s_endpgm
.LBB574_133:
	v_add_co_u32 v21, vcc_lo, v15, v13
	v_add_co_ci_u32_e32 v22, vcc_lo, v16, v14, vcc_lo
	s_lshl_b64 s[0:1], s[6:7], 3
	s_delay_alu instid0(SALU_CYCLE_1) | instskip(NEXT) | instid1(VALU_DEP_1)
	s_add_u32 s0, s8, s0
	v_cmp_lt_u64_e32 vcc_lo, v[29:30], v[21:22]
	s_addc_u32 s1, s9, s1
	s_or_b32 s3, s13, vcc_lo
	s_delay_alu instid0(SALU_CYCLE_1)
	s_and_saveexec_b32 s2, s3
	s_cbranch_execz .LBB574_136
; %bb.134:
	v_and_b32_e32 v37, 1, v33
	s_delay_alu instid0(VALU_DEP_1)
	v_cmp_eq_u32_e32 vcc_lo, 1, v37
	s_and_b32 exec_lo, exec_lo, vcc_lo
	s_cbranch_execz .LBB574_136
; %bb.135:
	v_lshlrev_b64 v[37:38], 3, v[29:30]
	s_delay_alu instid0(VALU_DEP_1) | instskip(NEXT) | instid1(VALU_DEP_2)
	v_add_co_u32 v37, vcc_lo, s0, v37
	v_add_co_ci_u32_e32 v38, vcc_lo, s1, v38, vcc_lo
	global_store_b64 v[37:38], v[9:10], off
.LBB574_136:
	s_or_b32 exec_lo, exec_lo, s2
	v_cmp_lt_u64_e32 vcc_lo, v[27:28], v[21:22]
	s_or_b32 s3, s13, vcc_lo
	s_delay_alu instid0(SALU_CYCLE_1)
	s_and_saveexec_b32 s2, s3
	s_cbranch_execz .LBB574_139
; %bb.137:
	v_and_b32_e32 v30, 1, v36
	s_delay_alu instid0(VALU_DEP_1)
	v_cmp_eq_u32_e32 vcc_lo, 1, v30
	s_and_b32 exec_lo, exec_lo, vcc_lo
	s_cbranch_execz .LBB574_139
; %bb.138:
	v_lshlrev_b64 v[37:38], 3, v[27:28]
	s_delay_alu instid0(VALU_DEP_1) | instskip(NEXT) | instid1(VALU_DEP_2)
	v_add_co_u32 v37, vcc_lo, s0, v37
	v_add_co_ci_u32_e32 v38, vcc_lo, s1, v38, vcc_lo
	global_store_b64 v[37:38], v[11:12], off
.LBB574_139:
	s_or_b32 exec_lo, exec_lo, s2
	v_cmp_lt_u64_e32 vcc_lo, v[25:26], v[21:22]
	;; [unrolled: 19-line block ×5, first 2 shown]
	s_or_b32 s3, s13, vcc_lo
	s_delay_alu instid0(SALU_CYCLE_1)
	s_and_saveexec_b32 s2, s3
	s_cbranch_execz .LBB574_151
; %bb.149:
	v_and_b32_e32 v20, 1, v31
	s_delay_alu instid0(VALU_DEP_1)
	v_cmp_eq_u32_e32 vcc_lo, 1, v20
	s_and_b32 exec_lo, exec_lo, vcc_lo
	s_cbranch_execz .LBB574_151
; %bb.150:
	v_lshlrev_b64 v[20:21], 3, v[17:18]
	s_delay_alu instid0(VALU_DEP_1) | instskip(NEXT) | instid1(VALU_DEP_2)
	v_add_co_u32 v20, vcc_lo, s0, v20
	v_add_co_ci_u32_e32 v21, vcc_lo, s1, v21, vcc_lo
	global_store_b64 v[20:21], v[3:4], off
.LBB574_151:
	s_or_b32 exec_lo, exec_lo, s2
	s_branch .LBB574_131
.LBB574_152:
	v_and_b32_e32 v18, 1, v33
	s_mov_b32 s0, exec_lo
	s_delay_alu instid0(VALU_DEP_1)
	v_cmpx_eq_u32_e32 1, v18
	s_cbranch_execz .LBB574_154
; %bb.153:
	v_sub_nc_u32_e32 v18, v29, v15
	s_delay_alu instid0(VALU_DEP_1)
	v_lshlrev_b32_e32 v18, 3, v18
	ds_store_b64 v18, v[9:10]
.LBB574_154:
	s_or_b32 exec_lo, exec_lo, s0
	v_and_b32_e32 v9, 1, v36
	s_mov_b32 s0, exec_lo
	s_delay_alu instid0(VALU_DEP_1)
	v_cmpx_eq_u32_e32 1, v9
	s_cbranch_execz .LBB574_156
; %bb.155:
	v_sub_nc_u32_e32 v9, v27, v15
	s_delay_alu instid0(VALU_DEP_1)
	v_lshlrev_b32_e32 v9, 3, v9
	ds_store_b64 v9, v[11:12]
.LBB574_156:
	s_or_b32 exec_lo, exec_lo, s0
	v_and_b32_e32 v9, 1, v35
	s_mov_b32 s0, exec_lo
	s_delay_alu instid0(VALU_DEP_1)
	v_cmpx_eq_u32_e32 1, v9
	s_cbranch_execz .LBB574_158
; %bb.157:
	v_sub_nc_u32_e32 v9, v25, v15
	s_delay_alu instid0(VALU_DEP_1)
	v_lshlrev_b32_e32 v9, 3, v9
	ds_store_b64 v9, v[5:6]
.LBB574_158:
	s_or_b32 exec_lo, exec_lo, s0
	v_and_b32_e32 v5, 1, v34
	s_mov_b32 s0, exec_lo
	s_delay_alu instid0(VALU_DEP_1)
	v_cmpx_eq_u32_e32 1, v5
	s_cbranch_execz .LBB574_160
; %bb.159:
	v_sub_nc_u32_e32 v5, v23, v15
	s_delay_alu instid0(VALU_DEP_1)
	v_lshlrev_b32_e32 v5, 3, v5
	ds_store_b64 v5, v[7:8]
.LBB574_160:
	s_or_b32 exec_lo, exec_lo, s0
	v_and_b32_e32 v5, 1, v32
	s_mov_b32 s0, exec_lo
	s_delay_alu instid0(VALU_DEP_1)
	v_cmpx_eq_u32_e32 1, v5
	s_cbranch_execz .LBB574_162
; %bb.161:
	v_sub_nc_u32_e32 v5, v19, v15
	s_delay_alu instid0(VALU_DEP_1)
	v_lshlrev_b32_e32 v5, 3, v5
	ds_store_b64 v5, v[1:2]
.LBB574_162:
	s_or_b32 exec_lo, exec_lo, s0
	v_and_b32_e32 v1, 1, v31
	s_mov_b32 s0, exec_lo
	s_delay_alu instid0(VALU_DEP_1)
	v_cmpx_eq_u32_e32 1, v1
	s_cbranch_execz .LBB574_164
; %bb.163:
	v_sub_nc_u32_e32 v1, v17, v15
	s_delay_alu instid0(VALU_DEP_1)
	v_lshlrev_b32_e32 v1, 3, v1
	ds_store_b64 v1, v[3:4]
.LBB574_164:
	s_or_b32 exec_lo, exec_lo, s0
	v_mov_b32_e32 v3, 0
	s_mov_b32 s1, exec_lo
	s_waitcnt lgkmcnt(0)
	s_waitcnt_vscnt null, 0x0
	s_barrier
	buffer_gl0_inv
	v_mov_b32_e32 v1, v3
	s_delay_alu instid0(VALU_DEP_1)
	v_cmpx_gt_u64_e64 v[13:14], v[0:1]
	s_cbranch_execz .LBB574_167
; %bb.165:
	v_lshlrev_b64 v[4:5], 3, v[15:16]
	s_lshl_b64 s[2:3], s[6:7], 3
	v_add_nc_u32_e32 v2, 0x180, v0
	s_delay_alu instid0(VALU_DEP_2) | instskip(NEXT) | instid1(VALU_DEP_3)
	v_add_co_u32 v4, vcc_lo, s8, v4
	v_add_co_ci_u32_e32 v5, vcc_lo, s9, v5, vcc_lo
	s_delay_alu instid0(VALU_DEP_2) | instskip(NEXT) | instid1(VALU_DEP_2)
	v_add_co_u32 v6, vcc_lo, v4, s2
	v_add_co_ci_u32_e32 v7, vcc_lo, s3, v5, vcc_lo
	v_dual_mov_b32 v5, v1 :: v_dual_mov_b32 v4, v0
	s_mov_b32 s2, 0
	.p2align	6
.LBB574_166:                            ; =>This Inner Loop Header: Depth=1
	s_delay_alu instid0(VALU_DEP_1) | instskip(NEXT) | instid1(VALU_DEP_2)
	v_lshlrev_b32_e32 v1, 3, v4
	v_lshlrev_b64 v[10:11], 3, v[4:5]
	v_dual_mov_b32 v5, v3 :: v_dual_mov_b32 v4, v2
	v_cmp_le_u64_e32 vcc_lo, v[13:14], v[2:3]
	v_add_nc_u32_e32 v2, 0x180, v2
	ds_load_b64 v[8:9], v1
	v_add_co_u32 v10, s0, v6, v10
	s_delay_alu instid0(VALU_DEP_1)
	v_add_co_ci_u32_e64 v11, s0, v7, v11, s0
	s_or_b32 s2, vcc_lo, s2
	s_waitcnt lgkmcnt(0)
	global_store_b64 v[10:11], v[8:9], off
	s_and_not1_b32 exec_lo, exec_lo, s2
	s_cbranch_execnz .LBB574_166
.LBB574_167:
	s_or_b32 exec_lo, exec_lo, s1
	v_cmp_eq_u32_e32 vcc_lo, 0, v0
	s_and_b32 s0, vcc_lo, s12
	s_delay_alu instid0(SALU_CYCLE_1)
	s_and_saveexec_b32 s1, s0
	s_cbranch_execz .LBB574_132
.LBB574_168:
	v_add_co_u32 v0, vcc_lo, v15, v13
	v_add_co_ci_u32_e32 v1, vcc_lo, v16, v14, vcc_lo
	v_mov_b32_e32 v2, 0
	s_delay_alu instid0(VALU_DEP_3) | instskip(NEXT) | instid1(VALU_DEP_3)
	v_add_co_u32 v0, vcc_lo, v0, s6
	v_add_co_ci_u32_e32 v1, vcc_lo, s7, v1, vcc_lo
	global_store_b64 v2, v[0:1], s[4:5]
	s_nop 0
	s_sendmsg sendmsg(MSG_DEALLOC_VGPRS)
	s_endpgm
	.section	.rodata,"a",@progbits
	.p2align	6, 0x0
	.amdhsa_kernel _ZN7rocprim17ROCPRIM_400000_NS6detail17trampoline_kernelINS0_14default_configENS1_25partition_config_selectorILNS1_17partition_subalgoE6ExNS0_10empty_typeEbEEZZNS1_14partition_implILS5_6ELb0ES3_mN6thrust23THRUST_200600_302600_NS6detail15normal_iteratorINSA_10device_ptrIxEEEEPS6_SG_NS0_5tupleIJSF_S6_EEENSH_IJSG_SG_EEES6_PlJ5mod_3IxEEEE10hipError_tPvRmT3_T4_T5_T6_T7_T9_mT8_P12ihipStream_tbDpT10_ENKUlT_T0_E_clISt17integral_constantIbLb1EES15_IbLb0EEEEDaS11_S12_EUlS11_E_NS1_11comp_targetILNS1_3genE9ELNS1_11target_archE1100ELNS1_3gpuE3ELNS1_3repE0EEENS1_30default_config_static_selectorELNS0_4arch9wavefront6targetE0EEEvT1_
		.amdhsa_group_segment_fixed_size 18448
		.amdhsa_private_segment_fixed_size 0
		.amdhsa_kernarg_size 112
		.amdhsa_user_sgpr_count 15
		.amdhsa_user_sgpr_dispatch_ptr 0
		.amdhsa_user_sgpr_queue_ptr 0
		.amdhsa_user_sgpr_kernarg_segment_ptr 1
		.amdhsa_user_sgpr_dispatch_id 0
		.amdhsa_user_sgpr_private_segment_size 0
		.amdhsa_wavefront_size32 1
		.amdhsa_uses_dynamic_stack 0
		.amdhsa_enable_private_segment 0
		.amdhsa_system_sgpr_workgroup_id_x 1
		.amdhsa_system_sgpr_workgroup_id_y 0
		.amdhsa_system_sgpr_workgroup_id_z 0
		.amdhsa_system_sgpr_workgroup_info 0
		.amdhsa_system_vgpr_workitem_id 0
		.amdhsa_next_free_vgpr 54
		.amdhsa_next_free_sgpr 19
		.amdhsa_reserve_vcc 1
		.amdhsa_float_round_mode_32 0
		.amdhsa_float_round_mode_16_64 0
		.amdhsa_float_denorm_mode_32 3
		.amdhsa_float_denorm_mode_16_64 3
		.amdhsa_dx10_clamp 1
		.amdhsa_ieee_mode 1
		.amdhsa_fp16_overflow 0
		.amdhsa_workgroup_processor_mode 1
		.amdhsa_memory_ordered 1
		.amdhsa_forward_progress 0
		.amdhsa_shared_vgpr_count 0
		.amdhsa_exception_fp_ieee_invalid_op 0
		.amdhsa_exception_fp_denorm_src 0
		.amdhsa_exception_fp_ieee_div_zero 0
		.amdhsa_exception_fp_ieee_overflow 0
		.amdhsa_exception_fp_ieee_underflow 0
		.amdhsa_exception_fp_ieee_inexact 0
		.amdhsa_exception_int_div_zero 0
	.end_amdhsa_kernel
	.section	.text._ZN7rocprim17ROCPRIM_400000_NS6detail17trampoline_kernelINS0_14default_configENS1_25partition_config_selectorILNS1_17partition_subalgoE6ExNS0_10empty_typeEbEEZZNS1_14partition_implILS5_6ELb0ES3_mN6thrust23THRUST_200600_302600_NS6detail15normal_iteratorINSA_10device_ptrIxEEEEPS6_SG_NS0_5tupleIJSF_S6_EEENSH_IJSG_SG_EEES6_PlJ5mod_3IxEEEE10hipError_tPvRmT3_T4_T5_T6_T7_T9_mT8_P12ihipStream_tbDpT10_ENKUlT_T0_E_clISt17integral_constantIbLb1EES15_IbLb0EEEEDaS11_S12_EUlS11_E_NS1_11comp_targetILNS1_3genE9ELNS1_11target_archE1100ELNS1_3gpuE3ELNS1_3repE0EEENS1_30default_config_static_selectorELNS0_4arch9wavefront6targetE0EEEvT1_,"axG",@progbits,_ZN7rocprim17ROCPRIM_400000_NS6detail17trampoline_kernelINS0_14default_configENS1_25partition_config_selectorILNS1_17partition_subalgoE6ExNS0_10empty_typeEbEEZZNS1_14partition_implILS5_6ELb0ES3_mN6thrust23THRUST_200600_302600_NS6detail15normal_iteratorINSA_10device_ptrIxEEEEPS6_SG_NS0_5tupleIJSF_S6_EEENSH_IJSG_SG_EEES6_PlJ5mod_3IxEEEE10hipError_tPvRmT3_T4_T5_T6_T7_T9_mT8_P12ihipStream_tbDpT10_ENKUlT_T0_E_clISt17integral_constantIbLb1EES15_IbLb0EEEEDaS11_S12_EUlS11_E_NS1_11comp_targetILNS1_3genE9ELNS1_11target_archE1100ELNS1_3gpuE3ELNS1_3repE0EEENS1_30default_config_static_selectorELNS0_4arch9wavefront6targetE0EEEvT1_,comdat
.Lfunc_end574:
	.size	_ZN7rocprim17ROCPRIM_400000_NS6detail17trampoline_kernelINS0_14default_configENS1_25partition_config_selectorILNS1_17partition_subalgoE6ExNS0_10empty_typeEbEEZZNS1_14partition_implILS5_6ELb0ES3_mN6thrust23THRUST_200600_302600_NS6detail15normal_iteratorINSA_10device_ptrIxEEEEPS6_SG_NS0_5tupleIJSF_S6_EEENSH_IJSG_SG_EEES6_PlJ5mod_3IxEEEE10hipError_tPvRmT3_T4_T5_T6_T7_T9_mT8_P12ihipStream_tbDpT10_ENKUlT_T0_E_clISt17integral_constantIbLb1EES15_IbLb0EEEEDaS11_S12_EUlS11_E_NS1_11comp_targetILNS1_3genE9ELNS1_11target_archE1100ELNS1_3gpuE3ELNS1_3repE0EEENS1_30default_config_static_selectorELNS0_4arch9wavefront6targetE0EEEvT1_, .Lfunc_end574-_ZN7rocprim17ROCPRIM_400000_NS6detail17trampoline_kernelINS0_14default_configENS1_25partition_config_selectorILNS1_17partition_subalgoE6ExNS0_10empty_typeEbEEZZNS1_14partition_implILS5_6ELb0ES3_mN6thrust23THRUST_200600_302600_NS6detail15normal_iteratorINSA_10device_ptrIxEEEEPS6_SG_NS0_5tupleIJSF_S6_EEENSH_IJSG_SG_EEES6_PlJ5mod_3IxEEEE10hipError_tPvRmT3_T4_T5_T6_T7_T9_mT8_P12ihipStream_tbDpT10_ENKUlT_T0_E_clISt17integral_constantIbLb1EES15_IbLb0EEEEDaS11_S12_EUlS11_E_NS1_11comp_targetILNS1_3genE9ELNS1_11target_archE1100ELNS1_3gpuE3ELNS1_3repE0EEENS1_30default_config_static_selectorELNS0_4arch9wavefront6targetE0EEEvT1_
                                        ; -- End function
	.section	.AMDGPU.csdata,"",@progbits
; Kernel info:
; codeLenInByte = 6972
; NumSgprs: 21
; NumVgprs: 54
; ScratchSize: 0
; MemoryBound: 0
; FloatMode: 240
; IeeeMode: 1
; LDSByteSize: 18448 bytes/workgroup (compile time only)
; SGPRBlocks: 2
; VGPRBlocks: 6
; NumSGPRsForWavesPerEU: 21
; NumVGPRsForWavesPerEU: 54
; Occupancy: 15
; WaveLimiterHint : 1
; COMPUTE_PGM_RSRC2:SCRATCH_EN: 0
; COMPUTE_PGM_RSRC2:USER_SGPR: 15
; COMPUTE_PGM_RSRC2:TRAP_HANDLER: 0
; COMPUTE_PGM_RSRC2:TGID_X_EN: 1
; COMPUTE_PGM_RSRC2:TGID_Y_EN: 0
; COMPUTE_PGM_RSRC2:TGID_Z_EN: 0
; COMPUTE_PGM_RSRC2:TIDIG_COMP_CNT: 0
	.section	.text._ZN7rocprim17ROCPRIM_400000_NS6detail17trampoline_kernelINS0_14default_configENS1_25partition_config_selectorILNS1_17partition_subalgoE6ExNS0_10empty_typeEbEEZZNS1_14partition_implILS5_6ELb0ES3_mN6thrust23THRUST_200600_302600_NS6detail15normal_iteratorINSA_10device_ptrIxEEEEPS6_SG_NS0_5tupleIJSF_S6_EEENSH_IJSG_SG_EEES6_PlJ5mod_3IxEEEE10hipError_tPvRmT3_T4_T5_T6_T7_T9_mT8_P12ihipStream_tbDpT10_ENKUlT_T0_E_clISt17integral_constantIbLb1EES15_IbLb0EEEEDaS11_S12_EUlS11_E_NS1_11comp_targetILNS1_3genE8ELNS1_11target_archE1030ELNS1_3gpuE2ELNS1_3repE0EEENS1_30default_config_static_selectorELNS0_4arch9wavefront6targetE0EEEvT1_,"axG",@progbits,_ZN7rocprim17ROCPRIM_400000_NS6detail17trampoline_kernelINS0_14default_configENS1_25partition_config_selectorILNS1_17partition_subalgoE6ExNS0_10empty_typeEbEEZZNS1_14partition_implILS5_6ELb0ES3_mN6thrust23THRUST_200600_302600_NS6detail15normal_iteratorINSA_10device_ptrIxEEEEPS6_SG_NS0_5tupleIJSF_S6_EEENSH_IJSG_SG_EEES6_PlJ5mod_3IxEEEE10hipError_tPvRmT3_T4_T5_T6_T7_T9_mT8_P12ihipStream_tbDpT10_ENKUlT_T0_E_clISt17integral_constantIbLb1EES15_IbLb0EEEEDaS11_S12_EUlS11_E_NS1_11comp_targetILNS1_3genE8ELNS1_11target_archE1030ELNS1_3gpuE2ELNS1_3repE0EEENS1_30default_config_static_selectorELNS0_4arch9wavefront6targetE0EEEvT1_,comdat
	.protected	_ZN7rocprim17ROCPRIM_400000_NS6detail17trampoline_kernelINS0_14default_configENS1_25partition_config_selectorILNS1_17partition_subalgoE6ExNS0_10empty_typeEbEEZZNS1_14partition_implILS5_6ELb0ES3_mN6thrust23THRUST_200600_302600_NS6detail15normal_iteratorINSA_10device_ptrIxEEEEPS6_SG_NS0_5tupleIJSF_S6_EEENSH_IJSG_SG_EEES6_PlJ5mod_3IxEEEE10hipError_tPvRmT3_T4_T5_T6_T7_T9_mT8_P12ihipStream_tbDpT10_ENKUlT_T0_E_clISt17integral_constantIbLb1EES15_IbLb0EEEEDaS11_S12_EUlS11_E_NS1_11comp_targetILNS1_3genE8ELNS1_11target_archE1030ELNS1_3gpuE2ELNS1_3repE0EEENS1_30default_config_static_selectorELNS0_4arch9wavefront6targetE0EEEvT1_ ; -- Begin function _ZN7rocprim17ROCPRIM_400000_NS6detail17trampoline_kernelINS0_14default_configENS1_25partition_config_selectorILNS1_17partition_subalgoE6ExNS0_10empty_typeEbEEZZNS1_14partition_implILS5_6ELb0ES3_mN6thrust23THRUST_200600_302600_NS6detail15normal_iteratorINSA_10device_ptrIxEEEEPS6_SG_NS0_5tupleIJSF_S6_EEENSH_IJSG_SG_EEES6_PlJ5mod_3IxEEEE10hipError_tPvRmT3_T4_T5_T6_T7_T9_mT8_P12ihipStream_tbDpT10_ENKUlT_T0_E_clISt17integral_constantIbLb1EES15_IbLb0EEEEDaS11_S12_EUlS11_E_NS1_11comp_targetILNS1_3genE8ELNS1_11target_archE1030ELNS1_3gpuE2ELNS1_3repE0EEENS1_30default_config_static_selectorELNS0_4arch9wavefront6targetE0EEEvT1_
	.globl	_ZN7rocprim17ROCPRIM_400000_NS6detail17trampoline_kernelINS0_14default_configENS1_25partition_config_selectorILNS1_17partition_subalgoE6ExNS0_10empty_typeEbEEZZNS1_14partition_implILS5_6ELb0ES3_mN6thrust23THRUST_200600_302600_NS6detail15normal_iteratorINSA_10device_ptrIxEEEEPS6_SG_NS0_5tupleIJSF_S6_EEENSH_IJSG_SG_EEES6_PlJ5mod_3IxEEEE10hipError_tPvRmT3_T4_T5_T6_T7_T9_mT8_P12ihipStream_tbDpT10_ENKUlT_T0_E_clISt17integral_constantIbLb1EES15_IbLb0EEEEDaS11_S12_EUlS11_E_NS1_11comp_targetILNS1_3genE8ELNS1_11target_archE1030ELNS1_3gpuE2ELNS1_3repE0EEENS1_30default_config_static_selectorELNS0_4arch9wavefront6targetE0EEEvT1_
	.p2align	8
	.type	_ZN7rocprim17ROCPRIM_400000_NS6detail17trampoline_kernelINS0_14default_configENS1_25partition_config_selectorILNS1_17partition_subalgoE6ExNS0_10empty_typeEbEEZZNS1_14partition_implILS5_6ELb0ES3_mN6thrust23THRUST_200600_302600_NS6detail15normal_iteratorINSA_10device_ptrIxEEEEPS6_SG_NS0_5tupleIJSF_S6_EEENSH_IJSG_SG_EEES6_PlJ5mod_3IxEEEE10hipError_tPvRmT3_T4_T5_T6_T7_T9_mT8_P12ihipStream_tbDpT10_ENKUlT_T0_E_clISt17integral_constantIbLb1EES15_IbLb0EEEEDaS11_S12_EUlS11_E_NS1_11comp_targetILNS1_3genE8ELNS1_11target_archE1030ELNS1_3gpuE2ELNS1_3repE0EEENS1_30default_config_static_selectorELNS0_4arch9wavefront6targetE0EEEvT1_,@function
_ZN7rocprim17ROCPRIM_400000_NS6detail17trampoline_kernelINS0_14default_configENS1_25partition_config_selectorILNS1_17partition_subalgoE6ExNS0_10empty_typeEbEEZZNS1_14partition_implILS5_6ELb0ES3_mN6thrust23THRUST_200600_302600_NS6detail15normal_iteratorINSA_10device_ptrIxEEEEPS6_SG_NS0_5tupleIJSF_S6_EEENSH_IJSG_SG_EEES6_PlJ5mod_3IxEEEE10hipError_tPvRmT3_T4_T5_T6_T7_T9_mT8_P12ihipStream_tbDpT10_ENKUlT_T0_E_clISt17integral_constantIbLb1EES15_IbLb0EEEEDaS11_S12_EUlS11_E_NS1_11comp_targetILNS1_3genE8ELNS1_11target_archE1030ELNS1_3gpuE2ELNS1_3repE0EEENS1_30default_config_static_selectorELNS0_4arch9wavefront6targetE0EEEvT1_: ; @_ZN7rocprim17ROCPRIM_400000_NS6detail17trampoline_kernelINS0_14default_configENS1_25partition_config_selectorILNS1_17partition_subalgoE6ExNS0_10empty_typeEbEEZZNS1_14partition_implILS5_6ELb0ES3_mN6thrust23THRUST_200600_302600_NS6detail15normal_iteratorINSA_10device_ptrIxEEEEPS6_SG_NS0_5tupleIJSF_S6_EEENSH_IJSG_SG_EEES6_PlJ5mod_3IxEEEE10hipError_tPvRmT3_T4_T5_T6_T7_T9_mT8_P12ihipStream_tbDpT10_ENKUlT_T0_E_clISt17integral_constantIbLb1EES15_IbLb0EEEEDaS11_S12_EUlS11_E_NS1_11comp_targetILNS1_3genE8ELNS1_11target_archE1030ELNS1_3gpuE2ELNS1_3repE0EEENS1_30default_config_static_selectorELNS0_4arch9wavefront6targetE0EEEvT1_
; %bb.0:
	.section	.rodata,"a",@progbits
	.p2align	6, 0x0
	.amdhsa_kernel _ZN7rocprim17ROCPRIM_400000_NS6detail17trampoline_kernelINS0_14default_configENS1_25partition_config_selectorILNS1_17partition_subalgoE6ExNS0_10empty_typeEbEEZZNS1_14partition_implILS5_6ELb0ES3_mN6thrust23THRUST_200600_302600_NS6detail15normal_iteratorINSA_10device_ptrIxEEEEPS6_SG_NS0_5tupleIJSF_S6_EEENSH_IJSG_SG_EEES6_PlJ5mod_3IxEEEE10hipError_tPvRmT3_T4_T5_T6_T7_T9_mT8_P12ihipStream_tbDpT10_ENKUlT_T0_E_clISt17integral_constantIbLb1EES15_IbLb0EEEEDaS11_S12_EUlS11_E_NS1_11comp_targetILNS1_3genE8ELNS1_11target_archE1030ELNS1_3gpuE2ELNS1_3repE0EEENS1_30default_config_static_selectorELNS0_4arch9wavefront6targetE0EEEvT1_
		.amdhsa_group_segment_fixed_size 0
		.amdhsa_private_segment_fixed_size 0
		.amdhsa_kernarg_size 112
		.amdhsa_user_sgpr_count 15
		.amdhsa_user_sgpr_dispatch_ptr 0
		.amdhsa_user_sgpr_queue_ptr 0
		.amdhsa_user_sgpr_kernarg_segment_ptr 1
		.amdhsa_user_sgpr_dispatch_id 0
		.amdhsa_user_sgpr_private_segment_size 0
		.amdhsa_wavefront_size32 1
		.amdhsa_uses_dynamic_stack 0
		.amdhsa_enable_private_segment 0
		.amdhsa_system_sgpr_workgroup_id_x 1
		.amdhsa_system_sgpr_workgroup_id_y 0
		.amdhsa_system_sgpr_workgroup_id_z 0
		.amdhsa_system_sgpr_workgroup_info 0
		.amdhsa_system_vgpr_workitem_id 0
		.amdhsa_next_free_vgpr 1
		.amdhsa_next_free_sgpr 1
		.amdhsa_reserve_vcc 0
		.amdhsa_float_round_mode_32 0
		.amdhsa_float_round_mode_16_64 0
		.amdhsa_float_denorm_mode_32 3
		.amdhsa_float_denorm_mode_16_64 3
		.amdhsa_dx10_clamp 1
		.amdhsa_ieee_mode 1
		.amdhsa_fp16_overflow 0
		.amdhsa_workgroup_processor_mode 1
		.amdhsa_memory_ordered 1
		.amdhsa_forward_progress 0
		.amdhsa_shared_vgpr_count 0
		.amdhsa_exception_fp_ieee_invalid_op 0
		.amdhsa_exception_fp_denorm_src 0
		.amdhsa_exception_fp_ieee_div_zero 0
		.amdhsa_exception_fp_ieee_overflow 0
		.amdhsa_exception_fp_ieee_underflow 0
		.amdhsa_exception_fp_ieee_inexact 0
		.amdhsa_exception_int_div_zero 0
	.end_amdhsa_kernel
	.section	.text._ZN7rocprim17ROCPRIM_400000_NS6detail17trampoline_kernelINS0_14default_configENS1_25partition_config_selectorILNS1_17partition_subalgoE6ExNS0_10empty_typeEbEEZZNS1_14partition_implILS5_6ELb0ES3_mN6thrust23THRUST_200600_302600_NS6detail15normal_iteratorINSA_10device_ptrIxEEEEPS6_SG_NS0_5tupleIJSF_S6_EEENSH_IJSG_SG_EEES6_PlJ5mod_3IxEEEE10hipError_tPvRmT3_T4_T5_T6_T7_T9_mT8_P12ihipStream_tbDpT10_ENKUlT_T0_E_clISt17integral_constantIbLb1EES15_IbLb0EEEEDaS11_S12_EUlS11_E_NS1_11comp_targetILNS1_3genE8ELNS1_11target_archE1030ELNS1_3gpuE2ELNS1_3repE0EEENS1_30default_config_static_selectorELNS0_4arch9wavefront6targetE0EEEvT1_,"axG",@progbits,_ZN7rocprim17ROCPRIM_400000_NS6detail17trampoline_kernelINS0_14default_configENS1_25partition_config_selectorILNS1_17partition_subalgoE6ExNS0_10empty_typeEbEEZZNS1_14partition_implILS5_6ELb0ES3_mN6thrust23THRUST_200600_302600_NS6detail15normal_iteratorINSA_10device_ptrIxEEEEPS6_SG_NS0_5tupleIJSF_S6_EEENSH_IJSG_SG_EEES6_PlJ5mod_3IxEEEE10hipError_tPvRmT3_T4_T5_T6_T7_T9_mT8_P12ihipStream_tbDpT10_ENKUlT_T0_E_clISt17integral_constantIbLb1EES15_IbLb0EEEEDaS11_S12_EUlS11_E_NS1_11comp_targetILNS1_3genE8ELNS1_11target_archE1030ELNS1_3gpuE2ELNS1_3repE0EEENS1_30default_config_static_selectorELNS0_4arch9wavefront6targetE0EEEvT1_,comdat
.Lfunc_end575:
	.size	_ZN7rocprim17ROCPRIM_400000_NS6detail17trampoline_kernelINS0_14default_configENS1_25partition_config_selectorILNS1_17partition_subalgoE6ExNS0_10empty_typeEbEEZZNS1_14partition_implILS5_6ELb0ES3_mN6thrust23THRUST_200600_302600_NS6detail15normal_iteratorINSA_10device_ptrIxEEEEPS6_SG_NS0_5tupleIJSF_S6_EEENSH_IJSG_SG_EEES6_PlJ5mod_3IxEEEE10hipError_tPvRmT3_T4_T5_T6_T7_T9_mT8_P12ihipStream_tbDpT10_ENKUlT_T0_E_clISt17integral_constantIbLb1EES15_IbLb0EEEEDaS11_S12_EUlS11_E_NS1_11comp_targetILNS1_3genE8ELNS1_11target_archE1030ELNS1_3gpuE2ELNS1_3repE0EEENS1_30default_config_static_selectorELNS0_4arch9wavefront6targetE0EEEvT1_, .Lfunc_end575-_ZN7rocprim17ROCPRIM_400000_NS6detail17trampoline_kernelINS0_14default_configENS1_25partition_config_selectorILNS1_17partition_subalgoE6ExNS0_10empty_typeEbEEZZNS1_14partition_implILS5_6ELb0ES3_mN6thrust23THRUST_200600_302600_NS6detail15normal_iteratorINSA_10device_ptrIxEEEEPS6_SG_NS0_5tupleIJSF_S6_EEENSH_IJSG_SG_EEES6_PlJ5mod_3IxEEEE10hipError_tPvRmT3_T4_T5_T6_T7_T9_mT8_P12ihipStream_tbDpT10_ENKUlT_T0_E_clISt17integral_constantIbLb1EES15_IbLb0EEEEDaS11_S12_EUlS11_E_NS1_11comp_targetILNS1_3genE8ELNS1_11target_archE1030ELNS1_3gpuE2ELNS1_3repE0EEENS1_30default_config_static_selectorELNS0_4arch9wavefront6targetE0EEEvT1_
                                        ; -- End function
	.section	.AMDGPU.csdata,"",@progbits
; Kernel info:
; codeLenInByte = 0
; NumSgprs: 0
; NumVgprs: 0
; ScratchSize: 0
; MemoryBound: 0
; FloatMode: 240
; IeeeMode: 1
; LDSByteSize: 0 bytes/workgroup (compile time only)
; SGPRBlocks: 0
; VGPRBlocks: 0
; NumSGPRsForWavesPerEU: 1
; NumVGPRsForWavesPerEU: 1
; Occupancy: 16
; WaveLimiterHint : 0
; COMPUTE_PGM_RSRC2:SCRATCH_EN: 0
; COMPUTE_PGM_RSRC2:USER_SGPR: 15
; COMPUTE_PGM_RSRC2:TRAP_HANDLER: 0
; COMPUTE_PGM_RSRC2:TGID_X_EN: 1
; COMPUTE_PGM_RSRC2:TGID_Y_EN: 0
; COMPUTE_PGM_RSRC2:TGID_Z_EN: 0
; COMPUTE_PGM_RSRC2:TIDIG_COMP_CNT: 0
	.section	.text._ZN7rocprim17ROCPRIM_400000_NS6detail17trampoline_kernelINS0_14default_configENS1_25partition_config_selectorILNS1_17partition_subalgoE6ExNS0_10empty_typeEbEEZZNS1_14partition_implILS5_6ELb0ES3_mN6thrust23THRUST_200600_302600_NS6detail15normal_iteratorINSA_10device_ptrIxEEEEPS6_SG_NS0_5tupleIJSF_S6_EEENSH_IJSG_SG_EEES6_PlJ5mod_3IxEEEE10hipError_tPvRmT3_T4_T5_T6_T7_T9_mT8_P12ihipStream_tbDpT10_ENKUlT_T0_E_clISt17integral_constantIbLb0EES15_IbLb1EEEEDaS11_S12_EUlS11_E_NS1_11comp_targetILNS1_3genE0ELNS1_11target_archE4294967295ELNS1_3gpuE0ELNS1_3repE0EEENS1_30default_config_static_selectorELNS0_4arch9wavefront6targetE0EEEvT1_,"axG",@progbits,_ZN7rocprim17ROCPRIM_400000_NS6detail17trampoline_kernelINS0_14default_configENS1_25partition_config_selectorILNS1_17partition_subalgoE6ExNS0_10empty_typeEbEEZZNS1_14partition_implILS5_6ELb0ES3_mN6thrust23THRUST_200600_302600_NS6detail15normal_iteratorINSA_10device_ptrIxEEEEPS6_SG_NS0_5tupleIJSF_S6_EEENSH_IJSG_SG_EEES6_PlJ5mod_3IxEEEE10hipError_tPvRmT3_T4_T5_T6_T7_T9_mT8_P12ihipStream_tbDpT10_ENKUlT_T0_E_clISt17integral_constantIbLb0EES15_IbLb1EEEEDaS11_S12_EUlS11_E_NS1_11comp_targetILNS1_3genE0ELNS1_11target_archE4294967295ELNS1_3gpuE0ELNS1_3repE0EEENS1_30default_config_static_selectorELNS0_4arch9wavefront6targetE0EEEvT1_,comdat
	.protected	_ZN7rocprim17ROCPRIM_400000_NS6detail17trampoline_kernelINS0_14default_configENS1_25partition_config_selectorILNS1_17partition_subalgoE6ExNS0_10empty_typeEbEEZZNS1_14partition_implILS5_6ELb0ES3_mN6thrust23THRUST_200600_302600_NS6detail15normal_iteratorINSA_10device_ptrIxEEEEPS6_SG_NS0_5tupleIJSF_S6_EEENSH_IJSG_SG_EEES6_PlJ5mod_3IxEEEE10hipError_tPvRmT3_T4_T5_T6_T7_T9_mT8_P12ihipStream_tbDpT10_ENKUlT_T0_E_clISt17integral_constantIbLb0EES15_IbLb1EEEEDaS11_S12_EUlS11_E_NS1_11comp_targetILNS1_3genE0ELNS1_11target_archE4294967295ELNS1_3gpuE0ELNS1_3repE0EEENS1_30default_config_static_selectorELNS0_4arch9wavefront6targetE0EEEvT1_ ; -- Begin function _ZN7rocprim17ROCPRIM_400000_NS6detail17trampoline_kernelINS0_14default_configENS1_25partition_config_selectorILNS1_17partition_subalgoE6ExNS0_10empty_typeEbEEZZNS1_14partition_implILS5_6ELb0ES3_mN6thrust23THRUST_200600_302600_NS6detail15normal_iteratorINSA_10device_ptrIxEEEEPS6_SG_NS0_5tupleIJSF_S6_EEENSH_IJSG_SG_EEES6_PlJ5mod_3IxEEEE10hipError_tPvRmT3_T4_T5_T6_T7_T9_mT8_P12ihipStream_tbDpT10_ENKUlT_T0_E_clISt17integral_constantIbLb0EES15_IbLb1EEEEDaS11_S12_EUlS11_E_NS1_11comp_targetILNS1_3genE0ELNS1_11target_archE4294967295ELNS1_3gpuE0ELNS1_3repE0EEENS1_30default_config_static_selectorELNS0_4arch9wavefront6targetE0EEEvT1_
	.globl	_ZN7rocprim17ROCPRIM_400000_NS6detail17trampoline_kernelINS0_14default_configENS1_25partition_config_selectorILNS1_17partition_subalgoE6ExNS0_10empty_typeEbEEZZNS1_14partition_implILS5_6ELb0ES3_mN6thrust23THRUST_200600_302600_NS6detail15normal_iteratorINSA_10device_ptrIxEEEEPS6_SG_NS0_5tupleIJSF_S6_EEENSH_IJSG_SG_EEES6_PlJ5mod_3IxEEEE10hipError_tPvRmT3_T4_T5_T6_T7_T9_mT8_P12ihipStream_tbDpT10_ENKUlT_T0_E_clISt17integral_constantIbLb0EES15_IbLb1EEEEDaS11_S12_EUlS11_E_NS1_11comp_targetILNS1_3genE0ELNS1_11target_archE4294967295ELNS1_3gpuE0ELNS1_3repE0EEENS1_30default_config_static_selectorELNS0_4arch9wavefront6targetE0EEEvT1_
	.p2align	8
	.type	_ZN7rocprim17ROCPRIM_400000_NS6detail17trampoline_kernelINS0_14default_configENS1_25partition_config_selectorILNS1_17partition_subalgoE6ExNS0_10empty_typeEbEEZZNS1_14partition_implILS5_6ELb0ES3_mN6thrust23THRUST_200600_302600_NS6detail15normal_iteratorINSA_10device_ptrIxEEEEPS6_SG_NS0_5tupleIJSF_S6_EEENSH_IJSG_SG_EEES6_PlJ5mod_3IxEEEE10hipError_tPvRmT3_T4_T5_T6_T7_T9_mT8_P12ihipStream_tbDpT10_ENKUlT_T0_E_clISt17integral_constantIbLb0EES15_IbLb1EEEEDaS11_S12_EUlS11_E_NS1_11comp_targetILNS1_3genE0ELNS1_11target_archE4294967295ELNS1_3gpuE0ELNS1_3repE0EEENS1_30default_config_static_selectorELNS0_4arch9wavefront6targetE0EEEvT1_,@function
_ZN7rocprim17ROCPRIM_400000_NS6detail17trampoline_kernelINS0_14default_configENS1_25partition_config_selectorILNS1_17partition_subalgoE6ExNS0_10empty_typeEbEEZZNS1_14partition_implILS5_6ELb0ES3_mN6thrust23THRUST_200600_302600_NS6detail15normal_iteratorINSA_10device_ptrIxEEEEPS6_SG_NS0_5tupleIJSF_S6_EEENSH_IJSG_SG_EEES6_PlJ5mod_3IxEEEE10hipError_tPvRmT3_T4_T5_T6_T7_T9_mT8_P12ihipStream_tbDpT10_ENKUlT_T0_E_clISt17integral_constantIbLb0EES15_IbLb1EEEEDaS11_S12_EUlS11_E_NS1_11comp_targetILNS1_3genE0ELNS1_11target_archE4294967295ELNS1_3gpuE0ELNS1_3repE0EEENS1_30default_config_static_selectorELNS0_4arch9wavefront6targetE0EEEvT1_: ; @_ZN7rocprim17ROCPRIM_400000_NS6detail17trampoline_kernelINS0_14default_configENS1_25partition_config_selectorILNS1_17partition_subalgoE6ExNS0_10empty_typeEbEEZZNS1_14partition_implILS5_6ELb0ES3_mN6thrust23THRUST_200600_302600_NS6detail15normal_iteratorINSA_10device_ptrIxEEEEPS6_SG_NS0_5tupleIJSF_S6_EEENSH_IJSG_SG_EEES6_PlJ5mod_3IxEEEE10hipError_tPvRmT3_T4_T5_T6_T7_T9_mT8_P12ihipStream_tbDpT10_ENKUlT_T0_E_clISt17integral_constantIbLb0EES15_IbLb1EEEEDaS11_S12_EUlS11_E_NS1_11comp_targetILNS1_3genE0ELNS1_11target_archE4294967295ELNS1_3gpuE0ELNS1_3repE0EEENS1_30default_config_static_selectorELNS0_4arch9wavefront6targetE0EEEvT1_
; %bb.0:
	.section	.rodata,"a",@progbits
	.p2align	6, 0x0
	.amdhsa_kernel _ZN7rocprim17ROCPRIM_400000_NS6detail17trampoline_kernelINS0_14default_configENS1_25partition_config_selectorILNS1_17partition_subalgoE6ExNS0_10empty_typeEbEEZZNS1_14partition_implILS5_6ELb0ES3_mN6thrust23THRUST_200600_302600_NS6detail15normal_iteratorINSA_10device_ptrIxEEEEPS6_SG_NS0_5tupleIJSF_S6_EEENSH_IJSG_SG_EEES6_PlJ5mod_3IxEEEE10hipError_tPvRmT3_T4_T5_T6_T7_T9_mT8_P12ihipStream_tbDpT10_ENKUlT_T0_E_clISt17integral_constantIbLb0EES15_IbLb1EEEEDaS11_S12_EUlS11_E_NS1_11comp_targetILNS1_3genE0ELNS1_11target_archE4294967295ELNS1_3gpuE0ELNS1_3repE0EEENS1_30default_config_static_selectorELNS0_4arch9wavefront6targetE0EEEvT1_
		.amdhsa_group_segment_fixed_size 0
		.amdhsa_private_segment_fixed_size 0
		.amdhsa_kernarg_size 128
		.amdhsa_user_sgpr_count 15
		.amdhsa_user_sgpr_dispatch_ptr 0
		.amdhsa_user_sgpr_queue_ptr 0
		.amdhsa_user_sgpr_kernarg_segment_ptr 1
		.amdhsa_user_sgpr_dispatch_id 0
		.amdhsa_user_sgpr_private_segment_size 0
		.amdhsa_wavefront_size32 1
		.amdhsa_uses_dynamic_stack 0
		.amdhsa_enable_private_segment 0
		.amdhsa_system_sgpr_workgroup_id_x 1
		.amdhsa_system_sgpr_workgroup_id_y 0
		.amdhsa_system_sgpr_workgroup_id_z 0
		.amdhsa_system_sgpr_workgroup_info 0
		.amdhsa_system_vgpr_workitem_id 0
		.amdhsa_next_free_vgpr 1
		.amdhsa_next_free_sgpr 1
		.amdhsa_reserve_vcc 0
		.amdhsa_float_round_mode_32 0
		.amdhsa_float_round_mode_16_64 0
		.amdhsa_float_denorm_mode_32 3
		.amdhsa_float_denorm_mode_16_64 3
		.amdhsa_dx10_clamp 1
		.amdhsa_ieee_mode 1
		.amdhsa_fp16_overflow 0
		.amdhsa_workgroup_processor_mode 1
		.amdhsa_memory_ordered 1
		.amdhsa_forward_progress 0
		.amdhsa_shared_vgpr_count 0
		.amdhsa_exception_fp_ieee_invalid_op 0
		.amdhsa_exception_fp_denorm_src 0
		.amdhsa_exception_fp_ieee_div_zero 0
		.amdhsa_exception_fp_ieee_overflow 0
		.amdhsa_exception_fp_ieee_underflow 0
		.amdhsa_exception_fp_ieee_inexact 0
		.amdhsa_exception_int_div_zero 0
	.end_amdhsa_kernel
	.section	.text._ZN7rocprim17ROCPRIM_400000_NS6detail17trampoline_kernelINS0_14default_configENS1_25partition_config_selectorILNS1_17partition_subalgoE6ExNS0_10empty_typeEbEEZZNS1_14partition_implILS5_6ELb0ES3_mN6thrust23THRUST_200600_302600_NS6detail15normal_iteratorINSA_10device_ptrIxEEEEPS6_SG_NS0_5tupleIJSF_S6_EEENSH_IJSG_SG_EEES6_PlJ5mod_3IxEEEE10hipError_tPvRmT3_T4_T5_T6_T7_T9_mT8_P12ihipStream_tbDpT10_ENKUlT_T0_E_clISt17integral_constantIbLb0EES15_IbLb1EEEEDaS11_S12_EUlS11_E_NS1_11comp_targetILNS1_3genE0ELNS1_11target_archE4294967295ELNS1_3gpuE0ELNS1_3repE0EEENS1_30default_config_static_selectorELNS0_4arch9wavefront6targetE0EEEvT1_,"axG",@progbits,_ZN7rocprim17ROCPRIM_400000_NS6detail17trampoline_kernelINS0_14default_configENS1_25partition_config_selectorILNS1_17partition_subalgoE6ExNS0_10empty_typeEbEEZZNS1_14partition_implILS5_6ELb0ES3_mN6thrust23THRUST_200600_302600_NS6detail15normal_iteratorINSA_10device_ptrIxEEEEPS6_SG_NS0_5tupleIJSF_S6_EEENSH_IJSG_SG_EEES6_PlJ5mod_3IxEEEE10hipError_tPvRmT3_T4_T5_T6_T7_T9_mT8_P12ihipStream_tbDpT10_ENKUlT_T0_E_clISt17integral_constantIbLb0EES15_IbLb1EEEEDaS11_S12_EUlS11_E_NS1_11comp_targetILNS1_3genE0ELNS1_11target_archE4294967295ELNS1_3gpuE0ELNS1_3repE0EEENS1_30default_config_static_selectorELNS0_4arch9wavefront6targetE0EEEvT1_,comdat
.Lfunc_end576:
	.size	_ZN7rocprim17ROCPRIM_400000_NS6detail17trampoline_kernelINS0_14default_configENS1_25partition_config_selectorILNS1_17partition_subalgoE6ExNS0_10empty_typeEbEEZZNS1_14partition_implILS5_6ELb0ES3_mN6thrust23THRUST_200600_302600_NS6detail15normal_iteratorINSA_10device_ptrIxEEEEPS6_SG_NS0_5tupleIJSF_S6_EEENSH_IJSG_SG_EEES6_PlJ5mod_3IxEEEE10hipError_tPvRmT3_T4_T5_T6_T7_T9_mT8_P12ihipStream_tbDpT10_ENKUlT_T0_E_clISt17integral_constantIbLb0EES15_IbLb1EEEEDaS11_S12_EUlS11_E_NS1_11comp_targetILNS1_3genE0ELNS1_11target_archE4294967295ELNS1_3gpuE0ELNS1_3repE0EEENS1_30default_config_static_selectorELNS0_4arch9wavefront6targetE0EEEvT1_, .Lfunc_end576-_ZN7rocprim17ROCPRIM_400000_NS6detail17trampoline_kernelINS0_14default_configENS1_25partition_config_selectorILNS1_17partition_subalgoE6ExNS0_10empty_typeEbEEZZNS1_14partition_implILS5_6ELb0ES3_mN6thrust23THRUST_200600_302600_NS6detail15normal_iteratorINSA_10device_ptrIxEEEEPS6_SG_NS0_5tupleIJSF_S6_EEENSH_IJSG_SG_EEES6_PlJ5mod_3IxEEEE10hipError_tPvRmT3_T4_T5_T6_T7_T9_mT8_P12ihipStream_tbDpT10_ENKUlT_T0_E_clISt17integral_constantIbLb0EES15_IbLb1EEEEDaS11_S12_EUlS11_E_NS1_11comp_targetILNS1_3genE0ELNS1_11target_archE4294967295ELNS1_3gpuE0ELNS1_3repE0EEENS1_30default_config_static_selectorELNS0_4arch9wavefront6targetE0EEEvT1_
                                        ; -- End function
	.section	.AMDGPU.csdata,"",@progbits
; Kernel info:
; codeLenInByte = 0
; NumSgprs: 0
; NumVgprs: 0
; ScratchSize: 0
; MemoryBound: 0
; FloatMode: 240
; IeeeMode: 1
; LDSByteSize: 0 bytes/workgroup (compile time only)
; SGPRBlocks: 0
; VGPRBlocks: 0
; NumSGPRsForWavesPerEU: 1
; NumVGPRsForWavesPerEU: 1
; Occupancy: 16
; WaveLimiterHint : 0
; COMPUTE_PGM_RSRC2:SCRATCH_EN: 0
; COMPUTE_PGM_RSRC2:USER_SGPR: 15
; COMPUTE_PGM_RSRC2:TRAP_HANDLER: 0
; COMPUTE_PGM_RSRC2:TGID_X_EN: 1
; COMPUTE_PGM_RSRC2:TGID_Y_EN: 0
; COMPUTE_PGM_RSRC2:TGID_Z_EN: 0
; COMPUTE_PGM_RSRC2:TIDIG_COMP_CNT: 0
	.section	.text._ZN7rocprim17ROCPRIM_400000_NS6detail17trampoline_kernelINS0_14default_configENS1_25partition_config_selectorILNS1_17partition_subalgoE6ExNS0_10empty_typeEbEEZZNS1_14partition_implILS5_6ELb0ES3_mN6thrust23THRUST_200600_302600_NS6detail15normal_iteratorINSA_10device_ptrIxEEEEPS6_SG_NS0_5tupleIJSF_S6_EEENSH_IJSG_SG_EEES6_PlJ5mod_3IxEEEE10hipError_tPvRmT3_T4_T5_T6_T7_T9_mT8_P12ihipStream_tbDpT10_ENKUlT_T0_E_clISt17integral_constantIbLb0EES15_IbLb1EEEEDaS11_S12_EUlS11_E_NS1_11comp_targetILNS1_3genE5ELNS1_11target_archE942ELNS1_3gpuE9ELNS1_3repE0EEENS1_30default_config_static_selectorELNS0_4arch9wavefront6targetE0EEEvT1_,"axG",@progbits,_ZN7rocprim17ROCPRIM_400000_NS6detail17trampoline_kernelINS0_14default_configENS1_25partition_config_selectorILNS1_17partition_subalgoE6ExNS0_10empty_typeEbEEZZNS1_14partition_implILS5_6ELb0ES3_mN6thrust23THRUST_200600_302600_NS6detail15normal_iteratorINSA_10device_ptrIxEEEEPS6_SG_NS0_5tupleIJSF_S6_EEENSH_IJSG_SG_EEES6_PlJ5mod_3IxEEEE10hipError_tPvRmT3_T4_T5_T6_T7_T9_mT8_P12ihipStream_tbDpT10_ENKUlT_T0_E_clISt17integral_constantIbLb0EES15_IbLb1EEEEDaS11_S12_EUlS11_E_NS1_11comp_targetILNS1_3genE5ELNS1_11target_archE942ELNS1_3gpuE9ELNS1_3repE0EEENS1_30default_config_static_selectorELNS0_4arch9wavefront6targetE0EEEvT1_,comdat
	.protected	_ZN7rocprim17ROCPRIM_400000_NS6detail17trampoline_kernelINS0_14default_configENS1_25partition_config_selectorILNS1_17partition_subalgoE6ExNS0_10empty_typeEbEEZZNS1_14partition_implILS5_6ELb0ES3_mN6thrust23THRUST_200600_302600_NS6detail15normal_iteratorINSA_10device_ptrIxEEEEPS6_SG_NS0_5tupleIJSF_S6_EEENSH_IJSG_SG_EEES6_PlJ5mod_3IxEEEE10hipError_tPvRmT3_T4_T5_T6_T7_T9_mT8_P12ihipStream_tbDpT10_ENKUlT_T0_E_clISt17integral_constantIbLb0EES15_IbLb1EEEEDaS11_S12_EUlS11_E_NS1_11comp_targetILNS1_3genE5ELNS1_11target_archE942ELNS1_3gpuE9ELNS1_3repE0EEENS1_30default_config_static_selectorELNS0_4arch9wavefront6targetE0EEEvT1_ ; -- Begin function _ZN7rocprim17ROCPRIM_400000_NS6detail17trampoline_kernelINS0_14default_configENS1_25partition_config_selectorILNS1_17partition_subalgoE6ExNS0_10empty_typeEbEEZZNS1_14partition_implILS5_6ELb0ES3_mN6thrust23THRUST_200600_302600_NS6detail15normal_iteratorINSA_10device_ptrIxEEEEPS6_SG_NS0_5tupleIJSF_S6_EEENSH_IJSG_SG_EEES6_PlJ5mod_3IxEEEE10hipError_tPvRmT3_T4_T5_T6_T7_T9_mT8_P12ihipStream_tbDpT10_ENKUlT_T0_E_clISt17integral_constantIbLb0EES15_IbLb1EEEEDaS11_S12_EUlS11_E_NS1_11comp_targetILNS1_3genE5ELNS1_11target_archE942ELNS1_3gpuE9ELNS1_3repE0EEENS1_30default_config_static_selectorELNS0_4arch9wavefront6targetE0EEEvT1_
	.globl	_ZN7rocprim17ROCPRIM_400000_NS6detail17trampoline_kernelINS0_14default_configENS1_25partition_config_selectorILNS1_17partition_subalgoE6ExNS0_10empty_typeEbEEZZNS1_14partition_implILS5_6ELb0ES3_mN6thrust23THRUST_200600_302600_NS6detail15normal_iteratorINSA_10device_ptrIxEEEEPS6_SG_NS0_5tupleIJSF_S6_EEENSH_IJSG_SG_EEES6_PlJ5mod_3IxEEEE10hipError_tPvRmT3_T4_T5_T6_T7_T9_mT8_P12ihipStream_tbDpT10_ENKUlT_T0_E_clISt17integral_constantIbLb0EES15_IbLb1EEEEDaS11_S12_EUlS11_E_NS1_11comp_targetILNS1_3genE5ELNS1_11target_archE942ELNS1_3gpuE9ELNS1_3repE0EEENS1_30default_config_static_selectorELNS0_4arch9wavefront6targetE0EEEvT1_
	.p2align	8
	.type	_ZN7rocprim17ROCPRIM_400000_NS6detail17trampoline_kernelINS0_14default_configENS1_25partition_config_selectorILNS1_17partition_subalgoE6ExNS0_10empty_typeEbEEZZNS1_14partition_implILS5_6ELb0ES3_mN6thrust23THRUST_200600_302600_NS6detail15normal_iteratorINSA_10device_ptrIxEEEEPS6_SG_NS0_5tupleIJSF_S6_EEENSH_IJSG_SG_EEES6_PlJ5mod_3IxEEEE10hipError_tPvRmT3_T4_T5_T6_T7_T9_mT8_P12ihipStream_tbDpT10_ENKUlT_T0_E_clISt17integral_constantIbLb0EES15_IbLb1EEEEDaS11_S12_EUlS11_E_NS1_11comp_targetILNS1_3genE5ELNS1_11target_archE942ELNS1_3gpuE9ELNS1_3repE0EEENS1_30default_config_static_selectorELNS0_4arch9wavefront6targetE0EEEvT1_,@function
_ZN7rocprim17ROCPRIM_400000_NS6detail17trampoline_kernelINS0_14default_configENS1_25partition_config_selectorILNS1_17partition_subalgoE6ExNS0_10empty_typeEbEEZZNS1_14partition_implILS5_6ELb0ES3_mN6thrust23THRUST_200600_302600_NS6detail15normal_iteratorINSA_10device_ptrIxEEEEPS6_SG_NS0_5tupleIJSF_S6_EEENSH_IJSG_SG_EEES6_PlJ5mod_3IxEEEE10hipError_tPvRmT3_T4_T5_T6_T7_T9_mT8_P12ihipStream_tbDpT10_ENKUlT_T0_E_clISt17integral_constantIbLb0EES15_IbLb1EEEEDaS11_S12_EUlS11_E_NS1_11comp_targetILNS1_3genE5ELNS1_11target_archE942ELNS1_3gpuE9ELNS1_3repE0EEENS1_30default_config_static_selectorELNS0_4arch9wavefront6targetE0EEEvT1_: ; @_ZN7rocprim17ROCPRIM_400000_NS6detail17trampoline_kernelINS0_14default_configENS1_25partition_config_selectorILNS1_17partition_subalgoE6ExNS0_10empty_typeEbEEZZNS1_14partition_implILS5_6ELb0ES3_mN6thrust23THRUST_200600_302600_NS6detail15normal_iteratorINSA_10device_ptrIxEEEEPS6_SG_NS0_5tupleIJSF_S6_EEENSH_IJSG_SG_EEES6_PlJ5mod_3IxEEEE10hipError_tPvRmT3_T4_T5_T6_T7_T9_mT8_P12ihipStream_tbDpT10_ENKUlT_T0_E_clISt17integral_constantIbLb0EES15_IbLb1EEEEDaS11_S12_EUlS11_E_NS1_11comp_targetILNS1_3genE5ELNS1_11target_archE942ELNS1_3gpuE9ELNS1_3repE0EEENS1_30default_config_static_selectorELNS0_4arch9wavefront6targetE0EEEvT1_
; %bb.0:
	.section	.rodata,"a",@progbits
	.p2align	6, 0x0
	.amdhsa_kernel _ZN7rocprim17ROCPRIM_400000_NS6detail17trampoline_kernelINS0_14default_configENS1_25partition_config_selectorILNS1_17partition_subalgoE6ExNS0_10empty_typeEbEEZZNS1_14partition_implILS5_6ELb0ES3_mN6thrust23THRUST_200600_302600_NS6detail15normal_iteratorINSA_10device_ptrIxEEEEPS6_SG_NS0_5tupleIJSF_S6_EEENSH_IJSG_SG_EEES6_PlJ5mod_3IxEEEE10hipError_tPvRmT3_T4_T5_T6_T7_T9_mT8_P12ihipStream_tbDpT10_ENKUlT_T0_E_clISt17integral_constantIbLb0EES15_IbLb1EEEEDaS11_S12_EUlS11_E_NS1_11comp_targetILNS1_3genE5ELNS1_11target_archE942ELNS1_3gpuE9ELNS1_3repE0EEENS1_30default_config_static_selectorELNS0_4arch9wavefront6targetE0EEEvT1_
		.amdhsa_group_segment_fixed_size 0
		.amdhsa_private_segment_fixed_size 0
		.amdhsa_kernarg_size 128
		.amdhsa_user_sgpr_count 15
		.amdhsa_user_sgpr_dispatch_ptr 0
		.amdhsa_user_sgpr_queue_ptr 0
		.amdhsa_user_sgpr_kernarg_segment_ptr 1
		.amdhsa_user_sgpr_dispatch_id 0
		.amdhsa_user_sgpr_private_segment_size 0
		.amdhsa_wavefront_size32 1
		.amdhsa_uses_dynamic_stack 0
		.amdhsa_enable_private_segment 0
		.amdhsa_system_sgpr_workgroup_id_x 1
		.amdhsa_system_sgpr_workgroup_id_y 0
		.amdhsa_system_sgpr_workgroup_id_z 0
		.amdhsa_system_sgpr_workgroup_info 0
		.amdhsa_system_vgpr_workitem_id 0
		.amdhsa_next_free_vgpr 1
		.amdhsa_next_free_sgpr 1
		.amdhsa_reserve_vcc 0
		.amdhsa_float_round_mode_32 0
		.amdhsa_float_round_mode_16_64 0
		.amdhsa_float_denorm_mode_32 3
		.amdhsa_float_denorm_mode_16_64 3
		.amdhsa_dx10_clamp 1
		.amdhsa_ieee_mode 1
		.amdhsa_fp16_overflow 0
		.amdhsa_workgroup_processor_mode 1
		.amdhsa_memory_ordered 1
		.amdhsa_forward_progress 0
		.amdhsa_shared_vgpr_count 0
		.amdhsa_exception_fp_ieee_invalid_op 0
		.amdhsa_exception_fp_denorm_src 0
		.amdhsa_exception_fp_ieee_div_zero 0
		.amdhsa_exception_fp_ieee_overflow 0
		.amdhsa_exception_fp_ieee_underflow 0
		.amdhsa_exception_fp_ieee_inexact 0
		.amdhsa_exception_int_div_zero 0
	.end_amdhsa_kernel
	.section	.text._ZN7rocprim17ROCPRIM_400000_NS6detail17trampoline_kernelINS0_14default_configENS1_25partition_config_selectorILNS1_17partition_subalgoE6ExNS0_10empty_typeEbEEZZNS1_14partition_implILS5_6ELb0ES3_mN6thrust23THRUST_200600_302600_NS6detail15normal_iteratorINSA_10device_ptrIxEEEEPS6_SG_NS0_5tupleIJSF_S6_EEENSH_IJSG_SG_EEES6_PlJ5mod_3IxEEEE10hipError_tPvRmT3_T4_T5_T6_T7_T9_mT8_P12ihipStream_tbDpT10_ENKUlT_T0_E_clISt17integral_constantIbLb0EES15_IbLb1EEEEDaS11_S12_EUlS11_E_NS1_11comp_targetILNS1_3genE5ELNS1_11target_archE942ELNS1_3gpuE9ELNS1_3repE0EEENS1_30default_config_static_selectorELNS0_4arch9wavefront6targetE0EEEvT1_,"axG",@progbits,_ZN7rocprim17ROCPRIM_400000_NS6detail17trampoline_kernelINS0_14default_configENS1_25partition_config_selectorILNS1_17partition_subalgoE6ExNS0_10empty_typeEbEEZZNS1_14partition_implILS5_6ELb0ES3_mN6thrust23THRUST_200600_302600_NS6detail15normal_iteratorINSA_10device_ptrIxEEEEPS6_SG_NS0_5tupleIJSF_S6_EEENSH_IJSG_SG_EEES6_PlJ5mod_3IxEEEE10hipError_tPvRmT3_T4_T5_T6_T7_T9_mT8_P12ihipStream_tbDpT10_ENKUlT_T0_E_clISt17integral_constantIbLb0EES15_IbLb1EEEEDaS11_S12_EUlS11_E_NS1_11comp_targetILNS1_3genE5ELNS1_11target_archE942ELNS1_3gpuE9ELNS1_3repE0EEENS1_30default_config_static_selectorELNS0_4arch9wavefront6targetE0EEEvT1_,comdat
.Lfunc_end577:
	.size	_ZN7rocprim17ROCPRIM_400000_NS6detail17trampoline_kernelINS0_14default_configENS1_25partition_config_selectorILNS1_17partition_subalgoE6ExNS0_10empty_typeEbEEZZNS1_14partition_implILS5_6ELb0ES3_mN6thrust23THRUST_200600_302600_NS6detail15normal_iteratorINSA_10device_ptrIxEEEEPS6_SG_NS0_5tupleIJSF_S6_EEENSH_IJSG_SG_EEES6_PlJ5mod_3IxEEEE10hipError_tPvRmT3_T4_T5_T6_T7_T9_mT8_P12ihipStream_tbDpT10_ENKUlT_T0_E_clISt17integral_constantIbLb0EES15_IbLb1EEEEDaS11_S12_EUlS11_E_NS1_11comp_targetILNS1_3genE5ELNS1_11target_archE942ELNS1_3gpuE9ELNS1_3repE0EEENS1_30default_config_static_selectorELNS0_4arch9wavefront6targetE0EEEvT1_, .Lfunc_end577-_ZN7rocprim17ROCPRIM_400000_NS6detail17trampoline_kernelINS0_14default_configENS1_25partition_config_selectorILNS1_17partition_subalgoE6ExNS0_10empty_typeEbEEZZNS1_14partition_implILS5_6ELb0ES3_mN6thrust23THRUST_200600_302600_NS6detail15normal_iteratorINSA_10device_ptrIxEEEEPS6_SG_NS0_5tupleIJSF_S6_EEENSH_IJSG_SG_EEES6_PlJ5mod_3IxEEEE10hipError_tPvRmT3_T4_T5_T6_T7_T9_mT8_P12ihipStream_tbDpT10_ENKUlT_T0_E_clISt17integral_constantIbLb0EES15_IbLb1EEEEDaS11_S12_EUlS11_E_NS1_11comp_targetILNS1_3genE5ELNS1_11target_archE942ELNS1_3gpuE9ELNS1_3repE0EEENS1_30default_config_static_selectorELNS0_4arch9wavefront6targetE0EEEvT1_
                                        ; -- End function
	.section	.AMDGPU.csdata,"",@progbits
; Kernel info:
; codeLenInByte = 0
; NumSgprs: 0
; NumVgprs: 0
; ScratchSize: 0
; MemoryBound: 0
; FloatMode: 240
; IeeeMode: 1
; LDSByteSize: 0 bytes/workgroup (compile time only)
; SGPRBlocks: 0
; VGPRBlocks: 0
; NumSGPRsForWavesPerEU: 1
; NumVGPRsForWavesPerEU: 1
; Occupancy: 16
; WaveLimiterHint : 0
; COMPUTE_PGM_RSRC2:SCRATCH_EN: 0
; COMPUTE_PGM_RSRC2:USER_SGPR: 15
; COMPUTE_PGM_RSRC2:TRAP_HANDLER: 0
; COMPUTE_PGM_RSRC2:TGID_X_EN: 1
; COMPUTE_PGM_RSRC2:TGID_Y_EN: 0
; COMPUTE_PGM_RSRC2:TGID_Z_EN: 0
; COMPUTE_PGM_RSRC2:TIDIG_COMP_CNT: 0
	.section	.text._ZN7rocprim17ROCPRIM_400000_NS6detail17trampoline_kernelINS0_14default_configENS1_25partition_config_selectorILNS1_17partition_subalgoE6ExNS0_10empty_typeEbEEZZNS1_14partition_implILS5_6ELb0ES3_mN6thrust23THRUST_200600_302600_NS6detail15normal_iteratorINSA_10device_ptrIxEEEEPS6_SG_NS0_5tupleIJSF_S6_EEENSH_IJSG_SG_EEES6_PlJ5mod_3IxEEEE10hipError_tPvRmT3_T4_T5_T6_T7_T9_mT8_P12ihipStream_tbDpT10_ENKUlT_T0_E_clISt17integral_constantIbLb0EES15_IbLb1EEEEDaS11_S12_EUlS11_E_NS1_11comp_targetILNS1_3genE4ELNS1_11target_archE910ELNS1_3gpuE8ELNS1_3repE0EEENS1_30default_config_static_selectorELNS0_4arch9wavefront6targetE0EEEvT1_,"axG",@progbits,_ZN7rocprim17ROCPRIM_400000_NS6detail17trampoline_kernelINS0_14default_configENS1_25partition_config_selectorILNS1_17partition_subalgoE6ExNS0_10empty_typeEbEEZZNS1_14partition_implILS5_6ELb0ES3_mN6thrust23THRUST_200600_302600_NS6detail15normal_iteratorINSA_10device_ptrIxEEEEPS6_SG_NS0_5tupleIJSF_S6_EEENSH_IJSG_SG_EEES6_PlJ5mod_3IxEEEE10hipError_tPvRmT3_T4_T5_T6_T7_T9_mT8_P12ihipStream_tbDpT10_ENKUlT_T0_E_clISt17integral_constantIbLb0EES15_IbLb1EEEEDaS11_S12_EUlS11_E_NS1_11comp_targetILNS1_3genE4ELNS1_11target_archE910ELNS1_3gpuE8ELNS1_3repE0EEENS1_30default_config_static_selectorELNS0_4arch9wavefront6targetE0EEEvT1_,comdat
	.protected	_ZN7rocprim17ROCPRIM_400000_NS6detail17trampoline_kernelINS0_14default_configENS1_25partition_config_selectorILNS1_17partition_subalgoE6ExNS0_10empty_typeEbEEZZNS1_14partition_implILS5_6ELb0ES3_mN6thrust23THRUST_200600_302600_NS6detail15normal_iteratorINSA_10device_ptrIxEEEEPS6_SG_NS0_5tupleIJSF_S6_EEENSH_IJSG_SG_EEES6_PlJ5mod_3IxEEEE10hipError_tPvRmT3_T4_T5_T6_T7_T9_mT8_P12ihipStream_tbDpT10_ENKUlT_T0_E_clISt17integral_constantIbLb0EES15_IbLb1EEEEDaS11_S12_EUlS11_E_NS1_11comp_targetILNS1_3genE4ELNS1_11target_archE910ELNS1_3gpuE8ELNS1_3repE0EEENS1_30default_config_static_selectorELNS0_4arch9wavefront6targetE0EEEvT1_ ; -- Begin function _ZN7rocprim17ROCPRIM_400000_NS6detail17trampoline_kernelINS0_14default_configENS1_25partition_config_selectorILNS1_17partition_subalgoE6ExNS0_10empty_typeEbEEZZNS1_14partition_implILS5_6ELb0ES3_mN6thrust23THRUST_200600_302600_NS6detail15normal_iteratorINSA_10device_ptrIxEEEEPS6_SG_NS0_5tupleIJSF_S6_EEENSH_IJSG_SG_EEES6_PlJ5mod_3IxEEEE10hipError_tPvRmT3_T4_T5_T6_T7_T9_mT8_P12ihipStream_tbDpT10_ENKUlT_T0_E_clISt17integral_constantIbLb0EES15_IbLb1EEEEDaS11_S12_EUlS11_E_NS1_11comp_targetILNS1_3genE4ELNS1_11target_archE910ELNS1_3gpuE8ELNS1_3repE0EEENS1_30default_config_static_selectorELNS0_4arch9wavefront6targetE0EEEvT1_
	.globl	_ZN7rocprim17ROCPRIM_400000_NS6detail17trampoline_kernelINS0_14default_configENS1_25partition_config_selectorILNS1_17partition_subalgoE6ExNS0_10empty_typeEbEEZZNS1_14partition_implILS5_6ELb0ES3_mN6thrust23THRUST_200600_302600_NS6detail15normal_iteratorINSA_10device_ptrIxEEEEPS6_SG_NS0_5tupleIJSF_S6_EEENSH_IJSG_SG_EEES6_PlJ5mod_3IxEEEE10hipError_tPvRmT3_T4_T5_T6_T7_T9_mT8_P12ihipStream_tbDpT10_ENKUlT_T0_E_clISt17integral_constantIbLb0EES15_IbLb1EEEEDaS11_S12_EUlS11_E_NS1_11comp_targetILNS1_3genE4ELNS1_11target_archE910ELNS1_3gpuE8ELNS1_3repE0EEENS1_30default_config_static_selectorELNS0_4arch9wavefront6targetE0EEEvT1_
	.p2align	8
	.type	_ZN7rocprim17ROCPRIM_400000_NS6detail17trampoline_kernelINS0_14default_configENS1_25partition_config_selectorILNS1_17partition_subalgoE6ExNS0_10empty_typeEbEEZZNS1_14partition_implILS5_6ELb0ES3_mN6thrust23THRUST_200600_302600_NS6detail15normal_iteratorINSA_10device_ptrIxEEEEPS6_SG_NS0_5tupleIJSF_S6_EEENSH_IJSG_SG_EEES6_PlJ5mod_3IxEEEE10hipError_tPvRmT3_T4_T5_T6_T7_T9_mT8_P12ihipStream_tbDpT10_ENKUlT_T0_E_clISt17integral_constantIbLb0EES15_IbLb1EEEEDaS11_S12_EUlS11_E_NS1_11comp_targetILNS1_3genE4ELNS1_11target_archE910ELNS1_3gpuE8ELNS1_3repE0EEENS1_30default_config_static_selectorELNS0_4arch9wavefront6targetE0EEEvT1_,@function
_ZN7rocprim17ROCPRIM_400000_NS6detail17trampoline_kernelINS0_14default_configENS1_25partition_config_selectorILNS1_17partition_subalgoE6ExNS0_10empty_typeEbEEZZNS1_14partition_implILS5_6ELb0ES3_mN6thrust23THRUST_200600_302600_NS6detail15normal_iteratorINSA_10device_ptrIxEEEEPS6_SG_NS0_5tupleIJSF_S6_EEENSH_IJSG_SG_EEES6_PlJ5mod_3IxEEEE10hipError_tPvRmT3_T4_T5_T6_T7_T9_mT8_P12ihipStream_tbDpT10_ENKUlT_T0_E_clISt17integral_constantIbLb0EES15_IbLb1EEEEDaS11_S12_EUlS11_E_NS1_11comp_targetILNS1_3genE4ELNS1_11target_archE910ELNS1_3gpuE8ELNS1_3repE0EEENS1_30default_config_static_selectorELNS0_4arch9wavefront6targetE0EEEvT1_: ; @_ZN7rocprim17ROCPRIM_400000_NS6detail17trampoline_kernelINS0_14default_configENS1_25partition_config_selectorILNS1_17partition_subalgoE6ExNS0_10empty_typeEbEEZZNS1_14partition_implILS5_6ELb0ES3_mN6thrust23THRUST_200600_302600_NS6detail15normal_iteratorINSA_10device_ptrIxEEEEPS6_SG_NS0_5tupleIJSF_S6_EEENSH_IJSG_SG_EEES6_PlJ5mod_3IxEEEE10hipError_tPvRmT3_T4_T5_T6_T7_T9_mT8_P12ihipStream_tbDpT10_ENKUlT_T0_E_clISt17integral_constantIbLb0EES15_IbLb1EEEEDaS11_S12_EUlS11_E_NS1_11comp_targetILNS1_3genE4ELNS1_11target_archE910ELNS1_3gpuE8ELNS1_3repE0EEENS1_30default_config_static_selectorELNS0_4arch9wavefront6targetE0EEEvT1_
; %bb.0:
	.section	.rodata,"a",@progbits
	.p2align	6, 0x0
	.amdhsa_kernel _ZN7rocprim17ROCPRIM_400000_NS6detail17trampoline_kernelINS0_14default_configENS1_25partition_config_selectorILNS1_17partition_subalgoE6ExNS0_10empty_typeEbEEZZNS1_14partition_implILS5_6ELb0ES3_mN6thrust23THRUST_200600_302600_NS6detail15normal_iteratorINSA_10device_ptrIxEEEEPS6_SG_NS0_5tupleIJSF_S6_EEENSH_IJSG_SG_EEES6_PlJ5mod_3IxEEEE10hipError_tPvRmT3_T4_T5_T6_T7_T9_mT8_P12ihipStream_tbDpT10_ENKUlT_T0_E_clISt17integral_constantIbLb0EES15_IbLb1EEEEDaS11_S12_EUlS11_E_NS1_11comp_targetILNS1_3genE4ELNS1_11target_archE910ELNS1_3gpuE8ELNS1_3repE0EEENS1_30default_config_static_selectorELNS0_4arch9wavefront6targetE0EEEvT1_
		.amdhsa_group_segment_fixed_size 0
		.amdhsa_private_segment_fixed_size 0
		.amdhsa_kernarg_size 128
		.amdhsa_user_sgpr_count 15
		.amdhsa_user_sgpr_dispatch_ptr 0
		.amdhsa_user_sgpr_queue_ptr 0
		.amdhsa_user_sgpr_kernarg_segment_ptr 1
		.amdhsa_user_sgpr_dispatch_id 0
		.amdhsa_user_sgpr_private_segment_size 0
		.amdhsa_wavefront_size32 1
		.amdhsa_uses_dynamic_stack 0
		.amdhsa_enable_private_segment 0
		.amdhsa_system_sgpr_workgroup_id_x 1
		.amdhsa_system_sgpr_workgroup_id_y 0
		.amdhsa_system_sgpr_workgroup_id_z 0
		.amdhsa_system_sgpr_workgroup_info 0
		.amdhsa_system_vgpr_workitem_id 0
		.amdhsa_next_free_vgpr 1
		.amdhsa_next_free_sgpr 1
		.amdhsa_reserve_vcc 0
		.amdhsa_float_round_mode_32 0
		.amdhsa_float_round_mode_16_64 0
		.amdhsa_float_denorm_mode_32 3
		.amdhsa_float_denorm_mode_16_64 3
		.amdhsa_dx10_clamp 1
		.amdhsa_ieee_mode 1
		.amdhsa_fp16_overflow 0
		.amdhsa_workgroup_processor_mode 1
		.amdhsa_memory_ordered 1
		.amdhsa_forward_progress 0
		.amdhsa_shared_vgpr_count 0
		.amdhsa_exception_fp_ieee_invalid_op 0
		.amdhsa_exception_fp_denorm_src 0
		.amdhsa_exception_fp_ieee_div_zero 0
		.amdhsa_exception_fp_ieee_overflow 0
		.amdhsa_exception_fp_ieee_underflow 0
		.amdhsa_exception_fp_ieee_inexact 0
		.amdhsa_exception_int_div_zero 0
	.end_amdhsa_kernel
	.section	.text._ZN7rocprim17ROCPRIM_400000_NS6detail17trampoline_kernelINS0_14default_configENS1_25partition_config_selectorILNS1_17partition_subalgoE6ExNS0_10empty_typeEbEEZZNS1_14partition_implILS5_6ELb0ES3_mN6thrust23THRUST_200600_302600_NS6detail15normal_iteratorINSA_10device_ptrIxEEEEPS6_SG_NS0_5tupleIJSF_S6_EEENSH_IJSG_SG_EEES6_PlJ5mod_3IxEEEE10hipError_tPvRmT3_T4_T5_T6_T7_T9_mT8_P12ihipStream_tbDpT10_ENKUlT_T0_E_clISt17integral_constantIbLb0EES15_IbLb1EEEEDaS11_S12_EUlS11_E_NS1_11comp_targetILNS1_3genE4ELNS1_11target_archE910ELNS1_3gpuE8ELNS1_3repE0EEENS1_30default_config_static_selectorELNS0_4arch9wavefront6targetE0EEEvT1_,"axG",@progbits,_ZN7rocprim17ROCPRIM_400000_NS6detail17trampoline_kernelINS0_14default_configENS1_25partition_config_selectorILNS1_17partition_subalgoE6ExNS0_10empty_typeEbEEZZNS1_14partition_implILS5_6ELb0ES3_mN6thrust23THRUST_200600_302600_NS6detail15normal_iteratorINSA_10device_ptrIxEEEEPS6_SG_NS0_5tupleIJSF_S6_EEENSH_IJSG_SG_EEES6_PlJ5mod_3IxEEEE10hipError_tPvRmT3_T4_T5_T6_T7_T9_mT8_P12ihipStream_tbDpT10_ENKUlT_T0_E_clISt17integral_constantIbLb0EES15_IbLb1EEEEDaS11_S12_EUlS11_E_NS1_11comp_targetILNS1_3genE4ELNS1_11target_archE910ELNS1_3gpuE8ELNS1_3repE0EEENS1_30default_config_static_selectorELNS0_4arch9wavefront6targetE0EEEvT1_,comdat
.Lfunc_end578:
	.size	_ZN7rocprim17ROCPRIM_400000_NS6detail17trampoline_kernelINS0_14default_configENS1_25partition_config_selectorILNS1_17partition_subalgoE6ExNS0_10empty_typeEbEEZZNS1_14partition_implILS5_6ELb0ES3_mN6thrust23THRUST_200600_302600_NS6detail15normal_iteratorINSA_10device_ptrIxEEEEPS6_SG_NS0_5tupleIJSF_S6_EEENSH_IJSG_SG_EEES6_PlJ5mod_3IxEEEE10hipError_tPvRmT3_T4_T5_T6_T7_T9_mT8_P12ihipStream_tbDpT10_ENKUlT_T0_E_clISt17integral_constantIbLb0EES15_IbLb1EEEEDaS11_S12_EUlS11_E_NS1_11comp_targetILNS1_3genE4ELNS1_11target_archE910ELNS1_3gpuE8ELNS1_3repE0EEENS1_30default_config_static_selectorELNS0_4arch9wavefront6targetE0EEEvT1_, .Lfunc_end578-_ZN7rocprim17ROCPRIM_400000_NS6detail17trampoline_kernelINS0_14default_configENS1_25partition_config_selectorILNS1_17partition_subalgoE6ExNS0_10empty_typeEbEEZZNS1_14partition_implILS5_6ELb0ES3_mN6thrust23THRUST_200600_302600_NS6detail15normal_iteratorINSA_10device_ptrIxEEEEPS6_SG_NS0_5tupleIJSF_S6_EEENSH_IJSG_SG_EEES6_PlJ5mod_3IxEEEE10hipError_tPvRmT3_T4_T5_T6_T7_T9_mT8_P12ihipStream_tbDpT10_ENKUlT_T0_E_clISt17integral_constantIbLb0EES15_IbLb1EEEEDaS11_S12_EUlS11_E_NS1_11comp_targetILNS1_3genE4ELNS1_11target_archE910ELNS1_3gpuE8ELNS1_3repE0EEENS1_30default_config_static_selectorELNS0_4arch9wavefront6targetE0EEEvT1_
                                        ; -- End function
	.section	.AMDGPU.csdata,"",@progbits
; Kernel info:
; codeLenInByte = 0
; NumSgprs: 0
; NumVgprs: 0
; ScratchSize: 0
; MemoryBound: 0
; FloatMode: 240
; IeeeMode: 1
; LDSByteSize: 0 bytes/workgroup (compile time only)
; SGPRBlocks: 0
; VGPRBlocks: 0
; NumSGPRsForWavesPerEU: 1
; NumVGPRsForWavesPerEU: 1
; Occupancy: 16
; WaveLimiterHint : 0
; COMPUTE_PGM_RSRC2:SCRATCH_EN: 0
; COMPUTE_PGM_RSRC2:USER_SGPR: 15
; COMPUTE_PGM_RSRC2:TRAP_HANDLER: 0
; COMPUTE_PGM_RSRC2:TGID_X_EN: 1
; COMPUTE_PGM_RSRC2:TGID_Y_EN: 0
; COMPUTE_PGM_RSRC2:TGID_Z_EN: 0
; COMPUTE_PGM_RSRC2:TIDIG_COMP_CNT: 0
	.section	.text._ZN7rocprim17ROCPRIM_400000_NS6detail17trampoline_kernelINS0_14default_configENS1_25partition_config_selectorILNS1_17partition_subalgoE6ExNS0_10empty_typeEbEEZZNS1_14partition_implILS5_6ELb0ES3_mN6thrust23THRUST_200600_302600_NS6detail15normal_iteratorINSA_10device_ptrIxEEEEPS6_SG_NS0_5tupleIJSF_S6_EEENSH_IJSG_SG_EEES6_PlJ5mod_3IxEEEE10hipError_tPvRmT3_T4_T5_T6_T7_T9_mT8_P12ihipStream_tbDpT10_ENKUlT_T0_E_clISt17integral_constantIbLb0EES15_IbLb1EEEEDaS11_S12_EUlS11_E_NS1_11comp_targetILNS1_3genE3ELNS1_11target_archE908ELNS1_3gpuE7ELNS1_3repE0EEENS1_30default_config_static_selectorELNS0_4arch9wavefront6targetE0EEEvT1_,"axG",@progbits,_ZN7rocprim17ROCPRIM_400000_NS6detail17trampoline_kernelINS0_14default_configENS1_25partition_config_selectorILNS1_17partition_subalgoE6ExNS0_10empty_typeEbEEZZNS1_14partition_implILS5_6ELb0ES3_mN6thrust23THRUST_200600_302600_NS6detail15normal_iteratorINSA_10device_ptrIxEEEEPS6_SG_NS0_5tupleIJSF_S6_EEENSH_IJSG_SG_EEES6_PlJ5mod_3IxEEEE10hipError_tPvRmT3_T4_T5_T6_T7_T9_mT8_P12ihipStream_tbDpT10_ENKUlT_T0_E_clISt17integral_constantIbLb0EES15_IbLb1EEEEDaS11_S12_EUlS11_E_NS1_11comp_targetILNS1_3genE3ELNS1_11target_archE908ELNS1_3gpuE7ELNS1_3repE0EEENS1_30default_config_static_selectorELNS0_4arch9wavefront6targetE0EEEvT1_,comdat
	.protected	_ZN7rocprim17ROCPRIM_400000_NS6detail17trampoline_kernelINS0_14default_configENS1_25partition_config_selectorILNS1_17partition_subalgoE6ExNS0_10empty_typeEbEEZZNS1_14partition_implILS5_6ELb0ES3_mN6thrust23THRUST_200600_302600_NS6detail15normal_iteratorINSA_10device_ptrIxEEEEPS6_SG_NS0_5tupleIJSF_S6_EEENSH_IJSG_SG_EEES6_PlJ5mod_3IxEEEE10hipError_tPvRmT3_T4_T5_T6_T7_T9_mT8_P12ihipStream_tbDpT10_ENKUlT_T0_E_clISt17integral_constantIbLb0EES15_IbLb1EEEEDaS11_S12_EUlS11_E_NS1_11comp_targetILNS1_3genE3ELNS1_11target_archE908ELNS1_3gpuE7ELNS1_3repE0EEENS1_30default_config_static_selectorELNS0_4arch9wavefront6targetE0EEEvT1_ ; -- Begin function _ZN7rocprim17ROCPRIM_400000_NS6detail17trampoline_kernelINS0_14default_configENS1_25partition_config_selectorILNS1_17partition_subalgoE6ExNS0_10empty_typeEbEEZZNS1_14partition_implILS5_6ELb0ES3_mN6thrust23THRUST_200600_302600_NS6detail15normal_iteratorINSA_10device_ptrIxEEEEPS6_SG_NS0_5tupleIJSF_S6_EEENSH_IJSG_SG_EEES6_PlJ5mod_3IxEEEE10hipError_tPvRmT3_T4_T5_T6_T7_T9_mT8_P12ihipStream_tbDpT10_ENKUlT_T0_E_clISt17integral_constantIbLb0EES15_IbLb1EEEEDaS11_S12_EUlS11_E_NS1_11comp_targetILNS1_3genE3ELNS1_11target_archE908ELNS1_3gpuE7ELNS1_3repE0EEENS1_30default_config_static_selectorELNS0_4arch9wavefront6targetE0EEEvT1_
	.globl	_ZN7rocprim17ROCPRIM_400000_NS6detail17trampoline_kernelINS0_14default_configENS1_25partition_config_selectorILNS1_17partition_subalgoE6ExNS0_10empty_typeEbEEZZNS1_14partition_implILS5_6ELb0ES3_mN6thrust23THRUST_200600_302600_NS6detail15normal_iteratorINSA_10device_ptrIxEEEEPS6_SG_NS0_5tupleIJSF_S6_EEENSH_IJSG_SG_EEES6_PlJ5mod_3IxEEEE10hipError_tPvRmT3_T4_T5_T6_T7_T9_mT8_P12ihipStream_tbDpT10_ENKUlT_T0_E_clISt17integral_constantIbLb0EES15_IbLb1EEEEDaS11_S12_EUlS11_E_NS1_11comp_targetILNS1_3genE3ELNS1_11target_archE908ELNS1_3gpuE7ELNS1_3repE0EEENS1_30default_config_static_selectorELNS0_4arch9wavefront6targetE0EEEvT1_
	.p2align	8
	.type	_ZN7rocprim17ROCPRIM_400000_NS6detail17trampoline_kernelINS0_14default_configENS1_25partition_config_selectorILNS1_17partition_subalgoE6ExNS0_10empty_typeEbEEZZNS1_14partition_implILS5_6ELb0ES3_mN6thrust23THRUST_200600_302600_NS6detail15normal_iteratorINSA_10device_ptrIxEEEEPS6_SG_NS0_5tupleIJSF_S6_EEENSH_IJSG_SG_EEES6_PlJ5mod_3IxEEEE10hipError_tPvRmT3_T4_T5_T6_T7_T9_mT8_P12ihipStream_tbDpT10_ENKUlT_T0_E_clISt17integral_constantIbLb0EES15_IbLb1EEEEDaS11_S12_EUlS11_E_NS1_11comp_targetILNS1_3genE3ELNS1_11target_archE908ELNS1_3gpuE7ELNS1_3repE0EEENS1_30default_config_static_selectorELNS0_4arch9wavefront6targetE0EEEvT1_,@function
_ZN7rocprim17ROCPRIM_400000_NS6detail17trampoline_kernelINS0_14default_configENS1_25partition_config_selectorILNS1_17partition_subalgoE6ExNS0_10empty_typeEbEEZZNS1_14partition_implILS5_6ELb0ES3_mN6thrust23THRUST_200600_302600_NS6detail15normal_iteratorINSA_10device_ptrIxEEEEPS6_SG_NS0_5tupleIJSF_S6_EEENSH_IJSG_SG_EEES6_PlJ5mod_3IxEEEE10hipError_tPvRmT3_T4_T5_T6_T7_T9_mT8_P12ihipStream_tbDpT10_ENKUlT_T0_E_clISt17integral_constantIbLb0EES15_IbLb1EEEEDaS11_S12_EUlS11_E_NS1_11comp_targetILNS1_3genE3ELNS1_11target_archE908ELNS1_3gpuE7ELNS1_3repE0EEENS1_30default_config_static_selectorELNS0_4arch9wavefront6targetE0EEEvT1_: ; @_ZN7rocprim17ROCPRIM_400000_NS6detail17trampoline_kernelINS0_14default_configENS1_25partition_config_selectorILNS1_17partition_subalgoE6ExNS0_10empty_typeEbEEZZNS1_14partition_implILS5_6ELb0ES3_mN6thrust23THRUST_200600_302600_NS6detail15normal_iteratorINSA_10device_ptrIxEEEEPS6_SG_NS0_5tupleIJSF_S6_EEENSH_IJSG_SG_EEES6_PlJ5mod_3IxEEEE10hipError_tPvRmT3_T4_T5_T6_T7_T9_mT8_P12ihipStream_tbDpT10_ENKUlT_T0_E_clISt17integral_constantIbLb0EES15_IbLb1EEEEDaS11_S12_EUlS11_E_NS1_11comp_targetILNS1_3genE3ELNS1_11target_archE908ELNS1_3gpuE7ELNS1_3repE0EEENS1_30default_config_static_selectorELNS0_4arch9wavefront6targetE0EEEvT1_
; %bb.0:
	.section	.rodata,"a",@progbits
	.p2align	6, 0x0
	.amdhsa_kernel _ZN7rocprim17ROCPRIM_400000_NS6detail17trampoline_kernelINS0_14default_configENS1_25partition_config_selectorILNS1_17partition_subalgoE6ExNS0_10empty_typeEbEEZZNS1_14partition_implILS5_6ELb0ES3_mN6thrust23THRUST_200600_302600_NS6detail15normal_iteratorINSA_10device_ptrIxEEEEPS6_SG_NS0_5tupleIJSF_S6_EEENSH_IJSG_SG_EEES6_PlJ5mod_3IxEEEE10hipError_tPvRmT3_T4_T5_T6_T7_T9_mT8_P12ihipStream_tbDpT10_ENKUlT_T0_E_clISt17integral_constantIbLb0EES15_IbLb1EEEEDaS11_S12_EUlS11_E_NS1_11comp_targetILNS1_3genE3ELNS1_11target_archE908ELNS1_3gpuE7ELNS1_3repE0EEENS1_30default_config_static_selectorELNS0_4arch9wavefront6targetE0EEEvT1_
		.amdhsa_group_segment_fixed_size 0
		.amdhsa_private_segment_fixed_size 0
		.amdhsa_kernarg_size 128
		.amdhsa_user_sgpr_count 15
		.amdhsa_user_sgpr_dispatch_ptr 0
		.amdhsa_user_sgpr_queue_ptr 0
		.amdhsa_user_sgpr_kernarg_segment_ptr 1
		.amdhsa_user_sgpr_dispatch_id 0
		.amdhsa_user_sgpr_private_segment_size 0
		.amdhsa_wavefront_size32 1
		.amdhsa_uses_dynamic_stack 0
		.amdhsa_enable_private_segment 0
		.amdhsa_system_sgpr_workgroup_id_x 1
		.amdhsa_system_sgpr_workgroup_id_y 0
		.amdhsa_system_sgpr_workgroup_id_z 0
		.amdhsa_system_sgpr_workgroup_info 0
		.amdhsa_system_vgpr_workitem_id 0
		.amdhsa_next_free_vgpr 1
		.amdhsa_next_free_sgpr 1
		.amdhsa_reserve_vcc 0
		.amdhsa_float_round_mode_32 0
		.amdhsa_float_round_mode_16_64 0
		.amdhsa_float_denorm_mode_32 3
		.amdhsa_float_denorm_mode_16_64 3
		.amdhsa_dx10_clamp 1
		.amdhsa_ieee_mode 1
		.amdhsa_fp16_overflow 0
		.amdhsa_workgroup_processor_mode 1
		.amdhsa_memory_ordered 1
		.amdhsa_forward_progress 0
		.amdhsa_shared_vgpr_count 0
		.amdhsa_exception_fp_ieee_invalid_op 0
		.amdhsa_exception_fp_denorm_src 0
		.amdhsa_exception_fp_ieee_div_zero 0
		.amdhsa_exception_fp_ieee_overflow 0
		.amdhsa_exception_fp_ieee_underflow 0
		.amdhsa_exception_fp_ieee_inexact 0
		.amdhsa_exception_int_div_zero 0
	.end_amdhsa_kernel
	.section	.text._ZN7rocprim17ROCPRIM_400000_NS6detail17trampoline_kernelINS0_14default_configENS1_25partition_config_selectorILNS1_17partition_subalgoE6ExNS0_10empty_typeEbEEZZNS1_14partition_implILS5_6ELb0ES3_mN6thrust23THRUST_200600_302600_NS6detail15normal_iteratorINSA_10device_ptrIxEEEEPS6_SG_NS0_5tupleIJSF_S6_EEENSH_IJSG_SG_EEES6_PlJ5mod_3IxEEEE10hipError_tPvRmT3_T4_T5_T6_T7_T9_mT8_P12ihipStream_tbDpT10_ENKUlT_T0_E_clISt17integral_constantIbLb0EES15_IbLb1EEEEDaS11_S12_EUlS11_E_NS1_11comp_targetILNS1_3genE3ELNS1_11target_archE908ELNS1_3gpuE7ELNS1_3repE0EEENS1_30default_config_static_selectorELNS0_4arch9wavefront6targetE0EEEvT1_,"axG",@progbits,_ZN7rocprim17ROCPRIM_400000_NS6detail17trampoline_kernelINS0_14default_configENS1_25partition_config_selectorILNS1_17partition_subalgoE6ExNS0_10empty_typeEbEEZZNS1_14partition_implILS5_6ELb0ES3_mN6thrust23THRUST_200600_302600_NS6detail15normal_iteratorINSA_10device_ptrIxEEEEPS6_SG_NS0_5tupleIJSF_S6_EEENSH_IJSG_SG_EEES6_PlJ5mod_3IxEEEE10hipError_tPvRmT3_T4_T5_T6_T7_T9_mT8_P12ihipStream_tbDpT10_ENKUlT_T0_E_clISt17integral_constantIbLb0EES15_IbLb1EEEEDaS11_S12_EUlS11_E_NS1_11comp_targetILNS1_3genE3ELNS1_11target_archE908ELNS1_3gpuE7ELNS1_3repE0EEENS1_30default_config_static_selectorELNS0_4arch9wavefront6targetE0EEEvT1_,comdat
.Lfunc_end579:
	.size	_ZN7rocprim17ROCPRIM_400000_NS6detail17trampoline_kernelINS0_14default_configENS1_25partition_config_selectorILNS1_17partition_subalgoE6ExNS0_10empty_typeEbEEZZNS1_14partition_implILS5_6ELb0ES3_mN6thrust23THRUST_200600_302600_NS6detail15normal_iteratorINSA_10device_ptrIxEEEEPS6_SG_NS0_5tupleIJSF_S6_EEENSH_IJSG_SG_EEES6_PlJ5mod_3IxEEEE10hipError_tPvRmT3_T4_T5_T6_T7_T9_mT8_P12ihipStream_tbDpT10_ENKUlT_T0_E_clISt17integral_constantIbLb0EES15_IbLb1EEEEDaS11_S12_EUlS11_E_NS1_11comp_targetILNS1_3genE3ELNS1_11target_archE908ELNS1_3gpuE7ELNS1_3repE0EEENS1_30default_config_static_selectorELNS0_4arch9wavefront6targetE0EEEvT1_, .Lfunc_end579-_ZN7rocprim17ROCPRIM_400000_NS6detail17trampoline_kernelINS0_14default_configENS1_25partition_config_selectorILNS1_17partition_subalgoE6ExNS0_10empty_typeEbEEZZNS1_14partition_implILS5_6ELb0ES3_mN6thrust23THRUST_200600_302600_NS6detail15normal_iteratorINSA_10device_ptrIxEEEEPS6_SG_NS0_5tupleIJSF_S6_EEENSH_IJSG_SG_EEES6_PlJ5mod_3IxEEEE10hipError_tPvRmT3_T4_T5_T6_T7_T9_mT8_P12ihipStream_tbDpT10_ENKUlT_T0_E_clISt17integral_constantIbLb0EES15_IbLb1EEEEDaS11_S12_EUlS11_E_NS1_11comp_targetILNS1_3genE3ELNS1_11target_archE908ELNS1_3gpuE7ELNS1_3repE0EEENS1_30default_config_static_selectorELNS0_4arch9wavefront6targetE0EEEvT1_
                                        ; -- End function
	.section	.AMDGPU.csdata,"",@progbits
; Kernel info:
; codeLenInByte = 0
; NumSgprs: 0
; NumVgprs: 0
; ScratchSize: 0
; MemoryBound: 0
; FloatMode: 240
; IeeeMode: 1
; LDSByteSize: 0 bytes/workgroup (compile time only)
; SGPRBlocks: 0
; VGPRBlocks: 0
; NumSGPRsForWavesPerEU: 1
; NumVGPRsForWavesPerEU: 1
; Occupancy: 16
; WaveLimiterHint : 0
; COMPUTE_PGM_RSRC2:SCRATCH_EN: 0
; COMPUTE_PGM_RSRC2:USER_SGPR: 15
; COMPUTE_PGM_RSRC2:TRAP_HANDLER: 0
; COMPUTE_PGM_RSRC2:TGID_X_EN: 1
; COMPUTE_PGM_RSRC2:TGID_Y_EN: 0
; COMPUTE_PGM_RSRC2:TGID_Z_EN: 0
; COMPUTE_PGM_RSRC2:TIDIG_COMP_CNT: 0
	.section	.text._ZN7rocprim17ROCPRIM_400000_NS6detail17trampoline_kernelINS0_14default_configENS1_25partition_config_selectorILNS1_17partition_subalgoE6ExNS0_10empty_typeEbEEZZNS1_14partition_implILS5_6ELb0ES3_mN6thrust23THRUST_200600_302600_NS6detail15normal_iteratorINSA_10device_ptrIxEEEEPS6_SG_NS0_5tupleIJSF_S6_EEENSH_IJSG_SG_EEES6_PlJ5mod_3IxEEEE10hipError_tPvRmT3_T4_T5_T6_T7_T9_mT8_P12ihipStream_tbDpT10_ENKUlT_T0_E_clISt17integral_constantIbLb0EES15_IbLb1EEEEDaS11_S12_EUlS11_E_NS1_11comp_targetILNS1_3genE2ELNS1_11target_archE906ELNS1_3gpuE6ELNS1_3repE0EEENS1_30default_config_static_selectorELNS0_4arch9wavefront6targetE0EEEvT1_,"axG",@progbits,_ZN7rocprim17ROCPRIM_400000_NS6detail17trampoline_kernelINS0_14default_configENS1_25partition_config_selectorILNS1_17partition_subalgoE6ExNS0_10empty_typeEbEEZZNS1_14partition_implILS5_6ELb0ES3_mN6thrust23THRUST_200600_302600_NS6detail15normal_iteratorINSA_10device_ptrIxEEEEPS6_SG_NS0_5tupleIJSF_S6_EEENSH_IJSG_SG_EEES6_PlJ5mod_3IxEEEE10hipError_tPvRmT3_T4_T5_T6_T7_T9_mT8_P12ihipStream_tbDpT10_ENKUlT_T0_E_clISt17integral_constantIbLb0EES15_IbLb1EEEEDaS11_S12_EUlS11_E_NS1_11comp_targetILNS1_3genE2ELNS1_11target_archE906ELNS1_3gpuE6ELNS1_3repE0EEENS1_30default_config_static_selectorELNS0_4arch9wavefront6targetE0EEEvT1_,comdat
	.protected	_ZN7rocprim17ROCPRIM_400000_NS6detail17trampoline_kernelINS0_14default_configENS1_25partition_config_selectorILNS1_17partition_subalgoE6ExNS0_10empty_typeEbEEZZNS1_14partition_implILS5_6ELb0ES3_mN6thrust23THRUST_200600_302600_NS6detail15normal_iteratorINSA_10device_ptrIxEEEEPS6_SG_NS0_5tupleIJSF_S6_EEENSH_IJSG_SG_EEES6_PlJ5mod_3IxEEEE10hipError_tPvRmT3_T4_T5_T6_T7_T9_mT8_P12ihipStream_tbDpT10_ENKUlT_T0_E_clISt17integral_constantIbLb0EES15_IbLb1EEEEDaS11_S12_EUlS11_E_NS1_11comp_targetILNS1_3genE2ELNS1_11target_archE906ELNS1_3gpuE6ELNS1_3repE0EEENS1_30default_config_static_selectorELNS0_4arch9wavefront6targetE0EEEvT1_ ; -- Begin function _ZN7rocprim17ROCPRIM_400000_NS6detail17trampoline_kernelINS0_14default_configENS1_25partition_config_selectorILNS1_17partition_subalgoE6ExNS0_10empty_typeEbEEZZNS1_14partition_implILS5_6ELb0ES3_mN6thrust23THRUST_200600_302600_NS6detail15normal_iteratorINSA_10device_ptrIxEEEEPS6_SG_NS0_5tupleIJSF_S6_EEENSH_IJSG_SG_EEES6_PlJ5mod_3IxEEEE10hipError_tPvRmT3_T4_T5_T6_T7_T9_mT8_P12ihipStream_tbDpT10_ENKUlT_T0_E_clISt17integral_constantIbLb0EES15_IbLb1EEEEDaS11_S12_EUlS11_E_NS1_11comp_targetILNS1_3genE2ELNS1_11target_archE906ELNS1_3gpuE6ELNS1_3repE0EEENS1_30default_config_static_selectorELNS0_4arch9wavefront6targetE0EEEvT1_
	.globl	_ZN7rocprim17ROCPRIM_400000_NS6detail17trampoline_kernelINS0_14default_configENS1_25partition_config_selectorILNS1_17partition_subalgoE6ExNS0_10empty_typeEbEEZZNS1_14partition_implILS5_6ELb0ES3_mN6thrust23THRUST_200600_302600_NS6detail15normal_iteratorINSA_10device_ptrIxEEEEPS6_SG_NS0_5tupleIJSF_S6_EEENSH_IJSG_SG_EEES6_PlJ5mod_3IxEEEE10hipError_tPvRmT3_T4_T5_T6_T7_T9_mT8_P12ihipStream_tbDpT10_ENKUlT_T0_E_clISt17integral_constantIbLb0EES15_IbLb1EEEEDaS11_S12_EUlS11_E_NS1_11comp_targetILNS1_3genE2ELNS1_11target_archE906ELNS1_3gpuE6ELNS1_3repE0EEENS1_30default_config_static_selectorELNS0_4arch9wavefront6targetE0EEEvT1_
	.p2align	8
	.type	_ZN7rocprim17ROCPRIM_400000_NS6detail17trampoline_kernelINS0_14default_configENS1_25partition_config_selectorILNS1_17partition_subalgoE6ExNS0_10empty_typeEbEEZZNS1_14partition_implILS5_6ELb0ES3_mN6thrust23THRUST_200600_302600_NS6detail15normal_iteratorINSA_10device_ptrIxEEEEPS6_SG_NS0_5tupleIJSF_S6_EEENSH_IJSG_SG_EEES6_PlJ5mod_3IxEEEE10hipError_tPvRmT3_T4_T5_T6_T7_T9_mT8_P12ihipStream_tbDpT10_ENKUlT_T0_E_clISt17integral_constantIbLb0EES15_IbLb1EEEEDaS11_S12_EUlS11_E_NS1_11comp_targetILNS1_3genE2ELNS1_11target_archE906ELNS1_3gpuE6ELNS1_3repE0EEENS1_30default_config_static_selectorELNS0_4arch9wavefront6targetE0EEEvT1_,@function
_ZN7rocprim17ROCPRIM_400000_NS6detail17trampoline_kernelINS0_14default_configENS1_25partition_config_selectorILNS1_17partition_subalgoE6ExNS0_10empty_typeEbEEZZNS1_14partition_implILS5_6ELb0ES3_mN6thrust23THRUST_200600_302600_NS6detail15normal_iteratorINSA_10device_ptrIxEEEEPS6_SG_NS0_5tupleIJSF_S6_EEENSH_IJSG_SG_EEES6_PlJ5mod_3IxEEEE10hipError_tPvRmT3_T4_T5_T6_T7_T9_mT8_P12ihipStream_tbDpT10_ENKUlT_T0_E_clISt17integral_constantIbLb0EES15_IbLb1EEEEDaS11_S12_EUlS11_E_NS1_11comp_targetILNS1_3genE2ELNS1_11target_archE906ELNS1_3gpuE6ELNS1_3repE0EEENS1_30default_config_static_selectorELNS0_4arch9wavefront6targetE0EEEvT1_: ; @_ZN7rocprim17ROCPRIM_400000_NS6detail17trampoline_kernelINS0_14default_configENS1_25partition_config_selectorILNS1_17partition_subalgoE6ExNS0_10empty_typeEbEEZZNS1_14partition_implILS5_6ELb0ES3_mN6thrust23THRUST_200600_302600_NS6detail15normal_iteratorINSA_10device_ptrIxEEEEPS6_SG_NS0_5tupleIJSF_S6_EEENSH_IJSG_SG_EEES6_PlJ5mod_3IxEEEE10hipError_tPvRmT3_T4_T5_T6_T7_T9_mT8_P12ihipStream_tbDpT10_ENKUlT_T0_E_clISt17integral_constantIbLb0EES15_IbLb1EEEEDaS11_S12_EUlS11_E_NS1_11comp_targetILNS1_3genE2ELNS1_11target_archE906ELNS1_3gpuE6ELNS1_3repE0EEENS1_30default_config_static_selectorELNS0_4arch9wavefront6targetE0EEEvT1_
; %bb.0:
	.section	.rodata,"a",@progbits
	.p2align	6, 0x0
	.amdhsa_kernel _ZN7rocprim17ROCPRIM_400000_NS6detail17trampoline_kernelINS0_14default_configENS1_25partition_config_selectorILNS1_17partition_subalgoE6ExNS0_10empty_typeEbEEZZNS1_14partition_implILS5_6ELb0ES3_mN6thrust23THRUST_200600_302600_NS6detail15normal_iteratorINSA_10device_ptrIxEEEEPS6_SG_NS0_5tupleIJSF_S6_EEENSH_IJSG_SG_EEES6_PlJ5mod_3IxEEEE10hipError_tPvRmT3_T4_T5_T6_T7_T9_mT8_P12ihipStream_tbDpT10_ENKUlT_T0_E_clISt17integral_constantIbLb0EES15_IbLb1EEEEDaS11_S12_EUlS11_E_NS1_11comp_targetILNS1_3genE2ELNS1_11target_archE906ELNS1_3gpuE6ELNS1_3repE0EEENS1_30default_config_static_selectorELNS0_4arch9wavefront6targetE0EEEvT1_
		.amdhsa_group_segment_fixed_size 0
		.amdhsa_private_segment_fixed_size 0
		.amdhsa_kernarg_size 128
		.amdhsa_user_sgpr_count 15
		.amdhsa_user_sgpr_dispatch_ptr 0
		.amdhsa_user_sgpr_queue_ptr 0
		.amdhsa_user_sgpr_kernarg_segment_ptr 1
		.amdhsa_user_sgpr_dispatch_id 0
		.amdhsa_user_sgpr_private_segment_size 0
		.amdhsa_wavefront_size32 1
		.amdhsa_uses_dynamic_stack 0
		.amdhsa_enable_private_segment 0
		.amdhsa_system_sgpr_workgroup_id_x 1
		.amdhsa_system_sgpr_workgroup_id_y 0
		.amdhsa_system_sgpr_workgroup_id_z 0
		.amdhsa_system_sgpr_workgroup_info 0
		.amdhsa_system_vgpr_workitem_id 0
		.amdhsa_next_free_vgpr 1
		.amdhsa_next_free_sgpr 1
		.amdhsa_reserve_vcc 0
		.amdhsa_float_round_mode_32 0
		.amdhsa_float_round_mode_16_64 0
		.amdhsa_float_denorm_mode_32 3
		.amdhsa_float_denorm_mode_16_64 3
		.amdhsa_dx10_clamp 1
		.amdhsa_ieee_mode 1
		.amdhsa_fp16_overflow 0
		.amdhsa_workgroup_processor_mode 1
		.amdhsa_memory_ordered 1
		.amdhsa_forward_progress 0
		.amdhsa_shared_vgpr_count 0
		.amdhsa_exception_fp_ieee_invalid_op 0
		.amdhsa_exception_fp_denorm_src 0
		.amdhsa_exception_fp_ieee_div_zero 0
		.amdhsa_exception_fp_ieee_overflow 0
		.amdhsa_exception_fp_ieee_underflow 0
		.amdhsa_exception_fp_ieee_inexact 0
		.amdhsa_exception_int_div_zero 0
	.end_amdhsa_kernel
	.section	.text._ZN7rocprim17ROCPRIM_400000_NS6detail17trampoline_kernelINS0_14default_configENS1_25partition_config_selectorILNS1_17partition_subalgoE6ExNS0_10empty_typeEbEEZZNS1_14partition_implILS5_6ELb0ES3_mN6thrust23THRUST_200600_302600_NS6detail15normal_iteratorINSA_10device_ptrIxEEEEPS6_SG_NS0_5tupleIJSF_S6_EEENSH_IJSG_SG_EEES6_PlJ5mod_3IxEEEE10hipError_tPvRmT3_T4_T5_T6_T7_T9_mT8_P12ihipStream_tbDpT10_ENKUlT_T0_E_clISt17integral_constantIbLb0EES15_IbLb1EEEEDaS11_S12_EUlS11_E_NS1_11comp_targetILNS1_3genE2ELNS1_11target_archE906ELNS1_3gpuE6ELNS1_3repE0EEENS1_30default_config_static_selectorELNS0_4arch9wavefront6targetE0EEEvT1_,"axG",@progbits,_ZN7rocprim17ROCPRIM_400000_NS6detail17trampoline_kernelINS0_14default_configENS1_25partition_config_selectorILNS1_17partition_subalgoE6ExNS0_10empty_typeEbEEZZNS1_14partition_implILS5_6ELb0ES3_mN6thrust23THRUST_200600_302600_NS6detail15normal_iteratorINSA_10device_ptrIxEEEEPS6_SG_NS0_5tupleIJSF_S6_EEENSH_IJSG_SG_EEES6_PlJ5mod_3IxEEEE10hipError_tPvRmT3_T4_T5_T6_T7_T9_mT8_P12ihipStream_tbDpT10_ENKUlT_T0_E_clISt17integral_constantIbLb0EES15_IbLb1EEEEDaS11_S12_EUlS11_E_NS1_11comp_targetILNS1_3genE2ELNS1_11target_archE906ELNS1_3gpuE6ELNS1_3repE0EEENS1_30default_config_static_selectorELNS0_4arch9wavefront6targetE0EEEvT1_,comdat
.Lfunc_end580:
	.size	_ZN7rocprim17ROCPRIM_400000_NS6detail17trampoline_kernelINS0_14default_configENS1_25partition_config_selectorILNS1_17partition_subalgoE6ExNS0_10empty_typeEbEEZZNS1_14partition_implILS5_6ELb0ES3_mN6thrust23THRUST_200600_302600_NS6detail15normal_iteratorINSA_10device_ptrIxEEEEPS6_SG_NS0_5tupleIJSF_S6_EEENSH_IJSG_SG_EEES6_PlJ5mod_3IxEEEE10hipError_tPvRmT3_T4_T5_T6_T7_T9_mT8_P12ihipStream_tbDpT10_ENKUlT_T0_E_clISt17integral_constantIbLb0EES15_IbLb1EEEEDaS11_S12_EUlS11_E_NS1_11comp_targetILNS1_3genE2ELNS1_11target_archE906ELNS1_3gpuE6ELNS1_3repE0EEENS1_30default_config_static_selectorELNS0_4arch9wavefront6targetE0EEEvT1_, .Lfunc_end580-_ZN7rocprim17ROCPRIM_400000_NS6detail17trampoline_kernelINS0_14default_configENS1_25partition_config_selectorILNS1_17partition_subalgoE6ExNS0_10empty_typeEbEEZZNS1_14partition_implILS5_6ELb0ES3_mN6thrust23THRUST_200600_302600_NS6detail15normal_iteratorINSA_10device_ptrIxEEEEPS6_SG_NS0_5tupleIJSF_S6_EEENSH_IJSG_SG_EEES6_PlJ5mod_3IxEEEE10hipError_tPvRmT3_T4_T5_T6_T7_T9_mT8_P12ihipStream_tbDpT10_ENKUlT_T0_E_clISt17integral_constantIbLb0EES15_IbLb1EEEEDaS11_S12_EUlS11_E_NS1_11comp_targetILNS1_3genE2ELNS1_11target_archE906ELNS1_3gpuE6ELNS1_3repE0EEENS1_30default_config_static_selectorELNS0_4arch9wavefront6targetE0EEEvT1_
                                        ; -- End function
	.section	.AMDGPU.csdata,"",@progbits
; Kernel info:
; codeLenInByte = 0
; NumSgprs: 0
; NumVgprs: 0
; ScratchSize: 0
; MemoryBound: 0
; FloatMode: 240
; IeeeMode: 1
; LDSByteSize: 0 bytes/workgroup (compile time only)
; SGPRBlocks: 0
; VGPRBlocks: 0
; NumSGPRsForWavesPerEU: 1
; NumVGPRsForWavesPerEU: 1
; Occupancy: 16
; WaveLimiterHint : 0
; COMPUTE_PGM_RSRC2:SCRATCH_EN: 0
; COMPUTE_PGM_RSRC2:USER_SGPR: 15
; COMPUTE_PGM_RSRC2:TRAP_HANDLER: 0
; COMPUTE_PGM_RSRC2:TGID_X_EN: 1
; COMPUTE_PGM_RSRC2:TGID_Y_EN: 0
; COMPUTE_PGM_RSRC2:TGID_Z_EN: 0
; COMPUTE_PGM_RSRC2:TIDIG_COMP_CNT: 0
	.section	.text._ZN7rocprim17ROCPRIM_400000_NS6detail17trampoline_kernelINS0_14default_configENS1_25partition_config_selectorILNS1_17partition_subalgoE6ExNS0_10empty_typeEbEEZZNS1_14partition_implILS5_6ELb0ES3_mN6thrust23THRUST_200600_302600_NS6detail15normal_iteratorINSA_10device_ptrIxEEEEPS6_SG_NS0_5tupleIJSF_S6_EEENSH_IJSG_SG_EEES6_PlJ5mod_3IxEEEE10hipError_tPvRmT3_T4_T5_T6_T7_T9_mT8_P12ihipStream_tbDpT10_ENKUlT_T0_E_clISt17integral_constantIbLb0EES15_IbLb1EEEEDaS11_S12_EUlS11_E_NS1_11comp_targetILNS1_3genE10ELNS1_11target_archE1200ELNS1_3gpuE4ELNS1_3repE0EEENS1_30default_config_static_selectorELNS0_4arch9wavefront6targetE0EEEvT1_,"axG",@progbits,_ZN7rocprim17ROCPRIM_400000_NS6detail17trampoline_kernelINS0_14default_configENS1_25partition_config_selectorILNS1_17partition_subalgoE6ExNS0_10empty_typeEbEEZZNS1_14partition_implILS5_6ELb0ES3_mN6thrust23THRUST_200600_302600_NS6detail15normal_iteratorINSA_10device_ptrIxEEEEPS6_SG_NS0_5tupleIJSF_S6_EEENSH_IJSG_SG_EEES6_PlJ5mod_3IxEEEE10hipError_tPvRmT3_T4_T5_T6_T7_T9_mT8_P12ihipStream_tbDpT10_ENKUlT_T0_E_clISt17integral_constantIbLb0EES15_IbLb1EEEEDaS11_S12_EUlS11_E_NS1_11comp_targetILNS1_3genE10ELNS1_11target_archE1200ELNS1_3gpuE4ELNS1_3repE0EEENS1_30default_config_static_selectorELNS0_4arch9wavefront6targetE0EEEvT1_,comdat
	.protected	_ZN7rocprim17ROCPRIM_400000_NS6detail17trampoline_kernelINS0_14default_configENS1_25partition_config_selectorILNS1_17partition_subalgoE6ExNS0_10empty_typeEbEEZZNS1_14partition_implILS5_6ELb0ES3_mN6thrust23THRUST_200600_302600_NS6detail15normal_iteratorINSA_10device_ptrIxEEEEPS6_SG_NS0_5tupleIJSF_S6_EEENSH_IJSG_SG_EEES6_PlJ5mod_3IxEEEE10hipError_tPvRmT3_T4_T5_T6_T7_T9_mT8_P12ihipStream_tbDpT10_ENKUlT_T0_E_clISt17integral_constantIbLb0EES15_IbLb1EEEEDaS11_S12_EUlS11_E_NS1_11comp_targetILNS1_3genE10ELNS1_11target_archE1200ELNS1_3gpuE4ELNS1_3repE0EEENS1_30default_config_static_selectorELNS0_4arch9wavefront6targetE0EEEvT1_ ; -- Begin function _ZN7rocprim17ROCPRIM_400000_NS6detail17trampoline_kernelINS0_14default_configENS1_25partition_config_selectorILNS1_17partition_subalgoE6ExNS0_10empty_typeEbEEZZNS1_14partition_implILS5_6ELb0ES3_mN6thrust23THRUST_200600_302600_NS6detail15normal_iteratorINSA_10device_ptrIxEEEEPS6_SG_NS0_5tupleIJSF_S6_EEENSH_IJSG_SG_EEES6_PlJ5mod_3IxEEEE10hipError_tPvRmT3_T4_T5_T6_T7_T9_mT8_P12ihipStream_tbDpT10_ENKUlT_T0_E_clISt17integral_constantIbLb0EES15_IbLb1EEEEDaS11_S12_EUlS11_E_NS1_11comp_targetILNS1_3genE10ELNS1_11target_archE1200ELNS1_3gpuE4ELNS1_3repE0EEENS1_30default_config_static_selectorELNS0_4arch9wavefront6targetE0EEEvT1_
	.globl	_ZN7rocprim17ROCPRIM_400000_NS6detail17trampoline_kernelINS0_14default_configENS1_25partition_config_selectorILNS1_17partition_subalgoE6ExNS0_10empty_typeEbEEZZNS1_14partition_implILS5_6ELb0ES3_mN6thrust23THRUST_200600_302600_NS6detail15normal_iteratorINSA_10device_ptrIxEEEEPS6_SG_NS0_5tupleIJSF_S6_EEENSH_IJSG_SG_EEES6_PlJ5mod_3IxEEEE10hipError_tPvRmT3_T4_T5_T6_T7_T9_mT8_P12ihipStream_tbDpT10_ENKUlT_T0_E_clISt17integral_constantIbLb0EES15_IbLb1EEEEDaS11_S12_EUlS11_E_NS1_11comp_targetILNS1_3genE10ELNS1_11target_archE1200ELNS1_3gpuE4ELNS1_3repE0EEENS1_30default_config_static_selectorELNS0_4arch9wavefront6targetE0EEEvT1_
	.p2align	8
	.type	_ZN7rocprim17ROCPRIM_400000_NS6detail17trampoline_kernelINS0_14default_configENS1_25partition_config_selectorILNS1_17partition_subalgoE6ExNS0_10empty_typeEbEEZZNS1_14partition_implILS5_6ELb0ES3_mN6thrust23THRUST_200600_302600_NS6detail15normal_iteratorINSA_10device_ptrIxEEEEPS6_SG_NS0_5tupleIJSF_S6_EEENSH_IJSG_SG_EEES6_PlJ5mod_3IxEEEE10hipError_tPvRmT3_T4_T5_T6_T7_T9_mT8_P12ihipStream_tbDpT10_ENKUlT_T0_E_clISt17integral_constantIbLb0EES15_IbLb1EEEEDaS11_S12_EUlS11_E_NS1_11comp_targetILNS1_3genE10ELNS1_11target_archE1200ELNS1_3gpuE4ELNS1_3repE0EEENS1_30default_config_static_selectorELNS0_4arch9wavefront6targetE0EEEvT1_,@function
_ZN7rocprim17ROCPRIM_400000_NS6detail17trampoline_kernelINS0_14default_configENS1_25partition_config_selectorILNS1_17partition_subalgoE6ExNS0_10empty_typeEbEEZZNS1_14partition_implILS5_6ELb0ES3_mN6thrust23THRUST_200600_302600_NS6detail15normal_iteratorINSA_10device_ptrIxEEEEPS6_SG_NS0_5tupleIJSF_S6_EEENSH_IJSG_SG_EEES6_PlJ5mod_3IxEEEE10hipError_tPvRmT3_T4_T5_T6_T7_T9_mT8_P12ihipStream_tbDpT10_ENKUlT_T0_E_clISt17integral_constantIbLb0EES15_IbLb1EEEEDaS11_S12_EUlS11_E_NS1_11comp_targetILNS1_3genE10ELNS1_11target_archE1200ELNS1_3gpuE4ELNS1_3repE0EEENS1_30default_config_static_selectorELNS0_4arch9wavefront6targetE0EEEvT1_: ; @_ZN7rocprim17ROCPRIM_400000_NS6detail17trampoline_kernelINS0_14default_configENS1_25partition_config_selectorILNS1_17partition_subalgoE6ExNS0_10empty_typeEbEEZZNS1_14partition_implILS5_6ELb0ES3_mN6thrust23THRUST_200600_302600_NS6detail15normal_iteratorINSA_10device_ptrIxEEEEPS6_SG_NS0_5tupleIJSF_S6_EEENSH_IJSG_SG_EEES6_PlJ5mod_3IxEEEE10hipError_tPvRmT3_T4_T5_T6_T7_T9_mT8_P12ihipStream_tbDpT10_ENKUlT_T0_E_clISt17integral_constantIbLb0EES15_IbLb1EEEEDaS11_S12_EUlS11_E_NS1_11comp_targetILNS1_3genE10ELNS1_11target_archE1200ELNS1_3gpuE4ELNS1_3repE0EEENS1_30default_config_static_selectorELNS0_4arch9wavefront6targetE0EEEvT1_
; %bb.0:
	.section	.rodata,"a",@progbits
	.p2align	6, 0x0
	.amdhsa_kernel _ZN7rocprim17ROCPRIM_400000_NS6detail17trampoline_kernelINS0_14default_configENS1_25partition_config_selectorILNS1_17partition_subalgoE6ExNS0_10empty_typeEbEEZZNS1_14partition_implILS5_6ELb0ES3_mN6thrust23THRUST_200600_302600_NS6detail15normal_iteratorINSA_10device_ptrIxEEEEPS6_SG_NS0_5tupleIJSF_S6_EEENSH_IJSG_SG_EEES6_PlJ5mod_3IxEEEE10hipError_tPvRmT3_T4_T5_T6_T7_T9_mT8_P12ihipStream_tbDpT10_ENKUlT_T0_E_clISt17integral_constantIbLb0EES15_IbLb1EEEEDaS11_S12_EUlS11_E_NS1_11comp_targetILNS1_3genE10ELNS1_11target_archE1200ELNS1_3gpuE4ELNS1_3repE0EEENS1_30default_config_static_selectorELNS0_4arch9wavefront6targetE0EEEvT1_
		.amdhsa_group_segment_fixed_size 0
		.amdhsa_private_segment_fixed_size 0
		.amdhsa_kernarg_size 128
		.amdhsa_user_sgpr_count 15
		.amdhsa_user_sgpr_dispatch_ptr 0
		.amdhsa_user_sgpr_queue_ptr 0
		.amdhsa_user_sgpr_kernarg_segment_ptr 1
		.amdhsa_user_sgpr_dispatch_id 0
		.amdhsa_user_sgpr_private_segment_size 0
		.amdhsa_wavefront_size32 1
		.amdhsa_uses_dynamic_stack 0
		.amdhsa_enable_private_segment 0
		.amdhsa_system_sgpr_workgroup_id_x 1
		.amdhsa_system_sgpr_workgroup_id_y 0
		.amdhsa_system_sgpr_workgroup_id_z 0
		.amdhsa_system_sgpr_workgroup_info 0
		.amdhsa_system_vgpr_workitem_id 0
		.amdhsa_next_free_vgpr 1
		.amdhsa_next_free_sgpr 1
		.amdhsa_reserve_vcc 0
		.amdhsa_float_round_mode_32 0
		.amdhsa_float_round_mode_16_64 0
		.amdhsa_float_denorm_mode_32 3
		.amdhsa_float_denorm_mode_16_64 3
		.amdhsa_dx10_clamp 1
		.amdhsa_ieee_mode 1
		.amdhsa_fp16_overflow 0
		.amdhsa_workgroup_processor_mode 1
		.amdhsa_memory_ordered 1
		.amdhsa_forward_progress 0
		.amdhsa_shared_vgpr_count 0
		.amdhsa_exception_fp_ieee_invalid_op 0
		.amdhsa_exception_fp_denorm_src 0
		.amdhsa_exception_fp_ieee_div_zero 0
		.amdhsa_exception_fp_ieee_overflow 0
		.amdhsa_exception_fp_ieee_underflow 0
		.amdhsa_exception_fp_ieee_inexact 0
		.amdhsa_exception_int_div_zero 0
	.end_amdhsa_kernel
	.section	.text._ZN7rocprim17ROCPRIM_400000_NS6detail17trampoline_kernelINS0_14default_configENS1_25partition_config_selectorILNS1_17partition_subalgoE6ExNS0_10empty_typeEbEEZZNS1_14partition_implILS5_6ELb0ES3_mN6thrust23THRUST_200600_302600_NS6detail15normal_iteratorINSA_10device_ptrIxEEEEPS6_SG_NS0_5tupleIJSF_S6_EEENSH_IJSG_SG_EEES6_PlJ5mod_3IxEEEE10hipError_tPvRmT3_T4_T5_T6_T7_T9_mT8_P12ihipStream_tbDpT10_ENKUlT_T0_E_clISt17integral_constantIbLb0EES15_IbLb1EEEEDaS11_S12_EUlS11_E_NS1_11comp_targetILNS1_3genE10ELNS1_11target_archE1200ELNS1_3gpuE4ELNS1_3repE0EEENS1_30default_config_static_selectorELNS0_4arch9wavefront6targetE0EEEvT1_,"axG",@progbits,_ZN7rocprim17ROCPRIM_400000_NS6detail17trampoline_kernelINS0_14default_configENS1_25partition_config_selectorILNS1_17partition_subalgoE6ExNS0_10empty_typeEbEEZZNS1_14partition_implILS5_6ELb0ES3_mN6thrust23THRUST_200600_302600_NS6detail15normal_iteratorINSA_10device_ptrIxEEEEPS6_SG_NS0_5tupleIJSF_S6_EEENSH_IJSG_SG_EEES6_PlJ5mod_3IxEEEE10hipError_tPvRmT3_T4_T5_T6_T7_T9_mT8_P12ihipStream_tbDpT10_ENKUlT_T0_E_clISt17integral_constantIbLb0EES15_IbLb1EEEEDaS11_S12_EUlS11_E_NS1_11comp_targetILNS1_3genE10ELNS1_11target_archE1200ELNS1_3gpuE4ELNS1_3repE0EEENS1_30default_config_static_selectorELNS0_4arch9wavefront6targetE0EEEvT1_,comdat
.Lfunc_end581:
	.size	_ZN7rocprim17ROCPRIM_400000_NS6detail17trampoline_kernelINS0_14default_configENS1_25partition_config_selectorILNS1_17partition_subalgoE6ExNS0_10empty_typeEbEEZZNS1_14partition_implILS5_6ELb0ES3_mN6thrust23THRUST_200600_302600_NS6detail15normal_iteratorINSA_10device_ptrIxEEEEPS6_SG_NS0_5tupleIJSF_S6_EEENSH_IJSG_SG_EEES6_PlJ5mod_3IxEEEE10hipError_tPvRmT3_T4_T5_T6_T7_T9_mT8_P12ihipStream_tbDpT10_ENKUlT_T0_E_clISt17integral_constantIbLb0EES15_IbLb1EEEEDaS11_S12_EUlS11_E_NS1_11comp_targetILNS1_3genE10ELNS1_11target_archE1200ELNS1_3gpuE4ELNS1_3repE0EEENS1_30default_config_static_selectorELNS0_4arch9wavefront6targetE0EEEvT1_, .Lfunc_end581-_ZN7rocprim17ROCPRIM_400000_NS6detail17trampoline_kernelINS0_14default_configENS1_25partition_config_selectorILNS1_17partition_subalgoE6ExNS0_10empty_typeEbEEZZNS1_14partition_implILS5_6ELb0ES3_mN6thrust23THRUST_200600_302600_NS6detail15normal_iteratorINSA_10device_ptrIxEEEEPS6_SG_NS0_5tupleIJSF_S6_EEENSH_IJSG_SG_EEES6_PlJ5mod_3IxEEEE10hipError_tPvRmT3_T4_T5_T6_T7_T9_mT8_P12ihipStream_tbDpT10_ENKUlT_T0_E_clISt17integral_constantIbLb0EES15_IbLb1EEEEDaS11_S12_EUlS11_E_NS1_11comp_targetILNS1_3genE10ELNS1_11target_archE1200ELNS1_3gpuE4ELNS1_3repE0EEENS1_30default_config_static_selectorELNS0_4arch9wavefront6targetE0EEEvT1_
                                        ; -- End function
	.section	.AMDGPU.csdata,"",@progbits
; Kernel info:
; codeLenInByte = 0
; NumSgprs: 0
; NumVgprs: 0
; ScratchSize: 0
; MemoryBound: 0
; FloatMode: 240
; IeeeMode: 1
; LDSByteSize: 0 bytes/workgroup (compile time only)
; SGPRBlocks: 0
; VGPRBlocks: 0
; NumSGPRsForWavesPerEU: 1
; NumVGPRsForWavesPerEU: 1
; Occupancy: 16
; WaveLimiterHint : 0
; COMPUTE_PGM_RSRC2:SCRATCH_EN: 0
; COMPUTE_PGM_RSRC2:USER_SGPR: 15
; COMPUTE_PGM_RSRC2:TRAP_HANDLER: 0
; COMPUTE_PGM_RSRC2:TGID_X_EN: 1
; COMPUTE_PGM_RSRC2:TGID_Y_EN: 0
; COMPUTE_PGM_RSRC2:TGID_Z_EN: 0
; COMPUTE_PGM_RSRC2:TIDIG_COMP_CNT: 0
	.section	.text._ZN7rocprim17ROCPRIM_400000_NS6detail17trampoline_kernelINS0_14default_configENS1_25partition_config_selectorILNS1_17partition_subalgoE6ExNS0_10empty_typeEbEEZZNS1_14partition_implILS5_6ELb0ES3_mN6thrust23THRUST_200600_302600_NS6detail15normal_iteratorINSA_10device_ptrIxEEEEPS6_SG_NS0_5tupleIJSF_S6_EEENSH_IJSG_SG_EEES6_PlJ5mod_3IxEEEE10hipError_tPvRmT3_T4_T5_T6_T7_T9_mT8_P12ihipStream_tbDpT10_ENKUlT_T0_E_clISt17integral_constantIbLb0EES15_IbLb1EEEEDaS11_S12_EUlS11_E_NS1_11comp_targetILNS1_3genE9ELNS1_11target_archE1100ELNS1_3gpuE3ELNS1_3repE0EEENS1_30default_config_static_selectorELNS0_4arch9wavefront6targetE0EEEvT1_,"axG",@progbits,_ZN7rocprim17ROCPRIM_400000_NS6detail17trampoline_kernelINS0_14default_configENS1_25partition_config_selectorILNS1_17partition_subalgoE6ExNS0_10empty_typeEbEEZZNS1_14partition_implILS5_6ELb0ES3_mN6thrust23THRUST_200600_302600_NS6detail15normal_iteratorINSA_10device_ptrIxEEEEPS6_SG_NS0_5tupleIJSF_S6_EEENSH_IJSG_SG_EEES6_PlJ5mod_3IxEEEE10hipError_tPvRmT3_T4_T5_T6_T7_T9_mT8_P12ihipStream_tbDpT10_ENKUlT_T0_E_clISt17integral_constantIbLb0EES15_IbLb1EEEEDaS11_S12_EUlS11_E_NS1_11comp_targetILNS1_3genE9ELNS1_11target_archE1100ELNS1_3gpuE3ELNS1_3repE0EEENS1_30default_config_static_selectorELNS0_4arch9wavefront6targetE0EEEvT1_,comdat
	.protected	_ZN7rocprim17ROCPRIM_400000_NS6detail17trampoline_kernelINS0_14default_configENS1_25partition_config_selectorILNS1_17partition_subalgoE6ExNS0_10empty_typeEbEEZZNS1_14partition_implILS5_6ELb0ES3_mN6thrust23THRUST_200600_302600_NS6detail15normal_iteratorINSA_10device_ptrIxEEEEPS6_SG_NS0_5tupleIJSF_S6_EEENSH_IJSG_SG_EEES6_PlJ5mod_3IxEEEE10hipError_tPvRmT3_T4_T5_T6_T7_T9_mT8_P12ihipStream_tbDpT10_ENKUlT_T0_E_clISt17integral_constantIbLb0EES15_IbLb1EEEEDaS11_S12_EUlS11_E_NS1_11comp_targetILNS1_3genE9ELNS1_11target_archE1100ELNS1_3gpuE3ELNS1_3repE0EEENS1_30default_config_static_selectorELNS0_4arch9wavefront6targetE0EEEvT1_ ; -- Begin function _ZN7rocprim17ROCPRIM_400000_NS6detail17trampoline_kernelINS0_14default_configENS1_25partition_config_selectorILNS1_17partition_subalgoE6ExNS0_10empty_typeEbEEZZNS1_14partition_implILS5_6ELb0ES3_mN6thrust23THRUST_200600_302600_NS6detail15normal_iteratorINSA_10device_ptrIxEEEEPS6_SG_NS0_5tupleIJSF_S6_EEENSH_IJSG_SG_EEES6_PlJ5mod_3IxEEEE10hipError_tPvRmT3_T4_T5_T6_T7_T9_mT8_P12ihipStream_tbDpT10_ENKUlT_T0_E_clISt17integral_constantIbLb0EES15_IbLb1EEEEDaS11_S12_EUlS11_E_NS1_11comp_targetILNS1_3genE9ELNS1_11target_archE1100ELNS1_3gpuE3ELNS1_3repE0EEENS1_30default_config_static_selectorELNS0_4arch9wavefront6targetE0EEEvT1_
	.globl	_ZN7rocprim17ROCPRIM_400000_NS6detail17trampoline_kernelINS0_14default_configENS1_25partition_config_selectorILNS1_17partition_subalgoE6ExNS0_10empty_typeEbEEZZNS1_14partition_implILS5_6ELb0ES3_mN6thrust23THRUST_200600_302600_NS6detail15normal_iteratorINSA_10device_ptrIxEEEEPS6_SG_NS0_5tupleIJSF_S6_EEENSH_IJSG_SG_EEES6_PlJ5mod_3IxEEEE10hipError_tPvRmT3_T4_T5_T6_T7_T9_mT8_P12ihipStream_tbDpT10_ENKUlT_T0_E_clISt17integral_constantIbLb0EES15_IbLb1EEEEDaS11_S12_EUlS11_E_NS1_11comp_targetILNS1_3genE9ELNS1_11target_archE1100ELNS1_3gpuE3ELNS1_3repE0EEENS1_30default_config_static_selectorELNS0_4arch9wavefront6targetE0EEEvT1_
	.p2align	8
	.type	_ZN7rocprim17ROCPRIM_400000_NS6detail17trampoline_kernelINS0_14default_configENS1_25partition_config_selectorILNS1_17partition_subalgoE6ExNS0_10empty_typeEbEEZZNS1_14partition_implILS5_6ELb0ES3_mN6thrust23THRUST_200600_302600_NS6detail15normal_iteratorINSA_10device_ptrIxEEEEPS6_SG_NS0_5tupleIJSF_S6_EEENSH_IJSG_SG_EEES6_PlJ5mod_3IxEEEE10hipError_tPvRmT3_T4_T5_T6_T7_T9_mT8_P12ihipStream_tbDpT10_ENKUlT_T0_E_clISt17integral_constantIbLb0EES15_IbLb1EEEEDaS11_S12_EUlS11_E_NS1_11comp_targetILNS1_3genE9ELNS1_11target_archE1100ELNS1_3gpuE3ELNS1_3repE0EEENS1_30default_config_static_selectorELNS0_4arch9wavefront6targetE0EEEvT1_,@function
_ZN7rocprim17ROCPRIM_400000_NS6detail17trampoline_kernelINS0_14default_configENS1_25partition_config_selectorILNS1_17partition_subalgoE6ExNS0_10empty_typeEbEEZZNS1_14partition_implILS5_6ELb0ES3_mN6thrust23THRUST_200600_302600_NS6detail15normal_iteratorINSA_10device_ptrIxEEEEPS6_SG_NS0_5tupleIJSF_S6_EEENSH_IJSG_SG_EEES6_PlJ5mod_3IxEEEE10hipError_tPvRmT3_T4_T5_T6_T7_T9_mT8_P12ihipStream_tbDpT10_ENKUlT_T0_E_clISt17integral_constantIbLb0EES15_IbLb1EEEEDaS11_S12_EUlS11_E_NS1_11comp_targetILNS1_3genE9ELNS1_11target_archE1100ELNS1_3gpuE3ELNS1_3repE0EEENS1_30default_config_static_selectorELNS0_4arch9wavefront6targetE0EEEvT1_: ; @_ZN7rocprim17ROCPRIM_400000_NS6detail17trampoline_kernelINS0_14default_configENS1_25partition_config_selectorILNS1_17partition_subalgoE6ExNS0_10empty_typeEbEEZZNS1_14partition_implILS5_6ELb0ES3_mN6thrust23THRUST_200600_302600_NS6detail15normal_iteratorINSA_10device_ptrIxEEEEPS6_SG_NS0_5tupleIJSF_S6_EEENSH_IJSG_SG_EEES6_PlJ5mod_3IxEEEE10hipError_tPvRmT3_T4_T5_T6_T7_T9_mT8_P12ihipStream_tbDpT10_ENKUlT_T0_E_clISt17integral_constantIbLb0EES15_IbLb1EEEEDaS11_S12_EUlS11_E_NS1_11comp_targetILNS1_3genE9ELNS1_11target_archE1100ELNS1_3gpuE3ELNS1_3repE0EEENS1_30default_config_static_selectorELNS0_4arch9wavefront6targetE0EEEvT1_
; %bb.0:
	s_clause 0x3
	s_load_b64 s[12:13], s[0:1], 0x28
	s_load_b128 s[8:11], s[0:1], 0x40
	s_load_b64 s[16:17], s[0:1], 0x50
	s_load_b64 s[14:15], s[0:1], 0x60
	v_cmp_eq_u32_e64 s2, 0, v0
	s_delay_alu instid0(VALU_DEP_1)
	s_and_saveexec_b32 s3, s2
	s_cbranch_execz .LBB582_4
; %bb.1:
	s_mov_b32 s5, exec_lo
	s_mov_b32 s4, exec_lo
	v_mbcnt_lo_u32_b32 v1, s5, 0
                                        ; implicit-def: $vgpr2
	s_delay_alu instid0(VALU_DEP_1)
	v_cmpx_eq_u32_e32 0, v1
	s_cbranch_execz .LBB582_3
; %bb.2:
	s_load_b64 s[6:7], s[0:1], 0x70
	s_bcnt1_i32_b32 s5, s5
	s_delay_alu instid0(SALU_CYCLE_1)
	v_dual_mov_b32 v2, 0 :: v_dual_mov_b32 v3, s5
	s_waitcnt lgkmcnt(0)
	global_atomic_add_u32 v2, v2, v3, s[6:7] glc
.LBB582_3:
	s_or_b32 exec_lo, exec_lo, s4
	s_waitcnt vmcnt(0)
	v_readfirstlane_b32 s4, v2
	s_delay_alu instid0(VALU_DEP_1)
	v_dual_mov_b32 v2, 0 :: v_dual_add_nc_u32 v1, s4, v1
	ds_store_b32 v2, v1
.LBB582_4:
	s_or_b32 exec_lo, exec_lo, s3
	v_mov_b32_e32 v2, 0
	s_clause 0x1
	s_load_b128 s[4:7], s[0:1], 0x8
	s_load_b32 s0, s[0:1], 0x68
	s_waitcnt lgkmcnt(0)
	s_barrier
	buffer_gl0_inv
	ds_load_b32 v1, v2
	s_waitcnt lgkmcnt(0)
	s_barrier
	buffer_gl0_inv
	global_load_b64 v[21:22], v2, s[10:11]
	s_lshl_b64 s[10:11], s[6:7], 3
	s_delay_alu instid0(SALU_CYCLE_1)
	s_add_u32 s1, s4, s10
	s_mul_i32 s4, s0, 0x900
	s_addc_u32 s3, s5, s11
	v_readfirstlane_b32 s10, v1
	v_mul_lo_u32 v1, 0x900, v1
	s_add_i32 s5, s4, s6
	s_add_i32 s11, s0, -1
	s_sub_i32 s0, s16, s5
	s_add_u32 s4, s6, s4
	s_addc_u32 s5, s7, 0
	s_cmp_eq_u32 s10, s11
	v_cmp_ge_u64_e64 s4, s[4:5], s[16:17]
	v_lshlrev_b64 v[1:2], 3, v[1:2]
	s_cselect_b32 s5, -1, 0
	s_delay_alu instid0(VALU_DEP_2) | instid1(SALU_CYCLE_1)
	s_and_b32 s4, s4, s5
	s_delay_alu instid0(VALU_DEP_1) | instskip(NEXT) | instid1(VALU_DEP_2)
	v_add_co_u32 v17, vcc_lo, s1, v1
	v_add_co_ci_u32_e32 v18, vcc_lo, s3, v2, vcc_lo
	s_xor_b32 s6, s4, -1
	s_mov_b32 s1, -1
	s_and_b32 vcc_lo, exec_lo, s6
	s_cbranch_vccz .LBB582_6
; %bb.5:
	v_lshlrev_b32_e32 v13, 3, v0
	s_mov_b32 s1, 0
	s_delay_alu instid0(VALU_DEP_1) | instskip(SKIP_1) | instid1(VALU_DEP_2)
	v_add_co_u32 v1, vcc_lo, v17, v13
	v_add_co_ci_u32_e32 v2, vcc_lo, 0, v18, vcc_lo
	v_add_co_u32 v3, vcc_lo, 0x1000, v1
	s_delay_alu instid0(VALU_DEP_2)
	v_add_co_ci_u32_e32 v4, vcc_lo, 0, v2, vcc_lo
	v_add_co_u32 v5, vcc_lo, 0x2000, v1
	v_add_co_ci_u32_e32 v6, vcc_lo, 0, v2, vcc_lo
	v_add_co_u32 v7, vcc_lo, 0x3000, v1
	v_add_co_ci_u32_e32 v8, vcc_lo, 0, v2, vcc_lo
	s_clause 0x5
	flat_load_b64 v[9:10], v[1:2]
	flat_load_b64 v[1:2], v[1:2] offset:3072
	flat_load_b64 v[3:4], v[3:4] offset:2048
	;; [unrolled: 1-line block ×3, first 2 shown]
	flat_load_b64 v[11:12], v[7:8]
	flat_load_b64 v[7:8], v[7:8] offset:3072
	s_waitcnt vmcnt(4) lgkmcnt(4)
	ds_store_2addr_stride64_b64 v13, v[9:10], v[1:2] offset1:6
	s_waitcnt vmcnt(2) lgkmcnt(3)
	ds_store_2addr_stride64_b64 v13, v[3:4], v[5:6] offset0:12 offset1:18
	s_waitcnt vmcnt(0) lgkmcnt(2)
	ds_store_2addr_stride64_b64 v13, v[11:12], v[7:8] offset0:24 offset1:30
	s_waitcnt lgkmcnt(0)
	s_barrier
.LBB582_6:
	s_and_not1_b32 vcc_lo, exec_lo, s1
	s_addk_i32 s0, 0x900
	s_cbranch_vccnz .LBB582_20
; %bb.7:
	s_mov_b32 s1, exec_lo
                                        ; implicit-def: $vgpr1_vgpr2_vgpr3_vgpr4_vgpr5_vgpr6_vgpr7_vgpr8_vgpr9_vgpr10_vgpr11_vgpr12_vgpr13_vgpr14_vgpr15_vgpr16
	v_cmpx_gt_u32_e64 s0, v0
	s_cbranch_execz .LBB582_9
; %bb.8:
	v_lshlrev_b32_e32 v1, 3, v0
	s_delay_alu instid0(VALU_DEP_1)
	v_add_co_u32 v1, vcc_lo, v17, v1
	v_add_co_ci_u32_e32 v2, vcc_lo, 0, v18, vcc_lo
	flat_load_b64 v[1:2], v[1:2]
.LBB582_9:
	s_or_b32 exec_lo, exec_lo, s1
	v_add_nc_u32_e32 v13, 0x180, v0
	s_mov_b32 s1, exec_lo
	s_delay_alu instid0(VALU_DEP_1)
	v_cmpx_gt_u32_e64 s0, v13
	s_cbranch_execz .LBB582_11
; %bb.10:
	v_lshlrev_b32_e32 v3, 3, v0
	s_delay_alu instid0(VALU_DEP_1)
	v_add_co_u32 v3, vcc_lo, v17, v3
	v_add_co_ci_u32_e32 v4, vcc_lo, 0, v18, vcc_lo
	flat_load_b64 v[3:4], v[3:4] offset:3072
.LBB582_11:
	s_or_b32 exec_lo, exec_lo, s1
	v_add_nc_u32_e32 v13, 0x300, v0
	s_mov_b32 s1, exec_lo
	s_delay_alu instid0(VALU_DEP_1)
	v_cmpx_gt_u32_e64 s0, v13
	s_cbranch_execz .LBB582_13
; %bb.12:
	v_lshlrev_b32_e32 v5, 3, v13
	s_delay_alu instid0(VALU_DEP_1)
	v_add_co_u32 v5, vcc_lo, v17, v5
	v_add_co_ci_u32_e32 v6, vcc_lo, 0, v18, vcc_lo
	flat_load_b64 v[5:6], v[5:6]
.LBB582_13:
	s_or_b32 exec_lo, exec_lo, s1
	v_add_nc_u32_e32 v13, 0x480, v0
	s_mov_b32 s1, exec_lo
	s_delay_alu instid0(VALU_DEP_1)
	v_cmpx_gt_u32_e64 s0, v13
	s_cbranch_execz .LBB582_15
; %bb.14:
	v_lshlrev_b32_e32 v7, 3, v13
	s_delay_alu instid0(VALU_DEP_1)
	v_add_co_u32 v7, vcc_lo, v17, v7
	v_add_co_ci_u32_e32 v8, vcc_lo, 0, v18, vcc_lo
	flat_load_b64 v[7:8], v[7:8]
.LBB582_15:
	s_or_b32 exec_lo, exec_lo, s1
	v_or_b32_e32 v13, 0x600, v0
	s_mov_b32 s1, exec_lo
	s_delay_alu instid0(VALU_DEP_1)
	v_cmpx_gt_u32_e64 s0, v13
	s_cbranch_execz .LBB582_17
; %bb.16:
	v_lshlrev_b32_e32 v9, 3, v13
	s_delay_alu instid0(VALU_DEP_1)
	v_add_co_u32 v9, vcc_lo, v17, v9
	v_add_co_ci_u32_e32 v10, vcc_lo, 0, v18, vcc_lo
	flat_load_b64 v[9:10], v[9:10]
.LBB582_17:
	s_or_b32 exec_lo, exec_lo, s1
	v_add_nc_u32_e32 v13, 0x780, v0
	s_mov_b32 s1, exec_lo
	s_delay_alu instid0(VALU_DEP_1)
	v_cmpx_gt_u32_e64 s0, v13
	s_cbranch_execz .LBB582_19
; %bb.18:
	v_lshlrev_b32_e32 v11, 3, v13
	s_delay_alu instid0(VALU_DEP_1)
	v_add_co_u32 v11, vcc_lo, v17, v11
	v_add_co_ci_u32_e32 v12, vcc_lo, 0, v18, vcc_lo
	flat_load_b64 v[11:12], v[11:12]
.LBB582_19:
	s_or_b32 exec_lo, exec_lo, s1
	v_lshlrev_b32_e32 v13, 3, v0
	s_waitcnt vmcnt(0) lgkmcnt(0)
	ds_store_2addr_stride64_b64 v13, v[1:2], v[3:4] offset1:6
	ds_store_2addr_stride64_b64 v13, v[5:6], v[7:8] offset0:12 offset1:18
	ds_store_2addr_stride64_b64 v13, v[9:10], v[11:12] offset0:24 offset1:30
	s_waitcnt lgkmcnt(0)
	s_barrier
.LBB582_20:
	v_mul_u32_u24_e32 v13, 6, v0
	s_waitcnt vmcnt(0)
	buffer_gl0_inv
	s_and_not1_b32 vcc_lo, exec_lo, s6
	v_lshlrev_b32_e32 v37, 3, v13
	ds_load_b128 v[9:12], v37
	ds_load_b128 v[5:8], v37 offset:16
	ds_load_b128 v[1:4], v37 offset:32
	s_waitcnt lgkmcnt(0)
	s_barrier
	buffer_gl0_inv
	s_cbranch_vccnz .LBB582_22
; %bb.21:
	v_mul_lo_u32 v14, 0xaaaaaaab, v11
	v_mul_lo_u32 v15, 0xaaaaaaab, v7
	;; [unrolled: 1-line block ×5, first 2 shown]
	v_cmp_lt_u32_e32 vcc_lo, 0x55555555, v14
	v_cndmask_b32_e64 v14, 0, 1, vcc_lo
	v_cmp_lt_u32_e32 vcc_lo, 0x55555555, v15
	s_delay_alu instid0(VALU_DEP_2) | instskip(SKIP_2) | instid1(VALU_DEP_2)
	v_lshlrev_b16 v14, 8, v14
	v_cndmask_b32_e64 v15, 0, 1, vcc_lo
	v_cmp_lt_u32_e32 vcc_lo, 0x55555555, v16
	v_lshlrev_b16 v15, 8, v15
	v_cndmask_b32_e64 v16, 0, 1, vcc_lo
	v_cmp_lt_u32_e32 vcc_lo, 0x55555555, v17
	s_delay_alu instid0(VALU_DEP_2) | instskip(SKIP_3) | instid1(VALU_DEP_4)
	v_or_b32_e32 v14, v16, v14
	v_cndmask_b32_e64 v17, 0, 1, vcc_lo
	v_mul_lo_u32 v16, 0xaaaaaaab, v3
	v_cmp_lt_u32_e32 vcc_lo, 0x55555555, v18
	v_and_b32_e32 v14, 0xffff, v14
	s_delay_alu instid0(VALU_DEP_4) | instskip(SKIP_2) | instid1(VALU_DEP_3)
	v_or_b32_e32 v15, v17, v15
	v_cndmask_b32_e64 v34, 0, 1, vcc_lo
	v_cmp_lt_u32_e32 vcc_lo, 0x55555555, v16
	v_lshlrev_b32_e32 v15, 16, v15
	v_cndmask_b32_e64 v33, 0, 1, vcc_lo
	s_delay_alu instid0(VALU_DEP_2)
	v_or_b32_e32 v35, v14, v15
	s_cbranch_execz .LBB582_23
	s_branch .LBB582_36
.LBB582_22:
                                        ; implicit-def: $vgpr33
                                        ; implicit-def: $vgpr34
                                        ; implicit-def: $vgpr35
.LBB582_23:
	v_dual_mov_b32 v15, 0 :: v_dual_mov_b32 v14, 0
	s_mov_b32 s1, exec_lo
	v_cmpx_gt_u32_e64 s0, v13
; %bb.24:
	v_mul_lo_u32 v14, 0xaaaaaaab, v9
	s_delay_alu instid0(VALU_DEP_1)
	v_cmp_lt_u32_e32 vcc_lo, 0x55555555, v14
	v_cndmask_b32_e64 v14, 0, 1, vcc_lo
; %bb.25:
	s_or_b32 exec_lo, exec_lo, s1
	v_or_b32_e32 v16, 1, v13
	s_mov_b32 s1, exec_lo
	s_delay_alu instid0(VALU_DEP_1)
	v_cmpx_gt_u32_e64 s0, v16
; %bb.26:
	v_mul_lo_u32 v15, 0xaaaaaaab, v11
	s_delay_alu instid0(VALU_DEP_1)
	v_cmp_lt_u32_e32 vcc_lo, 0x55555555, v15
	v_cndmask_b32_e64 v15, 0, 1, vcc_lo
; %bb.27:
	s_or_b32 exec_lo, exec_lo, s1
	v_dual_mov_b32 v17, 0 :: v_dual_add_nc_u32 v16, 2, v13
	s_delay_alu instid0(VALU_DEP_1)
	v_cmp_gt_u32_e32 vcc_lo, s0, v16
	v_mov_b32_e32 v16, 0
	s_and_saveexec_b32 s1, vcc_lo
; %bb.28:
	v_mul_lo_u32 v16, 0xaaaaaaab, v5
	s_delay_alu instid0(VALU_DEP_1)
	v_cmp_lt_u32_e32 vcc_lo, 0x55555555, v16
	v_cndmask_b32_e64 v16, 0, 1, vcc_lo
; %bb.29:
	s_or_b32 exec_lo, exec_lo, s1
	v_add_nc_u32_e32 v18, 3, v13
	s_mov_b32 s1, exec_lo
	s_delay_alu instid0(VALU_DEP_1)
	v_cmpx_gt_u32_e64 s0, v18
; %bb.30:
	v_mul_lo_u32 v17, 0xaaaaaaab, v7
	s_delay_alu instid0(VALU_DEP_1)
	v_cmp_lt_u32_e32 vcc_lo, 0x55555555, v17
	v_cndmask_b32_e64 v17, 0, 1, vcc_lo
; %bb.31:
	s_or_b32 exec_lo, exec_lo, s1
	v_dual_mov_b32 v33, 0 :: v_dual_add_nc_u32 v18, 4, v13
	v_mov_b32_e32 v34, 0
	s_mov_b32 s1, exec_lo
	s_delay_alu instid0(VALU_DEP_2)
	v_cmpx_gt_u32_e64 s0, v18
; %bb.32:
	v_mul_lo_u32 v18, 0xaaaaaaab, v1
	s_delay_alu instid0(VALU_DEP_1)
	v_cmp_lt_u32_e32 vcc_lo, 0x55555555, v18
	v_cndmask_b32_e64 v34, 0, 1, vcc_lo
; %bb.33:
	s_or_b32 exec_lo, exec_lo, s1
	v_add_nc_u32_e32 v13, 5, v13
	s_delay_alu instid0(VALU_DEP_1)
	v_cmp_gt_u32_e32 vcc_lo, s0, v13
	s_and_saveexec_b32 s0, vcc_lo
; %bb.34:
	v_mul_lo_u32 v13, 0xaaaaaaab, v3
	s_delay_alu instid0(VALU_DEP_1)
	v_cmp_lt_u32_e32 vcc_lo, 0x55555555, v13
	v_cndmask_b32_e64 v33, 0, 1, vcc_lo
; %bb.35:
	s_or_b32 exec_lo, exec_lo, s0
	v_lshlrev_b16 v13, 8, v15
	v_lshlrev_b16 v15, 8, v17
	s_delay_alu instid0(VALU_DEP_2) | instskip(NEXT) | instid1(VALU_DEP_2)
	v_or_b32_e32 v13, v14, v13
	v_or_b32_e32 v14, v16, v15
	s_delay_alu instid0(VALU_DEP_2) | instskip(NEXT) | instid1(VALU_DEP_2)
	v_and_b32_e32 v13, 0xffff, v13
	v_lshlrev_b32_e32 v14, 16, v14
	s_delay_alu instid0(VALU_DEP_1)
	v_or_b32_e32 v35, v13, v14
.LBB582_36:
	s_delay_alu instid0(VALU_DEP_1)
	v_dual_mov_b32 v14, 0 :: v_dual_and_b32 v41, 0xff, v35
	v_bfe_u32 v40, v35, 8, 8
	v_bfe_u32 v39, v35, 16, 8
	v_lshrrev_b32_e32 v36, 24, v35
	v_and_b32_e32 v38, 0xff, v34
	v_mbcnt_lo_u32_b32 v42, -1, 0
	v_add_co_u32 v13, s0, v40, v41
	s_delay_alu instid0(VALU_DEP_1) | instskip(SKIP_1) | instid1(VALU_DEP_3)
	v_add_co_ci_u32_e64 v15, null, 0, 0, s0
	v_and_b32_e32 v16, 0xff, v33
	v_add_co_u32 v13, vcc_lo, v13, v39
	s_delay_alu instid0(VALU_DEP_3) | instskip(SKIP_1) | instid1(VALU_DEP_3)
	v_add_co_ci_u32_e32 v15, vcc_lo, 0, v15, vcc_lo
	v_and_b32_e32 v43, 15, v42
	v_add_co_u32 v13, vcc_lo, v13, v36
	s_delay_alu instid0(VALU_DEP_3) | instskip(NEXT) | instid1(VALU_DEP_3)
	v_add_co_ci_u32_e32 v15, vcc_lo, 0, v15, vcc_lo
	v_cmp_ne_u32_e64 s0, 0, v43
	s_delay_alu instid0(VALU_DEP_3) | instskip(NEXT) | instid1(VALU_DEP_3)
	v_add_co_u32 v13, vcc_lo, v13, v38
	v_add_co_ci_u32_e32 v15, vcc_lo, 0, v15, vcc_lo
	s_cmp_lg_u32 s10, 0
	s_delay_alu instid0(VALU_DEP_2) | instskip(NEXT) | instid1(VALU_DEP_2)
	v_add_co_u32 v23, vcc_lo, v13, v16
	v_add_co_ci_u32_e32 v24, vcc_lo, 0, v15, vcc_lo
	s_mov_b32 s1, -1
	s_cbranch_scc0 .LBB582_100
; %bb.37:
	s_delay_alu instid0(VALU_DEP_2)
	v_mov_b32_e32 v15, v23
	v_mov_b32_dpp v13, v23 row_shr:1 row_mask:0xf bank_mask:0xf
	v_mov_b32_dpp v18, v14 row_shr:1 row_mask:0xf bank_mask:0xf
	v_dual_mov_b32 v17, v23 :: v_dual_mov_b32 v16, v24
	s_and_saveexec_b32 s1, s0
; %bb.38:
	s_delay_alu instid0(VALU_DEP_3) | instskip(SKIP_1) | instid1(VALU_DEP_2)
	v_add_co_u32 v17, vcc_lo, v23, v13
	v_add_co_ci_u32_e32 v14, vcc_lo, 0, v24, vcc_lo
	v_add_co_u32 v13, vcc_lo, 0, v17
	s_delay_alu instid0(VALU_DEP_2) | instskip(NEXT) | instid1(VALU_DEP_1)
	v_add_co_ci_u32_e32 v14, vcc_lo, v18, v14, vcc_lo
	v_dual_mov_b32 v16, v14 :: v_dual_mov_b32 v15, v13
; %bb.39:
	s_or_b32 exec_lo, exec_lo, s1
	v_mov_b32_dpp v13, v17 row_shr:2 row_mask:0xf bank_mask:0xf
	v_mov_b32_dpp v18, v14 row_shr:2 row_mask:0xf bank_mask:0xf
	v_cmp_lt_u32_e32 vcc_lo, 1, v43
	s_and_saveexec_b32 s3, vcc_lo
; %bb.40:
	s_delay_alu instid0(VALU_DEP_3) | instskip(NEXT) | instid1(VALU_DEP_1)
	v_add_co_u32 v17, s1, v15, v13
	v_add_co_ci_u32_e64 v14, s1, 0, v16, s1
	s_delay_alu instid0(VALU_DEP_2) | instskip(NEXT) | instid1(VALU_DEP_1)
	v_add_co_u32 v13, s1, 0, v17
	v_add_co_ci_u32_e64 v14, s1, v18, v14, s1
	s_delay_alu instid0(VALU_DEP_1)
	v_dual_mov_b32 v16, v14 :: v_dual_mov_b32 v15, v13
; %bb.41:
	s_or_b32 exec_lo, exec_lo, s3
	v_mov_b32_dpp v13, v17 row_shr:4 row_mask:0xf bank_mask:0xf
	v_mov_b32_dpp v18, v14 row_shr:4 row_mask:0xf bank_mask:0xf
	v_cmp_lt_u32_e64 s1, 3, v43
	s_delay_alu instid0(VALU_DEP_1)
	s_and_saveexec_b32 s4, s1
; %bb.42:
	s_delay_alu instid0(VALU_DEP_3) | instskip(NEXT) | instid1(VALU_DEP_1)
	v_add_co_u32 v17, s3, v15, v13
	v_add_co_ci_u32_e64 v14, s3, 0, v16, s3
	s_delay_alu instid0(VALU_DEP_2) | instskip(NEXT) | instid1(VALU_DEP_1)
	v_add_co_u32 v13, s3, 0, v17
	v_add_co_ci_u32_e64 v14, s3, v18, v14, s3
	s_delay_alu instid0(VALU_DEP_1)
	v_dual_mov_b32 v16, v14 :: v_dual_mov_b32 v15, v13
; %bb.43:
	s_or_b32 exec_lo, exec_lo, s4
	v_mov_b32_dpp v18, v17 row_shr:8 row_mask:0xf bank_mask:0xf
	v_mov_b32_dpp v13, v14 row_shr:8 row_mask:0xf bank_mask:0xf
	v_cmp_lt_u32_e64 s3, 7, v43
	s_delay_alu instid0(VALU_DEP_1)
	s_and_saveexec_b32 s7, s3
; %bb.44:
	s_delay_alu instid0(VALU_DEP_3) | instskip(NEXT) | instid1(VALU_DEP_1)
	v_add_co_u32 v17, s4, v15, v18
	v_add_co_ci_u32_e64 v14, s4, 0, v16, s4
	s_delay_alu instid0(VALU_DEP_2) | instskip(NEXT) | instid1(VALU_DEP_1)
	v_add_co_u32 v15, s4, 0, v17
	v_add_co_ci_u32_e64 v16, s4, v13, v14, s4
	s_delay_alu instid0(VALU_DEP_1)
	v_mov_b32_e32 v14, v16
; %bb.45:
	s_or_b32 exec_lo, exec_lo, s7
	ds_swizzle_b32 v13, v17 offset:swizzle(BROADCAST,32,15)
	ds_swizzle_b32 v18, v14 offset:swizzle(BROADCAST,32,15)
	v_and_b32_e32 v19, 16, v42
	s_mov_b32 s7, exec_lo
	s_delay_alu instid0(VALU_DEP_1)
	v_cmpx_ne_u32_e32 0, v19
	s_cbranch_execz .LBB582_47
; %bb.46:
	s_waitcnt lgkmcnt(1)
	v_add_co_u32 v17, s4, v15, v13
	s_delay_alu instid0(VALU_DEP_1) | instskip(NEXT) | instid1(VALU_DEP_2)
	v_add_co_ci_u32_e64 v14, s4, 0, v16, s4
	v_add_co_u32 v13, s4, 0, v17
	s_waitcnt lgkmcnt(0)
	s_delay_alu instid0(VALU_DEP_2) | instskip(NEXT) | instid1(VALU_DEP_1)
	v_add_co_ci_u32_e64 v14, s4, v18, v14, s4
	v_dual_mov_b32 v16, v14 :: v_dual_mov_b32 v15, v13
.LBB582_47:
	s_or_b32 exec_lo, exec_lo, s7
	s_waitcnt lgkmcnt(1)
	v_and_b32_e32 v13, 0x1e0, v0
	s_mov_b32 s7, exec_lo
	s_delay_alu instid0(VALU_DEP_1) | instskip(SKIP_1) | instid1(VALU_DEP_1)
	v_min_u32_e32 v13, 0x160, v13
	s_waitcnt lgkmcnt(0)
	v_or_b32_e32 v18, 31, v13
	v_lshrrev_b32_e32 v13, 5, v0
	s_delay_alu instid0(VALU_DEP_2)
	v_cmpx_eq_u32_e64 v18, v0
	s_cbranch_execz .LBB582_49
; %bb.48:
	s_delay_alu instid0(VALU_DEP_2)
	v_lshlrev_b32_e32 v18, 3, v13
	ds_store_b64 v18, v[15:16]
.LBB582_49:
	s_or_b32 exec_lo, exec_lo, s7
	s_delay_alu instid0(SALU_CYCLE_1)
	s_mov_b32 s7, exec_lo
	s_waitcnt lgkmcnt(0)
	s_barrier
	buffer_gl0_inv
	v_cmpx_gt_u32_e32 12, v0
	s_cbranch_execz .LBB582_59
; %bb.50:
	v_lshlrev_b32_e32 v18, 3, v0
	ds_load_b64 v[15:16], v18
	s_waitcnt lgkmcnt(0)
	v_mov_b32_e32 v19, v15
	v_mov_b32_dpp v25, v15 row_shr:1 row_mask:0xf bank_mask:0xf
	v_mov_b32_dpp v20, v16 row_shr:1 row_mask:0xf bank_mask:0xf
	s_and_saveexec_b32 s11, s0
; %bb.51:
	s_delay_alu instid0(VALU_DEP_2) | instskip(NEXT) | instid1(VALU_DEP_1)
	v_add_co_u32 v19, s4, v15, v25
	v_add_co_ci_u32_e64 v16, s4, 0, v16, s4
	s_delay_alu instid0(VALU_DEP_2) | instskip(NEXT) | instid1(VALU_DEP_1)
	v_add_co_u32 v15, s4, 0, v19
	v_add_co_ci_u32_e64 v16, s4, v20, v16, s4
; %bb.52:
	s_or_b32 exec_lo, exec_lo, s11
	v_mov_b32_dpp v25, v19 row_shr:2 row_mask:0xf bank_mask:0xf
	s_delay_alu instid0(VALU_DEP_2)
	v_mov_b32_dpp v20, v16 row_shr:2 row_mask:0xf bank_mask:0xf
	s_and_saveexec_b32 s4, vcc_lo
; %bb.53:
	s_delay_alu instid0(VALU_DEP_2) | instskip(SKIP_1) | instid1(VALU_DEP_2)
	v_add_co_u32 v19, vcc_lo, v15, v25
	v_add_co_ci_u32_e32 v16, vcc_lo, 0, v16, vcc_lo
	v_add_co_u32 v15, vcc_lo, 0, v19
	s_delay_alu instid0(VALU_DEP_2)
	v_add_co_ci_u32_e32 v16, vcc_lo, v20, v16, vcc_lo
; %bb.54:
	s_or_b32 exec_lo, exec_lo, s4
	v_mov_b32_dpp v25, v19 row_shr:4 row_mask:0xf bank_mask:0xf
	s_delay_alu instid0(VALU_DEP_2)
	v_mov_b32_dpp v20, v16 row_shr:4 row_mask:0xf bank_mask:0xf
	s_and_saveexec_b32 s4, s1
; %bb.55:
	s_delay_alu instid0(VALU_DEP_2) | instskip(SKIP_1) | instid1(VALU_DEP_2)
	v_add_co_u32 v19, vcc_lo, v15, v25
	v_add_co_ci_u32_e32 v16, vcc_lo, 0, v16, vcc_lo
	v_add_co_u32 v15, vcc_lo, 0, v19
	s_delay_alu instid0(VALU_DEP_2)
	v_add_co_ci_u32_e32 v16, vcc_lo, v20, v16, vcc_lo
; %bb.56:
	s_or_b32 exec_lo, exec_lo, s4
	v_mov_b32_dpp v20, v19 row_shr:8 row_mask:0xf bank_mask:0xf
	s_delay_alu instid0(VALU_DEP_2)
	v_mov_b32_dpp v19, v16 row_shr:8 row_mask:0xf bank_mask:0xf
	s_and_saveexec_b32 s1, s3
; %bb.57:
	s_delay_alu instid0(VALU_DEP_2) | instskip(SKIP_1) | instid1(VALU_DEP_2)
	v_add_co_u32 v15, vcc_lo, v15, v20
	v_add_co_ci_u32_e32 v16, vcc_lo, 0, v16, vcc_lo
	v_add_co_u32 v15, vcc_lo, v15, 0
	s_delay_alu instid0(VALU_DEP_2)
	v_add_co_ci_u32_e32 v16, vcc_lo, v16, v19, vcc_lo
; %bb.58:
	s_or_b32 exec_lo, exec_lo, s1
	ds_store_b64 v18, v[15:16]
.LBB582_59:
	s_or_b32 exec_lo, exec_lo, s7
	v_cmp_gt_u32_e32 vcc_lo, 32, v0
	s_mov_b32 s3, exec_lo
	s_waitcnt lgkmcnt(0)
	s_barrier
	buffer_gl0_inv
                                        ; implicit-def: $vgpr25_vgpr26
	v_cmpx_lt_u32_e32 31, v0
	s_cbranch_execz .LBB582_61
; %bb.60:
	v_lshl_add_u32 v13, v13, 3, -8
	ds_load_b64 v[25:26], v13
	s_waitcnt lgkmcnt(0)
	v_add_co_u32 v17, s1, v17, v25
	s_delay_alu instid0(VALU_DEP_1)
	v_add_co_ci_u32_e64 v14, s1, v14, v26, s1
.LBB582_61:
	s_or_b32 exec_lo, exec_lo, s3
	v_add_nc_u32_e32 v13, -1, v42
	s_delay_alu instid0(VALU_DEP_1) | instskip(NEXT) | instid1(VALU_DEP_1)
	v_cmp_gt_i32_e64 s1, 0, v13
	v_cndmask_b32_e64 v13, v13, v42, s1
	v_cmp_eq_u32_e64 s1, 0, v42
	s_delay_alu instid0(VALU_DEP_2)
	v_lshlrev_b32_e32 v13, 2, v13
	ds_bpermute_b32 v31, v13, v17
	ds_bpermute_b32 v32, v13, v14
	s_and_saveexec_b32 s3, vcc_lo
	s_cbranch_execz .LBB582_99
; %bb.62:
	v_mov_b32_e32 v16, 0
	ds_load_b64 v[13:14], v16 offset:88
	s_and_saveexec_b32 s4, s1
	s_cbranch_execz .LBB582_64
; %bb.63:
	s_add_i32 s16, s10, 32
	s_mov_b32 s17, 0
	s_delay_alu instid0(SALU_CYCLE_1) | instskip(NEXT) | instid1(SALU_CYCLE_1)
	s_lshl_b64 s[16:17], s[16:17], 4
	s_add_u32 s16, s14, s16
	s_addc_u32 s17, s15, s17
	s_delay_alu instid0(SALU_CYCLE_1)
	v_dual_mov_b32 v15, 1 :: v_dual_mov_b32 v18, s17
	v_mov_b32_e32 v17, s16
	s_waitcnt lgkmcnt(0)
	;;#ASMSTART
	global_store_dwordx4 v[17:18], v[13:16] off	
s_waitcnt vmcnt(0)
	;;#ASMEND
.LBB582_64:
	s_or_b32 exec_lo, exec_lo, s4
	v_xad_u32 v27, v42, -1, s10
	s_mov_b32 s7, 0
	s_mov_b32 s4, exec_lo
	s_delay_alu instid0(VALU_DEP_1) | instskip(NEXT) | instid1(VALU_DEP_1)
	v_add_nc_u32_e32 v15, 32, v27
	v_lshlrev_b64 v[15:16], 4, v[15:16]
	s_delay_alu instid0(VALU_DEP_1) | instskip(NEXT) | instid1(VALU_DEP_2)
	v_add_co_u32 v15, vcc_lo, s14, v15
	v_add_co_ci_u32_e32 v16, vcc_lo, s15, v16, vcc_lo
	;;#ASMSTART
	global_load_dwordx4 v[17:20], v[15:16] off glc	
s_waitcnt vmcnt(0)
	;;#ASMEND
	v_and_b32_e32 v20, 0xff, v18
	v_and_b32_e32 v28, 0xff00, v18
	v_or3_b32 v17, v17, 0, 0
	v_and_b32_e32 v29, 0xff000000, v18
	v_and_b32_e32 v18, 0xff0000, v18
	s_delay_alu instid0(VALU_DEP_4) | instskip(SKIP_2) | instid1(VALU_DEP_3)
	v_or3_b32 v20, 0, v20, v28
	v_and_b32_e32 v28, 0xff, v19
	v_or3_b32 v17, v17, 0, 0
	v_or3_b32 v18, v20, v18, v29
	s_delay_alu instid0(VALU_DEP_3)
	v_cmpx_eq_u16_e32 0, v28
	s_cbranch_execz .LBB582_67
.LBB582_65:                             ; =>This Inner Loop Header: Depth=1
	;;#ASMSTART
	global_load_dwordx4 v[17:20], v[15:16] off glc	
s_waitcnt vmcnt(0)
	;;#ASMEND
	v_and_b32_e32 v20, 0xff, v19
	s_delay_alu instid0(VALU_DEP_1) | instskip(SKIP_1) | instid1(SALU_CYCLE_1)
	v_cmp_ne_u16_e32 vcc_lo, 0, v20
	s_or_b32 s7, vcc_lo, s7
	s_and_not1_b32 exec_lo, exec_lo, s7
	s_cbranch_execnz .LBB582_65
; %bb.66:
	s_or_b32 exec_lo, exec_lo, s7
.LBB582_67:
	s_delay_alu instid0(SALU_CYCLE_1)
	s_or_b32 exec_lo, exec_lo, s4
	v_cmp_ne_u32_e32 vcc_lo, 31, v42
	v_and_b32_e32 v16, 0xff, v19
	v_lshlrev_b32_e64 v45, v42, -1
	s_mov_b32 s4, exec_lo
	v_add_co_ci_u32_e32 v15, vcc_lo, 0, v42, vcc_lo
	s_delay_alu instid0(VALU_DEP_3) | instskip(SKIP_1) | instid1(VALU_DEP_3)
	v_cmp_eq_u16_e32 vcc_lo, 2, v16
	v_mov_b32_e32 v16, v17
	v_lshlrev_b32_e32 v44, 2, v15
	v_and_or_b32 v15, vcc_lo, v45, 0x80000000
	ds_bpermute_b32 v28, v44, v17
	ds_bpermute_b32 v20, v44, v18
	v_ctz_i32_b32_e32 v15, v15
	s_delay_alu instid0(VALU_DEP_1)
	v_cmpx_lt_u32_e64 v42, v15
	s_cbranch_execz .LBB582_69
; %bb.68:
	s_waitcnt lgkmcnt(1)
	v_add_co_u32 v16, vcc_lo, v17, v28
	v_add_co_ci_u32_e32 v18, vcc_lo, 0, v18, vcc_lo
	s_delay_alu instid0(VALU_DEP_2) | instskip(SKIP_1) | instid1(VALU_DEP_2)
	v_add_co_u32 v17, vcc_lo, 0, v16
	s_waitcnt lgkmcnt(0)
	v_add_co_ci_u32_e32 v18, vcc_lo, v20, v18, vcc_lo
.LBB582_69:
	s_or_b32 exec_lo, exec_lo, s4
	v_cmp_gt_u32_e32 vcc_lo, 30, v42
	v_add_nc_u32_e32 v47, 2, v42
	s_mov_b32 s4, exec_lo
	s_waitcnt lgkmcnt(0)
	v_cndmask_b32_e64 v20, 0, 1, vcc_lo
	s_delay_alu instid0(VALU_DEP_1) | instskip(NEXT) | instid1(VALU_DEP_1)
	v_lshlrev_b32_e32 v20, 1, v20
	v_add_lshl_u32 v46, v20, v42, 2
	ds_bpermute_b32 v28, v46, v16
	ds_bpermute_b32 v20, v46, v18
	v_cmpx_le_u32_e64 v47, v15
	s_cbranch_execz .LBB582_71
; %bb.70:
	s_waitcnt lgkmcnt(1)
	v_add_co_u32 v16, vcc_lo, v17, v28
	v_add_co_ci_u32_e32 v18, vcc_lo, 0, v18, vcc_lo
	s_delay_alu instid0(VALU_DEP_2) | instskip(SKIP_1) | instid1(VALU_DEP_2)
	v_add_co_u32 v17, vcc_lo, 0, v16
	s_waitcnt lgkmcnt(0)
	v_add_co_ci_u32_e32 v18, vcc_lo, v20, v18, vcc_lo
.LBB582_71:
	s_or_b32 exec_lo, exec_lo, s4
	v_cmp_gt_u32_e32 vcc_lo, 28, v42
	v_add_nc_u32_e32 v49, 4, v42
	s_mov_b32 s4, exec_lo
	s_waitcnt lgkmcnt(0)
	v_cndmask_b32_e64 v20, 0, 1, vcc_lo
	s_delay_alu instid0(VALU_DEP_1) | instskip(NEXT) | instid1(VALU_DEP_1)
	v_lshlrev_b32_e32 v20, 2, v20
	v_add_lshl_u32 v48, v20, v42, 2
	ds_bpermute_b32 v28, v48, v16
	ds_bpermute_b32 v20, v48, v18
	v_cmpx_le_u32_e64 v49, v15
	;; [unrolled: 22-line block ×4, first 2 shown]
	s_cbranch_execz .LBB582_77
; %bb.76:
	s_waitcnt lgkmcnt(1)
	v_add_co_u32 v15, vcc_lo, v17, v20
	v_add_co_ci_u32_e32 v18, vcc_lo, 0, v18, vcc_lo
	s_delay_alu instid0(VALU_DEP_2) | instskip(SKIP_1) | instid1(VALU_DEP_2)
	v_add_co_u32 v17, vcc_lo, v15, 0
	s_waitcnt lgkmcnt(0)
	v_add_co_ci_u32_e32 v18, vcc_lo, v18, v16, vcc_lo
.LBB582_77:
	s_or_b32 exec_lo, exec_lo, s4
	v_mov_b32_e32 v28, 0
	s_branch .LBB582_79
.LBB582_78:                             ;   in Loop: Header=BB582_79 Depth=1
	s_or_b32 exec_lo, exec_lo, s4
	v_add_co_u32 v17, vcc_lo, v17, v15
	v_subrev_nc_u32_e32 v27, 32, v27
	v_add_co_ci_u32_e32 v18, vcc_lo, v18, v16, vcc_lo
.LBB582_79:                             ; =>This Loop Header: Depth=1
                                        ;     Child Loop BB582_82 Depth 2
	v_and_b32_e32 v15, 0xff, v19
	s_delay_alu instid0(VALU_DEP_1) | instskip(SKIP_2) | instid1(VALU_DEP_1)
	v_cmp_ne_u16_e32 vcc_lo, 2, v15
	v_cndmask_b32_e64 v15, 0, 1, vcc_lo
	;;#ASMSTART
	;;#ASMEND
	v_cmp_ne_u32_e32 vcc_lo, 0, v15
	s_waitcnt lgkmcnt(0)
	v_dual_mov_b32 v15, v17 :: v_dual_mov_b32 v16, v18
	s_cmp_lg_u32 vcc_lo, exec_lo
	s_cbranch_scc1 .LBB582_94
; %bb.80:                               ;   in Loop: Header=BB582_79 Depth=1
	v_lshlrev_b64 v[17:18], 4, v[27:28]
	s_mov_b32 s4, exec_lo
	s_delay_alu instid0(VALU_DEP_1) | instskip(NEXT) | instid1(VALU_DEP_2)
	v_add_co_u32 v29, vcc_lo, s14, v17
	v_add_co_ci_u32_e32 v30, vcc_lo, s15, v18, vcc_lo
	;;#ASMSTART
	global_load_dwordx4 v[17:20], v[29:30] off glc	
s_waitcnt vmcnt(0)
	;;#ASMEND
	v_and_b32_e32 v20, 0xff, v18
	v_and_b32_e32 v54, 0xff00, v18
	v_or3_b32 v17, v17, 0, 0
	v_and_b32_e32 v55, 0xff000000, v18
	v_and_b32_e32 v18, 0xff0000, v18
	s_delay_alu instid0(VALU_DEP_4) | instskip(SKIP_2) | instid1(VALU_DEP_3)
	v_or3_b32 v20, 0, v20, v54
	v_and_b32_e32 v54, 0xff, v19
	v_or3_b32 v17, v17, 0, 0
	v_or3_b32 v18, v20, v18, v55
	s_delay_alu instid0(VALU_DEP_3)
	v_cmpx_eq_u16_e32 0, v54
	s_cbranch_execz .LBB582_84
; %bb.81:                               ;   in Loop: Header=BB582_79 Depth=1
	s_mov_b32 s7, 0
.LBB582_82:                             ;   Parent Loop BB582_79 Depth=1
                                        ; =>  This Inner Loop Header: Depth=2
	;;#ASMSTART
	global_load_dwordx4 v[17:20], v[29:30] off glc	
s_waitcnt vmcnt(0)
	;;#ASMEND
	v_and_b32_e32 v20, 0xff, v19
	s_delay_alu instid0(VALU_DEP_1) | instskip(SKIP_1) | instid1(SALU_CYCLE_1)
	v_cmp_ne_u16_e32 vcc_lo, 0, v20
	s_or_b32 s7, vcc_lo, s7
	s_and_not1_b32 exec_lo, exec_lo, s7
	s_cbranch_execnz .LBB582_82
; %bb.83:                               ;   in Loop: Header=BB582_79 Depth=1
	s_or_b32 exec_lo, exec_lo, s7
.LBB582_84:                             ;   in Loop: Header=BB582_79 Depth=1
	s_delay_alu instid0(SALU_CYCLE_1)
	s_or_b32 exec_lo, exec_lo, s4
	v_dual_mov_b32 v29, v17 :: v_dual_and_b32 v20, 0xff, v19
	ds_bpermute_b32 v54, v44, v17
	ds_bpermute_b32 v30, v44, v18
	s_mov_b32 s4, exec_lo
	v_cmp_eq_u16_e32 vcc_lo, 2, v20
	v_and_or_b32 v20, vcc_lo, v45, 0x80000000
	s_delay_alu instid0(VALU_DEP_1) | instskip(NEXT) | instid1(VALU_DEP_1)
	v_ctz_i32_b32_e32 v20, v20
	v_cmpx_lt_u32_e64 v42, v20
	s_cbranch_execz .LBB582_86
; %bb.85:                               ;   in Loop: Header=BB582_79 Depth=1
	s_waitcnt lgkmcnt(1)
	v_add_co_u32 v29, vcc_lo, v17, v54
	v_add_co_ci_u32_e32 v18, vcc_lo, 0, v18, vcc_lo
	s_delay_alu instid0(VALU_DEP_2) | instskip(SKIP_1) | instid1(VALU_DEP_2)
	v_add_co_u32 v17, vcc_lo, 0, v29
	s_waitcnt lgkmcnt(0)
	v_add_co_ci_u32_e32 v18, vcc_lo, v30, v18, vcc_lo
.LBB582_86:                             ;   in Loop: Header=BB582_79 Depth=1
	s_or_b32 exec_lo, exec_lo, s4
	s_waitcnt lgkmcnt(1)
	ds_bpermute_b32 v54, v46, v29
	s_waitcnt lgkmcnt(1)
	ds_bpermute_b32 v30, v46, v18
	s_mov_b32 s4, exec_lo
	v_cmpx_le_u32_e64 v47, v20
	s_cbranch_execz .LBB582_88
; %bb.87:                               ;   in Loop: Header=BB582_79 Depth=1
	s_waitcnt lgkmcnt(1)
	v_add_co_u32 v29, vcc_lo, v17, v54
	v_add_co_ci_u32_e32 v18, vcc_lo, 0, v18, vcc_lo
	s_delay_alu instid0(VALU_DEP_2) | instskip(SKIP_1) | instid1(VALU_DEP_2)
	v_add_co_u32 v17, vcc_lo, 0, v29
	s_waitcnt lgkmcnt(0)
	v_add_co_ci_u32_e32 v18, vcc_lo, v30, v18, vcc_lo
.LBB582_88:                             ;   in Loop: Header=BB582_79 Depth=1
	s_or_b32 exec_lo, exec_lo, s4
	s_waitcnt lgkmcnt(1)
	ds_bpermute_b32 v54, v48, v29
	s_waitcnt lgkmcnt(1)
	ds_bpermute_b32 v30, v48, v18
	s_mov_b32 s4, exec_lo
	v_cmpx_le_u32_e64 v49, v20
	;; [unrolled: 17-line block ×3, first 2 shown]
	s_cbranch_execz .LBB582_92
; %bb.91:                               ;   in Loop: Header=BB582_79 Depth=1
	s_waitcnt lgkmcnt(1)
	v_add_co_u32 v29, vcc_lo, v17, v54
	v_add_co_ci_u32_e32 v18, vcc_lo, 0, v18, vcc_lo
	s_delay_alu instid0(VALU_DEP_2) | instskip(SKIP_1) | instid1(VALU_DEP_2)
	v_add_co_u32 v17, vcc_lo, 0, v29
	s_waitcnt lgkmcnt(0)
	v_add_co_ci_u32_e32 v18, vcc_lo, v30, v18, vcc_lo
.LBB582_92:                             ;   in Loop: Header=BB582_79 Depth=1
	s_or_b32 exec_lo, exec_lo, s4
	s_waitcnt lgkmcnt(0)
	ds_bpermute_b32 v30, v52, v29
	ds_bpermute_b32 v29, v52, v18
	s_mov_b32 s4, exec_lo
	v_cmpx_le_u32_e64 v53, v20
	s_cbranch_execz .LBB582_78
; %bb.93:                               ;   in Loop: Header=BB582_79 Depth=1
	s_waitcnt lgkmcnt(1)
	v_add_co_u32 v17, vcc_lo, v17, v30
	v_add_co_ci_u32_e32 v18, vcc_lo, 0, v18, vcc_lo
	s_delay_alu instid0(VALU_DEP_2) | instskip(SKIP_1) | instid1(VALU_DEP_2)
	v_add_co_u32 v17, vcc_lo, v17, 0
	s_waitcnt lgkmcnt(0)
	v_add_co_ci_u32_e32 v18, vcc_lo, v18, v29, vcc_lo
	s_branch .LBB582_78
.LBB582_94:                             ;   in Loop: Header=BB582_79 Depth=1
                                        ; implicit-def: $vgpr17_vgpr18
	s_cbranch_execz .LBB582_79
; %bb.95:
	s_and_saveexec_b32 s4, s1
	s_cbranch_execz .LBB582_97
; %bb.96:
	s_add_i32 s10, s10, 32
	s_mov_b32 s11, 0
	v_add_co_u32 v17, vcc_lo, v15, v13
	s_lshl_b64 s[10:11], s[10:11], 4
	v_dual_mov_b32 v19, 2 :: v_dual_mov_b32 v20, 0
	s_add_u32 s10, s14, s10
	s_addc_u32 s11, s15, s11
	v_add_co_ci_u32_e32 v18, vcc_lo, v16, v14, vcc_lo
	v_dual_mov_b32 v28, s11 :: v_dual_mov_b32 v27, s10
	;;#ASMSTART
	global_store_dwordx4 v[27:28], v[17:20] off	
s_waitcnt vmcnt(0)
	;;#ASMEND
	ds_store_b128 v20, v[13:16] offset:18432
.LBB582_97:
	s_or_b32 exec_lo, exec_lo, s4
	s_delay_alu instid0(SALU_CYCLE_1)
	s_and_b32 exec_lo, exec_lo, s2
	s_cbranch_execz .LBB582_99
; %bb.98:
	v_mov_b32_e32 v13, 0
	ds_store_b64 v13, v[15:16] offset:88
.LBB582_99:
	s_or_b32 exec_lo, exec_lo, s3
	v_mov_b32_e32 v15, 0
	s_waitcnt lgkmcnt(0)
	s_barrier
	buffer_gl0_inv
	v_cndmask_b32_e64 v16, v31, v25, s1
	ds_load_b64 v[13:14], v15 offset:88
	v_cndmask_b32_e64 v17, v32, v26, s1
	s_waitcnt lgkmcnt(0)
	s_barrier
	v_cndmask_b32_e64 v16, v16, 0, s2
	buffer_gl0_inv
	v_cndmask_b32_e64 v17, v17, 0, s2
	v_add_co_u32 v31, vcc_lo, v13, v16
	s_delay_alu instid0(VALU_DEP_2) | instskip(SKIP_3) | instid1(VALU_DEP_2)
	v_add_co_ci_u32_e32 v32, vcc_lo, v14, v17, vcc_lo
	ds_load_b128 v[13:16], v15 offset:18432
	v_add_co_u32 v29, vcc_lo, v31, v41
	v_add_co_ci_u32_e32 v30, vcc_lo, 0, v32, vcc_lo
	v_add_co_u32 v27, vcc_lo, v29, v40
	s_delay_alu instid0(VALU_DEP_2) | instskip(NEXT) | instid1(VALU_DEP_2)
	v_add_co_ci_u32_e32 v28, vcc_lo, 0, v30, vcc_lo
	v_add_co_u32 v25, vcc_lo, v27, v39
	s_delay_alu instid0(VALU_DEP_2) | instskip(NEXT) | instid1(VALU_DEP_2)
	;; [unrolled: 3-line block ×3, first 2 shown]
	v_add_co_ci_u32_e32 v20, vcc_lo, 0, v26, vcc_lo
	v_add_co_u32 v17, vcc_lo, v19, v38
	s_delay_alu instid0(VALU_DEP_2)
	v_add_co_ci_u32_e32 v18, vcc_lo, 0, v20, vcc_lo
	s_branch .LBB582_128
.LBB582_100:
                                        ; implicit-def: $vgpr17_vgpr18
                                        ; implicit-def: $vgpr19_vgpr20
                                        ; implicit-def: $vgpr25_vgpr26
                                        ; implicit-def: $vgpr27_vgpr28
                                        ; implicit-def: $vgpr29_vgpr30
                                        ; implicit-def: $vgpr31_vgpr32
                                        ; implicit-def: $vgpr15_vgpr16
	s_and_b32 vcc_lo, exec_lo, s1
	s_cbranch_vccz .LBB582_128
; %bb.101:
	s_waitcnt lgkmcnt(0)
	v_dual_mov_b32 v14, 0 :: v_dual_mov_b32 v15, v23
	v_mov_b32_dpp v16, v23 row_shr:1 row_mask:0xf bank_mask:0xf
	s_delay_alu instid0(VALU_DEP_2)
	v_mov_b32_dpp v13, v14 row_shr:1 row_mask:0xf bank_mask:0xf
	s_and_saveexec_b32 s1, s0
; %bb.102:
	s_delay_alu instid0(VALU_DEP_2) | instskip(SKIP_1) | instid1(VALU_DEP_2)
	v_add_co_u32 v15, vcc_lo, v23, v16
	v_add_co_ci_u32_e32 v14, vcc_lo, 0, v24, vcc_lo
	v_add_co_u32 v23, vcc_lo, 0, v15
	s_delay_alu instid0(VALU_DEP_2) | instskip(NEXT) | instid1(VALU_DEP_1)
	v_add_co_ci_u32_e32 v24, vcc_lo, v13, v14, vcc_lo
	v_mov_b32_e32 v14, v24
; %bb.103:
	s_or_b32 exec_lo, exec_lo, s1
	v_mov_b32_dpp v13, v15 row_shr:2 row_mask:0xf bank_mask:0xf
	s_delay_alu instid0(VALU_DEP_2)
	v_mov_b32_dpp v16, v14 row_shr:2 row_mask:0xf bank_mask:0xf
	v_cmp_lt_u32_e32 vcc_lo, 1, v43
	s_and_saveexec_b32 s3, vcc_lo
; %bb.104:
	s_delay_alu instid0(VALU_DEP_3) | instskip(NEXT) | instid1(VALU_DEP_1)
	v_add_co_u32 v15, s1, v23, v13
	v_add_co_ci_u32_e64 v14, s1, 0, v24, s1
	s_delay_alu instid0(VALU_DEP_2) | instskip(NEXT) | instid1(VALU_DEP_1)
	v_add_co_u32 v13, s1, 0, v15
	v_add_co_ci_u32_e64 v14, s1, v16, v14, s1
	s_delay_alu instid0(VALU_DEP_1)
	v_dual_mov_b32 v24, v14 :: v_dual_mov_b32 v23, v13
; %bb.105:
	s_or_b32 exec_lo, exec_lo, s3
	v_mov_b32_dpp v13, v15 row_shr:4 row_mask:0xf bank_mask:0xf
	v_mov_b32_dpp v16, v14 row_shr:4 row_mask:0xf bank_mask:0xf
	v_cmp_lt_u32_e64 s1, 3, v43
	s_delay_alu instid0(VALU_DEP_1)
	s_and_saveexec_b32 s4, s1
; %bb.106:
	s_delay_alu instid0(VALU_DEP_3) | instskip(NEXT) | instid1(VALU_DEP_1)
	v_add_co_u32 v15, s3, v23, v13
	v_add_co_ci_u32_e64 v14, s3, 0, v24, s3
	s_delay_alu instid0(VALU_DEP_2) | instskip(NEXT) | instid1(VALU_DEP_1)
	v_add_co_u32 v13, s3, 0, v15
	v_add_co_ci_u32_e64 v14, s3, v16, v14, s3
	s_delay_alu instid0(VALU_DEP_1)
	v_dual_mov_b32 v24, v14 :: v_dual_mov_b32 v23, v13
; %bb.107:
	s_or_b32 exec_lo, exec_lo, s4
	v_mov_b32_dpp v16, v15 row_shr:8 row_mask:0xf bank_mask:0xf
	v_mov_b32_dpp v13, v14 row_shr:8 row_mask:0xf bank_mask:0xf
	v_cmp_lt_u32_e64 s3, 7, v43
	s_delay_alu instid0(VALU_DEP_1)
	s_and_saveexec_b32 s7, s3
; %bb.108:
	s_delay_alu instid0(VALU_DEP_3) | instskip(NEXT) | instid1(VALU_DEP_1)
	v_add_co_u32 v15, s4, v23, v16
	v_add_co_ci_u32_e64 v14, s4, 0, v24, s4
	s_delay_alu instid0(VALU_DEP_2) | instskip(NEXT) | instid1(VALU_DEP_1)
	v_add_co_u32 v23, s4, 0, v15
	v_add_co_ci_u32_e64 v24, s4, v13, v14, s4
	s_delay_alu instid0(VALU_DEP_1)
	v_mov_b32_e32 v14, v24
; %bb.109:
	s_or_b32 exec_lo, exec_lo, s7
	ds_swizzle_b32 v15, v15 offset:swizzle(BROADCAST,32,15)
	ds_swizzle_b32 v13, v14 offset:swizzle(BROADCAST,32,15)
	v_and_b32_e32 v14, 16, v42
	s_mov_b32 s7, exec_lo
	s_delay_alu instid0(VALU_DEP_1)
	v_cmpx_ne_u32_e32 0, v14
	s_cbranch_execz .LBB582_111
; %bb.110:
	s_waitcnt lgkmcnt(1)
	v_add_co_u32 v14, s4, v23, v15
	s_delay_alu instid0(VALU_DEP_1) | instskip(NEXT) | instid1(VALU_DEP_2)
	v_add_co_ci_u32_e64 v15, s4, 0, v24, s4
	v_add_co_u32 v23, s4, v14, 0
	s_waitcnt lgkmcnt(0)
	s_delay_alu instid0(VALU_DEP_2)
	v_add_co_ci_u32_e64 v24, s4, v15, v13, s4
.LBB582_111:
	s_or_b32 exec_lo, exec_lo, s7
	s_waitcnt lgkmcnt(0)
	v_and_b32_e32 v13, 0x1e0, v0
	v_lshrrev_b32_e32 v15, 5, v0
	s_mov_b32 s7, exec_lo
	s_delay_alu instid0(VALU_DEP_2) | instskip(NEXT) | instid1(VALU_DEP_1)
	v_min_u32_e32 v13, 0x160, v13
	v_or_b32_e32 v13, 31, v13
	s_delay_alu instid0(VALU_DEP_1)
	v_cmpx_eq_u32_e64 v13, v0
	s_cbranch_execz .LBB582_113
; %bb.112:
	v_lshlrev_b32_e32 v13, 3, v15
	ds_store_b64 v13, v[23:24]
.LBB582_113:
	s_or_b32 exec_lo, exec_lo, s7
	s_delay_alu instid0(SALU_CYCLE_1)
	s_mov_b32 s7, exec_lo
	s_waitcnt lgkmcnt(0)
	s_barrier
	buffer_gl0_inv
	v_cmpx_gt_u32_e32 12, v0
	s_cbranch_execz .LBB582_123
; %bb.114:
	v_mad_i32_i24 v13, 0xffffffd8, v0, v37
	ds_load_b64 v[13:14], v13
	s_waitcnt lgkmcnt(0)
	v_mov_b32_dpp v18, v13 row_shr:1 row_mask:0xf bank_mask:0xf
	v_mov_b32_dpp v17, v14 row_shr:1 row_mask:0xf bank_mask:0xf
	v_mov_b32_e32 v16, v13
	s_and_saveexec_b32 s4, s0
; %bb.115:
	s_delay_alu instid0(VALU_DEP_3) | instskip(NEXT) | instid1(VALU_DEP_1)
	v_add_co_u32 v16, s0, v13, v18
	v_add_co_ci_u32_e64 v14, s0, 0, v14, s0
	s_delay_alu instid0(VALU_DEP_2) | instskip(NEXT) | instid1(VALU_DEP_1)
	v_add_co_u32 v13, s0, 0, v16
	v_add_co_ci_u32_e64 v14, s0, v17, v14, s0
; %bb.116:
	s_or_b32 exec_lo, exec_lo, s4
	v_mov_b32_dpp v18, v16 row_shr:2 row_mask:0xf bank_mask:0xf
	s_delay_alu instid0(VALU_DEP_2)
	v_mov_b32_dpp v17, v14 row_shr:2 row_mask:0xf bank_mask:0xf
	s_and_saveexec_b32 s0, vcc_lo
; %bb.117:
	s_delay_alu instid0(VALU_DEP_2) | instskip(SKIP_1) | instid1(VALU_DEP_2)
	v_add_co_u32 v16, vcc_lo, v13, v18
	v_add_co_ci_u32_e32 v14, vcc_lo, 0, v14, vcc_lo
	v_add_co_u32 v13, vcc_lo, 0, v16
	s_delay_alu instid0(VALU_DEP_2)
	v_add_co_ci_u32_e32 v14, vcc_lo, v17, v14, vcc_lo
; %bb.118:
	s_or_b32 exec_lo, exec_lo, s0
	v_mov_b32_dpp v18, v16 row_shr:4 row_mask:0xf bank_mask:0xf
	s_delay_alu instid0(VALU_DEP_2)
	v_mov_b32_dpp v17, v14 row_shr:4 row_mask:0xf bank_mask:0xf
	s_and_saveexec_b32 s0, s1
; %bb.119:
	s_delay_alu instid0(VALU_DEP_2) | instskip(SKIP_1) | instid1(VALU_DEP_2)
	v_add_co_u32 v16, vcc_lo, v13, v18
	v_add_co_ci_u32_e32 v14, vcc_lo, 0, v14, vcc_lo
	v_add_co_u32 v13, vcc_lo, 0, v16
	s_delay_alu instid0(VALU_DEP_2)
	v_add_co_ci_u32_e32 v14, vcc_lo, v17, v14, vcc_lo
; %bb.120:
	s_or_b32 exec_lo, exec_lo, s0
	v_mul_i32_i24_e32 v17, 0xffffffd8, v0
	v_mov_b32_dpp v18, v16 row_shr:8 row_mask:0xf bank_mask:0xf
	s_delay_alu instid0(VALU_DEP_3)
	v_mov_b32_dpp v16, v14 row_shr:8 row_mask:0xf bank_mask:0xf
	s_and_saveexec_b32 s0, s3
; %bb.121:
	s_delay_alu instid0(VALU_DEP_2) | instskip(SKIP_1) | instid1(VALU_DEP_2)
	v_add_co_u32 v13, vcc_lo, v13, v18
	v_add_co_ci_u32_e32 v14, vcc_lo, 0, v14, vcc_lo
	v_add_co_u32 v13, vcc_lo, v13, 0
	s_delay_alu instid0(VALU_DEP_2)
	v_add_co_ci_u32_e32 v14, vcc_lo, v14, v16, vcc_lo
; %bb.122:
	s_or_b32 exec_lo, exec_lo, s0
	v_add_nc_u32_e32 v16, v37, v17
	ds_store_b64 v16, v[13:14]
.LBB582_123:
	s_or_b32 exec_lo, exec_lo, s7
	v_mov_b32_e32 v17, 0
	v_mov_b32_e32 v18, 0
	s_mov_b32 s0, exec_lo
	s_waitcnt lgkmcnt(0)
	s_barrier
	buffer_gl0_inv
	v_cmpx_lt_u32_e32 31, v0
	s_cbranch_execz .LBB582_125
; %bb.124:
	v_lshl_add_u32 v13, v15, 3, -8
	ds_load_b64 v[17:18], v13
.LBB582_125:
	s_or_b32 exec_lo, exec_lo, s0
	v_dual_mov_b32 v16, 0 :: v_dual_add_nc_u32 v13, -1, v42
	s_delay_alu instid0(VALU_DEP_1) | instskip(SKIP_4) | instid1(VALU_DEP_3)
	v_cmp_gt_i32_e32 vcc_lo, 0, v13
	v_cndmask_b32_e32 v13, v13, v42, vcc_lo
	s_waitcnt lgkmcnt(0)
	v_add_co_u32 v14, vcc_lo, v17, v23
	v_add_co_ci_u32_e32 v15, vcc_lo, v18, v24, vcc_lo
	v_lshlrev_b32_e32 v13, 2, v13
	ds_bpermute_b32 v19, v13, v14
	ds_bpermute_b32 v20, v13, v15
	ds_load_b64 v[13:14], v16 offset:88
	s_and_saveexec_b32 s0, s2
	s_cbranch_execz .LBB582_127
; %bb.126:
	s_add_u32 s10, s14, 0x200
	s_addc_u32 s11, s15, 0
	s_delay_alu instid0(SALU_CYCLE_1)
	v_dual_mov_b32 v15, 2 :: v_dual_mov_b32 v24, s11
	v_mov_b32_e32 v23, s10
	s_waitcnt lgkmcnt(0)
	;;#ASMSTART
	global_store_dwordx4 v[23:24], v[13:16] off	
s_waitcnt vmcnt(0)
	;;#ASMEND
.LBB582_127:
	s_or_b32 exec_lo, exec_lo, s0
	v_cmp_eq_u32_e32 vcc_lo, 0, v42
	s_waitcnt lgkmcnt(0)
	s_barrier
	buffer_gl0_inv
	v_dual_cndmask_b32 v15, v19, v17 :: v_dual_cndmask_b32 v16, v20, v18
	s_delay_alu instid0(VALU_DEP_1) | instskip(NEXT) | instid1(VALU_DEP_2)
	v_cndmask_b32_e64 v31, v15, 0, s2
	v_cndmask_b32_e64 v32, v16, 0, s2
	v_mov_b32_e32 v15, 0
	v_mov_b32_e32 v16, 0
	s_delay_alu instid0(VALU_DEP_4) | instskip(NEXT) | instid1(VALU_DEP_4)
	v_add_co_u32 v29, vcc_lo, v31, v41
	v_add_co_ci_u32_e32 v30, vcc_lo, 0, v32, vcc_lo
	s_delay_alu instid0(VALU_DEP_2) | instskip(NEXT) | instid1(VALU_DEP_2)
	v_add_co_u32 v27, vcc_lo, v29, v40
	v_add_co_ci_u32_e32 v28, vcc_lo, 0, v30, vcc_lo
	s_delay_alu instid0(VALU_DEP_2) | instskip(NEXT) | instid1(VALU_DEP_2)
	;; [unrolled: 3-line block ×4, first 2 shown]
	v_add_co_u32 v17, vcc_lo, v19, v38
	v_add_co_ci_u32_e32 v18, vcc_lo, 0, v20, vcc_lo
.LBB582_128:
	s_waitcnt lgkmcnt(0)
	v_cmp_gt_u64_e32 vcc_lo, 0x181, v[13:14]
	v_lshrrev_b32_e32 v38, 8, v35
	v_lshrrev_b32_e32 v37, 16, v35
	s_mov_b32 s0, -1
	s_cbranch_vccnz .LBB582_132
; %bb.129:
	s_and_b32 vcc_lo, exec_lo, s0
	s_cbranch_vccnz .LBB582_151
.LBB582_130:
	s_and_b32 s0, s2, s5
	s_delay_alu instid0(SALU_CYCLE_1)
	s_and_saveexec_b32 s1, s0
	s_cbranch_execnz .LBB582_167
.LBB582_131:
	s_nop 0
	s_sendmsg sendmsg(MSG_DEALLOC_VGPRS)
	s_endpgm
.LBB582_132:
	v_add_co_u32 v23, vcc_lo, v15, v13
	v_add_co_ci_u32_e32 v24, vcc_lo, v16, v14, vcc_lo
	v_lshlrev_b64 v[39:40], 3, v[21:22]
	s_delay_alu instid0(VALU_DEP_2) | instskip(NEXT) | instid1(VALU_DEP_2)
	v_cmp_lt_u64_e32 vcc_lo, v[31:32], v[23:24]
	v_add_co_u32 v39, s0, s12, v39
	s_delay_alu instid0(VALU_DEP_1) | instskip(SKIP_1) | instid1(SALU_CYCLE_1)
	v_add_co_ci_u32_e64 v40, s0, s13, v40, s0
	s_or_b32 s1, s6, vcc_lo
	s_and_saveexec_b32 s0, s1
	s_cbranch_execz .LBB582_135
; %bb.133:
	v_and_b32_e32 v41, 1, v35
	s_delay_alu instid0(VALU_DEP_1)
	v_cmp_eq_u32_e32 vcc_lo, 1, v41
	s_and_b32 exec_lo, exec_lo, vcc_lo
	s_cbranch_execz .LBB582_135
; %bb.134:
	v_lshlrev_b64 v[41:42], 3, v[31:32]
	s_delay_alu instid0(VALU_DEP_1) | instskip(NEXT) | instid1(VALU_DEP_2)
	v_add_co_u32 v41, vcc_lo, v39, v41
	v_add_co_ci_u32_e32 v42, vcc_lo, v40, v42, vcc_lo
	global_store_b64 v[41:42], v[9:10], off
.LBB582_135:
	s_or_b32 exec_lo, exec_lo, s0
	v_cmp_lt_u64_e32 vcc_lo, v[29:30], v[23:24]
	s_or_b32 s1, s6, vcc_lo
	s_delay_alu instid0(SALU_CYCLE_1)
	s_and_saveexec_b32 s0, s1
	s_cbranch_execz .LBB582_138
; %bb.136:
	v_and_b32_e32 v32, 1, v38
	s_delay_alu instid0(VALU_DEP_1)
	v_cmp_eq_u32_e32 vcc_lo, 1, v32
	s_and_b32 exec_lo, exec_lo, vcc_lo
	s_cbranch_execz .LBB582_138
; %bb.137:
	v_lshlrev_b64 v[41:42], 3, v[29:30]
	s_delay_alu instid0(VALU_DEP_1) | instskip(NEXT) | instid1(VALU_DEP_2)
	v_add_co_u32 v41, vcc_lo, v39, v41
	v_add_co_ci_u32_e32 v42, vcc_lo, v40, v42, vcc_lo
	global_store_b64 v[41:42], v[11:12], off
.LBB582_138:
	s_or_b32 exec_lo, exec_lo, s0
	v_cmp_lt_u64_e32 vcc_lo, v[27:28], v[23:24]
	s_or_b32 s1, s6, vcc_lo
	s_delay_alu instid0(SALU_CYCLE_1)
	s_and_saveexec_b32 s0, s1
	s_cbranch_execz .LBB582_141
; %bb.139:
	v_and_b32_e32 v30, 1, v37
	s_delay_alu instid0(VALU_DEP_1)
	v_cmp_eq_u32_e32 vcc_lo, 1, v30
	s_and_b32 exec_lo, exec_lo, vcc_lo
	s_cbranch_execz .LBB582_141
; %bb.140:
	v_lshlrev_b64 v[41:42], 3, v[27:28]
	s_delay_alu instid0(VALU_DEP_1) | instskip(NEXT) | instid1(VALU_DEP_2)
	v_add_co_u32 v41, vcc_lo, v39, v41
	v_add_co_ci_u32_e32 v42, vcc_lo, v40, v42, vcc_lo
	global_store_b64 v[41:42], v[5:6], off
.LBB582_141:
	s_or_b32 exec_lo, exec_lo, s0
	v_cmp_lt_u64_e32 vcc_lo, v[25:26], v[23:24]
	s_or_b32 s1, s6, vcc_lo
	s_delay_alu instid0(SALU_CYCLE_1)
	s_and_saveexec_b32 s0, s1
	s_cbranch_execz .LBB582_144
; %bb.142:
	v_and_b32_e32 v28, 1, v36
	s_delay_alu instid0(VALU_DEP_1)
	v_cmp_eq_u32_e32 vcc_lo, 1, v28
	s_and_b32 exec_lo, exec_lo, vcc_lo
	s_cbranch_execz .LBB582_144
; %bb.143:
	v_lshlrev_b64 v[41:42], 3, v[25:26]
	s_delay_alu instid0(VALU_DEP_1) | instskip(NEXT) | instid1(VALU_DEP_2)
	v_add_co_u32 v41, vcc_lo, v39, v41
	v_add_co_ci_u32_e32 v42, vcc_lo, v40, v42, vcc_lo
	global_store_b64 v[41:42], v[7:8], off
.LBB582_144:
	s_or_b32 exec_lo, exec_lo, s0
	v_cmp_lt_u64_e32 vcc_lo, v[19:20], v[23:24]
	s_or_b32 s1, s6, vcc_lo
	s_delay_alu instid0(SALU_CYCLE_1)
	s_and_saveexec_b32 s0, s1
	s_cbranch_execz .LBB582_147
; %bb.145:
	v_and_b32_e32 v26, 1, v34
	s_delay_alu instid0(VALU_DEP_1)
	v_cmp_eq_u32_e32 vcc_lo, 1, v26
	s_and_b32 exec_lo, exec_lo, vcc_lo
	s_cbranch_execz .LBB582_147
; %bb.146:
	v_lshlrev_b64 v[41:42], 3, v[19:20]
	s_delay_alu instid0(VALU_DEP_1) | instskip(NEXT) | instid1(VALU_DEP_2)
	v_add_co_u32 v41, vcc_lo, v39, v41
	v_add_co_ci_u32_e32 v42, vcc_lo, v40, v42, vcc_lo
	global_store_b64 v[41:42], v[1:2], off
.LBB582_147:
	s_or_b32 exec_lo, exec_lo, s0
	v_cmp_lt_u64_e32 vcc_lo, v[17:18], v[23:24]
	s_or_b32 s1, s6, vcc_lo
	s_delay_alu instid0(SALU_CYCLE_1)
	s_and_saveexec_b32 s0, s1
	s_cbranch_execz .LBB582_150
; %bb.148:
	v_and_b32_e32 v20, 1, v33
	s_delay_alu instid0(VALU_DEP_1)
	v_cmp_eq_u32_e32 vcc_lo, 1, v20
	s_and_b32 exec_lo, exec_lo, vcc_lo
	s_cbranch_execz .LBB582_150
; %bb.149:
	v_lshlrev_b64 v[23:24], 3, v[17:18]
	s_delay_alu instid0(VALU_DEP_1) | instskip(NEXT) | instid1(VALU_DEP_2)
	v_add_co_u32 v23, vcc_lo, v39, v23
	v_add_co_ci_u32_e32 v24, vcc_lo, v40, v24, vcc_lo
	global_store_b64 v[23:24], v[3:4], off
.LBB582_150:
	s_or_b32 exec_lo, exec_lo, s0
	s_branch .LBB582_130
.LBB582_151:
	v_and_b32_e32 v18, 1, v35
	s_mov_b32 s0, exec_lo
	s_delay_alu instid0(VALU_DEP_1)
	v_cmpx_eq_u32_e32 1, v18
	s_cbranch_execz .LBB582_153
; %bb.152:
	v_sub_nc_u32_e32 v18, v31, v15
	s_delay_alu instid0(VALU_DEP_1)
	v_lshlrev_b32_e32 v18, 3, v18
	ds_store_b64 v18, v[9:10]
.LBB582_153:
	s_or_b32 exec_lo, exec_lo, s0
	v_and_b32_e32 v9, 1, v38
	s_mov_b32 s0, exec_lo
	s_delay_alu instid0(VALU_DEP_1)
	v_cmpx_eq_u32_e32 1, v9
	s_cbranch_execz .LBB582_155
; %bb.154:
	v_sub_nc_u32_e32 v9, v29, v15
	s_delay_alu instid0(VALU_DEP_1)
	v_lshlrev_b32_e32 v9, 3, v9
	ds_store_b64 v9, v[11:12]
.LBB582_155:
	s_or_b32 exec_lo, exec_lo, s0
	;; [unrolled: 12-line block ×6, first 2 shown]
	v_mov_b32_e32 v1, 0
	s_mov_b32 s1, exec_lo
	s_waitcnt lgkmcnt(0)
	s_waitcnt_vscnt null, 0x0
	s_barrier
	buffer_gl0_inv
	v_cmpx_gt_u64_e64 v[13:14], v[0:1]
	s_cbranch_execz .LBB582_166
; %bb.164:
	v_lshlrev_b64 v[2:3], 3, v[15:16]
	v_lshlrev_b64 v[4:5], 3, v[21:22]
	s_mov_b32 s3, 0
	s_delay_alu instid0(VALU_DEP_2) | instskip(NEXT) | instid1(VALU_DEP_3)
	v_add_co_u32 v6, vcc_lo, s12, v2
	v_add_co_ci_u32_e32 v7, vcc_lo, s13, v3, vcc_lo
	v_dual_mov_b32 v3, v1 :: v_dual_mov_b32 v2, v0
	s_delay_alu instid0(VALU_DEP_3) | instskip(NEXT) | instid1(VALU_DEP_3)
	v_add_co_u32 v4, vcc_lo, v6, v4
	v_add_co_ci_u32_e32 v5, vcc_lo, v7, v5, vcc_lo
	v_add_nc_u32_e32 v0, 0x180, v0
	.p2align	6
.LBB582_165:                            ; =>This Inner Loop Header: Depth=1
	s_delay_alu instid0(VALU_DEP_4) | instskip(SKIP_2) | instid1(VALU_DEP_4)
	v_lshlrev_b32_e32 v6, 3, v2
	v_lshlrev_b64 v[8:9], 3, v[2:3]
	v_mov_b32_e32 v3, v1
	v_cmp_le_u64_e32 vcc_lo, v[13:14], v[0:1]
	v_mov_b32_e32 v2, v0
	ds_load_b64 v[6:7], v6
	v_add_nc_u32_e32 v0, 0x180, v0
	v_add_co_u32 v8, s0, v4, v8
	s_delay_alu instid0(VALU_DEP_1)
	v_add_co_ci_u32_e64 v9, s0, v5, v9, s0
	s_or_b32 s3, vcc_lo, s3
	s_waitcnt lgkmcnt(0)
	global_store_b64 v[8:9], v[6:7], off
	s_and_not1_b32 exec_lo, exec_lo, s3
	s_cbranch_execnz .LBB582_165
.LBB582_166:
	s_or_b32 exec_lo, exec_lo, s1
	s_and_b32 s0, s2, s5
	s_delay_alu instid0(SALU_CYCLE_1)
	s_and_saveexec_b32 s1, s0
	s_cbranch_execz .LBB582_131
.LBB582_167:
	v_add_co_u32 v0, vcc_lo, v15, v13
	v_add_co_ci_u32_e32 v1, vcc_lo, v16, v14, vcc_lo
	v_mov_b32_e32 v2, 0
	s_delay_alu instid0(VALU_DEP_3) | instskip(NEXT) | instid1(VALU_DEP_3)
	v_add_co_u32 v0, vcc_lo, v0, v21
	v_add_co_ci_u32_e32 v1, vcc_lo, v1, v22, vcc_lo
	global_store_b64 v2, v[0:1], s[8:9]
	s_nop 0
	s_sendmsg sendmsg(MSG_DEALLOC_VGPRS)
	s_endpgm
	.section	.rodata,"a",@progbits
	.p2align	6, 0x0
	.amdhsa_kernel _ZN7rocprim17ROCPRIM_400000_NS6detail17trampoline_kernelINS0_14default_configENS1_25partition_config_selectorILNS1_17partition_subalgoE6ExNS0_10empty_typeEbEEZZNS1_14partition_implILS5_6ELb0ES3_mN6thrust23THRUST_200600_302600_NS6detail15normal_iteratorINSA_10device_ptrIxEEEEPS6_SG_NS0_5tupleIJSF_S6_EEENSH_IJSG_SG_EEES6_PlJ5mod_3IxEEEE10hipError_tPvRmT3_T4_T5_T6_T7_T9_mT8_P12ihipStream_tbDpT10_ENKUlT_T0_E_clISt17integral_constantIbLb0EES15_IbLb1EEEEDaS11_S12_EUlS11_E_NS1_11comp_targetILNS1_3genE9ELNS1_11target_archE1100ELNS1_3gpuE3ELNS1_3repE0EEENS1_30default_config_static_selectorELNS0_4arch9wavefront6targetE0EEEvT1_
		.amdhsa_group_segment_fixed_size 18448
		.amdhsa_private_segment_fixed_size 0
		.amdhsa_kernarg_size 128
		.amdhsa_user_sgpr_count 15
		.amdhsa_user_sgpr_dispatch_ptr 0
		.amdhsa_user_sgpr_queue_ptr 0
		.amdhsa_user_sgpr_kernarg_segment_ptr 1
		.amdhsa_user_sgpr_dispatch_id 0
		.amdhsa_user_sgpr_private_segment_size 0
		.amdhsa_wavefront_size32 1
		.amdhsa_uses_dynamic_stack 0
		.amdhsa_enable_private_segment 0
		.amdhsa_system_sgpr_workgroup_id_x 1
		.amdhsa_system_sgpr_workgroup_id_y 0
		.amdhsa_system_sgpr_workgroup_id_z 0
		.amdhsa_system_sgpr_workgroup_info 0
		.amdhsa_system_vgpr_workitem_id 0
		.amdhsa_next_free_vgpr 56
		.amdhsa_next_free_sgpr 18
		.amdhsa_reserve_vcc 1
		.amdhsa_float_round_mode_32 0
		.amdhsa_float_round_mode_16_64 0
		.amdhsa_float_denorm_mode_32 3
		.amdhsa_float_denorm_mode_16_64 3
		.amdhsa_dx10_clamp 1
		.amdhsa_ieee_mode 1
		.amdhsa_fp16_overflow 0
		.amdhsa_workgroup_processor_mode 1
		.amdhsa_memory_ordered 1
		.amdhsa_forward_progress 0
		.amdhsa_shared_vgpr_count 0
		.amdhsa_exception_fp_ieee_invalid_op 0
		.amdhsa_exception_fp_denorm_src 0
		.amdhsa_exception_fp_ieee_div_zero 0
		.amdhsa_exception_fp_ieee_overflow 0
		.amdhsa_exception_fp_ieee_underflow 0
		.amdhsa_exception_fp_ieee_inexact 0
		.amdhsa_exception_int_div_zero 0
	.end_amdhsa_kernel
	.section	.text._ZN7rocprim17ROCPRIM_400000_NS6detail17trampoline_kernelINS0_14default_configENS1_25partition_config_selectorILNS1_17partition_subalgoE6ExNS0_10empty_typeEbEEZZNS1_14partition_implILS5_6ELb0ES3_mN6thrust23THRUST_200600_302600_NS6detail15normal_iteratorINSA_10device_ptrIxEEEEPS6_SG_NS0_5tupleIJSF_S6_EEENSH_IJSG_SG_EEES6_PlJ5mod_3IxEEEE10hipError_tPvRmT3_T4_T5_T6_T7_T9_mT8_P12ihipStream_tbDpT10_ENKUlT_T0_E_clISt17integral_constantIbLb0EES15_IbLb1EEEEDaS11_S12_EUlS11_E_NS1_11comp_targetILNS1_3genE9ELNS1_11target_archE1100ELNS1_3gpuE3ELNS1_3repE0EEENS1_30default_config_static_selectorELNS0_4arch9wavefront6targetE0EEEvT1_,"axG",@progbits,_ZN7rocprim17ROCPRIM_400000_NS6detail17trampoline_kernelINS0_14default_configENS1_25partition_config_selectorILNS1_17partition_subalgoE6ExNS0_10empty_typeEbEEZZNS1_14partition_implILS5_6ELb0ES3_mN6thrust23THRUST_200600_302600_NS6detail15normal_iteratorINSA_10device_ptrIxEEEEPS6_SG_NS0_5tupleIJSF_S6_EEENSH_IJSG_SG_EEES6_PlJ5mod_3IxEEEE10hipError_tPvRmT3_T4_T5_T6_T7_T9_mT8_P12ihipStream_tbDpT10_ENKUlT_T0_E_clISt17integral_constantIbLb0EES15_IbLb1EEEEDaS11_S12_EUlS11_E_NS1_11comp_targetILNS1_3genE9ELNS1_11target_archE1100ELNS1_3gpuE3ELNS1_3repE0EEENS1_30default_config_static_selectorELNS0_4arch9wavefront6targetE0EEEvT1_,comdat
.Lfunc_end582:
	.size	_ZN7rocprim17ROCPRIM_400000_NS6detail17trampoline_kernelINS0_14default_configENS1_25partition_config_selectorILNS1_17partition_subalgoE6ExNS0_10empty_typeEbEEZZNS1_14partition_implILS5_6ELb0ES3_mN6thrust23THRUST_200600_302600_NS6detail15normal_iteratorINSA_10device_ptrIxEEEEPS6_SG_NS0_5tupleIJSF_S6_EEENSH_IJSG_SG_EEES6_PlJ5mod_3IxEEEE10hipError_tPvRmT3_T4_T5_T6_T7_T9_mT8_P12ihipStream_tbDpT10_ENKUlT_T0_E_clISt17integral_constantIbLb0EES15_IbLb1EEEEDaS11_S12_EUlS11_E_NS1_11comp_targetILNS1_3genE9ELNS1_11target_archE1100ELNS1_3gpuE3ELNS1_3repE0EEENS1_30default_config_static_selectorELNS0_4arch9wavefront6targetE0EEEvT1_, .Lfunc_end582-_ZN7rocprim17ROCPRIM_400000_NS6detail17trampoline_kernelINS0_14default_configENS1_25partition_config_selectorILNS1_17partition_subalgoE6ExNS0_10empty_typeEbEEZZNS1_14partition_implILS5_6ELb0ES3_mN6thrust23THRUST_200600_302600_NS6detail15normal_iteratorINSA_10device_ptrIxEEEEPS6_SG_NS0_5tupleIJSF_S6_EEENSH_IJSG_SG_EEES6_PlJ5mod_3IxEEEE10hipError_tPvRmT3_T4_T5_T6_T7_T9_mT8_P12ihipStream_tbDpT10_ENKUlT_T0_E_clISt17integral_constantIbLb0EES15_IbLb1EEEEDaS11_S12_EUlS11_E_NS1_11comp_targetILNS1_3genE9ELNS1_11target_archE1100ELNS1_3gpuE3ELNS1_3repE0EEENS1_30default_config_static_selectorELNS0_4arch9wavefront6targetE0EEEvT1_
                                        ; -- End function
	.section	.AMDGPU.csdata,"",@progbits
; Kernel info:
; codeLenInByte = 6988
; NumSgprs: 20
; NumVgprs: 56
; ScratchSize: 0
; MemoryBound: 0
; FloatMode: 240
; IeeeMode: 1
; LDSByteSize: 18448 bytes/workgroup (compile time only)
; SGPRBlocks: 2
; VGPRBlocks: 6
; NumSGPRsForWavesPerEU: 20
; NumVGPRsForWavesPerEU: 56
; Occupancy: 15
; WaveLimiterHint : 1
; COMPUTE_PGM_RSRC2:SCRATCH_EN: 0
; COMPUTE_PGM_RSRC2:USER_SGPR: 15
; COMPUTE_PGM_RSRC2:TRAP_HANDLER: 0
; COMPUTE_PGM_RSRC2:TGID_X_EN: 1
; COMPUTE_PGM_RSRC2:TGID_Y_EN: 0
; COMPUTE_PGM_RSRC2:TGID_Z_EN: 0
; COMPUTE_PGM_RSRC2:TIDIG_COMP_CNT: 0
	.section	.text._ZN7rocprim17ROCPRIM_400000_NS6detail17trampoline_kernelINS0_14default_configENS1_25partition_config_selectorILNS1_17partition_subalgoE6ExNS0_10empty_typeEbEEZZNS1_14partition_implILS5_6ELb0ES3_mN6thrust23THRUST_200600_302600_NS6detail15normal_iteratorINSA_10device_ptrIxEEEEPS6_SG_NS0_5tupleIJSF_S6_EEENSH_IJSG_SG_EEES6_PlJ5mod_3IxEEEE10hipError_tPvRmT3_T4_T5_T6_T7_T9_mT8_P12ihipStream_tbDpT10_ENKUlT_T0_E_clISt17integral_constantIbLb0EES15_IbLb1EEEEDaS11_S12_EUlS11_E_NS1_11comp_targetILNS1_3genE8ELNS1_11target_archE1030ELNS1_3gpuE2ELNS1_3repE0EEENS1_30default_config_static_selectorELNS0_4arch9wavefront6targetE0EEEvT1_,"axG",@progbits,_ZN7rocprim17ROCPRIM_400000_NS6detail17trampoline_kernelINS0_14default_configENS1_25partition_config_selectorILNS1_17partition_subalgoE6ExNS0_10empty_typeEbEEZZNS1_14partition_implILS5_6ELb0ES3_mN6thrust23THRUST_200600_302600_NS6detail15normal_iteratorINSA_10device_ptrIxEEEEPS6_SG_NS0_5tupleIJSF_S6_EEENSH_IJSG_SG_EEES6_PlJ5mod_3IxEEEE10hipError_tPvRmT3_T4_T5_T6_T7_T9_mT8_P12ihipStream_tbDpT10_ENKUlT_T0_E_clISt17integral_constantIbLb0EES15_IbLb1EEEEDaS11_S12_EUlS11_E_NS1_11comp_targetILNS1_3genE8ELNS1_11target_archE1030ELNS1_3gpuE2ELNS1_3repE0EEENS1_30default_config_static_selectorELNS0_4arch9wavefront6targetE0EEEvT1_,comdat
	.protected	_ZN7rocprim17ROCPRIM_400000_NS6detail17trampoline_kernelINS0_14default_configENS1_25partition_config_selectorILNS1_17partition_subalgoE6ExNS0_10empty_typeEbEEZZNS1_14partition_implILS5_6ELb0ES3_mN6thrust23THRUST_200600_302600_NS6detail15normal_iteratorINSA_10device_ptrIxEEEEPS6_SG_NS0_5tupleIJSF_S6_EEENSH_IJSG_SG_EEES6_PlJ5mod_3IxEEEE10hipError_tPvRmT3_T4_T5_T6_T7_T9_mT8_P12ihipStream_tbDpT10_ENKUlT_T0_E_clISt17integral_constantIbLb0EES15_IbLb1EEEEDaS11_S12_EUlS11_E_NS1_11comp_targetILNS1_3genE8ELNS1_11target_archE1030ELNS1_3gpuE2ELNS1_3repE0EEENS1_30default_config_static_selectorELNS0_4arch9wavefront6targetE0EEEvT1_ ; -- Begin function _ZN7rocprim17ROCPRIM_400000_NS6detail17trampoline_kernelINS0_14default_configENS1_25partition_config_selectorILNS1_17partition_subalgoE6ExNS0_10empty_typeEbEEZZNS1_14partition_implILS5_6ELb0ES3_mN6thrust23THRUST_200600_302600_NS6detail15normal_iteratorINSA_10device_ptrIxEEEEPS6_SG_NS0_5tupleIJSF_S6_EEENSH_IJSG_SG_EEES6_PlJ5mod_3IxEEEE10hipError_tPvRmT3_T4_T5_T6_T7_T9_mT8_P12ihipStream_tbDpT10_ENKUlT_T0_E_clISt17integral_constantIbLb0EES15_IbLb1EEEEDaS11_S12_EUlS11_E_NS1_11comp_targetILNS1_3genE8ELNS1_11target_archE1030ELNS1_3gpuE2ELNS1_3repE0EEENS1_30default_config_static_selectorELNS0_4arch9wavefront6targetE0EEEvT1_
	.globl	_ZN7rocprim17ROCPRIM_400000_NS6detail17trampoline_kernelINS0_14default_configENS1_25partition_config_selectorILNS1_17partition_subalgoE6ExNS0_10empty_typeEbEEZZNS1_14partition_implILS5_6ELb0ES3_mN6thrust23THRUST_200600_302600_NS6detail15normal_iteratorINSA_10device_ptrIxEEEEPS6_SG_NS0_5tupleIJSF_S6_EEENSH_IJSG_SG_EEES6_PlJ5mod_3IxEEEE10hipError_tPvRmT3_T4_T5_T6_T7_T9_mT8_P12ihipStream_tbDpT10_ENKUlT_T0_E_clISt17integral_constantIbLb0EES15_IbLb1EEEEDaS11_S12_EUlS11_E_NS1_11comp_targetILNS1_3genE8ELNS1_11target_archE1030ELNS1_3gpuE2ELNS1_3repE0EEENS1_30default_config_static_selectorELNS0_4arch9wavefront6targetE0EEEvT1_
	.p2align	8
	.type	_ZN7rocprim17ROCPRIM_400000_NS6detail17trampoline_kernelINS0_14default_configENS1_25partition_config_selectorILNS1_17partition_subalgoE6ExNS0_10empty_typeEbEEZZNS1_14partition_implILS5_6ELb0ES3_mN6thrust23THRUST_200600_302600_NS6detail15normal_iteratorINSA_10device_ptrIxEEEEPS6_SG_NS0_5tupleIJSF_S6_EEENSH_IJSG_SG_EEES6_PlJ5mod_3IxEEEE10hipError_tPvRmT3_T4_T5_T6_T7_T9_mT8_P12ihipStream_tbDpT10_ENKUlT_T0_E_clISt17integral_constantIbLb0EES15_IbLb1EEEEDaS11_S12_EUlS11_E_NS1_11comp_targetILNS1_3genE8ELNS1_11target_archE1030ELNS1_3gpuE2ELNS1_3repE0EEENS1_30default_config_static_selectorELNS0_4arch9wavefront6targetE0EEEvT1_,@function
_ZN7rocprim17ROCPRIM_400000_NS6detail17trampoline_kernelINS0_14default_configENS1_25partition_config_selectorILNS1_17partition_subalgoE6ExNS0_10empty_typeEbEEZZNS1_14partition_implILS5_6ELb0ES3_mN6thrust23THRUST_200600_302600_NS6detail15normal_iteratorINSA_10device_ptrIxEEEEPS6_SG_NS0_5tupleIJSF_S6_EEENSH_IJSG_SG_EEES6_PlJ5mod_3IxEEEE10hipError_tPvRmT3_T4_T5_T6_T7_T9_mT8_P12ihipStream_tbDpT10_ENKUlT_T0_E_clISt17integral_constantIbLb0EES15_IbLb1EEEEDaS11_S12_EUlS11_E_NS1_11comp_targetILNS1_3genE8ELNS1_11target_archE1030ELNS1_3gpuE2ELNS1_3repE0EEENS1_30default_config_static_selectorELNS0_4arch9wavefront6targetE0EEEvT1_: ; @_ZN7rocprim17ROCPRIM_400000_NS6detail17trampoline_kernelINS0_14default_configENS1_25partition_config_selectorILNS1_17partition_subalgoE6ExNS0_10empty_typeEbEEZZNS1_14partition_implILS5_6ELb0ES3_mN6thrust23THRUST_200600_302600_NS6detail15normal_iteratorINSA_10device_ptrIxEEEEPS6_SG_NS0_5tupleIJSF_S6_EEENSH_IJSG_SG_EEES6_PlJ5mod_3IxEEEE10hipError_tPvRmT3_T4_T5_T6_T7_T9_mT8_P12ihipStream_tbDpT10_ENKUlT_T0_E_clISt17integral_constantIbLb0EES15_IbLb1EEEEDaS11_S12_EUlS11_E_NS1_11comp_targetILNS1_3genE8ELNS1_11target_archE1030ELNS1_3gpuE2ELNS1_3repE0EEENS1_30default_config_static_selectorELNS0_4arch9wavefront6targetE0EEEvT1_
; %bb.0:
	.section	.rodata,"a",@progbits
	.p2align	6, 0x0
	.amdhsa_kernel _ZN7rocprim17ROCPRIM_400000_NS6detail17trampoline_kernelINS0_14default_configENS1_25partition_config_selectorILNS1_17partition_subalgoE6ExNS0_10empty_typeEbEEZZNS1_14partition_implILS5_6ELb0ES3_mN6thrust23THRUST_200600_302600_NS6detail15normal_iteratorINSA_10device_ptrIxEEEEPS6_SG_NS0_5tupleIJSF_S6_EEENSH_IJSG_SG_EEES6_PlJ5mod_3IxEEEE10hipError_tPvRmT3_T4_T5_T6_T7_T9_mT8_P12ihipStream_tbDpT10_ENKUlT_T0_E_clISt17integral_constantIbLb0EES15_IbLb1EEEEDaS11_S12_EUlS11_E_NS1_11comp_targetILNS1_3genE8ELNS1_11target_archE1030ELNS1_3gpuE2ELNS1_3repE0EEENS1_30default_config_static_selectorELNS0_4arch9wavefront6targetE0EEEvT1_
		.amdhsa_group_segment_fixed_size 0
		.amdhsa_private_segment_fixed_size 0
		.amdhsa_kernarg_size 128
		.amdhsa_user_sgpr_count 15
		.amdhsa_user_sgpr_dispatch_ptr 0
		.amdhsa_user_sgpr_queue_ptr 0
		.amdhsa_user_sgpr_kernarg_segment_ptr 1
		.amdhsa_user_sgpr_dispatch_id 0
		.amdhsa_user_sgpr_private_segment_size 0
		.amdhsa_wavefront_size32 1
		.amdhsa_uses_dynamic_stack 0
		.amdhsa_enable_private_segment 0
		.amdhsa_system_sgpr_workgroup_id_x 1
		.amdhsa_system_sgpr_workgroup_id_y 0
		.amdhsa_system_sgpr_workgroup_id_z 0
		.amdhsa_system_sgpr_workgroup_info 0
		.amdhsa_system_vgpr_workitem_id 0
		.amdhsa_next_free_vgpr 1
		.amdhsa_next_free_sgpr 1
		.amdhsa_reserve_vcc 0
		.amdhsa_float_round_mode_32 0
		.amdhsa_float_round_mode_16_64 0
		.amdhsa_float_denorm_mode_32 3
		.amdhsa_float_denorm_mode_16_64 3
		.amdhsa_dx10_clamp 1
		.amdhsa_ieee_mode 1
		.amdhsa_fp16_overflow 0
		.amdhsa_workgroup_processor_mode 1
		.amdhsa_memory_ordered 1
		.amdhsa_forward_progress 0
		.amdhsa_shared_vgpr_count 0
		.amdhsa_exception_fp_ieee_invalid_op 0
		.amdhsa_exception_fp_denorm_src 0
		.amdhsa_exception_fp_ieee_div_zero 0
		.amdhsa_exception_fp_ieee_overflow 0
		.amdhsa_exception_fp_ieee_underflow 0
		.amdhsa_exception_fp_ieee_inexact 0
		.amdhsa_exception_int_div_zero 0
	.end_amdhsa_kernel
	.section	.text._ZN7rocprim17ROCPRIM_400000_NS6detail17trampoline_kernelINS0_14default_configENS1_25partition_config_selectorILNS1_17partition_subalgoE6ExNS0_10empty_typeEbEEZZNS1_14partition_implILS5_6ELb0ES3_mN6thrust23THRUST_200600_302600_NS6detail15normal_iteratorINSA_10device_ptrIxEEEEPS6_SG_NS0_5tupleIJSF_S6_EEENSH_IJSG_SG_EEES6_PlJ5mod_3IxEEEE10hipError_tPvRmT3_T4_T5_T6_T7_T9_mT8_P12ihipStream_tbDpT10_ENKUlT_T0_E_clISt17integral_constantIbLb0EES15_IbLb1EEEEDaS11_S12_EUlS11_E_NS1_11comp_targetILNS1_3genE8ELNS1_11target_archE1030ELNS1_3gpuE2ELNS1_3repE0EEENS1_30default_config_static_selectorELNS0_4arch9wavefront6targetE0EEEvT1_,"axG",@progbits,_ZN7rocprim17ROCPRIM_400000_NS6detail17trampoline_kernelINS0_14default_configENS1_25partition_config_selectorILNS1_17partition_subalgoE6ExNS0_10empty_typeEbEEZZNS1_14partition_implILS5_6ELb0ES3_mN6thrust23THRUST_200600_302600_NS6detail15normal_iteratorINSA_10device_ptrIxEEEEPS6_SG_NS0_5tupleIJSF_S6_EEENSH_IJSG_SG_EEES6_PlJ5mod_3IxEEEE10hipError_tPvRmT3_T4_T5_T6_T7_T9_mT8_P12ihipStream_tbDpT10_ENKUlT_T0_E_clISt17integral_constantIbLb0EES15_IbLb1EEEEDaS11_S12_EUlS11_E_NS1_11comp_targetILNS1_3genE8ELNS1_11target_archE1030ELNS1_3gpuE2ELNS1_3repE0EEENS1_30default_config_static_selectorELNS0_4arch9wavefront6targetE0EEEvT1_,comdat
.Lfunc_end583:
	.size	_ZN7rocprim17ROCPRIM_400000_NS6detail17trampoline_kernelINS0_14default_configENS1_25partition_config_selectorILNS1_17partition_subalgoE6ExNS0_10empty_typeEbEEZZNS1_14partition_implILS5_6ELb0ES3_mN6thrust23THRUST_200600_302600_NS6detail15normal_iteratorINSA_10device_ptrIxEEEEPS6_SG_NS0_5tupleIJSF_S6_EEENSH_IJSG_SG_EEES6_PlJ5mod_3IxEEEE10hipError_tPvRmT3_T4_T5_T6_T7_T9_mT8_P12ihipStream_tbDpT10_ENKUlT_T0_E_clISt17integral_constantIbLb0EES15_IbLb1EEEEDaS11_S12_EUlS11_E_NS1_11comp_targetILNS1_3genE8ELNS1_11target_archE1030ELNS1_3gpuE2ELNS1_3repE0EEENS1_30default_config_static_selectorELNS0_4arch9wavefront6targetE0EEEvT1_, .Lfunc_end583-_ZN7rocprim17ROCPRIM_400000_NS6detail17trampoline_kernelINS0_14default_configENS1_25partition_config_selectorILNS1_17partition_subalgoE6ExNS0_10empty_typeEbEEZZNS1_14partition_implILS5_6ELb0ES3_mN6thrust23THRUST_200600_302600_NS6detail15normal_iteratorINSA_10device_ptrIxEEEEPS6_SG_NS0_5tupleIJSF_S6_EEENSH_IJSG_SG_EEES6_PlJ5mod_3IxEEEE10hipError_tPvRmT3_T4_T5_T6_T7_T9_mT8_P12ihipStream_tbDpT10_ENKUlT_T0_E_clISt17integral_constantIbLb0EES15_IbLb1EEEEDaS11_S12_EUlS11_E_NS1_11comp_targetILNS1_3genE8ELNS1_11target_archE1030ELNS1_3gpuE2ELNS1_3repE0EEENS1_30default_config_static_selectorELNS0_4arch9wavefront6targetE0EEEvT1_
                                        ; -- End function
	.section	.AMDGPU.csdata,"",@progbits
; Kernel info:
; codeLenInByte = 0
; NumSgprs: 0
; NumVgprs: 0
; ScratchSize: 0
; MemoryBound: 0
; FloatMode: 240
; IeeeMode: 1
; LDSByteSize: 0 bytes/workgroup (compile time only)
; SGPRBlocks: 0
; VGPRBlocks: 0
; NumSGPRsForWavesPerEU: 1
; NumVGPRsForWavesPerEU: 1
; Occupancy: 16
; WaveLimiterHint : 0
; COMPUTE_PGM_RSRC2:SCRATCH_EN: 0
; COMPUTE_PGM_RSRC2:USER_SGPR: 15
; COMPUTE_PGM_RSRC2:TRAP_HANDLER: 0
; COMPUTE_PGM_RSRC2:TGID_X_EN: 1
; COMPUTE_PGM_RSRC2:TGID_Y_EN: 0
; COMPUTE_PGM_RSRC2:TGID_Z_EN: 0
; COMPUTE_PGM_RSRC2:TIDIG_COMP_CNT: 0
	.section	.text._ZN7rocprim17ROCPRIM_400000_NS6detail17trampoline_kernelINS0_14default_configENS1_25partition_config_selectorILNS1_17partition_subalgoE6EiNS0_10empty_typeEbEEZZNS1_14partition_implILS5_6ELb0ES3_mN6thrust23THRUST_200600_302600_NS6detail15normal_iteratorINSA_10device_ptrIiEEEEPS6_SG_NS0_5tupleIJSF_S6_EEENSH_IJSG_SG_EEES6_PlJ5mod_3IiEEEE10hipError_tPvRmT3_T4_T5_T6_T7_T9_mT8_P12ihipStream_tbDpT10_ENKUlT_T0_E_clISt17integral_constantIbLb0EES16_EEDaS11_S12_EUlS11_E_NS1_11comp_targetILNS1_3genE0ELNS1_11target_archE4294967295ELNS1_3gpuE0ELNS1_3repE0EEENS1_30default_config_static_selectorELNS0_4arch9wavefront6targetE0EEEvT1_,"axG",@progbits,_ZN7rocprim17ROCPRIM_400000_NS6detail17trampoline_kernelINS0_14default_configENS1_25partition_config_selectorILNS1_17partition_subalgoE6EiNS0_10empty_typeEbEEZZNS1_14partition_implILS5_6ELb0ES3_mN6thrust23THRUST_200600_302600_NS6detail15normal_iteratorINSA_10device_ptrIiEEEEPS6_SG_NS0_5tupleIJSF_S6_EEENSH_IJSG_SG_EEES6_PlJ5mod_3IiEEEE10hipError_tPvRmT3_T4_T5_T6_T7_T9_mT8_P12ihipStream_tbDpT10_ENKUlT_T0_E_clISt17integral_constantIbLb0EES16_EEDaS11_S12_EUlS11_E_NS1_11comp_targetILNS1_3genE0ELNS1_11target_archE4294967295ELNS1_3gpuE0ELNS1_3repE0EEENS1_30default_config_static_selectorELNS0_4arch9wavefront6targetE0EEEvT1_,comdat
	.protected	_ZN7rocprim17ROCPRIM_400000_NS6detail17trampoline_kernelINS0_14default_configENS1_25partition_config_selectorILNS1_17partition_subalgoE6EiNS0_10empty_typeEbEEZZNS1_14partition_implILS5_6ELb0ES3_mN6thrust23THRUST_200600_302600_NS6detail15normal_iteratorINSA_10device_ptrIiEEEEPS6_SG_NS0_5tupleIJSF_S6_EEENSH_IJSG_SG_EEES6_PlJ5mod_3IiEEEE10hipError_tPvRmT3_T4_T5_T6_T7_T9_mT8_P12ihipStream_tbDpT10_ENKUlT_T0_E_clISt17integral_constantIbLb0EES16_EEDaS11_S12_EUlS11_E_NS1_11comp_targetILNS1_3genE0ELNS1_11target_archE4294967295ELNS1_3gpuE0ELNS1_3repE0EEENS1_30default_config_static_selectorELNS0_4arch9wavefront6targetE0EEEvT1_ ; -- Begin function _ZN7rocprim17ROCPRIM_400000_NS6detail17trampoline_kernelINS0_14default_configENS1_25partition_config_selectorILNS1_17partition_subalgoE6EiNS0_10empty_typeEbEEZZNS1_14partition_implILS5_6ELb0ES3_mN6thrust23THRUST_200600_302600_NS6detail15normal_iteratorINSA_10device_ptrIiEEEEPS6_SG_NS0_5tupleIJSF_S6_EEENSH_IJSG_SG_EEES6_PlJ5mod_3IiEEEE10hipError_tPvRmT3_T4_T5_T6_T7_T9_mT8_P12ihipStream_tbDpT10_ENKUlT_T0_E_clISt17integral_constantIbLb0EES16_EEDaS11_S12_EUlS11_E_NS1_11comp_targetILNS1_3genE0ELNS1_11target_archE4294967295ELNS1_3gpuE0ELNS1_3repE0EEENS1_30default_config_static_selectorELNS0_4arch9wavefront6targetE0EEEvT1_
	.globl	_ZN7rocprim17ROCPRIM_400000_NS6detail17trampoline_kernelINS0_14default_configENS1_25partition_config_selectorILNS1_17partition_subalgoE6EiNS0_10empty_typeEbEEZZNS1_14partition_implILS5_6ELb0ES3_mN6thrust23THRUST_200600_302600_NS6detail15normal_iteratorINSA_10device_ptrIiEEEEPS6_SG_NS0_5tupleIJSF_S6_EEENSH_IJSG_SG_EEES6_PlJ5mod_3IiEEEE10hipError_tPvRmT3_T4_T5_T6_T7_T9_mT8_P12ihipStream_tbDpT10_ENKUlT_T0_E_clISt17integral_constantIbLb0EES16_EEDaS11_S12_EUlS11_E_NS1_11comp_targetILNS1_3genE0ELNS1_11target_archE4294967295ELNS1_3gpuE0ELNS1_3repE0EEENS1_30default_config_static_selectorELNS0_4arch9wavefront6targetE0EEEvT1_
	.p2align	8
	.type	_ZN7rocprim17ROCPRIM_400000_NS6detail17trampoline_kernelINS0_14default_configENS1_25partition_config_selectorILNS1_17partition_subalgoE6EiNS0_10empty_typeEbEEZZNS1_14partition_implILS5_6ELb0ES3_mN6thrust23THRUST_200600_302600_NS6detail15normal_iteratorINSA_10device_ptrIiEEEEPS6_SG_NS0_5tupleIJSF_S6_EEENSH_IJSG_SG_EEES6_PlJ5mod_3IiEEEE10hipError_tPvRmT3_T4_T5_T6_T7_T9_mT8_P12ihipStream_tbDpT10_ENKUlT_T0_E_clISt17integral_constantIbLb0EES16_EEDaS11_S12_EUlS11_E_NS1_11comp_targetILNS1_3genE0ELNS1_11target_archE4294967295ELNS1_3gpuE0ELNS1_3repE0EEENS1_30default_config_static_selectorELNS0_4arch9wavefront6targetE0EEEvT1_,@function
_ZN7rocprim17ROCPRIM_400000_NS6detail17trampoline_kernelINS0_14default_configENS1_25partition_config_selectorILNS1_17partition_subalgoE6EiNS0_10empty_typeEbEEZZNS1_14partition_implILS5_6ELb0ES3_mN6thrust23THRUST_200600_302600_NS6detail15normal_iteratorINSA_10device_ptrIiEEEEPS6_SG_NS0_5tupleIJSF_S6_EEENSH_IJSG_SG_EEES6_PlJ5mod_3IiEEEE10hipError_tPvRmT3_T4_T5_T6_T7_T9_mT8_P12ihipStream_tbDpT10_ENKUlT_T0_E_clISt17integral_constantIbLb0EES16_EEDaS11_S12_EUlS11_E_NS1_11comp_targetILNS1_3genE0ELNS1_11target_archE4294967295ELNS1_3gpuE0ELNS1_3repE0EEENS1_30default_config_static_selectorELNS0_4arch9wavefront6targetE0EEEvT1_: ; @_ZN7rocprim17ROCPRIM_400000_NS6detail17trampoline_kernelINS0_14default_configENS1_25partition_config_selectorILNS1_17partition_subalgoE6EiNS0_10empty_typeEbEEZZNS1_14partition_implILS5_6ELb0ES3_mN6thrust23THRUST_200600_302600_NS6detail15normal_iteratorINSA_10device_ptrIiEEEEPS6_SG_NS0_5tupleIJSF_S6_EEENSH_IJSG_SG_EEES6_PlJ5mod_3IiEEEE10hipError_tPvRmT3_T4_T5_T6_T7_T9_mT8_P12ihipStream_tbDpT10_ENKUlT_T0_E_clISt17integral_constantIbLb0EES16_EEDaS11_S12_EUlS11_E_NS1_11comp_targetILNS1_3genE0ELNS1_11target_archE4294967295ELNS1_3gpuE0ELNS1_3repE0EEENS1_30default_config_static_selectorELNS0_4arch9wavefront6targetE0EEEvT1_
; %bb.0:
	.section	.rodata,"a",@progbits
	.p2align	6, 0x0
	.amdhsa_kernel _ZN7rocprim17ROCPRIM_400000_NS6detail17trampoline_kernelINS0_14default_configENS1_25partition_config_selectorILNS1_17partition_subalgoE6EiNS0_10empty_typeEbEEZZNS1_14partition_implILS5_6ELb0ES3_mN6thrust23THRUST_200600_302600_NS6detail15normal_iteratorINSA_10device_ptrIiEEEEPS6_SG_NS0_5tupleIJSF_S6_EEENSH_IJSG_SG_EEES6_PlJ5mod_3IiEEEE10hipError_tPvRmT3_T4_T5_T6_T7_T9_mT8_P12ihipStream_tbDpT10_ENKUlT_T0_E_clISt17integral_constantIbLb0EES16_EEDaS11_S12_EUlS11_E_NS1_11comp_targetILNS1_3genE0ELNS1_11target_archE4294967295ELNS1_3gpuE0ELNS1_3repE0EEENS1_30default_config_static_selectorELNS0_4arch9wavefront6targetE0EEEvT1_
		.amdhsa_group_segment_fixed_size 0
		.amdhsa_private_segment_fixed_size 0
		.amdhsa_kernarg_size 112
		.amdhsa_user_sgpr_count 15
		.amdhsa_user_sgpr_dispatch_ptr 0
		.amdhsa_user_sgpr_queue_ptr 0
		.amdhsa_user_sgpr_kernarg_segment_ptr 1
		.amdhsa_user_sgpr_dispatch_id 0
		.amdhsa_user_sgpr_private_segment_size 0
		.amdhsa_wavefront_size32 1
		.amdhsa_uses_dynamic_stack 0
		.amdhsa_enable_private_segment 0
		.amdhsa_system_sgpr_workgroup_id_x 1
		.amdhsa_system_sgpr_workgroup_id_y 0
		.amdhsa_system_sgpr_workgroup_id_z 0
		.amdhsa_system_sgpr_workgroup_info 0
		.amdhsa_system_vgpr_workitem_id 0
		.amdhsa_next_free_vgpr 1
		.amdhsa_next_free_sgpr 1
		.amdhsa_reserve_vcc 0
		.amdhsa_float_round_mode_32 0
		.amdhsa_float_round_mode_16_64 0
		.amdhsa_float_denorm_mode_32 3
		.amdhsa_float_denorm_mode_16_64 3
		.amdhsa_dx10_clamp 1
		.amdhsa_ieee_mode 1
		.amdhsa_fp16_overflow 0
		.amdhsa_workgroup_processor_mode 1
		.amdhsa_memory_ordered 1
		.amdhsa_forward_progress 0
		.amdhsa_shared_vgpr_count 0
		.amdhsa_exception_fp_ieee_invalid_op 0
		.amdhsa_exception_fp_denorm_src 0
		.amdhsa_exception_fp_ieee_div_zero 0
		.amdhsa_exception_fp_ieee_overflow 0
		.amdhsa_exception_fp_ieee_underflow 0
		.amdhsa_exception_fp_ieee_inexact 0
		.amdhsa_exception_int_div_zero 0
	.end_amdhsa_kernel
	.section	.text._ZN7rocprim17ROCPRIM_400000_NS6detail17trampoline_kernelINS0_14default_configENS1_25partition_config_selectorILNS1_17partition_subalgoE6EiNS0_10empty_typeEbEEZZNS1_14partition_implILS5_6ELb0ES3_mN6thrust23THRUST_200600_302600_NS6detail15normal_iteratorINSA_10device_ptrIiEEEEPS6_SG_NS0_5tupleIJSF_S6_EEENSH_IJSG_SG_EEES6_PlJ5mod_3IiEEEE10hipError_tPvRmT3_T4_T5_T6_T7_T9_mT8_P12ihipStream_tbDpT10_ENKUlT_T0_E_clISt17integral_constantIbLb0EES16_EEDaS11_S12_EUlS11_E_NS1_11comp_targetILNS1_3genE0ELNS1_11target_archE4294967295ELNS1_3gpuE0ELNS1_3repE0EEENS1_30default_config_static_selectorELNS0_4arch9wavefront6targetE0EEEvT1_,"axG",@progbits,_ZN7rocprim17ROCPRIM_400000_NS6detail17trampoline_kernelINS0_14default_configENS1_25partition_config_selectorILNS1_17partition_subalgoE6EiNS0_10empty_typeEbEEZZNS1_14partition_implILS5_6ELb0ES3_mN6thrust23THRUST_200600_302600_NS6detail15normal_iteratorINSA_10device_ptrIiEEEEPS6_SG_NS0_5tupleIJSF_S6_EEENSH_IJSG_SG_EEES6_PlJ5mod_3IiEEEE10hipError_tPvRmT3_T4_T5_T6_T7_T9_mT8_P12ihipStream_tbDpT10_ENKUlT_T0_E_clISt17integral_constantIbLb0EES16_EEDaS11_S12_EUlS11_E_NS1_11comp_targetILNS1_3genE0ELNS1_11target_archE4294967295ELNS1_3gpuE0ELNS1_3repE0EEENS1_30default_config_static_selectorELNS0_4arch9wavefront6targetE0EEEvT1_,comdat
.Lfunc_end584:
	.size	_ZN7rocprim17ROCPRIM_400000_NS6detail17trampoline_kernelINS0_14default_configENS1_25partition_config_selectorILNS1_17partition_subalgoE6EiNS0_10empty_typeEbEEZZNS1_14partition_implILS5_6ELb0ES3_mN6thrust23THRUST_200600_302600_NS6detail15normal_iteratorINSA_10device_ptrIiEEEEPS6_SG_NS0_5tupleIJSF_S6_EEENSH_IJSG_SG_EEES6_PlJ5mod_3IiEEEE10hipError_tPvRmT3_T4_T5_T6_T7_T9_mT8_P12ihipStream_tbDpT10_ENKUlT_T0_E_clISt17integral_constantIbLb0EES16_EEDaS11_S12_EUlS11_E_NS1_11comp_targetILNS1_3genE0ELNS1_11target_archE4294967295ELNS1_3gpuE0ELNS1_3repE0EEENS1_30default_config_static_selectorELNS0_4arch9wavefront6targetE0EEEvT1_, .Lfunc_end584-_ZN7rocprim17ROCPRIM_400000_NS6detail17trampoline_kernelINS0_14default_configENS1_25partition_config_selectorILNS1_17partition_subalgoE6EiNS0_10empty_typeEbEEZZNS1_14partition_implILS5_6ELb0ES3_mN6thrust23THRUST_200600_302600_NS6detail15normal_iteratorINSA_10device_ptrIiEEEEPS6_SG_NS0_5tupleIJSF_S6_EEENSH_IJSG_SG_EEES6_PlJ5mod_3IiEEEE10hipError_tPvRmT3_T4_T5_T6_T7_T9_mT8_P12ihipStream_tbDpT10_ENKUlT_T0_E_clISt17integral_constantIbLb0EES16_EEDaS11_S12_EUlS11_E_NS1_11comp_targetILNS1_3genE0ELNS1_11target_archE4294967295ELNS1_3gpuE0ELNS1_3repE0EEENS1_30default_config_static_selectorELNS0_4arch9wavefront6targetE0EEEvT1_
                                        ; -- End function
	.section	.AMDGPU.csdata,"",@progbits
; Kernel info:
; codeLenInByte = 0
; NumSgprs: 0
; NumVgprs: 0
; ScratchSize: 0
; MemoryBound: 0
; FloatMode: 240
; IeeeMode: 1
; LDSByteSize: 0 bytes/workgroup (compile time only)
; SGPRBlocks: 0
; VGPRBlocks: 0
; NumSGPRsForWavesPerEU: 1
; NumVGPRsForWavesPerEU: 1
; Occupancy: 16
; WaveLimiterHint : 0
; COMPUTE_PGM_RSRC2:SCRATCH_EN: 0
; COMPUTE_PGM_RSRC2:USER_SGPR: 15
; COMPUTE_PGM_RSRC2:TRAP_HANDLER: 0
; COMPUTE_PGM_RSRC2:TGID_X_EN: 1
; COMPUTE_PGM_RSRC2:TGID_Y_EN: 0
; COMPUTE_PGM_RSRC2:TGID_Z_EN: 0
; COMPUTE_PGM_RSRC2:TIDIG_COMP_CNT: 0
	.section	.text._ZN7rocprim17ROCPRIM_400000_NS6detail17trampoline_kernelINS0_14default_configENS1_25partition_config_selectorILNS1_17partition_subalgoE6EiNS0_10empty_typeEbEEZZNS1_14partition_implILS5_6ELb0ES3_mN6thrust23THRUST_200600_302600_NS6detail15normal_iteratorINSA_10device_ptrIiEEEEPS6_SG_NS0_5tupleIJSF_S6_EEENSH_IJSG_SG_EEES6_PlJ5mod_3IiEEEE10hipError_tPvRmT3_T4_T5_T6_T7_T9_mT8_P12ihipStream_tbDpT10_ENKUlT_T0_E_clISt17integral_constantIbLb0EES16_EEDaS11_S12_EUlS11_E_NS1_11comp_targetILNS1_3genE5ELNS1_11target_archE942ELNS1_3gpuE9ELNS1_3repE0EEENS1_30default_config_static_selectorELNS0_4arch9wavefront6targetE0EEEvT1_,"axG",@progbits,_ZN7rocprim17ROCPRIM_400000_NS6detail17trampoline_kernelINS0_14default_configENS1_25partition_config_selectorILNS1_17partition_subalgoE6EiNS0_10empty_typeEbEEZZNS1_14partition_implILS5_6ELb0ES3_mN6thrust23THRUST_200600_302600_NS6detail15normal_iteratorINSA_10device_ptrIiEEEEPS6_SG_NS0_5tupleIJSF_S6_EEENSH_IJSG_SG_EEES6_PlJ5mod_3IiEEEE10hipError_tPvRmT3_T4_T5_T6_T7_T9_mT8_P12ihipStream_tbDpT10_ENKUlT_T0_E_clISt17integral_constantIbLb0EES16_EEDaS11_S12_EUlS11_E_NS1_11comp_targetILNS1_3genE5ELNS1_11target_archE942ELNS1_3gpuE9ELNS1_3repE0EEENS1_30default_config_static_selectorELNS0_4arch9wavefront6targetE0EEEvT1_,comdat
	.protected	_ZN7rocprim17ROCPRIM_400000_NS6detail17trampoline_kernelINS0_14default_configENS1_25partition_config_selectorILNS1_17partition_subalgoE6EiNS0_10empty_typeEbEEZZNS1_14partition_implILS5_6ELb0ES3_mN6thrust23THRUST_200600_302600_NS6detail15normal_iteratorINSA_10device_ptrIiEEEEPS6_SG_NS0_5tupleIJSF_S6_EEENSH_IJSG_SG_EEES6_PlJ5mod_3IiEEEE10hipError_tPvRmT3_T4_T5_T6_T7_T9_mT8_P12ihipStream_tbDpT10_ENKUlT_T0_E_clISt17integral_constantIbLb0EES16_EEDaS11_S12_EUlS11_E_NS1_11comp_targetILNS1_3genE5ELNS1_11target_archE942ELNS1_3gpuE9ELNS1_3repE0EEENS1_30default_config_static_selectorELNS0_4arch9wavefront6targetE0EEEvT1_ ; -- Begin function _ZN7rocprim17ROCPRIM_400000_NS6detail17trampoline_kernelINS0_14default_configENS1_25partition_config_selectorILNS1_17partition_subalgoE6EiNS0_10empty_typeEbEEZZNS1_14partition_implILS5_6ELb0ES3_mN6thrust23THRUST_200600_302600_NS6detail15normal_iteratorINSA_10device_ptrIiEEEEPS6_SG_NS0_5tupleIJSF_S6_EEENSH_IJSG_SG_EEES6_PlJ5mod_3IiEEEE10hipError_tPvRmT3_T4_T5_T6_T7_T9_mT8_P12ihipStream_tbDpT10_ENKUlT_T0_E_clISt17integral_constantIbLb0EES16_EEDaS11_S12_EUlS11_E_NS1_11comp_targetILNS1_3genE5ELNS1_11target_archE942ELNS1_3gpuE9ELNS1_3repE0EEENS1_30default_config_static_selectorELNS0_4arch9wavefront6targetE0EEEvT1_
	.globl	_ZN7rocprim17ROCPRIM_400000_NS6detail17trampoline_kernelINS0_14default_configENS1_25partition_config_selectorILNS1_17partition_subalgoE6EiNS0_10empty_typeEbEEZZNS1_14partition_implILS5_6ELb0ES3_mN6thrust23THRUST_200600_302600_NS6detail15normal_iteratorINSA_10device_ptrIiEEEEPS6_SG_NS0_5tupleIJSF_S6_EEENSH_IJSG_SG_EEES6_PlJ5mod_3IiEEEE10hipError_tPvRmT3_T4_T5_T6_T7_T9_mT8_P12ihipStream_tbDpT10_ENKUlT_T0_E_clISt17integral_constantIbLb0EES16_EEDaS11_S12_EUlS11_E_NS1_11comp_targetILNS1_3genE5ELNS1_11target_archE942ELNS1_3gpuE9ELNS1_3repE0EEENS1_30default_config_static_selectorELNS0_4arch9wavefront6targetE0EEEvT1_
	.p2align	8
	.type	_ZN7rocprim17ROCPRIM_400000_NS6detail17trampoline_kernelINS0_14default_configENS1_25partition_config_selectorILNS1_17partition_subalgoE6EiNS0_10empty_typeEbEEZZNS1_14partition_implILS5_6ELb0ES3_mN6thrust23THRUST_200600_302600_NS6detail15normal_iteratorINSA_10device_ptrIiEEEEPS6_SG_NS0_5tupleIJSF_S6_EEENSH_IJSG_SG_EEES6_PlJ5mod_3IiEEEE10hipError_tPvRmT3_T4_T5_T6_T7_T9_mT8_P12ihipStream_tbDpT10_ENKUlT_T0_E_clISt17integral_constantIbLb0EES16_EEDaS11_S12_EUlS11_E_NS1_11comp_targetILNS1_3genE5ELNS1_11target_archE942ELNS1_3gpuE9ELNS1_3repE0EEENS1_30default_config_static_selectorELNS0_4arch9wavefront6targetE0EEEvT1_,@function
_ZN7rocprim17ROCPRIM_400000_NS6detail17trampoline_kernelINS0_14default_configENS1_25partition_config_selectorILNS1_17partition_subalgoE6EiNS0_10empty_typeEbEEZZNS1_14partition_implILS5_6ELb0ES3_mN6thrust23THRUST_200600_302600_NS6detail15normal_iteratorINSA_10device_ptrIiEEEEPS6_SG_NS0_5tupleIJSF_S6_EEENSH_IJSG_SG_EEES6_PlJ5mod_3IiEEEE10hipError_tPvRmT3_T4_T5_T6_T7_T9_mT8_P12ihipStream_tbDpT10_ENKUlT_T0_E_clISt17integral_constantIbLb0EES16_EEDaS11_S12_EUlS11_E_NS1_11comp_targetILNS1_3genE5ELNS1_11target_archE942ELNS1_3gpuE9ELNS1_3repE0EEENS1_30default_config_static_selectorELNS0_4arch9wavefront6targetE0EEEvT1_: ; @_ZN7rocprim17ROCPRIM_400000_NS6detail17trampoline_kernelINS0_14default_configENS1_25partition_config_selectorILNS1_17partition_subalgoE6EiNS0_10empty_typeEbEEZZNS1_14partition_implILS5_6ELb0ES3_mN6thrust23THRUST_200600_302600_NS6detail15normal_iteratorINSA_10device_ptrIiEEEEPS6_SG_NS0_5tupleIJSF_S6_EEENSH_IJSG_SG_EEES6_PlJ5mod_3IiEEEE10hipError_tPvRmT3_T4_T5_T6_T7_T9_mT8_P12ihipStream_tbDpT10_ENKUlT_T0_E_clISt17integral_constantIbLb0EES16_EEDaS11_S12_EUlS11_E_NS1_11comp_targetILNS1_3genE5ELNS1_11target_archE942ELNS1_3gpuE9ELNS1_3repE0EEENS1_30default_config_static_selectorELNS0_4arch9wavefront6targetE0EEEvT1_
; %bb.0:
	.section	.rodata,"a",@progbits
	.p2align	6, 0x0
	.amdhsa_kernel _ZN7rocprim17ROCPRIM_400000_NS6detail17trampoline_kernelINS0_14default_configENS1_25partition_config_selectorILNS1_17partition_subalgoE6EiNS0_10empty_typeEbEEZZNS1_14partition_implILS5_6ELb0ES3_mN6thrust23THRUST_200600_302600_NS6detail15normal_iteratorINSA_10device_ptrIiEEEEPS6_SG_NS0_5tupleIJSF_S6_EEENSH_IJSG_SG_EEES6_PlJ5mod_3IiEEEE10hipError_tPvRmT3_T4_T5_T6_T7_T9_mT8_P12ihipStream_tbDpT10_ENKUlT_T0_E_clISt17integral_constantIbLb0EES16_EEDaS11_S12_EUlS11_E_NS1_11comp_targetILNS1_3genE5ELNS1_11target_archE942ELNS1_3gpuE9ELNS1_3repE0EEENS1_30default_config_static_selectorELNS0_4arch9wavefront6targetE0EEEvT1_
		.amdhsa_group_segment_fixed_size 0
		.amdhsa_private_segment_fixed_size 0
		.amdhsa_kernarg_size 112
		.amdhsa_user_sgpr_count 15
		.amdhsa_user_sgpr_dispatch_ptr 0
		.amdhsa_user_sgpr_queue_ptr 0
		.amdhsa_user_sgpr_kernarg_segment_ptr 1
		.amdhsa_user_sgpr_dispatch_id 0
		.amdhsa_user_sgpr_private_segment_size 0
		.amdhsa_wavefront_size32 1
		.amdhsa_uses_dynamic_stack 0
		.amdhsa_enable_private_segment 0
		.amdhsa_system_sgpr_workgroup_id_x 1
		.amdhsa_system_sgpr_workgroup_id_y 0
		.amdhsa_system_sgpr_workgroup_id_z 0
		.amdhsa_system_sgpr_workgroup_info 0
		.amdhsa_system_vgpr_workitem_id 0
		.amdhsa_next_free_vgpr 1
		.amdhsa_next_free_sgpr 1
		.amdhsa_reserve_vcc 0
		.amdhsa_float_round_mode_32 0
		.amdhsa_float_round_mode_16_64 0
		.amdhsa_float_denorm_mode_32 3
		.amdhsa_float_denorm_mode_16_64 3
		.amdhsa_dx10_clamp 1
		.amdhsa_ieee_mode 1
		.amdhsa_fp16_overflow 0
		.amdhsa_workgroup_processor_mode 1
		.amdhsa_memory_ordered 1
		.amdhsa_forward_progress 0
		.amdhsa_shared_vgpr_count 0
		.amdhsa_exception_fp_ieee_invalid_op 0
		.amdhsa_exception_fp_denorm_src 0
		.amdhsa_exception_fp_ieee_div_zero 0
		.amdhsa_exception_fp_ieee_overflow 0
		.amdhsa_exception_fp_ieee_underflow 0
		.amdhsa_exception_fp_ieee_inexact 0
		.amdhsa_exception_int_div_zero 0
	.end_amdhsa_kernel
	.section	.text._ZN7rocprim17ROCPRIM_400000_NS6detail17trampoline_kernelINS0_14default_configENS1_25partition_config_selectorILNS1_17partition_subalgoE6EiNS0_10empty_typeEbEEZZNS1_14partition_implILS5_6ELb0ES3_mN6thrust23THRUST_200600_302600_NS6detail15normal_iteratorINSA_10device_ptrIiEEEEPS6_SG_NS0_5tupleIJSF_S6_EEENSH_IJSG_SG_EEES6_PlJ5mod_3IiEEEE10hipError_tPvRmT3_T4_T5_T6_T7_T9_mT8_P12ihipStream_tbDpT10_ENKUlT_T0_E_clISt17integral_constantIbLb0EES16_EEDaS11_S12_EUlS11_E_NS1_11comp_targetILNS1_3genE5ELNS1_11target_archE942ELNS1_3gpuE9ELNS1_3repE0EEENS1_30default_config_static_selectorELNS0_4arch9wavefront6targetE0EEEvT1_,"axG",@progbits,_ZN7rocprim17ROCPRIM_400000_NS6detail17trampoline_kernelINS0_14default_configENS1_25partition_config_selectorILNS1_17partition_subalgoE6EiNS0_10empty_typeEbEEZZNS1_14partition_implILS5_6ELb0ES3_mN6thrust23THRUST_200600_302600_NS6detail15normal_iteratorINSA_10device_ptrIiEEEEPS6_SG_NS0_5tupleIJSF_S6_EEENSH_IJSG_SG_EEES6_PlJ5mod_3IiEEEE10hipError_tPvRmT3_T4_T5_T6_T7_T9_mT8_P12ihipStream_tbDpT10_ENKUlT_T0_E_clISt17integral_constantIbLb0EES16_EEDaS11_S12_EUlS11_E_NS1_11comp_targetILNS1_3genE5ELNS1_11target_archE942ELNS1_3gpuE9ELNS1_3repE0EEENS1_30default_config_static_selectorELNS0_4arch9wavefront6targetE0EEEvT1_,comdat
.Lfunc_end585:
	.size	_ZN7rocprim17ROCPRIM_400000_NS6detail17trampoline_kernelINS0_14default_configENS1_25partition_config_selectorILNS1_17partition_subalgoE6EiNS0_10empty_typeEbEEZZNS1_14partition_implILS5_6ELb0ES3_mN6thrust23THRUST_200600_302600_NS6detail15normal_iteratorINSA_10device_ptrIiEEEEPS6_SG_NS0_5tupleIJSF_S6_EEENSH_IJSG_SG_EEES6_PlJ5mod_3IiEEEE10hipError_tPvRmT3_T4_T5_T6_T7_T9_mT8_P12ihipStream_tbDpT10_ENKUlT_T0_E_clISt17integral_constantIbLb0EES16_EEDaS11_S12_EUlS11_E_NS1_11comp_targetILNS1_3genE5ELNS1_11target_archE942ELNS1_3gpuE9ELNS1_3repE0EEENS1_30default_config_static_selectorELNS0_4arch9wavefront6targetE0EEEvT1_, .Lfunc_end585-_ZN7rocprim17ROCPRIM_400000_NS6detail17trampoline_kernelINS0_14default_configENS1_25partition_config_selectorILNS1_17partition_subalgoE6EiNS0_10empty_typeEbEEZZNS1_14partition_implILS5_6ELb0ES3_mN6thrust23THRUST_200600_302600_NS6detail15normal_iteratorINSA_10device_ptrIiEEEEPS6_SG_NS0_5tupleIJSF_S6_EEENSH_IJSG_SG_EEES6_PlJ5mod_3IiEEEE10hipError_tPvRmT3_T4_T5_T6_T7_T9_mT8_P12ihipStream_tbDpT10_ENKUlT_T0_E_clISt17integral_constantIbLb0EES16_EEDaS11_S12_EUlS11_E_NS1_11comp_targetILNS1_3genE5ELNS1_11target_archE942ELNS1_3gpuE9ELNS1_3repE0EEENS1_30default_config_static_selectorELNS0_4arch9wavefront6targetE0EEEvT1_
                                        ; -- End function
	.section	.AMDGPU.csdata,"",@progbits
; Kernel info:
; codeLenInByte = 0
; NumSgprs: 0
; NumVgprs: 0
; ScratchSize: 0
; MemoryBound: 0
; FloatMode: 240
; IeeeMode: 1
; LDSByteSize: 0 bytes/workgroup (compile time only)
; SGPRBlocks: 0
; VGPRBlocks: 0
; NumSGPRsForWavesPerEU: 1
; NumVGPRsForWavesPerEU: 1
; Occupancy: 16
; WaveLimiterHint : 0
; COMPUTE_PGM_RSRC2:SCRATCH_EN: 0
; COMPUTE_PGM_RSRC2:USER_SGPR: 15
; COMPUTE_PGM_RSRC2:TRAP_HANDLER: 0
; COMPUTE_PGM_RSRC2:TGID_X_EN: 1
; COMPUTE_PGM_RSRC2:TGID_Y_EN: 0
; COMPUTE_PGM_RSRC2:TGID_Z_EN: 0
; COMPUTE_PGM_RSRC2:TIDIG_COMP_CNT: 0
	.section	.text._ZN7rocprim17ROCPRIM_400000_NS6detail17trampoline_kernelINS0_14default_configENS1_25partition_config_selectorILNS1_17partition_subalgoE6EiNS0_10empty_typeEbEEZZNS1_14partition_implILS5_6ELb0ES3_mN6thrust23THRUST_200600_302600_NS6detail15normal_iteratorINSA_10device_ptrIiEEEEPS6_SG_NS0_5tupleIJSF_S6_EEENSH_IJSG_SG_EEES6_PlJ5mod_3IiEEEE10hipError_tPvRmT3_T4_T5_T6_T7_T9_mT8_P12ihipStream_tbDpT10_ENKUlT_T0_E_clISt17integral_constantIbLb0EES16_EEDaS11_S12_EUlS11_E_NS1_11comp_targetILNS1_3genE4ELNS1_11target_archE910ELNS1_3gpuE8ELNS1_3repE0EEENS1_30default_config_static_selectorELNS0_4arch9wavefront6targetE0EEEvT1_,"axG",@progbits,_ZN7rocprim17ROCPRIM_400000_NS6detail17trampoline_kernelINS0_14default_configENS1_25partition_config_selectorILNS1_17partition_subalgoE6EiNS0_10empty_typeEbEEZZNS1_14partition_implILS5_6ELb0ES3_mN6thrust23THRUST_200600_302600_NS6detail15normal_iteratorINSA_10device_ptrIiEEEEPS6_SG_NS0_5tupleIJSF_S6_EEENSH_IJSG_SG_EEES6_PlJ5mod_3IiEEEE10hipError_tPvRmT3_T4_T5_T6_T7_T9_mT8_P12ihipStream_tbDpT10_ENKUlT_T0_E_clISt17integral_constantIbLb0EES16_EEDaS11_S12_EUlS11_E_NS1_11comp_targetILNS1_3genE4ELNS1_11target_archE910ELNS1_3gpuE8ELNS1_3repE0EEENS1_30default_config_static_selectorELNS0_4arch9wavefront6targetE0EEEvT1_,comdat
	.protected	_ZN7rocprim17ROCPRIM_400000_NS6detail17trampoline_kernelINS0_14default_configENS1_25partition_config_selectorILNS1_17partition_subalgoE6EiNS0_10empty_typeEbEEZZNS1_14partition_implILS5_6ELb0ES3_mN6thrust23THRUST_200600_302600_NS6detail15normal_iteratorINSA_10device_ptrIiEEEEPS6_SG_NS0_5tupleIJSF_S6_EEENSH_IJSG_SG_EEES6_PlJ5mod_3IiEEEE10hipError_tPvRmT3_T4_T5_T6_T7_T9_mT8_P12ihipStream_tbDpT10_ENKUlT_T0_E_clISt17integral_constantIbLb0EES16_EEDaS11_S12_EUlS11_E_NS1_11comp_targetILNS1_3genE4ELNS1_11target_archE910ELNS1_3gpuE8ELNS1_3repE0EEENS1_30default_config_static_selectorELNS0_4arch9wavefront6targetE0EEEvT1_ ; -- Begin function _ZN7rocprim17ROCPRIM_400000_NS6detail17trampoline_kernelINS0_14default_configENS1_25partition_config_selectorILNS1_17partition_subalgoE6EiNS0_10empty_typeEbEEZZNS1_14partition_implILS5_6ELb0ES3_mN6thrust23THRUST_200600_302600_NS6detail15normal_iteratorINSA_10device_ptrIiEEEEPS6_SG_NS0_5tupleIJSF_S6_EEENSH_IJSG_SG_EEES6_PlJ5mod_3IiEEEE10hipError_tPvRmT3_T4_T5_T6_T7_T9_mT8_P12ihipStream_tbDpT10_ENKUlT_T0_E_clISt17integral_constantIbLb0EES16_EEDaS11_S12_EUlS11_E_NS1_11comp_targetILNS1_3genE4ELNS1_11target_archE910ELNS1_3gpuE8ELNS1_3repE0EEENS1_30default_config_static_selectorELNS0_4arch9wavefront6targetE0EEEvT1_
	.globl	_ZN7rocprim17ROCPRIM_400000_NS6detail17trampoline_kernelINS0_14default_configENS1_25partition_config_selectorILNS1_17partition_subalgoE6EiNS0_10empty_typeEbEEZZNS1_14partition_implILS5_6ELb0ES3_mN6thrust23THRUST_200600_302600_NS6detail15normal_iteratorINSA_10device_ptrIiEEEEPS6_SG_NS0_5tupleIJSF_S6_EEENSH_IJSG_SG_EEES6_PlJ5mod_3IiEEEE10hipError_tPvRmT3_T4_T5_T6_T7_T9_mT8_P12ihipStream_tbDpT10_ENKUlT_T0_E_clISt17integral_constantIbLb0EES16_EEDaS11_S12_EUlS11_E_NS1_11comp_targetILNS1_3genE4ELNS1_11target_archE910ELNS1_3gpuE8ELNS1_3repE0EEENS1_30default_config_static_selectorELNS0_4arch9wavefront6targetE0EEEvT1_
	.p2align	8
	.type	_ZN7rocprim17ROCPRIM_400000_NS6detail17trampoline_kernelINS0_14default_configENS1_25partition_config_selectorILNS1_17partition_subalgoE6EiNS0_10empty_typeEbEEZZNS1_14partition_implILS5_6ELb0ES3_mN6thrust23THRUST_200600_302600_NS6detail15normal_iteratorINSA_10device_ptrIiEEEEPS6_SG_NS0_5tupleIJSF_S6_EEENSH_IJSG_SG_EEES6_PlJ5mod_3IiEEEE10hipError_tPvRmT3_T4_T5_T6_T7_T9_mT8_P12ihipStream_tbDpT10_ENKUlT_T0_E_clISt17integral_constantIbLb0EES16_EEDaS11_S12_EUlS11_E_NS1_11comp_targetILNS1_3genE4ELNS1_11target_archE910ELNS1_3gpuE8ELNS1_3repE0EEENS1_30default_config_static_selectorELNS0_4arch9wavefront6targetE0EEEvT1_,@function
_ZN7rocprim17ROCPRIM_400000_NS6detail17trampoline_kernelINS0_14default_configENS1_25partition_config_selectorILNS1_17partition_subalgoE6EiNS0_10empty_typeEbEEZZNS1_14partition_implILS5_6ELb0ES3_mN6thrust23THRUST_200600_302600_NS6detail15normal_iteratorINSA_10device_ptrIiEEEEPS6_SG_NS0_5tupleIJSF_S6_EEENSH_IJSG_SG_EEES6_PlJ5mod_3IiEEEE10hipError_tPvRmT3_T4_T5_T6_T7_T9_mT8_P12ihipStream_tbDpT10_ENKUlT_T0_E_clISt17integral_constantIbLb0EES16_EEDaS11_S12_EUlS11_E_NS1_11comp_targetILNS1_3genE4ELNS1_11target_archE910ELNS1_3gpuE8ELNS1_3repE0EEENS1_30default_config_static_selectorELNS0_4arch9wavefront6targetE0EEEvT1_: ; @_ZN7rocprim17ROCPRIM_400000_NS6detail17trampoline_kernelINS0_14default_configENS1_25partition_config_selectorILNS1_17partition_subalgoE6EiNS0_10empty_typeEbEEZZNS1_14partition_implILS5_6ELb0ES3_mN6thrust23THRUST_200600_302600_NS6detail15normal_iteratorINSA_10device_ptrIiEEEEPS6_SG_NS0_5tupleIJSF_S6_EEENSH_IJSG_SG_EEES6_PlJ5mod_3IiEEEE10hipError_tPvRmT3_T4_T5_T6_T7_T9_mT8_P12ihipStream_tbDpT10_ENKUlT_T0_E_clISt17integral_constantIbLb0EES16_EEDaS11_S12_EUlS11_E_NS1_11comp_targetILNS1_3genE4ELNS1_11target_archE910ELNS1_3gpuE8ELNS1_3repE0EEENS1_30default_config_static_selectorELNS0_4arch9wavefront6targetE0EEEvT1_
; %bb.0:
	.section	.rodata,"a",@progbits
	.p2align	6, 0x0
	.amdhsa_kernel _ZN7rocprim17ROCPRIM_400000_NS6detail17trampoline_kernelINS0_14default_configENS1_25partition_config_selectorILNS1_17partition_subalgoE6EiNS0_10empty_typeEbEEZZNS1_14partition_implILS5_6ELb0ES3_mN6thrust23THRUST_200600_302600_NS6detail15normal_iteratorINSA_10device_ptrIiEEEEPS6_SG_NS0_5tupleIJSF_S6_EEENSH_IJSG_SG_EEES6_PlJ5mod_3IiEEEE10hipError_tPvRmT3_T4_T5_T6_T7_T9_mT8_P12ihipStream_tbDpT10_ENKUlT_T0_E_clISt17integral_constantIbLb0EES16_EEDaS11_S12_EUlS11_E_NS1_11comp_targetILNS1_3genE4ELNS1_11target_archE910ELNS1_3gpuE8ELNS1_3repE0EEENS1_30default_config_static_selectorELNS0_4arch9wavefront6targetE0EEEvT1_
		.amdhsa_group_segment_fixed_size 0
		.amdhsa_private_segment_fixed_size 0
		.amdhsa_kernarg_size 112
		.amdhsa_user_sgpr_count 15
		.amdhsa_user_sgpr_dispatch_ptr 0
		.amdhsa_user_sgpr_queue_ptr 0
		.amdhsa_user_sgpr_kernarg_segment_ptr 1
		.amdhsa_user_sgpr_dispatch_id 0
		.amdhsa_user_sgpr_private_segment_size 0
		.amdhsa_wavefront_size32 1
		.amdhsa_uses_dynamic_stack 0
		.amdhsa_enable_private_segment 0
		.amdhsa_system_sgpr_workgroup_id_x 1
		.amdhsa_system_sgpr_workgroup_id_y 0
		.amdhsa_system_sgpr_workgroup_id_z 0
		.amdhsa_system_sgpr_workgroup_info 0
		.amdhsa_system_vgpr_workitem_id 0
		.amdhsa_next_free_vgpr 1
		.amdhsa_next_free_sgpr 1
		.amdhsa_reserve_vcc 0
		.amdhsa_float_round_mode_32 0
		.amdhsa_float_round_mode_16_64 0
		.amdhsa_float_denorm_mode_32 3
		.amdhsa_float_denorm_mode_16_64 3
		.amdhsa_dx10_clamp 1
		.amdhsa_ieee_mode 1
		.amdhsa_fp16_overflow 0
		.amdhsa_workgroup_processor_mode 1
		.amdhsa_memory_ordered 1
		.amdhsa_forward_progress 0
		.amdhsa_shared_vgpr_count 0
		.amdhsa_exception_fp_ieee_invalid_op 0
		.amdhsa_exception_fp_denorm_src 0
		.amdhsa_exception_fp_ieee_div_zero 0
		.amdhsa_exception_fp_ieee_overflow 0
		.amdhsa_exception_fp_ieee_underflow 0
		.amdhsa_exception_fp_ieee_inexact 0
		.amdhsa_exception_int_div_zero 0
	.end_amdhsa_kernel
	.section	.text._ZN7rocprim17ROCPRIM_400000_NS6detail17trampoline_kernelINS0_14default_configENS1_25partition_config_selectorILNS1_17partition_subalgoE6EiNS0_10empty_typeEbEEZZNS1_14partition_implILS5_6ELb0ES3_mN6thrust23THRUST_200600_302600_NS6detail15normal_iteratorINSA_10device_ptrIiEEEEPS6_SG_NS0_5tupleIJSF_S6_EEENSH_IJSG_SG_EEES6_PlJ5mod_3IiEEEE10hipError_tPvRmT3_T4_T5_T6_T7_T9_mT8_P12ihipStream_tbDpT10_ENKUlT_T0_E_clISt17integral_constantIbLb0EES16_EEDaS11_S12_EUlS11_E_NS1_11comp_targetILNS1_3genE4ELNS1_11target_archE910ELNS1_3gpuE8ELNS1_3repE0EEENS1_30default_config_static_selectorELNS0_4arch9wavefront6targetE0EEEvT1_,"axG",@progbits,_ZN7rocprim17ROCPRIM_400000_NS6detail17trampoline_kernelINS0_14default_configENS1_25partition_config_selectorILNS1_17partition_subalgoE6EiNS0_10empty_typeEbEEZZNS1_14partition_implILS5_6ELb0ES3_mN6thrust23THRUST_200600_302600_NS6detail15normal_iteratorINSA_10device_ptrIiEEEEPS6_SG_NS0_5tupleIJSF_S6_EEENSH_IJSG_SG_EEES6_PlJ5mod_3IiEEEE10hipError_tPvRmT3_T4_T5_T6_T7_T9_mT8_P12ihipStream_tbDpT10_ENKUlT_T0_E_clISt17integral_constantIbLb0EES16_EEDaS11_S12_EUlS11_E_NS1_11comp_targetILNS1_3genE4ELNS1_11target_archE910ELNS1_3gpuE8ELNS1_3repE0EEENS1_30default_config_static_selectorELNS0_4arch9wavefront6targetE0EEEvT1_,comdat
.Lfunc_end586:
	.size	_ZN7rocprim17ROCPRIM_400000_NS6detail17trampoline_kernelINS0_14default_configENS1_25partition_config_selectorILNS1_17partition_subalgoE6EiNS0_10empty_typeEbEEZZNS1_14partition_implILS5_6ELb0ES3_mN6thrust23THRUST_200600_302600_NS6detail15normal_iteratorINSA_10device_ptrIiEEEEPS6_SG_NS0_5tupleIJSF_S6_EEENSH_IJSG_SG_EEES6_PlJ5mod_3IiEEEE10hipError_tPvRmT3_T4_T5_T6_T7_T9_mT8_P12ihipStream_tbDpT10_ENKUlT_T0_E_clISt17integral_constantIbLb0EES16_EEDaS11_S12_EUlS11_E_NS1_11comp_targetILNS1_3genE4ELNS1_11target_archE910ELNS1_3gpuE8ELNS1_3repE0EEENS1_30default_config_static_selectorELNS0_4arch9wavefront6targetE0EEEvT1_, .Lfunc_end586-_ZN7rocprim17ROCPRIM_400000_NS6detail17trampoline_kernelINS0_14default_configENS1_25partition_config_selectorILNS1_17partition_subalgoE6EiNS0_10empty_typeEbEEZZNS1_14partition_implILS5_6ELb0ES3_mN6thrust23THRUST_200600_302600_NS6detail15normal_iteratorINSA_10device_ptrIiEEEEPS6_SG_NS0_5tupleIJSF_S6_EEENSH_IJSG_SG_EEES6_PlJ5mod_3IiEEEE10hipError_tPvRmT3_T4_T5_T6_T7_T9_mT8_P12ihipStream_tbDpT10_ENKUlT_T0_E_clISt17integral_constantIbLb0EES16_EEDaS11_S12_EUlS11_E_NS1_11comp_targetILNS1_3genE4ELNS1_11target_archE910ELNS1_3gpuE8ELNS1_3repE0EEENS1_30default_config_static_selectorELNS0_4arch9wavefront6targetE0EEEvT1_
                                        ; -- End function
	.section	.AMDGPU.csdata,"",@progbits
; Kernel info:
; codeLenInByte = 0
; NumSgprs: 0
; NumVgprs: 0
; ScratchSize: 0
; MemoryBound: 0
; FloatMode: 240
; IeeeMode: 1
; LDSByteSize: 0 bytes/workgroup (compile time only)
; SGPRBlocks: 0
; VGPRBlocks: 0
; NumSGPRsForWavesPerEU: 1
; NumVGPRsForWavesPerEU: 1
; Occupancy: 16
; WaveLimiterHint : 0
; COMPUTE_PGM_RSRC2:SCRATCH_EN: 0
; COMPUTE_PGM_RSRC2:USER_SGPR: 15
; COMPUTE_PGM_RSRC2:TRAP_HANDLER: 0
; COMPUTE_PGM_RSRC2:TGID_X_EN: 1
; COMPUTE_PGM_RSRC2:TGID_Y_EN: 0
; COMPUTE_PGM_RSRC2:TGID_Z_EN: 0
; COMPUTE_PGM_RSRC2:TIDIG_COMP_CNT: 0
	.section	.text._ZN7rocprim17ROCPRIM_400000_NS6detail17trampoline_kernelINS0_14default_configENS1_25partition_config_selectorILNS1_17partition_subalgoE6EiNS0_10empty_typeEbEEZZNS1_14partition_implILS5_6ELb0ES3_mN6thrust23THRUST_200600_302600_NS6detail15normal_iteratorINSA_10device_ptrIiEEEEPS6_SG_NS0_5tupleIJSF_S6_EEENSH_IJSG_SG_EEES6_PlJ5mod_3IiEEEE10hipError_tPvRmT3_T4_T5_T6_T7_T9_mT8_P12ihipStream_tbDpT10_ENKUlT_T0_E_clISt17integral_constantIbLb0EES16_EEDaS11_S12_EUlS11_E_NS1_11comp_targetILNS1_3genE3ELNS1_11target_archE908ELNS1_3gpuE7ELNS1_3repE0EEENS1_30default_config_static_selectorELNS0_4arch9wavefront6targetE0EEEvT1_,"axG",@progbits,_ZN7rocprim17ROCPRIM_400000_NS6detail17trampoline_kernelINS0_14default_configENS1_25partition_config_selectorILNS1_17partition_subalgoE6EiNS0_10empty_typeEbEEZZNS1_14partition_implILS5_6ELb0ES3_mN6thrust23THRUST_200600_302600_NS6detail15normal_iteratorINSA_10device_ptrIiEEEEPS6_SG_NS0_5tupleIJSF_S6_EEENSH_IJSG_SG_EEES6_PlJ5mod_3IiEEEE10hipError_tPvRmT3_T4_T5_T6_T7_T9_mT8_P12ihipStream_tbDpT10_ENKUlT_T0_E_clISt17integral_constantIbLb0EES16_EEDaS11_S12_EUlS11_E_NS1_11comp_targetILNS1_3genE3ELNS1_11target_archE908ELNS1_3gpuE7ELNS1_3repE0EEENS1_30default_config_static_selectorELNS0_4arch9wavefront6targetE0EEEvT1_,comdat
	.protected	_ZN7rocprim17ROCPRIM_400000_NS6detail17trampoline_kernelINS0_14default_configENS1_25partition_config_selectorILNS1_17partition_subalgoE6EiNS0_10empty_typeEbEEZZNS1_14partition_implILS5_6ELb0ES3_mN6thrust23THRUST_200600_302600_NS6detail15normal_iteratorINSA_10device_ptrIiEEEEPS6_SG_NS0_5tupleIJSF_S6_EEENSH_IJSG_SG_EEES6_PlJ5mod_3IiEEEE10hipError_tPvRmT3_T4_T5_T6_T7_T9_mT8_P12ihipStream_tbDpT10_ENKUlT_T0_E_clISt17integral_constantIbLb0EES16_EEDaS11_S12_EUlS11_E_NS1_11comp_targetILNS1_3genE3ELNS1_11target_archE908ELNS1_3gpuE7ELNS1_3repE0EEENS1_30default_config_static_selectorELNS0_4arch9wavefront6targetE0EEEvT1_ ; -- Begin function _ZN7rocprim17ROCPRIM_400000_NS6detail17trampoline_kernelINS0_14default_configENS1_25partition_config_selectorILNS1_17partition_subalgoE6EiNS0_10empty_typeEbEEZZNS1_14partition_implILS5_6ELb0ES3_mN6thrust23THRUST_200600_302600_NS6detail15normal_iteratorINSA_10device_ptrIiEEEEPS6_SG_NS0_5tupleIJSF_S6_EEENSH_IJSG_SG_EEES6_PlJ5mod_3IiEEEE10hipError_tPvRmT3_T4_T5_T6_T7_T9_mT8_P12ihipStream_tbDpT10_ENKUlT_T0_E_clISt17integral_constantIbLb0EES16_EEDaS11_S12_EUlS11_E_NS1_11comp_targetILNS1_3genE3ELNS1_11target_archE908ELNS1_3gpuE7ELNS1_3repE0EEENS1_30default_config_static_selectorELNS0_4arch9wavefront6targetE0EEEvT1_
	.globl	_ZN7rocprim17ROCPRIM_400000_NS6detail17trampoline_kernelINS0_14default_configENS1_25partition_config_selectorILNS1_17partition_subalgoE6EiNS0_10empty_typeEbEEZZNS1_14partition_implILS5_6ELb0ES3_mN6thrust23THRUST_200600_302600_NS6detail15normal_iteratorINSA_10device_ptrIiEEEEPS6_SG_NS0_5tupleIJSF_S6_EEENSH_IJSG_SG_EEES6_PlJ5mod_3IiEEEE10hipError_tPvRmT3_T4_T5_T6_T7_T9_mT8_P12ihipStream_tbDpT10_ENKUlT_T0_E_clISt17integral_constantIbLb0EES16_EEDaS11_S12_EUlS11_E_NS1_11comp_targetILNS1_3genE3ELNS1_11target_archE908ELNS1_3gpuE7ELNS1_3repE0EEENS1_30default_config_static_selectorELNS0_4arch9wavefront6targetE0EEEvT1_
	.p2align	8
	.type	_ZN7rocprim17ROCPRIM_400000_NS6detail17trampoline_kernelINS0_14default_configENS1_25partition_config_selectorILNS1_17partition_subalgoE6EiNS0_10empty_typeEbEEZZNS1_14partition_implILS5_6ELb0ES3_mN6thrust23THRUST_200600_302600_NS6detail15normal_iteratorINSA_10device_ptrIiEEEEPS6_SG_NS0_5tupleIJSF_S6_EEENSH_IJSG_SG_EEES6_PlJ5mod_3IiEEEE10hipError_tPvRmT3_T4_T5_T6_T7_T9_mT8_P12ihipStream_tbDpT10_ENKUlT_T0_E_clISt17integral_constantIbLb0EES16_EEDaS11_S12_EUlS11_E_NS1_11comp_targetILNS1_3genE3ELNS1_11target_archE908ELNS1_3gpuE7ELNS1_3repE0EEENS1_30default_config_static_selectorELNS0_4arch9wavefront6targetE0EEEvT1_,@function
_ZN7rocprim17ROCPRIM_400000_NS6detail17trampoline_kernelINS0_14default_configENS1_25partition_config_selectorILNS1_17partition_subalgoE6EiNS0_10empty_typeEbEEZZNS1_14partition_implILS5_6ELb0ES3_mN6thrust23THRUST_200600_302600_NS6detail15normal_iteratorINSA_10device_ptrIiEEEEPS6_SG_NS0_5tupleIJSF_S6_EEENSH_IJSG_SG_EEES6_PlJ5mod_3IiEEEE10hipError_tPvRmT3_T4_T5_T6_T7_T9_mT8_P12ihipStream_tbDpT10_ENKUlT_T0_E_clISt17integral_constantIbLb0EES16_EEDaS11_S12_EUlS11_E_NS1_11comp_targetILNS1_3genE3ELNS1_11target_archE908ELNS1_3gpuE7ELNS1_3repE0EEENS1_30default_config_static_selectorELNS0_4arch9wavefront6targetE0EEEvT1_: ; @_ZN7rocprim17ROCPRIM_400000_NS6detail17trampoline_kernelINS0_14default_configENS1_25partition_config_selectorILNS1_17partition_subalgoE6EiNS0_10empty_typeEbEEZZNS1_14partition_implILS5_6ELb0ES3_mN6thrust23THRUST_200600_302600_NS6detail15normal_iteratorINSA_10device_ptrIiEEEEPS6_SG_NS0_5tupleIJSF_S6_EEENSH_IJSG_SG_EEES6_PlJ5mod_3IiEEEE10hipError_tPvRmT3_T4_T5_T6_T7_T9_mT8_P12ihipStream_tbDpT10_ENKUlT_T0_E_clISt17integral_constantIbLb0EES16_EEDaS11_S12_EUlS11_E_NS1_11comp_targetILNS1_3genE3ELNS1_11target_archE908ELNS1_3gpuE7ELNS1_3repE0EEENS1_30default_config_static_selectorELNS0_4arch9wavefront6targetE0EEEvT1_
; %bb.0:
	.section	.rodata,"a",@progbits
	.p2align	6, 0x0
	.amdhsa_kernel _ZN7rocprim17ROCPRIM_400000_NS6detail17trampoline_kernelINS0_14default_configENS1_25partition_config_selectorILNS1_17partition_subalgoE6EiNS0_10empty_typeEbEEZZNS1_14partition_implILS5_6ELb0ES3_mN6thrust23THRUST_200600_302600_NS6detail15normal_iteratorINSA_10device_ptrIiEEEEPS6_SG_NS0_5tupleIJSF_S6_EEENSH_IJSG_SG_EEES6_PlJ5mod_3IiEEEE10hipError_tPvRmT3_T4_T5_T6_T7_T9_mT8_P12ihipStream_tbDpT10_ENKUlT_T0_E_clISt17integral_constantIbLb0EES16_EEDaS11_S12_EUlS11_E_NS1_11comp_targetILNS1_3genE3ELNS1_11target_archE908ELNS1_3gpuE7ELNS1_3repE0EEENS1_30default_config_static_selectorELNS0_4arch9wavefront6targetE0EEEvT1_
		.amdhsa_group_segment_fixed_size 0
		.amdhsa_private_segment_fixed_size 0
		.amdhsa_kernarg_size 112
		.amdhsa_user_sgpr_count 15
		.amdhsa_user_sgpr_dispatch_ptr 0
		.amdhsa_user_sgpr_queue_ptr 0
		.amdhsa_user_sgpr_kernarg_segment_ptr 1
		.amdhsa_user_sgpr_dispatch_id 0
		.amdhsa_user_sgpr_private_segment_size 0
		.amdhsa_wavefront_size32 1
		.amdhsa_uses_dynamic_stack 0
		.amdhsa_enable_private_segment 0
		.amdhsa_system_sgpr_workgroup_id_x 1
		.amdhsa_system_sgpr_workgroup_id_y 0
		.amdhsa_system_sgpr_workgroup_id_z 0
		.amdhsa_system_sgpr_workgroup_info 0
		.amdhsa_system_vgpr_workitem_id 0
		.amdhsa_next_free_vgpr 1
		.amdhsa_next_free_sgpr 1
		.amdhsa_reserve_vcc 0
		.amdhsa_float_round_mode_32 0
		.amdhsa_float_round_mode_16_64 0
		.amdhsa_float_denorm_mode_32 3
		.amdhsa_float_denorm_mode_16_64 3
		.amdhsa_dx10_clamp 1
		.amdhsa_ieee_mode 1
		.amdhsa_fp16_overflow 0
		.amdhsa_workgroup_processor_mode 1
		.amdhsa_memory_ordered 1
		.amdhsa_forward_progress 0
		.amdhsa_shared_vgpr_count 0
		.amdhsa_exception_fp_ieee_invalid_op 0
		.amdhsa_exception_fp_denorm_src 0
		.amdhsa_exception_fp_ieee_div_zero 0
		.amdhsa_exception_fp_ieee_overflow 0
		.amdhsa_exception_fp_ieee_underflow 0
		.amdhsa_exception_fp_ieee_inexact 0
		.amdhsa_exception_int_div_zero 0
	.end_amdhsa_kernel
	.section	.text._ZN7rocprim17ROCPRIM_400000_NS6detail17trampoline_kernelINS0_14default_configENS1_25partition_config_selectorILNS1_17partition_subalgoE6EiNS0_10empty_typeEbEEZZNS1_14partition_implILS5_6ELb0ES3_mN6thrust23THRUST_200600_302600_NS6detail15normal_iteratorINSA_10device_ptrIiEEEEPS6_SG_NS0_5tupleIJSF_S6_EEENSH_IJSG_SG_EEES6_PlJ5mod_3IiEEEE10hipError_tPvRmT3_T4_T5_T6_T7_T9_mT8_P12ihipStream_tbDpT10_ENKUlT_T0_E_clISt17integral_constantIbLb0EES16_EEDaS11_S12_EUlS11_E_NS1_11comp_targetILNS1_3genE3ELNS1_11target_archE908ELNS1_3gpuE7ELNS1_3repE0EEENS1_30default_config_static_selectorELNS0_4arch9wavefront6targetE0EEEvT1_,"axG",@progbits,_ZN7rocprim17ROCPRIM_400000_NS6detail17trampoline_kernelINS0_14default_configENS1_25partition_config_selectorILNS1_17partition_subalgoE6EiNS0_10empty_typeEbEEZZNS1_14partition_implILS5_6ELb0ES3_mN6thrust23THRUST_200600_302600_NS6detail15normal_iteratorINSA_10device_ptrIiEEEEPS6_SG_NS0_5tupleIJSF_S6_EEENSH_IJSG_SG_EEES6_PlJ5mod_3IiEEEE10hipError_tPvRmT3_T4_T5_T6_T7_T9_mT8_P12ihipStream_tbDpT10_ENKUlT_T0_E_clISt17integral_constantIbLb0EES16_EEDaS11_S12_EUlS11_E_NS1_11comp_targetILNS1_3genE3ELNS1_11target_archE908ELNS1_3gpuE7ELNS1_3repE0EEENS1_30default_config_static_selectorELNS0_4arch9wavefront6targetE0EEEvT1_,comdat
.Lfunc_end587:
	.size	_ZN7rocprim17ROCPRIM_400000_NS6detail17trampoline_kernelINS0_14default_configENS1_25partition_config_selectorILNS1_17partition_subalgoE6EiNS0_10empty_typeEbEEZZNS1_14partition_implILS5_6ELb0ES3_mN6thrust23THRUST_200600_302600_NS6detail15normal_iteratorINSA_10device_ptrIiEEEEPS6_SG_NS0_5tupleIJSF_S6_EEENSH_IJSG_SG_EEES6_PlJ5mod_3IiEEEE10hipError_tPvRmT3_T4_T5_T6_T7_T9_mT8_P12ihipStream_tbDpT10_ENKUlT_T0_E_clISt17integral_constantIbLb0EES16_EEDaS11_S12_EUlS11_E_NS1_11comp_targetILNS1_3genE3ELNS1_11target_archE908ELNS1_3gpuE7ELNS1_3repE0EEENS1_30default_config_static_selectorELNS0_4arch9wavefront6targetE0EEEvT1_, .Lfunc_end587-_ZN7rocprim17ROCPRIM_400000_NS6detail17trampoline_kernelINS0_14default_configENS1_25partition_config_selectorILNS1_17partition_subalgoE6EiNS0_10empty_typeEbEEZZNS1_14partition_implILS5_6ELb0ES3_mN6thrust23THRUST_200600_302600_NS6detail15normal_iteratorINSA_10device_ptrIiEEEEPS6_SG_NS0_5tupleIJSF_S6_EEENSH_IJSG_SG_EEES6_PlJ5mod_3IiEEEE10hipError_tPvRmT3_T4_T5_T6_T7_T9_mT8_P12ihipStream_tbDpT10_ENKUlT_T0_E_clISt17integral_constantIbLb0EES16_EEDaS11_S12_EUlS11_E_NS1_11comp_targetILNS1_3genE3ELNS1_11target_archE908ELNS1_3gpuE7ELNS1_3repE0EEENS1_30default_config_static_selectorELNS0_4arch9wavefront6targetE0EEEvT1_
                                        ; -- End function
	.section	.AMDGPU.csdata,"",@progbits
; Kernel info:
; codeLenInByte = 0
; NumSgprs: 0
; NumVgprs: 0
; ScratchSize: 0
; MemoryBound: 0
; FloatMode: 240
; IeeeMode: 1
; LDSByteSize: 0 bytes/workgroup (compile time only)
; SGPRBlocks: 0
; VGPRBlocks: 0
; NumSGPRsForWavesPerEU: 1
; NumVGPRsForWavesPerEU: 1
; Occupancy: 16
; WaveLimiterHint : 0
; COMPUTE_PGM_RSRC2:SCRATCH_EN: 0
; COMPUTE_PGM_RSRC2:USER_SGPR: 15
; COMPUTE_PGM_RSRC2:TRAP_HANDLER: 0
; COMPUTE_PGM_RSRC2:TGID_X_EN: 1
; COMPUTE_PGM_RSRC2:TGID_Y_EN: 0
; COMPUTE_PGM_RSRC2:TGID_Z_EN: 0
; COMPUTE_PGM_RSRC2:TIDIG_COMP_CNT: 0
	.section	.text._ZN7rocprim17ROCPRIM_400000_NS6detail17trampoline_kernelINS0_14default_configENS1_25partition_config_selectorILNS1_17partition_subalgoE6EiNS0_10empty_typeEbEEZZNS1_14partition_implILS5_6ELb0ES3_mN6thrust23THRUST_200600_302600_NS6detail15normal_iteratorINSA_10device_ptrIiEEEEPS6_SG_NS0_5tupleIJSF_S6_EEENSH_IJSG_SG_EEES6_PlJ5mod_3IiEEEE10hipError_tPvRmT3_T4_T5_T6_T7_T9_mT8_P12ihipStream_tbDpT10_ENKUlT_T0_E_clISt17integral_constantIbLb0EES16_EEDaS11_S12_EUlS11_E_NS1_11comp_targetILNS1_3genE2ELNS1_11target_archE906ELNS1_3gpuE6ELNS1_3repE0EEENS1_30default_config_static_selectorELNS0_4arch9wavefront6targetE0EEEvT1_,"axG",@progbits,_ZN7rocprim17ROCPRIM_400000_NS6detail17trampoline_kernelINS0_14default_configENS1_25partition_config_selectorILNS1_17partition_subalgoE6EiNS0_10empty_typeEbEEZZNS1_14partition_implILS5_6ELb0ES3_mN6thrust23THRUST_200600_302600_NS6detail15normal_iteratorINSA_10device_ptrIiEEEEPS6_SG_NS0_5tupleIJSF_S6_EEENSH_IJSG_SG_EEES6_PlJ5mod_3IiEEEE10hipError_tPvRmT3_T4_T5_T6_T7_T9_mT8_P12ihipStream_tbDpT10_ENKUlT_T0_E_clISt17integral_constantIbLb0EES16_EEDaS11_S12_EUlS11_E_NS1_11comp_targetILNS1_3genE2ELNS1_11target_archE906ELNS1_3gpuE6ELNS1_3repE0EEENS1_30default_config_static_selectorELNS0_4arch9wavefront6targetE0EEEvT1_,comdat
	.protected	_ZN7rocprim17ROCPRIM_400000_NS6detail17trampoline_kernelINS0_14default_configENS1_25partition_config_selectorILNS1_17partition_subalgoE6EiNS0_10empty_typeEbEEZZNS1_14partition_implILS5_6ELb0ES3_mN6thrust23THRUST_200600_302600_NS6detail15normal_iteratorINSA_10device_ptrIiEEEEPS6_SG_NS0_5tupleIJSF_S6_EEENSH_IJSG_SG_EEES6_PlJ5mod_3IiEEEE10hipError_tPvRmT3_T4_T5_T6_T7_T9_mT8_P12ihipStream_tbDpT10_ENKUlT_T0_E_clISt17integral_constantIbLb0EES16_EEDaS11_S12_EUlS11_E_NS1_11comp_targetILNS1_3genE2ELNS1_11target_archE906ELNS1_3gpuE6ELNS1_3repE0EEENS1_30default_config_static_selectorELNS0_4arch9wavefront6targetE0EEEvT1_ ; -- Begin function _ZN7rocprim17ROCPRIM_400000_NS6detail17trampoline_kernelINS0_14default_configENS1_25partition_config_selectorILNS1_17partition_subalgoE6EiNS0_10empty_typeEbEEZZNS1_14partition_implILS5_6ELb0ES3_mN6thrust23THRUST_200600_302600_NS6detail15normal_iteratorINSA_10device_ptrIiEEEEPS6_SG_NS0_5tupleIJSF_S6_EEENSH_IJSG_SG_EEES6_PlJ5mod_3IiEEEE10hipError_tPvRmT3_T4_T5_T6_T7_T9_mT8_P12ihipStream_tbDpT10_ENKUlT_T0_E_clISt17integral_constantIbLb0EES16_EEDaS11_S12_EUlS11_E_NS1_11comp_targetILNS1_3genE2ELNS1_11target_archE906ELNS1_3gpuE6ELNS1_3repE0EEENS1_30default_config_static_selectorELNS0_4arch9wavefront6targetE0EEEvT1_
	.globl	_ZN7rocprim17ROCPRIM_400000_NS6detail17trampoline_kernelINS0_14default_configENS1_25partition_config_selectorILNS1_17partition_subalgoE6EiNS0_10empty_typeEbEEZZNS1_14partition_implILS5_6ELb0ES3_mN6thrust23THRUST_200600_302600_NS6detail15normal_iteratorINSA_10device_ptrIiEEEEPS6_SG_NS0_5tupleIJSF_S6_EEENSH_IJSG_SG_EEES6_PlJ5mod_3IiEEEE10hipError_tPvRmT3_T4_T5_T6_T7_T9_mT8_P12ihipStream_tbDpT10_ENKUlT_T0_E_clISt17integral_constantIbLb0EES16_EEDaS11_S12_EUlS11_E_NS1_11comp_targetILNS1_3genE2ELNS1_11target_archE906ELNS1_3gpuE6ELNS1_3repE0EEENS1_30default_config_static_selectorELNS0_4arch9wavefront6targetE0EEEvT1_
	.p2align	8
	.type	_ZN7rocprim17ROCPRIM_400000_NS6detail17trampoline_kernelINS0_14default_configENS1_25partition_config_selectorILNS1_17partition_subalgoE6EiNS0_10empty_typeEbEEZZNS1_14partition_implILS5_6ELb0ES3_mN6thrust23THRUST_200600_302600_NS6detail15normal_iteratorINSA_10device_ptrIiEEEEPS6_SG_NS0_5tupleIJSF_S6_EEENSH_IJSG_SG_EEES6_PlJ5mod_3IiEEEE10hipError_tPvRmT3_T4_T5_T6_T7_T9_mT8_P12ihipStream_tbDpT10_ENKUlT_T0_E_clISt17integral_constantIbLb0EES16_EEDaS11_S12_EUlS11_E_NS1_11comp_targetILNS1_3genE2ELNS1_11target_archE906ELNS1_3gpuE6ELNS1_3repE0EEENS1_30default_config_static_selectorELNS0_4arch9wavefront6targetE0EEEvT1_,@function
_ZN7rocprim17ROCPRIM_400000_NS6detail17trampoline_kernelINS0_14default_configENS1_25partition_config_selectorILNS1_17partition_subalgoE6EiNS0_10empty_typeEbEEZZNS1_14partition_implILS5_6ELb0ES3_mN6thrust23THRUST_200600_302600_NS6detail15normal_iteratorINSA_10device_ptrIiEEEEPS6_SG_NS0_5tupleIJSF_S6_EEENSH_IJSG_SG_EEES6_PlJ5mod_3IiEEEE10hipError_tPvRmT3_T4_T5_T6_T7_T9_mT8_P12ihipStream_tbDpT10_ENKUlT_T0_E_clISt17integral_constantIbLb0EES16_EEDaS11_S12_EUlS11_E_NS1_11comp_targetILNS1_3genE2ELNS1_11target_archE906ELNS1_3gpuE6ELNS1_3repE0EEENS1_30default_config_static_selectorELNS0_4arch9wavefront6targetE0EEEvT1_: ; @_ZN7rocprim17ROCPRIM_400000_NS6detail17trampoline_kernelINS0_14default_configENS1_25partition_config_selectorILNS1_17partition_subalgoE6EiNS0_10empty_typeEbEEZZNS1_14partition_implILS5_6ELb0ES3_mN6thrust23THRUST_200600_302600_NS6detail15normal_iteratorINSA_10device_ptrIiEEEEPS6_SG_NS0_5tupleIJSF_S6_EEENSH_IJSG_SG_EEES6_PlJ5mod_3IiEEEE10hipError_tPvRmT3_T4_T5_T6_T7_T9_mT8_P12ihipStream_tbDpT10_ENKUlT_T0_E_clISt17integral_constantIbLb0EES16_EEDaS11_S12_EUlS11_E_NS1_11comp_targetILNS1_3genE2ELNS1_11target_archE906ELNS1_3gpuE6ELNS1_3repE0EEENS1_30default_config_static_selectorELNS0_4arch9wavefront6targetE0EEEvT1_
; %bb.0:
	.section	.rodata,"a",@progbits
	.p2align	6, 0x0
	.amdhsa_kernel _ZN7rocprim17ROCPRIM_400000_NS6detail17trampoline_kernelINS0_14default_configENS1_25partition_config_selectorILNS1_17partition_subalgoE6EiNS0_10empty_typeEbEEZZNS1_14partition_implILS5_6ELb0ES3_mN6thrust23THRUST_200600_302600_NS6detail15normal_iteratorINSA_10device_ptrIiEEEEPS6_SG_NS0_5tupleIJSF_S6_EEENSH_IJSG_SG_EEES6_PlJ5mod_3IiEEEE10hipError_tPvRmT3_T4_T5_T6_T7_T9_mT8_P12ihipStream_tbDpT10_ENKUlT_T0_E_clISt17integral_constantIbLb0EES16_EEDaS11_S12_EUlS11_E_NS1_11comp_targetILNS1_3genE2ELNS1_11target_archE906ELNS1_3gpuE6ELNS1_3repE0EEENS1_30default_config_static_selectorELNS0_4arch9wavefront6targetE0EEEvT1_
		.amdhsa_group_segment_fixed_size 0
		.amdhsa_private_segment_fixed_size 0
		.amdhsa_kernarg_size 112
		.amdhsa_user_sgpr_count 15
		.amdhsa_user_sgpr_dispatch_ptr 0
		.amdhsa_user_sgpr_queue_ptr 0
		.amdhsa_user_sgpr_kernarg_segment_ptr 1
		.amdhsa_user_sgpr_dispatch_id 0
		.amdhsa_user_sgpr_private_segment_size 0
		.amdhsa_wavefront_size32 1
		.amdhsa_uses_dynamic_stack 0
		.amdhsa_enable_private_segment 0
		.amdhsa_system_sgpr_workgroup_id_x 1
		.amdhsa_system_sgpr_workgroup_id_y 0
		.amdhsa_system_sgpr_workgroup_id_z 0
		.amdhsa_system_sgpr_workgroup_info 0
		.amdhsa_system_vgpr_workitem_id 0
		.amdhsa_next_free_vgpr 1
		.amdhsa_next_free_sgpr 1
		.amdhsa_reserve_vcc 0
		.amdhsa_float_round_mode_32 0
		.amdhsa_float_round_mode_16_64 0
		.amdhsa_float_denorm_mode_32 3
		.amdhsa_float_denorm_mode_16_64 3
		.amdhsa_dx10_clamp 1
		.amdhsa_ieee_mode 1
		.amdhsa_fp16_overflow 0
		.amdhsa_workgroup_processor_mode 1
		.amdhsa_memory_ordered 1
		.amdhsa_forward_progress 0
		.amdhsa_shared_vgpr_count 0
		.amdhsa_exception_fp_ieee_invalid_op 0
		.amdhsa_exception_fp_denorm_src 0
		.amdhsa_exception_fp_ieee_div_zero 0
		.amdhsa_exception_fp_ieee_overflow 0
		.amdhsa_exception_fp_ieee_underflow 0
		.amdhsa_exception_fp_ieee_inexact 0
		.amdhsa_exception_int_div_zero 0
	.end_amdhsa_kernel
	.section	.text._ZN7rocprim17ROCPRIM_400000_NS6detail17trampoline_kernelINS0_14default_configENS1_25partition_config_selectorILNS1_17partition_subalgoE6EiNS0_10empty_typeEbEEZZNS1_14partition_implILS5_6ELb0ES3_mN6thrust23THRUST_200600_302600_NS6detail15normal_iteratorINSA_10device_ptrIiEEEEPS6_SG_NS0_5tupleIJSF_S6_EEENSH_IJSG_SG_EEES6_PlJ5mod_3IiEEEE10hipError_tPvRmT3_T4_T5_T6_T7_T9_mT8_P12ihipStream_tbDpT10_ENKUlT_T0_E_clISt17integral_constantIbLb0EES16_EEDaS11_S12_EUlS11_E_NS1_11comp_targetILNS1_3genE2ELNS1_11target_archE906ELNS1_3gpuE6ELNS1_3repE0EEENS1_30default_config_static_selectorELNS0_4arch9wavefront6targetE0EEEvT1_,"axG",@progbits,_ZN7rocprim17ROCPRIM_400000_NS6detail17trampoline_kernelINS0_14default_configENS1_25partition_config_selectorILNS1_17partition_subalgoE6EiNS0_10empty_typeEbEEZZNS1_14partition_implILS5_6ELb0ES3_mN6thrust23THRUST_200600_302600_NS6detail15normal_iteratorINSA_10device_ptrIiEEEEPS6_SG_NS0_5tupleIJSF_S6_EEENSH_IJSG_SG_EEES6_PlJ5mod_3IiEEEE10hipError_tPvRmT3_T4_T5_T6_T7_T9_mT8_P12ihipStream_tbDpT10_ENKUlT_T0_E_clISt17integral_constantIbLb0EES16_EEDaS11_S12_EUlS11_E_NS1_11comp_targetILNS1_3genE2ELNS1_11target_archE906ELNS1_3gpuE6ELNS1_3repE0EEENS1_30default_config_static_selectorELNS0_4arch9wavefront6targetE0EEEvT1_,comdat
.Lfunc_end588:
	.size	_ZN7rocprim17ROCPRIM_400000_NS6detail17trampoline_kernelINS0_14default_configENS1_25partition_config_selectorILNS1_17partition_subalgoE6EiNS0_10empty_typeEbEEZZNS1_14partition_implILS5_6ELb0ES3_mN6thrust23THRUST_200600_302600_NS6detail15normal_iteratorINSA_10device_ptrIiEEEEPS6_SG_NS0_5tupleIJSF_S6_EEENSH_IJSG_SG_EEES6_PlJ5mod_3IiEEEE10hipError_tPvRmT3_T4_T5_T6_T7_T9_mT8_P12ihipStream_tbDpT10_ENKUlT_T0_E_clISt17integral_constantIbLb0EES16_EEDaS11_S12_EUlS11_E_NS1_11comp_targetILNS1_3genE2ELNS1_11target_archE906ELNS1_3gpuE6ELNS1_3repE0EEENS1_30default_config_static_selectorELNS0_4arch9wavefront6targetE0EEEvT1_, .Lfunc_end588-_ZN7rocprim17ROCPRIM_400000_NS6detail17trampoline_kernelINS0_14default_configENS1_25partition_config_selectorILNS1_17partition_subalgoE6EiNS0_10empty_typeEbEEZZNS1_14partition_implILS5_6ELb0ES3_mN6thrust23THRUST_200600_302600_NS6detail15normal_iteratorINSA_10device_ptrIiEEEEPS6_SG_NS0_5tupleIJSF_S6_EEENSH_IJSG_SG_EEES6_PlJ5mod_3IiEEEE10hipError_tPvRmT3_T4_T5_T6_T7_T9_mT8_P12ihipStream_tbDpT10_ENKUlT_T0_E_clISt17integral_constantIbLb0EES16_EEDaS11_S12_EUlS11_E_NS1_11comp_targetILNS1_3genE2ELNS1_11target_archE906ELNS1_3gpuE6ELNS1_3repE0EEENS1_30default_config_static_selectorELNS0_4arch9wavefront6targetE0EEEvT1_
                                        ; -- End function
	.section	.AMDGPU.csdata,"",@progbits
; Kernel info:
; codeLenInByte = 0
; NumSgprs: 0
; NumVgprs: 0
; ScratchSize: 0
; MemoryBound: 0
; FloatMode: 240
; IeeeMode: 1
; LDSByteSize: 0 bytes/workgroup (compile time only)
; SGPRBlocks: 0
; VGPRBlocks: 0
; NumSGPRsForWavesPerEU: 1
; NumVGPRsForWavesPerEU: 1
; Occupancy: 15
; WaveLimiterHint : 0
; COMPUTE_PGM_RSRC2:SCRATCH_EN: 0
; COMPUTE_PGM_RSRC2:USER_SGPR: 15
; COMPUTE_PGM_RSRC2:TRAP_HANDLER: 0
; COMPUTE_PGM_RSRC2:TGID_X_EN: 1
; COMPUTE_PGM_RSRC2:TGID_Y_EN: 0
; COMPUTE_PGM_RSRC2:TGID_Z_EN: 0
; COMPUTE_PGM_RSRC2:TIDIG_COMP_CNT: 0
	.section	.text._ZN7rocprim17ROCPRIM_400000_NS6detail17trampoline_kernelINS0_14default_configENS1_25partition_config_selectorILNS1_17partition_subalgoE6EiNS0_10empty_typeEbEEZZNS1_14partition_implILS5_6ELb0ES3_mN6thrust23THRUST_200600_302600_NS6detail15normal_iteratorINSA_10device_ptrIiEEEEPS6_SG_NS0_5tupleIJSF_S6_EEENSH_IJSG_SG_EEES6_PlJ5mod_3IiEEEE10hipError_tPvRmT3_T4_T5_T6_T7_T9_mT8_P12ihipStream_tbDpT10_ENKUlT_T0_E_clISt17integral_constantIbLb0EES16_EEDaS11_S12_EUlS11_E_NS1_11comp_targetILNS1_3genE10ELNS1_11target_archE1200ELNS1_3gpuE4ELNS1_3repE0EEENS1_30default_config_static_selectorELNS0_4arch9wavefront6targetE0EEEvT1_,"axG",@progbits,_ZN7rocprim17ROCPRIM_400000_NS6detail17trampoline_kernelINS0_14default_configENS1_25partition_config_selectorILNS1_17partition_subalgoE6EiNS0_10empty_typeEbEEZZNS1_14partition_implILS5_6ELb0ES3_mN6thrust23THRUST_200600_302600_NS6detail15normal_iteratorINSA_10device_ptrIiEEEEPS6_SG_NS0_5tupleIJSF_S6_EEENSH_IJSG_SG_EEES6_PlJ5mod_3IiEEEE10hipError_tPvRmT3_T4_T5_T6_T7_T9_mT8_P12ihipStream_tbDpT10_ENKUlT_T0_E_clISt17integral_constantIbLb0EES16_EEDaS11_S12_EUlS11_E_NS1_11comp_targetILNS1_3genE10ELNS1_11target_archE1200ELNS1_3gpuE4ELNS1_3repE0EEENS1_30default_config_static_selectorELNS0_4arch9wavefront6targetE0EEEvT1_,comdat
	.protected	_ZN7rocprim17ROCPRIM_400000_NS6detail17trampoline_kernelINS0_14default_configENS1_25partition_config_selectorILNS1_17partition_subalgoE6EiNS0_10empty_typeEbEEZZNS1_14partition_implILS5_6ELb0ES3_mN6thrust23THRUST_200600_302600_NS6detail15normal_iteratorINSA_10device_ptrIiEEEEPS6_SG_NS0_5tupleIJSF_S6_EEENSH_IJSG_SG_EEES6_PlJ5mod_3IiEEEE10hipError_tPvRmT3_T4_T5_T6_T7_T9_mT8_P12ihipStream_tbDpT10_ENKUlT_T0_E_clISt17integral_constantIbLb0EES16_EEDaS11_S12_EUlS11_E_NS1_11comp_targetILNS1_3genE10ELNS1_11target_archE1200ELNS1_3gpuE4ELNS1_3repE0EEENS1_30default_config_static_selectorELNS0_4arch9wavefront6targetE0EEEvT1_ ; -- Begin function _ZN7rocprim17ROCPRIM_400000_NS6detail17trampoline_kernelINS0_14default_configENS1_25partition_config_selectorILNS1_17partition_subalgoE6EiNS0_10empty_typeEbEEZZNS1_14partition_implILS5_6ELb0ES3_mN6thrust23THRUST_200600_302600_NS6detail15normal_iteratorINSA_10device_ptrIiEEEEPS6_SG_NS0_5tupleIJSF_S6_EEENSH_IJSG_SG_EEES6_PlJ5mod_3IiEEEE10hipError_tPvRmT3_T4_T5_T6_T7_T9_mT8_P12ihipStream_tbDpT10_ENKUlT_T0_E_clISt17integral_constantIbLb0EES16_EEDaS11_S12_EUlS11_E_NS1_11comp_targetILNS1_3genE10ELNS1_11target_archE1200ELNS1_3gpuE4ELNS1_3repE0EEENS1_30default_config_static_selectorELNS0_4arch9wavefront6targetE0EEEvT1_
	.globl	_ZN7rocprim17ROCPRIM_400000_NS6detail17trampoline_kernelINS0_14default_configENS1_25partition_config_selectorILNS1_17partition_subalgoE6EiNS0_10empty_typeEbEEZZNS1_14partition_implILS5_6ELb0ES3_mN6thrust23THRUST_200600_302600_NS6detail15normal_iteratorINSA_10device_ptrIiEEEEPS6_SG_NS0_5tupleIJSF_S6_EEENSH_IJSG_SG_EEES6_PlJ5mod_3IiEEEE10hipError_tPvRmT3_T4_T5_T6_T7_T9_mT8_P12ihipStream_tbDpT10_ENKUlT_T0_E_clISt17integral_constantIbLb0EES16_EEDaS11_S12_EUlS11_E_NS1_11comp_targetILNS1_3genE10ELNS1_11target_archE1200ELNS1_3gpuE4ELNS1_3repE0EEENS1_30default_config_static_selectorELNS0_4arch9wavefront6targetE0EEEvT1_
	.p2align	8
	.type	_ZN7rocprim17ROCPRIM_400000_NS6detail17trampoline_kernelINS0_14default_configENS1_25partition_config_selectorILNS1_17partition_subalgoE6EiNS0_10empty_typeEbEEZZNS1_14partition_implILS5_6ELb0ES3_mN6thrust23THRUST_200600_302600_NS6detail15normal_iteratorINSA_10device_ptrIiEEEEPS6_SG_NS0_5tupleIJSF_S6_EEENSH_IJSG_SG_EEES6_PlJ5mod_3IiEEEE10hipError_tPvRmT3_T4_T5_T6_T7_T9_mT8_P12ihipStream_tbDpT10_ENKUlT_T0_E_clISt17integral_constantIbLb0EES16_EEDaS11_S12_EUlS11_E_NS1_11comp_targetILNS1_3genE10ELNS1_11target_archE1200ELNS1_3gpuE4ELNS1_3repE0EEENS1_30default_config_static_selectorELNS0_4arch9wavefront6targetE0EEEvT1_,@function
_ZN7rocprim17ROCPRIM_400000_NS6detail17trampoline_kernelINS0_14default_configENS1_25partition_config_selectorILNS1_17partition_subalgoE6EiNS0_10empty_typeEbEEZZNS1_14partition_implILS5_6ELb0ES3_mN6thrust23THRUST_200600_302600_NS6detail15normal_iteratorINSA_10device_ptrIiEEEEPS6_SG_NS0_5tupleIJSF_S6_EEENSH_IJSG_SG_EEES6_PlJ5mod_3IiEEEE10hipError_tPvRmT3_T4_T5_T6_T7_T9_mT8_P12ihipStream_tbDpT10_ENKUlT_T0_E_clISt17integral_constantIbLb0EES16_EEDaS11_S12_EUlS11_E_NS1_11comp_targetILNS1_3genE10ELNS1_11target_archE1200ELNS1_3gpuE4ELNS1_3repE0EEENS1_30default_config_static_selectorELNS0_4arch9wavefront6targetE0EEEvT1_: ; @_ZN7rocprim17ROCPRIM_400000_NS6detail17trampoline_kernelINS0_14default_configENS1_25partition_config_selectorILNS1_17partition_subalgoE6EiNS0_10empty_typeEbEEZZNS1_14partition_implILS5_6ELb0ES3_mN6thrust23THRUST_200600_302600_NS6detail15normal_iteratorINSA_10device_ptrIiEEEEPS6_SG_NS0_5tupleIJSF_S6_EEENSH_IJSG_SG_EEES6_PlJ5mod_3IiEEEE10hipError_tPvRmT3_T4_T5_T6_T7_T9_mT8_P12ihipStream_tbDpT10_ENKUlT_T0_E_clISt17integral_constantIbLb0EES16_EEDaS11_S12_EUlS11_E_NS1_11comp_targetILNS1_3genE10ELNS1_11target_archE1200ELNS1_3gpuE4ELNS1_3repE0EEENS1_30default_config_static_selectorELNS0_4arch9wavefront6targetE0EEEvT1_
; %bb.0:
	.section	.rodata,"a",@progbits
	.p2align	6, 0x0
	.amdhsa_kernel _ZN7rocprim17ROCPRIM_400000_NS6detail17trampoline_kernelINS0_14default_configENS1_25partition_config_selectorILNS1_17partition_subalgoE6EiNS0_10empty_typeEbEEZZNS1_14partition_implILS5_6ELb0ES3_mN6thrust23THRUST_200600_302600_NS6detail15normal_iteratorINSA_10device_ptrIiEEEEPS6_SG_NS0_5tupleIJSF_S6_EEENSH_IJSG_SG_EEES6_PlJ5mod_3IiEEEE10hipError_tPvRmT3_T4_T5_T6_T7_T9_mT8_P12ihipStream_tbDpT10_ENKUlT_T0_E_clISt17integral_constantIbLb0EES16_EEDaS11_S12_EUlS11_E_NS1_11comp_targetILNS1_3genE10ELNS1_11target_archE1200ELNS1_3gpuE4ELNS1_3repE0EEENS1_30default_config_static_selectorELNS0_4arch9wavefront6targetE0EEEvT1_
		.amdhsa_group_segment_fixed_size 0
		.amdhsa_private_segment_fixed_size 0
		.amdhsa_kernarg_size 112
		.amdhsa_user_sgpr_count 15
		.amdhsa_user_sgpr_dispatch_ptr 0
		.amdhsa_user_sgpr_queue_ptr 0
		.amdhsa_user_sgpr_kernarg_segment_ptr 1
		.amdhsa_user_sgpr_dispatch_id 0
		.amdhsa_user_sgpr_private_segment_size 0
		.amdhsa_wavefront_size32 1
		.amdhsa_uses_dynamic_stack 0
		.amdhsa_enable_private_segment 0
		.amdhsa_system_sgpr_workgroup_id_x 1
		.amdhsa_system_sgpr_workgroup_id_y 0
		.amdhsa_system_sgpr_workgroup_id_z 0
		.amdhsa_system_sgpr_workgroup_info 0
		.amdhsa_system_vgpr_workitem_id 0
		.amdhsa_next_free_vgpr 1
		.amdhsa_next_free_sgpr 1
		.amdhsa_reserve_vcc 0
		.amdhsa_float_round_mode_32 0
		.amdhsa_float_round_mode_16_64 0
		.amdhsa_float_denorm_mode_32 3
		.amdhsa_float_denorm_mode_16_64 3
		.amdhsa_dx10_clamp 1
		.amdhsa_ieee_mode 1
		.amdhsa_fp16_overflow 0
		.amdhsa_workgroup_processor_mode 1
		.amdhsa_memory_ordered 1
		.amdhsa_forward_progress 0
		.amdhsa_shared_vgpr_count 0
		.amdhsa_exception_fp_ieee_invalid_op 0
		.amdhsa_exception_fp_denorm_src 0
		.amdhsa_exception_fp_ieee_div_zero 0
		.amdhsa_exception_fp_ieee_overflow 0
		.amdhsa_exception_fp_ieee_underflow 0
		.amdhsa_exception_fp_ieee_inexact 0
		.amdhsa_exception_int_div_zero 0
	.end_amdhsa_kernel
	.section	.text._ZN7rocprim17ROCPRIM_400000_NS6detail17trampoline_kernelINS0_14default_configENS1_25partition_config_selectorILNS1_17partition_subalgoE6EiNS0_10empty_typeEbEEZZNS1_14partition_implILS5_6ELb0ES3_mN6thrust23THRUST_200600_302600_NS6detail15normal_iteratorINSA_10device_ptrIiEEEEPS6_SG_NS0_5tupleIJSF_S6_EEENSH_IJSG_SG_EEES6_PlJ5mod_3IiEEEE10hipError_tPvRmT3_T4_T5_T6_T7_T9_mT8_P12ihipStream_tbDpT10_ENKUlT_T0_E_clISt17integral_constantIbLb0EES16_EEDaS11_S12_EUlS11_E_NS1_11comp_targetILNS1_3genE10ELNS1_11target_archE1200ELNS1_3gpuE4ELNS1_3repE0EEENS1_30default_config_static_selectorELNS0_4arch9wavefront6targetE0EEEvT1_,"axG",@progbits,_ZN7rocprim17ROCPRIM_400000_NS6detail17trampoline_kernelINS0_14default_configENS1_25partition_config_selectorILNS1_17partition_subalgoE6EiNS0_10empty_typeEbEEZZNS1_14partition_implILS5_6ELb0ES3_mN6thrust23THRUST_200600_302600_NS6detail15normal_iteratorINSA_10device_ptrIiEEEEPS6_SG_NS0_5tupleIJSF_S6_EEENSH_IJSG_SG_EEES6_PlJ5mod_3IiEEEE10hipError_tPvRmT3_T4_T5_T6_T7_T9_mT8_P12ihipStream_tbDpT10_ENKUlT_T0_E_clISt17integral_constantIbLb0EES16_EEDaS11_S12_EUlS11_E_NS1_11comp_targetILNS1_3genE10ELNS1_11target_archE1200ELNS1_3gpuE4ELNS1_3repE0EEENS1_30default_config_static_selectorELNS0_4arch9wavefront6targetE0EEEvT1_,comdat
.Lfunc_end589:
	.size	_ZN7rocprim17ROCPRIM_400000_NS6detail17trampoline_kernelINS0_14default_configENS1_25partition_config_selectorILNS1_17partition_subalgoE6EiNS0_10empty_typeEbEEZZNS1_14partition_implILS5_6ELb0ES3_mN6thrust23THRUST_200600_302600_NS6detail15normal_iteratorINSA_10device_ptrIiEEEEPS6_SG_NS0_5tupleIJSF_S6_EEENSH_IJSG_SG_EEES6_PlJ5mod_3IiEEEE10hipError_tPvRmT3_T4_T5_T6_T7_T9_mT8_P12ihipStream_tbDpT10_ENKUlT_T0_E_clISt17integral_constantIbLb0EES16_EEDaS11_S12_EUlS11_E_NS1_11comp_targetILNS1_3genE10ELNS1_11target_archE1200ELNS1_3gpuE4ELNS1_3repE0EEENS1_30default_config_static_selectorELNS0_4arch9wavefront6targetE0EEEvT1_, .Lfunc_end589-_ZN7rocprim17ROCPRIM_400000_NS6detail17trampoline_kernelINS0_14default_configENS1_25partition_config_selectorILNS1_17partition_subalgoE6EiNS0_10empty_typeEbEEZZNS1_14partition_implILS5_6ELb0ES3_mN6thrust23THRUST_200600_302600_NS6detail15normal_iteratorINSA_10device_ptrIiEEEEPS6_SG_NS0_5tupleIJSF_S6_EEENSH_IJSG_SG_EEES6_PlJ5mod_3IiEEEE10hipError_tPvRmT3_T4_T5_T6_T7_T9_mT8_P12ihipStream_tbDpT10_ENKUlT_T0_E_clISt17integral_constantIbLb0EES16_EEDaS11_S12_EUlS11_E_NS1_11comp_targetILNS1_3genE10ELNS1_11target_archE1200ELNS1_3gpuE4ELNS1_3repE0EEENS1_30default_config_static_selectorELNS0_4arch9wavefront6targetE0EEEvT1_
                                        ; -- End function
	.section	.AMDGPU.csdata,"",@progbits
; Kernel info:
; codeLenInByte = 0
; NumSgprs: 0
; NumVgprs: 0
; ScratchSize: 0
; MemoryBound: 0
; FloatMode: 240
; IeeeMode: 1
; LDSByteSize: 0 bytes/workgroup (compile time only)
; SGPRBlocks: 0
; VGPRBlocks: 0
; NumSGPRsForWavesPerEU: 1
; NumVGPRsForWavesPerEU: 1
; Occupancy: 15
; WaveLimiterHint : 0
; COMPUTE_PGM_RSRC2:SCRATCH_EN: 0
; COMPUTE_PGM_RSRC2:USER_SGPR: 15
; COMPUTE_PGM_RSRC2:TRAP_HANDLER: 0
; COMPUTE_PGM_RSRC2:TGID_X_EN: 1
; COMPUTE_PGM_RSRC2:TGID_Y_EN: 0
; COMPUTE_PGM_RSRC2:TGID_Z_EN: 0
; COMPUTE_PGM_RSRC2:TIDIG_COMP_CNT: 0
	.section	.text._ZN7rocprim17ROCPRIM_400000_NS6detail17trampoline_kernelINS0_14default_configENS1_25partition_config_selectorILNS1_17partition_subalgoE6EiNS0_10empty_typeEbEEZZNS1_14partition_implILS5_6ELb0ES3_mN6thrust23THRUST_200600_302600_NS6detail15normal_iteratorINSA_10device_ptrIiEEEEPS6_SG_NS0_5tupleIJSF_S6_EEENSH_IJSG_SG_EEES6_PlJ5mod_3IiEEEE10hipError_tPvRmT3_T4_T5_T6_T7_T9_mT8_P12ihipStream_tbDpT10_ENKUlT_T0_E_clISt17integral_constantIbLb0EES16_EEDaS11_S12_EUlS11_E_NS1_11comp_targetILNS1_3genE9ELNS1_11target_archE1100ELNS1_3gpuE3ELNS1_3repE0EEENS1_30default_config_static_selectorELNS0_4arch9wavefront6targetE0EEEvT1_,"axG",@progbits,_ZN7rocprim17ROCPRIM_400000_NS6detail17trampoline_kernelINS0_14default_configENS1_25partition_config_selectorILNS1_17partition_subalgoE6EiNS0_10empty_typeEbEEZZNS1_14partition_implILS5_6ELb0ES3_mN6thrust23THRUST_200600_302600_NS6detail15normal_iteratorINSA_10device_ptrIiEEEEPS6_SG_NS0_5tupleIJSF_S6_EEENSH_IJSG_SG_EEES6_PlJ5mod_3IiEEEE10hipError_tPvRmT3_T4_T5_T6_T7_T9_mT8_P12ihipStream_tbDpT10_ENKUlT_T0_E_clISt17integral_constantIbLb0EES16_EEDaS11_S12_EUlS11_E_NS1_11comp_targetILNS1_3genE9ELNS1_11target_archE1100ELNS1_3gpuE3ELNS1_3repE0EEENS1_30default_config_static_selectorELNS0_4arch9wavefront6targetE0EEEvT1_,comdat
	.protected	_ZN7rocprim17ROCPRIM_400000_NS6detail17trampoline_kernelINS0_14default_configENS1_25partition_config_selectorILNS1_17partition_subalgoE6EiNS0_10empty_typeEbEEZZNS1_14partition_implILS5_6ELb0ES3_mN6thrust23THRUST_200600_302600_NS6detail15normal_iteratorINSA_10device_ptrIiEEEEPS6_SG_NS0_5tupleIJSF_S6_EEENSH_IJSG_SG_EEES6_PlJ5mod_3IiEEEE10hipError_tPvRmT3_T4_T5_T6_T7_T9_mT8_P12ihipStream_tbDpT10_ENKUlT_T0_E_clISt17integral_constantIbLb0EES16_EEDaS11_S12_EUlS11_E_NS1_11comp_targetILNS1_3genE9ELNS1_11target_archE1100ELNS1_3gpuE3ELNS1_3repE0EEENS1_30default_config_static_selectorELNS0_4arch9wavefront6targetE0EEEvT1_ ; -- Begin function _ZN7rocprim17ROCPRIM_400000_NS6detail17trampoline_kernelINS0_14default_configENS1_25partition_config_selectorILNS1_17partition_subalgoE6EiNS0_10empty_typeEbEEZZNS1_14partition_implILS5_6ELb0ES3_mN6thrust23THRUST_200600_302600_NS6detail15normal_iteratorINSA_10device_ptrIiEEEEPS6_SG_NS0_5tupleIJSF_S6_EEENSH_IJSG_SG_EEES6_PlJ5mod_3IiEEEE10hipError_tPvRmT3_T4_T5_T6_T7_T9_mT8_P12ihipStream_tbDpT10_ENKUlT_T0_E_clISt17integral_constantIbLb0EES16_EEDaS11_S12_EUlS11_E_NS1_11comp_targetILNS1_3genE9ELNS1_11target_archE1100ELNS1_3gpuE3ELNS1_3repE0EEENS1_30default_config_static_selectorELNS0_4arch9wavefront6targetE0EEEvT1_
	.globl	_ZN7rocprim17ROCPRIM_400000_NS6detail17trampoline_kernelINS0_14default_configENS1_25partition_config_selectorILNS1_17partition_subalgoE6EiNS0_10empty_typeEbEEZZNS1_14partition_implILS5_6ELb0ES3_mN6thrust23THRUST_200600_302600_NS6detail15normal_iteratorINSA_10device_ptrIiEEEEPS6_SG_NS0_5tupleIJSF_S6_EEENSH_IJSG_SG_EEES6_PlJ5mod_3IiEEEE10hipError_tPvRmT3_T4_T5_T6_T7_T9_mT8_P12ihipStream_tbDpT10_ENKUlT_T0_E_clISt17integral_constantIbLb0EES16_EEDaS11_S12_EUlS11_E_NS1_11comp_targetILNS1_3genE9ELNS1_11target_archE1100ELNS1_3gpuE3ELNS1_3repE0EEENS1_30default_config_static_selectorELNS0_4arch9wavefront6targetE0EEEvT1_
	.p2align	8
	.type	_ZN7rocprim17ROCPRIM_400000_NS6detail17trampoline_kernelINS0_14default_configENS1_25partition_config_selectorILNS1_17partition_subalgoE6EiNS0_10empty_typeEbEEZZNS1_14partition_implILS5_6ELb0ES3_mN6thrust23THRUST_200600_302600_NS6detail15normal_iteratorINSA_10device_ptrIiEEEEPS6_SG_NS0_5tupleIJSF_S6_EEENSH_IJSG_SG_EEES6_PlJ5mod_3IiEEEE10hipError_tPvRmT3_T4_T5_T6_T7_T9_mT8_P12ihipStream_tbDpT10_ENKUlT_T0_E_clISt17integral_constantIbLb0EES16_EEDaS11_S12_EUlS11_E_NS1_11comp_targetILNS1_3genE9ELNS1_11target_archE1100ELNS1_3gpuE3ELNS1_3repE0EEENS1_30default_config_static_selectorELNS0_4arch9wavefront6targetE0EEEvT1_,@function
_ZN7rocprim17ROCPRIM_400000_NS6detail17trampoline_kernelINS0_14default_configENS1_25partition_config_selectorILNS1_17partition_subalgoE6EiNS0_10empty_typeEbEEZZNS1_14partition_implILS5_6ELb0ES3_mN6thrust23THRUST_200600_302600_NS6detail15normal_iteratorINSA_10device_ptrIiEEEEPS6_SG_NS0_5tupleIJSF_S6_EEENSH_IJSG_SG_EEES6_PlJ5mod_3IiEEEE10hipError_tPvRmT3_T4_T5_T6_T7_T9_mT8_P12ihipStream_tbDpT10_ENKUlT_T0_E_clISt17integral_constantIbLb0EES16_EEDaS11_S12_EUlS11_E_NS1_11comp_targetILNS1_3genE9ELNS1_11target_archE1100ELNS1_3gpuE3ELNS1_3repE0EEENS1_30default_config_static_selectorELNS0_4arch9wavefront6targetE0EEEvT1_: ; @_ZN7rocprim17ROCPRIM_400000_NS6detail17trampoline_kernelINS0_14default_configENS1_25partition_config_selectorILNS1_17partition_subalgoE6EiNS0_10empty_typeEbEEZZNS1_14partition_implILS5_6ELb0ES3_mN6thrust23THRUST_200600_302600_NS6detail15normal_iteratorINSA_10device_ptrIiEEEEPS6_SG_NS0_5tupleIJSF_S6_EEENSH_IJSG_SG_EEES6_PlJ5mod_3IiEEEE10hipError_tPvRmT3_T4_T5_T6_T7_T9_mT8_P12ihipStream_tbDpT10_ENKUlT_T0_E_clISt17integral_constantIbLb0EES16_EEDaS11_S12_EUlS11_E_NS1_11comp_targetILNS1_3genE9ELNS1_11target_archE1100ELNS1_3gpuE3ELNS1_3repE0EEENS1_30default_config_static_selectorELNS0_4arch9wavefront6targetE0EEEvT1_
; %bb.0:
	s_clause 0x3
	s_load_b128 s[8:11], s[0:1], 0x8
	s_load_b128 s[4:7], s[0:1], 0x40
	s_load_b32 s14, s[0:1], 0x68
	s_load_b64 s[16:17], s[0:1], 0x50
	v_lshlrev_b32_e32 v17, 2, v0
	s_waitcnt lgkmcnt(0)
	s_lshl_b64 s[12:13], s[10:11], 2
	s_load_b64 s[2:3], s[6:7], 0x0
	s_mul_i32 s6, s14, 0x700
	s_add_u32 s8, s8, s12
	s_addc_u32 s9, s9, s13
	s_add_i32 s7, s6, s10
	s_add_i32 s14, s14, -1
	s_sub_i32 s12, s16, s7
	s_add_u32 s6, s10, s6
	s_addc_u32 s7, s11, 0
	s_cmp_eq_u32 s15, s14
	v_cmp_ge_u64_e64 s11, s[6:7], s[16:17]
	s_cselect_b32 s10, -1, 0
	s_mov_b32 s7, 0
	s_mul_i32 s6, s15, 0x700
	s_delay_alu instid0(SALU_CYCLE_1) | instskip(NEXT) | instid1(VALU_DEP_1)
	s_lshl_b64 s[6:7], s[6:7], 2
	s_and_b32 s11, s10, s11
	s_delay_alu instid0(SALU_CYCLE_1)
	s_xor_b32 s11, s11, -1
	s_add_u32 s6, s8, s6
	s_addc_u32 s7, s9, s7
	s_and_b32 vcc_lo, exec_lo, s11
	s_mov_b32 s8, -1
	s_cbranch_vccz .LBB590_2
; %bb.1:
	v_add_co_u32 v1, s8, s6, v17
	s_delay_alu instid0(VALU_DEP_1) | instskip(SKIP_1) | instid1(VALU_DEP_2)
	v_add_co_ci_u32_e64 v2, null, s7, 0, s8
	s_mov_b32 s8, 0
	v_add_co_u32 v3, vcc_lo, 0x1000, v1
	s_delay_alu instid0(VALU_DEP_2)
	v_add_co_ci_u32_e32 v4, vcc_lo, 0, v2, vcc_lo
	s_clause 0xd
	flat_load_b32 v5, v[1:2]
	flat_load_b32 v6, v[1:2] offset:512
	flat_load_b32 v7, v[1:2] offset:1024
	;; [unrolled: 1-line block ×7, first 2 shown]
	flat_load_b32 v2, v[3:4]
	flat_load_b32 v12, v[3:4] offset:512
	flat_load_b32 v13, v[3:4] offset:1024
	;; [unrolled: 1-line block ×5, first 2 shown]
	s_waitcnt vmcnt(12) lgkmcnt(0)
	ds_store_2addr_stride64_b32 v17, v5, v6 offset1:2
	s_waitcnt vmcnt(10)
	ds_store_2addr_stride64_b32 v17, v7, v8 offset0:4 offset1:6
	s_waitcnt vmcnt(8)
	ds_store_2addr_stride64_b32 v17, v9, v10 offset0:8 offset1:10
	;; [unrolled: 2-line block ×6, first 2 shown]
	s_waitcnt lgkmcnt(0)
	s_barrier
.LBB590_2:
	s_and_not1_b32 vcc_lo, exec_lo, s8
	s_addk_i32 s12, 0x700
	s_cbranch_vccnz .LBB590_32
; %bb.3:
	s_mov_b32 s8, exec_lo
                                        ; implicit-def: $vgpr1_vgpr2_vgpr3_vgpr4_vgpr5_vgpr6_vgpr7_vgpr8_vgpr9_vgpr10_vgpr11_vgpr12_vgpr13_vgpr14_vgpr15_vgpr16
	v_cmpx_gt_u32_e64 s12, v0
	s_cbranch_execz .LBB590_5
; %bb.4:
	v_add_co_u32 v1, s9, s6, v17
	s_delay_alu instid0(VALU_DEP_1)
	v_add_co_ci_u32_e64 v2, null, s7, 0, s9
	flat_load_b32 v1, v[1:2]
.LBB590_5:
	s_or_b32 exec_lo, exec_lo, s8
	v_or_b32_e32 v15, 0x80, v0
	s_mov_b32 s8, exec_lo
	s_delay_alu instid0(VALU_DEP_1)
	v_cmpx_gt_u32_e64 s12, v15
	s_cbranch_execz .LBB590_7
; %bb.6:
	v_add_co_u32 v15, s9, s6, v17
	s_delay_alu instid0(VALU_DEP_1)
	v_add_co_ci_u32_e64 v16, null, s7, 0, s9
	flat_load_b32 v2, v[15:16] offset:512
.LBB590_7:
	s_or_b32 exec_lo, exec_lo, s8
	v_or_b32_e32 v15, 0x100, v0
	s_mov_b32 s8, exec_lo
	s_delay_alu instid0(VALU_DEP_1)
	v_cmpx_gt_u32_e64 s12, v15
	s_cbranch_execz .LBB590_9
; %bb.8:
	v_add_co_u32 v15, s9, s6, v17
	s_delay_alu instid0(VALU_DEP_1)
	v_add_co_ci_u32_e64 v16, null, s7, 0, s9
	flat_load_b32 v3, v[15:16] offset:1024
.LBB590_9:
	;; [unrolled: 12-line block ×7, first 2 shown]
	s_or_b32 exec_lo, exec_lo, s8
	v_or_b32_e32 v15, 0x400, v0
	s_mov_b32 s8, exec_lo
	s_delay_alu instid0(VALU_DEP_1)
	v_cmpx_gt_u32_e64 s12, v15
	s_cbranch_execz .LBB590_21
; %bb.20:
	v_lshlrev_b32_e32 v9, 2, v15
	s_delay_alu instid0(VALU_DEP_1) | instskip(NEXT) | instid1(VALU_DEP_1)
	v_add_co_u32 v15, s9, s6, v9
	v_add_co_ci_u32_e64 v16, null, s7, 0, s9
	flat_load_b32 v9, v[15:16]
.LBB590_21:
	s_or_b32 exec_lo, exec_lo, s8
	v_or_b32_e32 v15, 0x480, v0
	s_mov_b32 s8, exec_lo
	s_delay_alu instid0(VALU_DEP_1)
	v_cmpx_gt_u32_e64 s12, v15
	s_cbranch_execz .LBB590_23
; %bb.22:
	v_lshlrev_b32_e32 v10, 2, v15
	s_delay_alu instid0(VALU_DEP_1) | instskip(NEXT) | instid1(VALU_DEP_1)
	v_add_co_u32 v15, s9, s6, v10
	v_add_co_ci_u32_e64 v16, null, s7, 0, s9
	flat_load_b32 v10, v[15:16]
.LBB590_23:
	;; [unrolled: 13-line block ×6, first 2 shown]
	s_or_b32 exec_lo, exec_lo, s8
	s_waitcnt vmcnt(0) lgkmcnt(0)
	ds_store_2addr_stride64_b32 v17, v1, v2 offset1:2
	ds_store_2addr_stride64_b32 v17, v3, v4 offset0:4 offset1:6
	ds_store_2addr_stride64_b32 v17, v5, v6 offset0:8 offset1:10
	;; [unrolled: 1-line block ×6, first 2 shown]
	s_waitcnt lgkmcnt(0)
	s_barrier
.LBB590_32:
	v_mul_u32_u24_e32 v1, 14, v0
	s_waitcnt lgkmcnt(0)
	buffer_gl0_inv
	s_and_not1_b32 vcc_lo, exec_lo, s11
	v_lshlrev_b32_e32 v61, 2, v1
	ds_load_2addr_b64 v[41:44], v61 offset1:1
	ds_load_2addr_b64 v[37:40], v61 offset0:2 offset1:3
	ds_load_2addr_b64 v[33:36], v61 offset0:4 offset1:5
	ds_load_b64 v[49:50], v61 offset:48
	s_waitcnt lgkmcnt(0)
	s_barrier
	buffer_gl0_inv
	s_cbranch_vccnz .LBB590_34
; %bb.33:
	v_mul_lo_u32 v2, 0xaaaaaaab, v41
	v_mul_lo_u32 v3, 0xaaaaaaab, v42
	;; [unrolled: 1-line block ×8, first 2 shown]
	v_cmp_lt_u32_e32 vcc_lo, 0x55555555, v2
	v_mul_lo_u32 v10, 0xaaaaaaab, v33
	v_mul_lo_u32 v11, 0xaaaaaaab, v34
	;; [unrolled: 1-line block ×4, first 2 shown]
	v_cndmask_b32_e64 v2, 0, 1, vcc_lo
	v_cmp_lt_u32_e32 vcc_lo, 0x55555555, v3
	v_mul_lo_u32 v14, 0xaaaaaaab, v49
	v_cndmask_b32_e64 v3, 0, 1, vcc_lo
	v_cmp_lt_u32_e32 vcc_lo, 0x55555555, v4
	s_delay_alu instid0(VALU_DEP_2) | instskip(SKIP_2) | instid1(VALU_DEP_3)
	v_lshlrev_b16 v3, 8, v3
	v_cndmask_b32_e64 v4, 0, 1, vcc_lo
	v_cmp_lt_u32_e32 vcc_lo, 0x55555555, v5
	v_or_b32_e32 v2, v2, v3
	v_cndmask_b32_e64 v5, 0, 1, vcc_lo
	v_cmp_lt_u32_e32 vcc_lo, 0x55555555, v6
	s_delay_alu instid0(VALU_DEP_3) | instskip(NEXT) | instid1(VALU_DEP_3)
	v_and_b32_e32 v2, 0xffff, v2
	v_lshlrev_b16 v5, 8, v5
	v_cndmask_b32_e64 v6, 0, 1, vcc_lo
	v_cmp_lt_u32_e32 vcc_lo, 0x55555555, v7
	s_delay_alu instid0(VALU_DEP_3) | instskip(SKIP_2) | instid1(VALU_DEP_3)
	v_or_b32_e32 v4, v4, v5
	v_cndmask_b32_e64 v7, 0, 1, vcc_lo
	v_cmp_lt_u32_e32 vcc_lo, 0x55555555, v8
	v_lshlrev_b32_e32 v4, 16, v4
	s_delay_alu instid0(VALU_DEP_3) | instskip(SKIP_2) | instid1(VALU_DEP_4)
	v_lshlrev_b16 v7, 8, v7
	v_cndmask_b32_e64 v8, 0, 1, vcc_lo
	v_cmp_lt_u32_e32 vcc_lo, 0x55555555, v9
	v_or_b32_e32 v59, v2, v4
	s_delay_alu instid0(VALU_DEP_4) | instskip(SKIP_2) | instid1(VALU_DEP_3)
	v_or_b32_e32 v5, v6, v7
	v_cndmask_b32_e64 v9, 0, 1, vcc_lo
	v_cmp_lt_u32_e32 vcc_lo, 0x55555555, v10
	v_and_b32_e32 v5, 0xffff, v5
	s_delay_alu instid0(VALU_DEP_3) | instskip(SKIP_2) | instid1(VALU_DEP_3)
	v_lshlrev_b16 v9, 8, v9
	v_cndmask_b32_e64 v10, 0, 1, vcc_lo
	v_cmp_lt_u32_e32 vcc_lo, 0x55555555, v11
	v_or_b32_e32 v6, v8, v9
	v_cndmask_b32_e64 v11, 0, 1, vcc_lo
	v_cmp_lt_u32_e32 vcc_lo, 0x55555555, v12
	s_delay_alu instid0(VALU_DEP_3) | instskip(NEXT) | instid1(VALU_DEP_3)
	v_lshlrev_b32_e32 v6, 16, v6
	v_lshlrev_b16 v11, 8, v11
	v_cndmask_b32_e64 v12, 0, 1, vcc_lo
	v_cmp_lt_u32_e32 vcc_lo, 0x55555555, v13
	v_mul_lo_u32 v13, 0xaaaaaaab, v50
	v_or_b32_e32 v56, v5, v6
	v_or_b32_e32 v7, v10, v11
	v_cndmask_b32_e64 v3, 0, 1, vcc_lo
	v_cmp_lt_u32_e32 vcc_lo, 0x55555555, v14
	s_delay_alu instid0(VALU_DEP_3) | instskip(NEXT) | instid1(VALU_DEP_3)
	v_and_b32_e32 v7, 0xffff, v7
	v_lshlrev_b16 v3, 8, v3
	v_cndmask_b32_e64 v53, 0, 1, vcc_lo
	v_cmp_lt_u32_e32 vcc_lo, 0x55555555, v13
	s_delay_alu instid0(VALU_DEP_3) | instskip(SKIP_1) | instid1(VALU_DEP_2)
	v_or_b32_e32 v3, v12, v3
	v_cndmask_b32_e64 v54, 0, 1, vcc_lo
	v_lshlrev_b32_e32 v3, 16, v3
	s_delay_alu instid0(VALU_DEP_1)
	v_or_b32_e32 v55, v7, v3
	s_clause 0x1
	s_load_b64 s[6:7], s[0:1], 0x28
	s_load_b64 s[8:9], s[0:1], 0x60
	s_cbranch_execz .LBB590_35
	s_branch .LBB590_64
.LBB590_34:
                                        ; implicit-def: $vgpr54
                                        ; implicit-def: $vgpr53
                                        ; implicit-def: $vgpr55
                                        ; implicit-def: $vgpr56
                                        ; implicit-def: $vgpr59
	s_clause 0x1
	s_load_b64 s[6:7], s[0:1], 0x28
	s_load_b64 s[8:9], s[0:1], 0x60
.LBB590_35:
	v_dual_mov_b32 v3, 0 :: v_dual_mov_b32 v2, 0
	s_mov_b32 s0, exec_lo
	v_cmpx_gt_u32_e64 s12, v1
; %bb.36:
	v_mul_lo_u32 v2, 0xaaaaaaab, v41
	s_delay_alu instid0(VALU_DEP_1)
	v_cmp_lt_u32_e32 vcc_lo, 0x55555555, v2
	v_cndmask_b32_e64 v2, 0, 1, vcc_lo
; %bb.37:
	s_or_b32 exec_lo, exec_lo, s0
	v_or_b32_e32 v4, 1, v1
	s_mov_b32 s0, exec_lo
	s_delay_alu instid0(VALU_DEP_1)
	v_cmpx_gt_u32_e64 s12, v4
; %bb.38:
	v_mul_lo_u32 v3, 0xaaaaaaab, v42
	s_delay_alu instid0(VALU_DEP_1)
	v_cmp_lt_u32_e32 vcc_lo, 0x55555555, v3
	v_cndmask_b32_e64 v3, 0, 1, vcc_lo
; %bb.39:
	s_or_b32 exec_lo, exec_lo, s0
	v_dual_mov_b32 v5, 0 :: v_dual_add_nc_u32 v4, 2, v1
	s_delay_alu instid0(VALU_DEP_1)
	v_cmp_gt_u32_e32 vcc_lo, s12, v4
	v_mov_b32_e32 v4, 0
	s_and_saveexec_b32 s0, vcc_lo
; %bb.40:
	v_mul_lo_u32 v4, 0xaaaaaaab, v43
	s_delay_alu instid0(VALU_DEP_1)
	v_cmp_lt_u32_e32 vcc_lo, 0x55555555, v4
	v_cndmask_b32_e64 v4, 0, 1, vcc_lo
; %bb.41:
	s_or_b32 exec_lo, exec_lo, s0
	v_add_nc_u32_e32 v6, 3, v1
	s_mov_b32 s0, exec_lo
	s_delay_alu instid0(VALU_DEP_1)
	v_cmpx_gt_u32_e64 s12, v6
; %bb.42:
	v_mul_lo_u32 v5, 0xaaaaaaab, v44
	s_delay_alu instid0(VALU_DEP_1)
	v_cmp_lt_u32_e32 vcc_lo, 0x55555555, v5
	v_cndmask_b32_e64 v5, 0, 1, vcc_lo
; %bb.43:
	s_or_b32 exec_lo, exec_lo, s0
	v_dual_mov_b32 v7, 0 :: v_dual_add_nc_u32 v6, 4, v1
	s_delay_alu instid0(VALU_DEP_1)
	v_cmp_gt_u32_e32 vcc_lo, s12, v6
	v_mov_b32_e32 v6, 0
	s_and_saveexec_b32 s0, vcc_lo
; %bb.44:
	v_mul_lo_u32 v6, 0xaaaaaaab, v37
	s_delay_alu instid0(VALU_DEP_1)
	v_cmp_lt_u32_e32 vcc_lo, 0x55555555, v6
	v_cndmask_b32_e64 v6, 0, 1, vcc_lo
; %bb.45:
	s_or_b32 exec_lo, exec_lo, s0
	v_add_nc_u32_e32 v8, 5, v1
	;; [unrolled: 23-line block ×5, first 2 shown]
	s_mov_b32 s0, exec_lo
	s_delay_alu instid0(VALU_DEP_1)
	v_cmpx_gt_u32_e64 s12, v14
; %bb.58:
	v_mul_lo_u32 v13, 0xaaaaaaab, v36
	s_delay_alu instid0(VALU_DEP_1)
	v_cmp_lt_u32_e32 vcc_lo, 0x55555555, v13
	v_cndmask_b32_e64 v13, 0, 1, vcc_lo
; %bb.59:
	s_or_b32 exec_lo, exec_lo, s0
	v_dual_mov_b32 v53, 0 :: v_dual_add_nc_u32 v14, 12, v1
	v_mov_b32_e32 v54, 0
	s_mov_b32 s0, exec_lo
	s_delay_alu instid0(VALU_DEP_2)
	v_cmpx_gt_u32_e64 s12, v14
; %bb.60:
	v_mul_lo_u32 v14, 0xaaaaaaab, v49
	s_delay_alu instid0(VALU_DEP_1)
	v_cmp_lt_u32_e32 vcc_lo, 0x55555555, v14
	v_cndmask_b32_e64 v53, 0, 1, vcc_lo
; %bb.61:
	s_or_b32 exec_lo, exec_lo, s0
	v_add_nc_u32_e32 v1, 13, v1
	s_mov_b32 s0, exec_lo
	s_delay_alu instid0(VALU_DEP_1)
	v_cmpx_gt_u32_e64 s12, v1
; %bb.62:
	v_mul_lo_u32 v1, 0xaaaaaaab, v50
	s_delay_alu instid0(VALU_DEP_1)
	v_cmp_lt_u32_e32 vcc_lo, 0x55555555, v1
	v_cndmask_b32_e64 v54, 0, 1, vcc_lo
; %bb.63:
	s_or_b32 exec_lo, exec_lo, s0
	v_lshlrev_b16 v1, 8, v3
	v_lshlrev_b16 v3, 8, v5
	;; [unrolled: 1-line block ×5, first 2 shown]
	v_or_b32_e32 v1, v2, v1
	v_lshlrev_b16 v2, 8, v13
	v_or_b32_e32 v3, v4, v3
	v_or_b32_e32 v4, v6, v5
	v_or_b32_e32 v5, v8, v7
	v_or_b32_e32 v6, v10, v9
	v_or_b32_e32 v2, v12, v2
	v_and_b32_e32 v1, 0xffff, v1
	v_lshlrev_b32_e32 v3, 16, v3
	v_and_b32_e32 v4, 0xffff, v4
	v_lshlrev_b32_e32 v5, 16, v5
	;; [unrolled: 2-line block ×3, first 2 shown]
	v_or_b32_e32 v59, v1, v3
	s_delay_alu instid0(VALU_DEP_4) | instskip(NEXT) | instid1(VALU_DEP_3)
	v_or_b32_e32 v56, v4, v5
	v_or_b32_e32 v55, v6, v2
.LBB590_64:
	s_delay_alu instid0(VALU_DEP_3)
	v_dual_mov_b32 v2, 0 :: v_dual_and_b32 v63, 0xff, v59
	v_bfe_u32 v64, v59, 8, 8
	v_bfe_u32 v65, v59, 16, 8
	v_lshrrev_b32_e32 v60, 24, v59
	v_and_b32_e32 v66, 0xff, v56
	v_bfe_u32 v67, v56, 8, 8
	v_add_co_u32 v1, s0, v64, v63
	s_delay_alu instid0(VALU_DEP_1) | instskip(SKIP_1) | instid1(VALU_DEP_3)
	v_add_co_ci_u32_e64 v3, null, 0, 0, s0
	v_bfe_u32 v68, v56, 16, 8
	v_add_co_u32 v1, vcc_lo, v1, v65
	s_delay_alu instid0(VALU_DEP_3) | instskip(SKIP_1) | instid1(VALU_DEP_3)
	v_add_co_ci_u32_e32 v3, vcc_lo, 0, v3, vcc_lo
	v_lshrrev_b32_e32 v58, 24, v56
	v_add_co_u32 v1, vcc_lo, v1, v60
	s_delay_alu instid0(VALU_DEP_3) | instskip(SKIP_1) | instid1(VALU_DEP_3)
	v_add_co_ci_u32_e32 v3, vcc_lo, 0, v3, vcc_lo
	v_and_b32_e32 v69, 0xff, v55
	v_add_co_u32 v1, vcc_lo, v1, v66
	s_delay_alu instid0(VALU_DEP_3) | instskip(SKIP_1) | instid1(VALU_DEP_3)
	v_add_co_ci_u32_e32 v3, vcc_lo, 0, v3, vcc_lo
	v_bfe_u32 v70, v55, 8, 8
	v_add_co_u32 v1, vcc_lo, v1, v67
	s_delay_alu instid0(VALU_DEP_3) | instskip(SKIP_1) | instid1(VALU_DEP_3)
	v_add_co_ci_u32_e32 v3, vcc_lo, 0, v3, vcc_lo
	v_bfe_u32 v71, v55, 16, 8
	v_add_co_u32 v1, vcc_lo, v1, v68
	s_delay_alu instid0(VALU_DEP_3) | instskip(SKIP_1) | instid1(VALU_DEP_3)
	v_add_co_ci_u32_e32 v3, vcc_lo, 0, v3, vcc_lo
	v_lshrrev_b32_e32 v57, 24, v55
	v_add_co_u32 v1, vcc_lo, v1, v58
	s_delay_alu instid0(VALU_DEP_3) | instskip(SKIP_1) | instid1(VALU_DEP_3)
	v_add_co_ci_u32_e32 v3, vcc_lo, 0, v3, vcc_lo
	v_and_b32_e32 v62, 0xff, v53
	v_add_co_u32 v1, vcc_lo, v1, v69
	s_delay_alu instid0(VALU_DEP_3) | instskip(SKIP_1) | instid1(VALU_DEP_3)
	v_add_co_ci_u32_e32 v3, vcc_lo, 0, v3, vcc_lo
	v_mbcnt_lo_u32_b32 v72, -1, 0
	v_add_co_u32 v1, vcc_lo, v1, v70
	s_delay_alu instid0(VALU_DEP_3) | instskip(SKIP_1) | instid1(VALU_DEP_3)
	v_add_co_ci_u32_e32 v3, vcc_lo, 0, v3, vcc_lo
	v_and_b32_e32 v4, 0xff, v54
	v_add_co_u32 v1, vcc_lo, v1, v71
	s_delay_alu instid0(VALU_DEP_3) | instskip(SKIP_1) | instid1(VALU_DEP_3)
	v_add_co_ci_u32_e32 v3, vcc_lo, 0, v3, vcc_lo
	v_and_b32_e32 v73, 15, v72
	v_add_co_u32 v1, vcc_lo, v1, v57
	s_delay_alu instid0(VALU_DEP_3) | instskip(NEXT) | instid1(VALU_DEP_3)
	v_add_co_ci_u32_e32 v3, vcc_lo, 0, v3, vcc_lo
	v_cmp_ne_u32_e64 s0, 0, v73
	s_delay_alu instid0(VALU_DEP_3) | instskip(NEXT) | instid1(VALU_DEP_3)
	v_add_co_u32 v1, vcc_lo, v1, v62
	v_add_co_ci_u32_e32 v3, vcc_lo, 0, v3, vcc_lo
	s_cmp_lg_u32 s15, 0
	s_delay_alu instid0(VALU_DEP_2) | instskip(NEXT) | instid1(VALU_DEP_2)
	v_add_co_u32 v51, vcc_lo, v1, v4
	v_add_co_ci_u32_e32 v52, vcc_lo, 0, v3, vcc_lo
	s_mov_b32 s1, -1
	s_cbranch_scc0 .LBB590_124
; %bb.65:
	s_delay_alu instid0(VALU_DEP_2)
	v_mov_b32_e32 v3, v51
	v_mov_b32_dpp v1, v51 row_shr:1 row_mask:0xf bank_mask:0xf
	v_mov_b32_dpp v6, v2 row_shr:1 row_mask:0xf bank_mask:0xf
	v_dual_mov_b32 v5, v51 :: v_dual_mov_b32 v4, v52
	s_and_saveexec_b32 s1, s0
; %bb.66:
	s_delay_alu instid0(VALU_DEP_3) | instskip(SKIP_1) | instid1(VALU_DEP_2)
	v_add_co_u32 v5, vcc_lo, v51, v1
	v_add_co_ci_u32_e32 v2, vcc_lo, 0, v52, vcc_lo
	v_add_co_u32 v1, vcc_lo, 0, v5
	s_delay_alu instid0(VALU_DEP_2) | instskip(NEXT) | instid1(VALU_DEP_1)
	v_add_co_ci_u32_e32 v2, vcc_lo, v6, v2, vcc_lo
	v_dual_mov_b32 v4, v2 :: v_dual_mov_b32 v3, v1
; %bb.67:
	s_or_b32 exec_lo, exec_lo, s1
	v_mov_b32_dpp v1, v5 row_shr:2 row_mask:0xf bank_mask:0xf
	v_mov_b32_dpp v6, v2 row_shr:2 row_mask:0xf bank_mask:0xf
	s_mov_b32 s1, exec_lo
	v_cmpx_lt_u32_e32 1, v73
; %bb.68:
	s_delay_alu instid0(VALU_DEP_3) | instskip(SKIP_1) | instid1(VALU_DEP_2)
	v_add_co_u32 v5, vcc_lo, v3, v1
	v_add_co_ci_u32_e32 v2, vcc_lo, 0, v4, vcc_lo
	v_add_co_u32 v1, vcc_lo, 0, v5
	s_delay_alu instid0(VALU_DEP_2) | instskip(NEXT) | instid1(VALU_DEP_1)
	v_add_co_ci_u32_e32 v2, vcc_lo, v6, v2, vcc_lo
	v_dual_mov_b32 v4, v2 :: v_dual_mov_b32 v3, v1
; %bb.69:
	s_or_b32 exec_lo, exec_lo, s1
	v_mov_b32_dpp v1, v5 row_shr:4 row_mask:0xf bank_mask:0xf
	v_mov_b32_dpp v6, v2 row_shr:4 row_mask:0xf bank_mask:0xf
	s_mov_b32 s1, exec_lo
	v_cmpx_lt_u32_e32 3, v73
	;; [unrolled: 14-line block ×3, first 2 shown]
; %bb.72:
	s_delay_alu instid0(VALU_DEP_3) | instskip(SKIP_1) | instid1(VALU_DEP_2)
	v_add_co_u32 v5, vcc_lo, v3, v6
	v_add_co_ci_u32_e32 v2, vcc_lo, 0, v4, vcc_lo
	v_add_co_u32 v3, vcc_lo, 0, v5
	s_delay_alu instid0(VALU_DEP_2) | instskip(NEXT) | instid1(VALU_DEP_1)
	v_add_co_ci_u32_e32 v4, vcc_lo, v1, v2, vcc_lo
	v_mov_b32_e32 v2, v4
; %bb.73:
	s_or_b32 exec_lo, exec_lo, s1
	ds_swizzle_b32 v1, v5 offset:swizzle(BROADCAST,32,15)
	ds_swizzle_b32 v6, v2 offset:swizzle(BROADCAST,32,15)
	v_and_b32_e32 v7, 16, v72
	s_mov_b32 s1, exec_lo
	s_delay_alu instid0(VALU_DEP_1)
	v_cmpx_ne_u32_e32 0, v7
	s_cbranch_execz .LBB590_75
; %bb.74:
	s_waitcnt lgkmcnt(0)
	v_add_co_u32 v5, vcc_lo, v3, v1
	v_add_co_ci_u32_e32 v2, vcc_lo, 0, v4, vcc_lo
	s_delay_alu instid0(VALU_DEP_2) | instskip(NEXT) | instid1(VALU_DEP_2)
	v_add_co_u32 v1, vcc_lo, 0, v5
	v_add_co_ci_u32_e32 v2, vcc_lo, v6, v2, vcc_lo
	s_delay_alu instid0(VALU_DEP_1)
	v_dual_mov_b32 v4, v2 :: v_dual_mov_b32 v3, v1
.LBB590_75:
	s_or_b32 exec_lo, exec_lo, s1
	s_waitcnt lgkmcnt(0)
	v_or_b32_e32 v6, 31, v0
	v_lshrrev_b32_e32 v1, 5, v0
	s_mov_b32 s1, exec_lo
	s_delay_alu instid0(VALU_DEP_2)
	v_cmpx_eq_u32_e64 v6, v0
	s_cbranch_execz .LBB590_77
; %bb.76:
	s_delay_alu instid0(VALU_DEP_2)
	v_lshlrev_b32_e32 v6, 3, v1
	ds_store_b64 v6, v[3:4]
.LBB590_77:
	s_or_b32 exec_lo, exec_lo, s1
	s_delay_alu instid0(SALU_CYCLE_1)
	s_mov_b32 s1, exec_lo
	s_waitcnt lgkmcnt(0)
	s_barrier
	buffer_gl0_inv
	v_cmpx_gt_u32_e32 4, v0
	s_cbranch_execz .LBB590_83
; %bb.78:
	v_lshlrev_b32_e32 v6, 3, v0
	s_mov_b32 s12, exec_lo
	ds_load_b64 v[3:4], v6
	s_waitcnt lgkmcnt(0)
	v_dual_mov_b32 v8, v3 :: v_dual_and_b32 v7, 3, v72
	v_mov_b32_dpp v10, v3 row_shr:1 row_mask:0xf bank_mask:0xf
	v_mov_b32_dpp v9, v4 row_shr:1 row_mask:0xf bank_mask:0xf
	s_delay_alu instid0(VALU_DEP_3)
	v_cmpx_ne_u32_e32 0, v7
; %bb.79:
	s_delay_alu instid0(VALU_DEP_3) | instskip(SKIP_1) | instid1(VALU_DEP_2)
	v_add_co_u32 v8, vcc_lo, v3, v10
	v_add_co_ci_u32_e32 v4, vcc_lo, 0, v4, vcc_lo
	v_add_co_u32 v3, vcc_lo, 0, v8
	s_delay_alu instid0(VALU_DEP_2)
	v_add_co_ci_u32_e32 v4, vcc_lo, v9, v4, vcc_lo
; %bb.80:
	s_or_b32 exec_lo, exec_lo, s12
	v_mov_b32_dpp v9, v8 row_shr:2 row_mask:0xf bank_mask:0xf
	s_delay_alu instid0(VALU_DEP_2)
	v_mov_b32_dpp v8, v4 row_shr:2 row_mask:0xf bank_mask:0xf
	s_mov_b32 s12, exec_lo
	v_cmpx_lt_u32_e32 1, v7
; %bb.81:
	s_delay_alu instid0(VALU_DEP_3) | instskip(SKIP_1) | instid1(VALU_DEP_2)
	v_add_co_u32 v3, vcc_lo, v3, v9
	v_add_co_ci_u32_e32 v4, vcc_lo, 0, v4, vcc_lo
	v_add_co_u32 v3, vcc_lo, v3, 0
	s_delay_alu instid0(VALU_DEP_2)
	v_add_co_ci_u32_e32 v4, vcc_lo, v4, v8, vcc_lo
; %bb.82:
	s_or_b32 exec_lo, exec_lo, s12
	ds_store_b64 v6, v[3:4]
.LBB590_83:
	s_or_b32 exec_lo, exec_lo, s1
	v_cmp_gt_u32_e32 vcc_lo, 32, v0
	s_mov_b32 s12, exec_lo
	s_waitcnt lgkmcnt(0)
	s_barrier
	buffer_gl0_inv
                                        ; implicit-def: $vgpr9_vgpr10
	v_cmpx_lt_u32_e32 31, v0
	s_cbranch_execz .LBB590_85
; %bb.84:
	v_lshl_add_u32 v1, v1, 3, -8
	ds_load_b64 v[9:10], v1
	s_waitcnt lgkmcnt(0)
	v_add_co_u32 v5, s1, v5, v9
	s_delay_alu instid0(VALU_DEP_1)
	v_add_co_ci_u32_e64 v2, s1, v2, v10, s1
.LBB590_85:
	s_or_b32 exec_lo, exec_lo, s12
	v_add_nc_u32_e32 v1, -1, v72
	s_delay_alu instid0(VALU_DEP_1) | instskip(NEXT) | instid1(VALU_DEP_1)
	v_cmp_gt_i32_e64 s1, 0, v1
	v_cndmask_b32_e64 v1, v1, v72, s1
	v_cmp_eq_u32_e64 s1, 0, v72
	s_delay_alu instid0(VALU_DEP_2)
	v_lshlrev_b32_e32 v1, 2, v1
	ds_bpermute_b32 v15, v1, v5
	ds_bpermute_b32 v16, v1, v2
	s_and_saveexec_b32 s12, vcc_lo
	s_cbranch_execz .LBB590_123
; %bb.86:
	v_mov_b32_e32 v4, 0
	ds_load_b64 v[1:2], v4 offset:24
	s_and_saveexec_b32 s13, s1
	s_cbranch_execz .LBB590_88
; %bb.87:
	s_add_i32 s16, s15, 32
	s_mov_b32 s17, 0
	s_delay_alu instid0(SALU_CYCLE_1) | instskip(NEXT) | instid1(SALU_CYCLE_1)
	s_lshl_b64 s[16:17], s[16:17], 4
	s_add_u32 s16, s8, s16
	s_addc_u32 s17, s9, s17
	v_mov_b32_e32 v5, s16
	v_dual_mov_b32 v3, 1 :: v_dual_mov_b32 v6, s17
	s_waitcnt lgkmcnt(0)
	;;#ASMSTART
	global_store_dwordx4 v[5:6], v[1:4] off	
s_waitcnt vmcnt(0)
	;;#ASMEND
.LBB590_88:
	s_or_b32 exec_lo, exec_lo, s13
	v_xad_u32 v11, v72, -1, s15
	s_mov_b32 s14, 0
	s_mov_b32 s13, exec_lo
	s_delay_alu instid0(VALU_DEP_1) | instskip(NEXT) | instid1(VALU_DEP_1)
	v_add_nc_u32_e32 v3, 32, v11
	v_lshlrev_b64 v[3:4], 4, v[3:4]
	s_delay_alu instid0(VALU_DEP_1) | instskip(NEXT) | instid1(VALU_DEP_2)
	v_add_co_u32 v3, vcc_lo, s8, v3
	v_add_co_ci_u32_e32 v4, vcc_lo, s9, v4, vcc_lo
	;;#ASMSTART
	global_load_dwordx4 v[5:8], v[3:4] off glc	
s_waitcnt vmcnt(0)
	;;#ASMEND
	v_and_b32_e32 v8, 0xff, v6
	v_and_b32_e32 v12, 0xff00, v6
	v_or3_b32 v5, v5, 0, 0
	v_and_b32_e32 v13, 0xff000000, v6
	v_and_b32_e32 v6, 0xff0000, v6
	s_delay_alu instid0(VALU_DEP_4) | instskip(SKIP_2) | instid1(VALU_DEP_3)
	v_or3_b32 v8, 0, v8, v12
	v_and_b32_e32 v12, 0xff, v7
	v_or3_b32 v5, v5, 0, 0
	v_or3_b32 v6, v8, v6, v13
	s_delay_alu instid0(VALU_DEP_3)
	v_cmpx_eq_u16_e32 0, v12
	s_cbranch_execz .LBB590_91
.LBB590_89:                             ; =>This Inner Loop Header: Depth=1
	;;#ASMSTART
	global_load_dwordx4 v[5:8], v[3:4] off glc	
s_waitcnt vmcnt(0)
	;;#ASMEND
	v_and_b32_e32 v8, 0xff, v7
	s_delay_alu instid0(VALU_DEP_1) | instskip(SKIP_1) | instid1(SALU_CYCLE_1)
	v_cmp_ne_u16_e32 vcc_lo, 0, v8
	s_or_b32 s14, vcc_lo, s14
	s_and_not1_b32 exec_lo, exec_lo, s14
	s_cbranch_execnz .LBB590_89
; %bb.90:
	s_or_b32 exec_lo, exec_lo, s14
.LBB590_91:
	s_delay_alu instid0(SALU_CYCLE_1)
	s_or_b32 exec_lo, exec_lo, s13
	v_cmp_ne_u32_e32 vcc_lo, 31, v72
	v_and_b32_e32 v4, 0xff, v7
	v_lshlrev_b32_e64 v18, v72, -1
	s_mov_b32 s13, exec_lo
	v_add_co_ci_u32_e32 v3, vcc_lo, 0, v72, vcc_lo
	s_delay_alu instid0(VALU_DEP_3) | instskip(NEXT) | instid1(VALU_DEP_2)
	v_cmp_eq_u16_e32 vcc_lo, 2, v4
	v_dual_mov_b32 v4, v5 :: v_dual_lshlrev_b32 v17, 2, v3
	v_and_or_b32 v3, vcc_lo, v18, 0x80000000
	ds_bpermute_b32 v12, v17, v5
	ds_bpermute_b32 v8, v17, v6
	v_ctz_i32_b32_e32 v3, v3
	s_delay_alu instid0(VALU_DEP_1)
	v_cmpx_lt_u32_e64 v72, v3
	s_cbranch_execz .LBB590_93
; %bb.92:
	s_waitcnt lgkmcnt(1)
	v_add_co_u32 v4, vcc_lo, v5, v12
	v_add_co_ci_u32_e32 v6, vcc_lo, 0, v6, vcc_lo
	s_delay_alu instid0(VALU_DEP_2) | instskip(SKIP_1) | instid1(VALU_DEP_2)
	v_add_co_u32 v5, vcc_lo, 0, v4
	s_waitcnt lgkmcnt(0)
	v_add_co_ci_u32_e32 v6, vcc_lo, v8, v6, vcc_lo
.LBB590_93:
	s_or_b32 exec_lo, exec_lo, s13
	v_cmp_gt_u32_e32 vcc_lo, 30, v72
	v_add_nc_u32_e32 v20, 2, v72
	s_mov_b32 s13, exec_lo
	s_waitcnt lgkmcnt(0)
	v_cndmask_b32_e64 v8, 0, 1, vcc_lo
	s_delay_alu instid0(VALU_DEP_1) | instskip(NEXT) | instid1(VALU_DEP_1)
	v_lshlrev_b32_e32 v8, 1, v8
	v_add_lshl_u32 v19, v8, v72, 2
	ds_bpermute_b32 v12, v19, v4
	ds_bpermute_b32 v8, v19, v6
	v_cmpx_le_u32_e64 v20, v3
	s_cbranch_execz .LBB590_95
; %bb.94:
	s_waitcnt lgkmcnt(1)
	v_add_co_u32 v4, vcc_lo, v5, v12
	v_add_co_ci_u32_e32 v6, vcc_lo, 0, v6, vcc_lo
	s_delay_alu instid0(VALU_DEP_2) | instskip(SKIP_1) | instid1(VALU_DEP_2)
	v_add_co_u32 v5, vcc_lo, 0, v4
	s_waitcnt lgkmcnt(0)
	v_add_co_ci_u32_e32 v6, vcc_lo, v8, v6, vcc_lo
.LBB590_95:
	s_or_b32 exec_lo, exec_lo, s13
	v_cmp_gt_u32_e32 vcc_lo, 28, v72
	v_add_nc_u32_e32 v22, 4, v72
	s_mov_b32 s13, exec_lo
	s_waitcnt lgkmcnt(0)
	v_cndmask_b32_e64 v8, 0, 1, vcc_lo
	s_delay_alu instid0(VALU_DEP_1) | instskip(NEXT) | instid1(VALU_DEP_1)
	v_lshlrev_b32_e32 v8, 2, v8
	v_add_lshl_u32 v21, v8, v72, 2
	ds_bpermute_b32 v12, v21, v4
	ds_bpermute_b32 v8, v21, v6
	v_cmpx_le_u32_e64 v22, v3
	;; [unrolled: 22-line block ×4, first 2 shown]
	s_cbranch_execz .LBB590_101
; %bb.100:
	s_waitcnt lgkmcnt(1)
	v_add_co_u32 v3, vcc_lo, v5, v8
	v_add_co_ci_u32_e32 v6, vcc_lo, 0, v6, vcc_lo
	s_delay_alu instid0(VALU_DEP_2) | instskip(SKIP_1) | instid1(VALU_DEP_2)
	v_add_co_u32 v5, vcc_lo, v3, 0
	s_waitcnt lgkmcnt(0)
	v_add_co_ci_u32_e32 v6, vcc_lo, v6, v4, vcc_lo
.LBB590_101:
	s_or_b32 exec_lo, exec_lo, s13
	v_mov_b32_e32 v12, 0
	s_branch .LBB590_103
.LBB590_102:                            ;   in Loop: Header=BB590_103 Depth=1
	s_or_b32 exec_lo, exec_lo, s13
	v_add_co_u32 v5, vcc_lo, v5, v3
	v_subrev_nc_u32_e32 v11, 32, v11
	v_add_co_ci_u32_e32 v6, vcc_lo, v6, v4, vcc_lo
.LBB590_103:                            ; =>This Loop Header: Depth=1
                                        ;     Child Loop BB590_106 Depth 2
	v_and_b32_e32 v3, 0xff, v7
	s_delay_alu instid0(VALU_DEP_1) | instskip(SKIP_2) | instid1(VALU_DEP_1)
	v_cmp_ne_u16_e32 vcc_lo, 2, v3
	v_cndmask_b32_e64 v3, 0, 1, vcc_lo
	;;#ASMSTART
	;;#ASMEND
	v_cmp_ne_u32_e32 vcc_lo, 0, v3
	s_waitcnt lgkmcnt(0)
	v_dual_mov_b32 v3, v5 :: v_dual_mov_b32 v4, v6
	s_cmp_lg_u32 vcc_lo, exec_lo
	s_cbranch_scc1 .LBB590_118
; %bb.104:                              ;   in Loop: Header=BB590_103 Depth=1
	v_lshlrev_b64 v[5:6], 4, v[11:12]
	s_mov_b32 s13, exec_lo
	s_delay_alu instid0(VALU_DEP_1) | instskip(NEXT) | instid1(VALU_DEP_2)
	v_add_co_u32 v13, vcc_lo, s8, v5
	v_add_co_ci_u32_e32 v14, vcc_lo, s9, v6, vcc_lo
	;;#ASMSTART
	global_load_dwordx4 v[5:8], v[13:14] off glc	
s_waitcnt vmcnt(0)
	;;#ASMEND
	v_and_b32_e32 v8, 0xff, v6
	v_and_b32_e32 v27, 0xff00, v6
	v_or3_b32 v5, v5, 0, 0
	v_and_b32_e32 v28, 0xff000000, v6
	v_and_b32_e32 v6, 0xff0000, v6
	s_delay_alu instid0(VALU_DEP_4) | instskip(SKIP_2) | instid1(VALU_DEP_3)
	v_or3_b32 v8, 0, v8, v27
	v_and_b32_e32 v27, 0xff, v7
	v_or3_b32 v5, v5, 0, 0
	v_or3_b32 v6, v8, v6, v28
	s_delay_alu instid0(VALU_DEP_3)
	v_cmpx_eq_u16_e32 0, v27
	s_cbranch_execz .LBB590_108
; %bb.105:                              ;   in Loop: Header=BB590_103 Depth=1
	s_mov_b32 s14, 0
.LBB590_106:                            ;   Parent Loop BB590_103 Depth=1
                                        ; =>  This Inner Loop Header: Depth=2
	;;#ASMSTART
	global_load_dwordx4 v[5:8], v[13:14] off glc	
s_waitcnt vmcnt(0)
	;;#ASMEND
	v_and_b32_e32 v8, 0xff, v7
	s_delay_alu instid0(VALU_DEP_1) | instskip(SKIP_1) | instid1(SALU_CYCLE_1)
	v_cmp_ne_u16_e32 vcc_lo, 0, v8
	s_or_b32 s14, vcc_lo, s14
	s_and_not1_b32 exec_lo, exec_lo, s14
	s_cbranch_execnz .LBB590_106
; %bb.107:                              ;   in Loop: Header=BB590_103 Depth=1
	s_or_b32 exec_lo, exec_lo, s14
.LBB590_108:                            ;   in Loop: Header=BB590_103 Depth=1
	s_delay_alu instid0(SALU_CYCLE_1)
	s_or_b32 exec_lo, exec_lo, s13
	v_dual_mov_b32 v13, v5 :: v_dual_and_b32 v8, 0xff, v7
	ds_bpermute_b32 v27, v17, v5
	ds_bpermute_b32 v14, v17, v6
	s_mov_b32 s13, exec_lo
	v_cmp_eq_u16_e32 vcc_lo, 2, v8
	v_and_or_b32 v8, vcc_lo, v18, 0x80000000
	s_delay_alu instid0(VALU_DEP_1) | instskip(NEXT) | instid1(VALU_DEP_1)
	v_ctz_i32_b32_e32 v8, v8
	v_cmpx_lt_u32_e64 v72, v8
	s_cbranch_execz .LBB590_110
; %bb.109:                              ;   in Loop: Header=BB590_103 Depth=1
	s_waitcnt lgkmcnt(1)
	v_add_co_u32 v13, vcc_lo, v5, v27
	v_add_co_ci_u32_e32 v6, vcc_lo, 0, v6, vcc_lo
	s_delay_alu instid0(VALU_DEP_2) | instskip(SKIP_1) | instid1(VALU_DEP_2)
	v_add_co_u32 v5, vcc_lo, 0, v13
	s_waitcnt lgkmcnt(0)
	v_add_co_ci_u32_e32 v6, vcc_lo, v14, v6, vcc_lo
.LBB590_110:                            ;   in Loop: Header=BB590_103 Depth=1
	s_or_b32 exec_lo, exec_lo, s13
	s_waitcnt lgkmcnt(1)
	ds_bpermute_b32 v27, v19, v13
	s_waitcnt lgkmcnt(1)
	ds_bpermute_b32 v14, v19, v6
	s_mov_b32 s13, exec_lo
	v_cmpx_le_u32_e64 v20, v8
	s_cbranch_execz .LBB590_112
; %bb.111:                              ;   in Loop: Header=BB590_103 Depth=1
	s_waitcnt lgkmcnt(1)
	v_add_co_u32 v13, vcc_lo, v5, v27
	v_add_co_ci_u32_e32 v6, vcc_lo, 0, v6, vcc_lo
	s_delay_alu instid0(VALU_DEP_2) | instskip(SKIP_1) | instid1(VALU_DEP_2)
	v_add_co_u32 v5, vcc_lo, 0, v13
	s_waitcnt lgkmcnt(0)
	v_add_co_ci_u32_e32 v6, vcc_lo, v14, v6, vcc_lo
.LBB590_112:                            ;   in Loop: Header=BB590_103 Depth=1
	s_or_b32 exec_lo, exec_lo, s13
	s_waitcnt lgkmcnt(1)
	ds_bpermute_b32 v27, v21, v13
	s_waitcnt lgkmcnt(1)
	ds_bpermute_b32 v14, v21, v6
	s_mov_b32 s13, exec_lo
	v_cmpx_le_u32_e64 v22, v8
	;; [unrolled: 17-line block ×3, first 2 shown]
	s_cbranch_execz .LBB590_116
; %bb.115:                              ;   in Loop: Header=BB590_103 Depth=1
	s_waitcnt lgkmcnt(1)
	v_add_co_u32 v13, vcc_lo, v5, v27
	v_add_co_ci_u32_e32 v6, vcc_lo, 0, v6, vcc_lo
	s_delay_alu instid0(VALU_DEP_2) | instskip(SKIP_1) | instid1(VALU_DEP_2)
	v_add_co_u32 v5, vcc_lo, 0, v13
	s_waitcnt lgkmcnt(0)
	v_add_co_ci_u32_e32 v6, vcc_lo, v14, v6, vcc_lo
.LBB590_116:                            ;   in Loop: Header=BB590_103 Depth=1
	s_or_b32 exec_lo, exec_lo, s13
	s_waitcnt lgkmcnt(0)
	ds_bpermute_b32 v14, v25, v13
	ds_bpermute_b32 v13, v25, v6
	s_mov_b32 s13, exec_lo
	v_cmpx_le_u32_e64 v26, v8
	s_cbranch_execz .LBB590_102
; %bb.117:                              ;   in Loop: Header=BB590_103 Depth=1
	s_waitcnt lgkmcnt(1)
	v_add_co_u32 v5, vcc_lo, v5, v14
	v_add_co_ci_u32_e32 v6, vcc_lo, 0, v6, vcc_lo
	s_delay_alu instid0(VALU_DEP_2) | instskip(SKIP_1) | instid1(VALU_DEP_2)
	v_add_co_u32 v5, vcc_lo, v5, 0
	s_waitcnt lgkmcnt(0)
	v_add_co_ci_u32_e32 v6, vcc_lo, v6, v13, vcc_lo
	s_branch .LBB590_102
.LBB590_118:                            ;   in Loop: Header=BB590_103 Depth=1
                                        ; implicit-def: $vgpr5_vgpr6
	s_cbranch_execz .LBB590_103
; %bb.119:
	s_and_saveexec_b32 s13, s1
	s_cbranch_execz .LBB590_121
; %bb.120:
	s_add_i32 s14, s15, 32
	s_mov_b32 s15, 0
	v_add_co_u32 v5, vcc_lo, v3, v1
	s_lshl_b64 s[14:15], s[14:15], 4
	v_dual_mov_b32 v7, 2 :: v_dual_mov_b32 v8, 0
	s_add_u32 s14, s8, s14
	s_addc_u32 s15, s9, s15
	v_add_co_ci_u32_e32 v6, vcc_lo, v4, v2, vcc_lo
	v_dual_mov_b32 v11, s14 :: v_dual_mov_b32 v12, s15
	;;#ASMSTART
	global_store_dwordx4 v[11:12], v[5:8] off	
s_waitcnt vmcnt(0)
	;;#ASMEND
	ds_store_b128 v8, v[1:4] offset:7168
.LBB590_121:
	s_or_b32 exec_lo, exec_lo, s13
	v_cmp_eq_u32_e32 vcc_lo, 0, v0
	s_and_b32 exec_lo, exec_lo, vcc_lo
	s_cbranch_execz .LBB590_123
; %bb.122:
	v_mov_b32_e32 v1, 0
	ds_store_b64 v1, v[3:4] offset:24
.LBB590_123:
	s_or_b32 exec_lo, exec_lo, s12
	s_waitcnt lgkmcnt(0)
	v_cndmask_b32_e64 v4, v16, v10, s1
	v_cmp_ne_u32_e32 vcc_lo, 0, v0
	v_mov_b32_e32 v21, 0
	s_barrier
	buffer_gl0_inv
	v_cndmask_b32_e32 v4, 0, v4, vcc_lo
	ds_load_b64 v[1:2], v21 offset:24
	v_cndmask_b32_e64 v3, v15, v9, s1
	s_waitcnt lgkmcnt(0)
	s_barrier
	buffer_gl0_inv
	ds_load_b128 v[45:48], v21 offset:7168
	v_cndmask_b32_e32 v3, 0, v3, vcc_lo
	s_delay_alu instid0(VALU_DEP_1) | instskip(SKIP_1) | instid1(VALU_DEP_2)
	v_add_co_u32 v1, vcc_lo, v1, v3
	v_add_co_ci_u32_e32 v2, vcc_lo, v2, v4, vcc_lo
	v_add_co_u32 v3, vcc_lo, v1, v63
	s_delay_alu instid0(VALU_DEP_2) | instskip(NEXT) | instid1(VALU_DEP_2)
	v_add_co_ci_u32_e32 v4, vcc_lo, 0, v2, vcc_lo
	v_add_co_u32 v5, vcc_lo, v3, v64
	s_delay_alu instid0(VALU_DEP_2) | instskip(NEXT) | instid1(VALU_DEP_2)
	;; [unrolled: 3-line block ×12, first 2 shown]
	v_add_co_ci_u32_e32 v26, vcc_lo, 0, v24, vcc_lo
	v_add_co_u32 v27, vcc_lo, v25, v62
	s_delay_alu instid0(VALU_DEP_2)
	v_add_co_ci_u32_e32 v28, vcc_lo, 0, v26, vcc_lo
	s_branch .LBB590_148
.LBB590_124:
                                        ; implicit-def: $vgpr47_vgpr48
                                        ; implicit-def: $vgpr1_vgpr2_vgpr3_vgpr4_vgpr5_vgpr6_vgpr7_vgpr8_vgpr9_vgpr10_vgpr11_vgpr12_vgpr13_vgpr14_vgpr15_vgpr16_vgpr17_vgpr18_vgpr19_vgpr20_vgpr21_vgpr22_vgpr23_vgpr24_vgpr25_vgpr26_vgpr27_vgpr28_vgpr29_vgpr30_vgpr31_vgpr32
	s_and_b32 vcc_lo, exec_lo, s1
	s_cbranch_vccz .LBB590_148
; %bb.125:
	v_dual_mov_b32 v2, 0 :: v_dual_mov_b32 v3, v51
	v_mov_b32_dpp v4, v51 row_shr:1 row_mask:0xf bank_mask:0xf
	s_delay_alu instid0(VALU_DEP_2)
	v_mov_b32_dpp v1, v2 row_shr:1 row_mask:0xf bank_mask:0xf
	s_and_saveexec_b32 s1, s0
; %bb.126:
	s_delay_alu instid0(VALU_DEP_2) | instskip(SKIP_1) | instid1(VALU_DEP_2)
	v_add_co_u32 v3, vcc_lo, v51, v4
	v_add_co_ci_u32_e32 v2, vcc_lo, 0, v52, vcc_lo
	v_add_co_u32 v51, vcc_lo, 0, v3
	s_delay_alu instid0(VALU_DEP_2) | instskip(NEXT) | instid1(VALU_DEP_1)
	v_add_co_ci_u32_e32 v52, vcc_lo, v1, v2, vcc_lo
	v_mov_b32_e32 v2, v52
; %bb.127:
	s_or_b32 exec_lo, exec_lo, s1
	v_mov_b32_dpp v1, v3 row_shr:2 row_mask:0xf bank_mask:0xf
	s_delay_alu instid0(VALU_DEP_2)
	v_mov_b32_dpp v4, v2 row_shr:2 row_mask:0xf bank_mask:0xf
	s_mov_b32 s0, exec_lo
	v_cmpx_lt_u32_e32 1, v73
; %bb.128:
	s_delay_alu instid0(VALU_DEP_3) | instskip(SKIP_1) | instid1(VALU_DEP_2)
	v_add_co_u32 v3, vcc_lo, v51, v1
	v_add_co_ci_u32_e32 v2, vcc_lo, 0, v52, vcc_lo
	v_add_co_u32 v1, vcc_lo, 0, v3
	s_delay_alu instid0(VALU_DEP_2) | instskip(NEXT) | instid1(VALU_DEP_1)
	v_add_co_ci_u32_e32 v2, vcc_lo, v4, v2, vcc_lo
	v_dual_mov_b32 v52, v2 :: v_dual_mov_b32 v51, v1
; %bb.129:
	s_or_b32 exec_lo, exec_lo, s0
	v_mov_b32_dpp v1, v3 row_shr:4 row_mask:0xf bank_mask:0xf
	v_mov_b32_dpp v4, v2 row_shr:4 row_mask:0xf bank_mask:0xf
	s_mov_b32 s0, exec_lo
	v_cmpx_lt_u32_e32 3, v73
; %bb.130:
	s_delay_alu instid0(VALU_DEP_3) | instskip(SKIP_1) | instid1(VALU_DEP_2)
	v_add_co_u32 v3, vcc_lo, v51, v1
	v_add_co_ci_u32_e32 v2, vcc_lo, 0, v52, vcc_lo
	v_add_co_u32 v1, vcc_lo, 0, v3
	s_delay_alu instid0(VALU_DEP_2) | instskip(NEXT) | instid1(VALU_DEP_1)
	v_add_co_ci_u32_e32 v2, vcc_lo, v4, v2, vcc_lo
	v_dual_mov_b32 v52, v2 :: v_dual_mov_b32 v51, v1
; %bb.131:
	s_or_b32 exec_lo, exec_lo, s0
	v_mov_b32_dpp v4, v3 row_shr:8 row_mask:0xf bank_mask:0xf
	v_mov_b32_dpp v1, v2 row_shr:8 row_mask:0xf bank_mask:0xf
	s_mov_b32 s0, exec_lo
	v_cmpx_lt_u32_e32 7, v73
; %bb.132:
	s_delay_alu instid0(VALU_DEP_3) | instskip(SKIP_1) | instid1(VALU_DEP_2)
	v_add_co_u32 v3, vcc_lo, v51, v4
	v_add_co_ci_u32_e32 v2, vcc_lo, 0, v52, vcc_lo
	v_add_co_u32 v51, vcc_lo, 0, v3
	s_delay_alu instid0(VALU_DEP_2) | instskip(NEXT) | instid1(VALU_DEP_1)
	v_add_co_ci_u32_e32 v52, vcc_lo, v1, v2, vcc_lo
	v_mov_b32_e32 v2, v52
; %bb.133:
	s_or_b32 exec_lo, exec_lo, s0
	ds_swizzle_b32 v3, v3 offset:swizzle(BROADCAST,32,15)
	ds_swizzle_b32 v1, v2 offset:swizzle(BROADCAST,32,15)
	v_and_b32_e32 v2, 16, v72
	s_mov_b32 s0, exec_lo
	s_delay_alu instid0(VALU_DEP_1)
	v_cmpx_ne_u32_e32 0, v2
	s_cbranch_execz .LBB590_135
; %bb.134:
	s_waitcnt lgkmcnt(0)
	v_add_co_u32 v2, vcc_lo, v51, v3
	v_add_co_ci_u32_e32 v3, vcc_lo, 0, v52, vcc_lo
	s_delay_alu instid0(VALU_DEP_2) | instskip(NEXT) | instid1(VALU_DEP_2)
	v_add_co_u32 v51, vcc_lo, v2, 0
	v_add_co_ci_u32_e32 v52, vcc_lo, v3, v1, vcc_lo
.LBB590_135:
	s_or_b32 exec_lo, exec_lo, s0
	s_waitcnt lgkmcnt(0)
	v_or_b32_e32 v1, 31, v0
	v_lshrrev_b32_e32 v3, 5, v0
	s_mov_b32 s0, exec_lo
	s_delay_alu instid0(VALU_DEP_2)
	v_cmpx_eq_u32_e64 v1, v0
	s_cbranch_execz .LBB590_137
; %bb.136:
	s_delay_alu instid0(VALU_DEP_2)
	v_lshlrev_b32_e32 v1, 3, v3
	ds_store_b64 v1, v[51:52]
.LBB590_137:
	s_or_b32 exec_lo, exec_lo, s0
	s_delay_alu instid0(SALU_CYCLE_1)
	s_mov_b32 s0, exec_lo
	s_waitcnt lgkmcnt(0)
	s_barrier
	buffer_gl0_inv
	v_cmpx_gt_u32_e32 4, v0
	s_cbranch_execz .LBB590_143
; %bb.138:
	v_mad_i32_i24 v1, 0xffffffd0, v0, v61
	s_mov_b32 s1, exec_lo
	ds_load_b64 v[1:2], v1
	s_waitcnt lgkmcnt(0)
	v_dual_mov_b32 v5, v1 :: v_dual_and_b32 v4, 3, v72
	v_mov_b32_dpp v7, v1 row_shr:1 row_mask:0xf bank_mask:0xf
	v_mov_b32_dpp v6, v2 row_shr:1 row_mask:0xf bank_mask:0xf
	s_delay_alu instid0(VALU_DEP_3)
	v_cmpx_ne_u32_e32 0, v4
; %bb.139:
	s_delay_alu instid0(VALU_DEP_3) | instskip(SKIP_1) | instid1(VALU_DEP_2)
	v_add_co_u32 v5, vcc_lo, v1, v7
	v_add_co_ci_u32_e32 v2, vcc_lo, 0, v2, vcc_lo
	v_add_co_u32 v1, vcc_lo, 0, v5
	s_delay_alu instid0(VALU_DEP_2)
	v_add_co_ci_u32_e32 v2, vcc_lo, v6, v2, vcc_lo
; %bb.140:
	s_or_b32 exec_lo, exec_lo, s1
	v_mul_i32_i24_e32 v6, 0xffffffd0, v0
	v_mov_b32_dpp v7, v5 row_shr:2 row_mask:0xf bank_mask:0xf
	s_delay_alu instid0(VALU_DEP_3)
	v_mov_b32_dpp v5, v2 row_shr:2 row_mask:0xf bank_mask:0xf
	s_mov_b32 s1, exec_lo
	v_cmpx_lt_u32_e32 1, v4
; %bb.141:
	s_delay_alu instid0(VALU_DEP_3) | instskip(SKIP_1) | instid1(VALU_DEP_2)
	v_add_co_u32 v1, vcc_lo, v1, v7
	v_add_co_ci_u32_e32 v2, vcc_lo, 0, v2, vcc_lo
	v_add_co_u32 v1, vcc_lo, v1, 0
	s_delay_alu instid0(VALU_DEP_2)
	v_add_co_ci_u32_e32 v2, vcc_lo, v2, v5, vcc_lo
; %bb.142:
	s_or_b32 exec_lo, exec_lo, s1
	v_add_nc_u32_e32 v4, v61, v6
	ds_store_b64 v4, v[1:2]
.LBB590_143:
	s_or_b32 exec_lo, exec_lo, s0
	v_mov_b32_e32 v1, 0
	v_mov_b32_e32 v2, 0
	s_mov_b32 s0, exec_lo
	s_waitcnt lgkmcnt(0)
	s_barrier
	buffer_gl0_inv
	v_cmpx_lt_u32_e32 31, v0
	s_cbranch_execz .LBB590_145
; %bb.144:
	v_lshl_add_u32 v1, v3, 3, -8
	ds_load_b64 v[1:2], v1
.LBB590_145:
	s_or_b32 exec_lo, exec_lo, s0
	v_dual_mov_b32 v48, 0 :: v_dual_add_nc_u32 v3, -1, v72
	s_delay_alu instid0(VALU_DEP_1) | instskip(SKIP_2) | instid1(VALU_DEP_1)
	v_cmp_gt_i32_e32 vcc_lo, 0, v3
	ds_load_b64 v[45:46], v48 offset:24
	v_cndmask_b32_e32 v3, v3, v72, vcc_lo
	v_lshlrev_b32_e32 v4, 2, v3
	s_waitcnt lgkmcnt(1)
	v_add_co_u32 v3, vcc_lo, v1, v51
	v_add_co_ci_u32_e32 v5, vcc_lo, v2, v52, vcc_lo
	v_cmp_eq_u32_e32 vcc_lo, 0, v0
	ds_bpermute_b32 v3, v4, v3
	ds_bpermute_b32 v4, v4, v5
	s_and_saveexec_b32 s0, vcc_lo
	s_cbranch_execz .LBB590_147
; %bb.146:
	s_add_u32 s8, s8, 0x200
	s_addc_u32 s9, s9, 0
	v_mov_b32_e32 v5, s8
	v_dual_mov_b32 v47, 2 :: v_dual_mov_b32 v6, s9
	s_waitcnt lgkmcnt(2)
	;;#ASMSTART
	global_store_dwordx4 v[5:6], v[45:48] off	
s_waitcnt vmcnt(0)
	;;#ASMEND
.LBB590_147:
	s_or_b32 exec_lo, exec_lo, s0
	v_cmp_eq_u32_e64 s0, 0, v72
	v_mov_b32_e32 v47, 0
	v_mov_b32_e32 v48, 0
	s_waitcnt lgkmcnt(0)
	s_barrier
	v_cndmask_b32_e64 v1, v3, v1, s0
	v_cndmask_b32_e64 v2, v4, v2, s0
	buffer_gl0_inv
	v_cndmask_b32_e64 v1, v1, 0, vcc_lo
	v_cndmask_b32_e64 v2, v2, 0, vcc_lo
	s_delay_alu instid0(VALU_DEP_2) | instskip(NEXT) | instid1(VALU_DEP_2)
	v_add_co_u32 v3, vcc_lo, v1, v63
	v_add_co_ci_u32_e32 v4, vcc_lo, 0, v2, vcc_lo
	s_delay_alu instid0(VALU_DEP_2) | instskip(NEXT) | instid1(VALU_DEP_2)
	v_add_co_u32 v5, vcc_lo, v3, v64
	v_add_co_ci_u32_e32 v6, vcc_lo, 0, v4, vcc_lo
	;; [unrolled: 3-line block ×13, first 2 shown]
.LBB590_148:
	s_waitcnt lgkmcnt(0)
	v_cmp_gt_u64_e32 vcc_lo, 0x81, v[45:46]
	v_lshrrev_b32_e32 v51, 16, v56
	v_lshrrev_b32_e32 v52, 8, v56
	;; [unrolled: 1-line block ×6, first 2 shown]
	s_mov_b32 s0, -1
	s_cbranch_vccnz .LBB590_152
; %bb.149:
	s_and_b32 vcc_lo, exec_lo, s0
	s_cbranch_vccnz .LBB590_195
.LBB590_150:
	v_cmp_eq_u32_e32 vcc_lo, 0, v0
	s_and_b32 s0, vcc_lo, s10
	s_delay_alu instid0(SALU_CYCLE_1)
	s_and_saveexec_b32 s1, s0
	s_cbranch_execnz .LBB590_227
.LBB590_151:
	s_nop 0
	s_sendmsg sendmsg(MSG_DEALLOC_VGPRS)
	s_endpgm
.LBB590_152:
	v_add_co_u32 v29, vcc_lo, v47, v45
	v_add_co_ci_u32_e32 v30, vcc_lo, v48, v46, vcc_lo
	s_lshl_b64 s[0:1], s[2:3], 2
	s_delay_alu instid0(SALU_CYCLE_1) | instskip(NEXT) | instid1(VALU_DEP_1)
	s_add_u32 s0, s6, s0
	v_cmp_lt_u64_e32 vcc_lo, v[1:2], v[29:30]
	s_addc_u32 s1, s7, s1
	s_or_b32 s9, s11, vcc_lo
	s_delay_alu instid0(SALU_CYCLE_1)
	s_and_saveexec_b32 s8, s9
	s_cbranch_execz .LBB590_155
; %bb.153:
	v_and_b32_e32 v63, 1, v59
	s_delay_alu instid0(VALU_DEP_1)
	v_cmp_eq_u32_e32 vcc_lo, 1, v63
	s_and_b32 exec_lo, exec_lo, vcc_lo
	s_cbranch_execz .LBB590_155
; %bb.154:
	v_lshlrev_b64 v[63:64], 2, v[1:2]
	s_delay_alu instid0(VALU_DEP_1) | instskip(NEXT) | instid1(VALU_DEP_2)
	v_add_co_u32 v63, vcc_lo, s0, v63
	v_add_co_ci_u32_e32 v64, vcc_lo, s1, v64, vcc_lo
	global_store_b32 v[63:64], v41, off
.LBB590_155:
	s_or_b32 exec_lo, exec_lo, s8
	v_cmp_lt_u64_e32 vcc_lo, v[3:4], v[29:30]
	s_or_b32 s9, s11, vcc_lo
	s_delay_alu instid0(SALU_CYCLE_1)
	s_and_saveexec_b32 s8, s9
	s_cbranch_execz .LBB590_158
; %bb.156:
	v_and_b32_e32 v2, 1, v62
	s_delay_alu instid0(VALU_DEP_1)
	v_cmp_eq_u32_e32 vcc_lo, 1, v2
	s_and_b32 exec_lo, exec_lo, vcc_lo
	s_cbranch_execz .LBB590_158
; %bb.157:
	v_lshlrev_b64 v[63:64], 2, v[3:4]
	s_delay_alu instid0(VALU_DEP_1) | instskip(NEXT) | instid1(VALU_DEP_2)
	v_add_co_u32 v63, vcc_lo, s0, v63
	v_add_co_ci_u32_e32 v64, vcc_lo, s1, v64, vcc_lo
	global_store_b32 v[63:64], v42, off
.LBB590_158:
	s_or_b32 exec_lo, exec_lo, s8
	v_cmp_lt_u64_e32 vcc_lo, v[5:6], v[29:30]
	;; [unrolled: 19-line block ×13, first 2 shown]
	s_or_b32 s9, s11, vcc_lo
	s_delay_alu instid0(SALU_CYCLE_1)
	s_and_saveexec_b32 s8, s9
	s_cbranch_execz .LBB590_194
; %bb.192:
	v_and_b32_e32 v2, 1, v54
	s_delay_alu instid0(VALU_DEP_1)
	v_cmp_eq_u32_e32 vcc_lo, 1, v2
	s_and_b32 exec_lo, exec_lo, vcc_lo
	s_cbranch_execz .LBB590_194
; %bb.193:
	v_lshlrev_b64 v[28:29], 2, v[27:28]
	s_delay_alu instid0(VALU_DEP_1) | instskip(NEXT) | instid1(VALU_DEP_2)
	v_add_co_u32 v28, vcc_lo, s0, v28
	v_add_co_ci_u32_e32 v29, vcc_lo, s1, v29, vcc_lo
	global_store_b32 v[28:29], v50, off
.LBB590_194:
	s_or_b32 exec_lo, exec_lo, s8
	s_branch .LBB590_150
.LBB590_195:
	v_and_b32_e32 v2, 1, v59
	s_mov_b32 s0, exec_lo
	s_delay_alu instid0(VALU_DEP_1)
	v_cmpx_eq_u32_e32 1, v2
	s_cbranch_execz .LBB590_197
; %bb.196:
	v_sub_nc_u32_e32 v1, v1, v47
	s_delay_alu instid0(VALU_DEP_1)
	v_lshlrev_b32_e32 v1, 2, v1
	ds_store_b32 v1, v41
.LBB590_197:
	s_or_b32 exec_lo, exec_lo, s0
	v_and_b32_e32 v1, 1, v62
	s_mov_b32 s0, exec_lo
	s_delay_alu instid0(VALU_DEP_1)
	v_cmpx_eq_u32_e32 1, v1
	s_cbranch_execz .LBB590_199
; %bb.198:
	v_sub_nc_u32_e32 v1, v3, v47
	s_delay_alu instid0(VALU_DEP_1)
	v_lshlrev_b32_e32 v1, 2, v1
	ds_store_b32 v1, v42
.LBB590_199:
	s_or_b32 exec_lo, exec_lo, s0
	v_and_b32_e32 v1, 1, v61
	s_mov_b32 s0, exec_lo
	s_delay_alu instid0(VALU_DEP_1)
	v_cmpx_eq_u32_e32 1, v1
	s_cbranch_execz .LBB590_201
; %bb.200:
	v_sub_nc_u32_e32 v1, v5, v47
	s_delay_alu instid0(VALU_DEP_1)
	v_lshlrev_b32_e32 v1, 2, v1
	ds_store_b32 v1, v43
.LBB590_201:
	s_or_b32 exec_lo, exec_lo, s0
	v_and_b32_e32 v1, 1, v60
	s_mov_b32 s0, exec_lo
	s_delay_alu instid0(VALU_DEP_1)
	v_cmpx_eq_u32_e32 1, v1
	s_cbranch_execz .LBB590_203
; %bb.202:
	v_sub_nc_u32_e32 v1, v7, v47
	s_delay_alu instid0(VALU_DEP_1)
	v_lshlrev_b32_e32 v1, 2, v1
	ds_store_b32 v1, v44
.LBB590_203:
	s_or_b32 exec_lo, exec_lo, s0
	v_and_b32_e32 v1, 1, v56
	s_mov_b32 s0, exec_lo
	s_delay_alu instid0(VALU_DEP_1)
	v_cmpx_eq_u32_e32 1, v1
	s_cbranch_execz .LBB590_205
; %bb.204:
	v_sub_nc_u32_e32 v1, v9, v47
	s_delay_alu instid0(VALU_DEP_1)
	v_lshlrev_b32_e32 v1, 2, v1
	ds_store_b32 v1, v37
.LBB590_205:
	s_or_b32 exec_lo, exec_lo, s0
	v_and_b32_e32 v1, 1, v52
	s_mov_b32 s0, exec_lo
	s_delay_alu instid0(VALU_DEP_1)
	v_cmpx_eq_u32_e32 1, v1
	s_cbranch_execz .LBB590_207
; %bb.206:
	v_sub_nc_u32_e32 v1, v11, v47
	s_delay_alu instid0(VALU_DEP_1)
	v_lshlrev_b32_e32 v1, 2, v1
	ds_store_b32 v1, v38
.LBB590_207:
	s_or_b32 exec_lo, exec_lo, s0
	v_and_b32_e32 v1, 1, v51
	s_mov_b32 s0, exec_lo
	s_delay_alu instid0(VALU_DEP_1)
	v_cmpx_eq_u32_e32 1, v1
	s_cbranch_execz .LBB590_209
; %bb.208:
	v_sub_nc_u32_e32 v1, v13, v47
	s_delay_alu instid0(VALU_DEP_1)
	v_lshlrev_b32_e32 v1, 2, v1
	ds_store_b32 v1, v39
.LBB590_209:
	s_or_b32 exec_lo, exec_lo, s0
	v_and_b32_e32 v1, 1, v58
	s_mov_b32 s0, exec_lo
	s_delay_alu instid0(VALU_DEP_1)
	v_cmpx_eq_u32_e32 1, v1
	s_cbranch_execz .LBB590_211
; %bb.210:
	v_sub_nc_u32_e32 v1, v15, v47
	s_delay_alu instid0(VALU_DEP_1)
	v_lshlrev_b32_e32 v1, 2, v1
	ds_store_b32 v1, v40
.LBB590_211:
	s_or_b32 exec_lo, exec_lo, s0
	v_and_b32_e32 v1, 1, v55
	s_mov_b32 s0, exec_lo
	s_delay_alu instid0(VALU_DEP_1)
	v_cmpx_eq_u32_e32 1, v1
	s_cbranch_execz .LBB590_213
; %bb.212:
	v_sub_nc_u32_e32 v1, v17, v47
	s_delay_alu instid0(VALU_DEP_1)
	v_lshlrev_b32_e32 v1, 2, v1
	ds_store_b32 v1, v33
.LBB590_213:
	s_or_b32 exec_lo, exec_lo, s0
	v_and_b32_e32 v1, 1, v32
	s_mov_b32 s0, exec_lo
	s_delay_alu instid0(VALU_DEP_1)
	v_cmpx_eq_u32_e32 1, v1
	s_cbranch_execz .LBB590_215
; %bb.214:
	v_sub_nc_u32_e32 v1, v19, v47
	s_delay_alu instid0(VALU_DEP_1)
	v_lshlrev_b32_e32 v1, 2, v1
	ds_store_b32 v1, v34
.LBB590_215:
	s_or_b32 exec_lo, exec_lo, s0
	v_and_b32_e32 v1, 1, v31
	s_mov_b32 s0, exec_lo
	s_delay_alu instid0(VALU_DEP_1)
	v_cmpx_eq_u32_e32 1, v1
	s_cbranch_execz .LBB590_217
; %bb.216:
	v_sub_nc_u32_e32 v1, v21, v47
	s_delay_alu instid0(VALU_DEP_1)
	v_lshlrev_b32_e32 v1, 2, v1
	ds_store_b32 v1, v35
.LBB590_217:
	s_or_b32 exec_lo, exec_lo, s0
	v_and_b32_e32 v1, 1, v57
	s_mov_b32 s0, exec_lo
	s_delay_alu instid0(VALU_DEP_1)
	v_cmpx_eq_u32_e32 1, v1
	s_cbranch_execz .LBB590_219
; %bb.218:
	v_sub_nc_u32_e32 v1, v23, v47
	s_delay_alu instid0(VALU_DEP_1)
	v_lshlrev_b32_e32 v1, 2, v1
	ds_store_b32 v1, v36
.LBB590_219:
	s_or_b32 exec_lo, exec_lo, s0
	v_and_b32_e32 v1, 1, v53
	s_mov_b32 s0, exec_lo
	s_delay_alu instid0(VALU_DEP_1)
	v_cmpx_eq_u32_e32 1, v1
	s_cbranch_execz .LBB590_221
; %bb.220:
	v_sub_nc_u32_e32 v1, v25, v47
	s_delay_alu instid0(VALU_DEP_1)
	v_lshlrev_b32_e32 v1, 2, v1
	ds_store_b32 v1, v49
.LBB590_221:
	s_or_b32 exec_lo, exec_lo, s0
	v_and_b32_e32 v1, 1, v54
	s_mov_b32 s0, exec_lo
	s_delay_alu instid0(VALU_DEP_1)
	v_cmpx_eq_u32_e32 1, v1
	s_cbranch_execz .LBB590_223
; %bb.222:
	v_sub_nc_u32_e32 v1, v27, v47
	s_delay_alu instid0(VALU_DEP_1)
	v_lshlrev_b32_e32 v1, 2, v1
	ds_store_b32 v1, v50
.LBB590_223:
	s_or_b32 exec_lo, exec_lo, s0
	v_mov_b32_e32 v3, 0
	s_mov_b32 s1, exec_lo
	s_waitcnt lgkmcnt(0)
	s_waitcnt_vscnt null, 0x0
	s_barrier
	buffer_gl0_inv
	v_mov_b32_e32 v1, v3
	s_delay_alu instid0(VALU_DEP_1)
	v_cmpx_gt_u64_e64 v[45:46], v[0:1]
	s_cbranch_execz .LBB590_226
; %bb.224:
	v_lshlrev_b64 v[4:5], 2, v[47:48]
	s_lshl_b64 s[8:9], s[2:3], 2
	v_or_b32_e32 v2, 0x80, v0
	s_delay_alu instid0(VALU_DEP_2) | instskip(NEXT) | instid1(VALU_DEP_3)
	v_add_co_u32 v4, vcc_lo, s6, v4
	v_add_co_ci_u32_e32 v5, vcc_lo, s7, v5, vcc_lo
	s_mov_b32 s6, 0
	s_delay_alu instid0(VALU_DEP_2) | instskip(NEXT) | instid1(VALU_DEP_2)
	v_add_co_u32 v6, vcc_lo, v4, s8
	v_add_co_ci_u32_e32 v7, vcc_lo, s9, v5, vcc_lo
	v_dual_mov_b32 v5, v1 :: v_dual_mov_b32 v4, v0
	.p2align	6
.LBB590_225:                            ; =>This Inner Loop Header: Depth=1
	s_delay_alu instid0(VALU_DEP_1) | instskip(NEXT) | instid1(VALU_DEP_2)
	v_lshlrev_b32_e32 v1, 2, v4
	v_lshlrev_b64 v[8:9], 2, v[4:5]
	v_dual_mov_b32 v5, v3 :: v_dual_mov_b32 v4, v2
	v_cmp_le_u64_e32 vcc_lo, v[45:46], v[2:3]
	v_add_nc_u32_e32 v2, 0x80, v2
	ds_load_b32 v1, v1
	v_add_co_u32 v8, s0, v6, v8
	s_delay_alu instid0(VALU_DEP_1)
	v_add_co_ci_u32_e64 v9, s0, v7, v9, s0
	s_or_b32 s6, vcc_lo, s6
	s_waitcnt lgkmcnt(0)
	global_store_b32 v[8:9], v1, off
	s_and_not1_b32 exec_lo, exec_lo, s6
	s_cbranch_execnz .LBB590_225
.LBB590_226:
	s_or_b32 exec_lo, exec_lo, s1
	v_cmp_eq_u32_e32 vcc_lo, 0, v0
	s_and_b32 s0, vcc_lo, s10
	s_delay_alu instid0(SALU_CYCLE_1)
	s_and_saveexec_b32 s1, s0
	s_cbranch_execz .LBB590_151
.LBB590_227:
	v_add_co_u32 v0, vcc_lo, v47, v45
	v_add_co_ci_u32_e32 v1, vcc_lo, v48, v46, vcc_lo
	v_mov_b32_e32 v2, 0
	s_delay_alu instid0(VALU_DEP_3) | instskip(NEXT) | instid1(VALU_DEP_3)
	v_add_co_u32 v0, vcc_lo, v0, s2
	v_add_co_ci_u32_e32 v1, vcc_lo, s3, v1, vcc_lo
	global_store_b64 v2, v[0:1], s[4:5]
	s_nop 0
	s_sendmsg sendmsg(MSG_DEALLOC_VGPRS)
	s_endpgm
	.section	.rodata,"a",@progbits
	.p2align	6, 0x0
	.amdhsa_kernel _ZN7rocprim17ROCPRIM_400000_NS6detail17trampoline_kernelINS0_14default_configENS1_25partition_config_selectorILNS1_17partition_subalgoE6EiNS0_10empty_typeEbEEZZNS1_14partition_implILS5_6ELb0ES3_mN6thrust23THRUST_200600_302600_NS6detail15normal_iteratorINSA_10device_ptrIiEEEEPS6_SG_NS0_5tupleIJSF_S6_EEENSH_IJSG_SG_EEES6_PlJ5mod_3IiEEEE10hipError_tPvRmT3_T4_T5_T6_T7_T9_mT8_P12ihipStream_tbDpT10_ENKUlT_T0_E_clISt17integral_constantIbLb0EES16_EEDaS11_S12_EUlS11_E_NS1_11comp_targetILNS1_3genE9ELNS1_11target_archE1100ELNS1_3gpuE3ELNS1_3repE0EEENS1_30default_config_static_selectorELNS0_4arch9wavefront6targetE0EEEvT1_
		.amdhsa_group_segment_fixed_size 7184
		.amdhsa_private_segment_fixed_size 0
		.amdhsa_kernarg_size 112
		.amdhsa_user_sgpr_count 15
		.amdhsa_user_sgpr_dispatch_ptr 0
		.amdhsa_user_sgpr_queue_ptr 0
		.amdhsa_user_sgpr_kernarg_segment_ptr 1
		.amdhsa_user_sgpr_dispatch_id 0
		.amdhsa_user_sgpr_private_segment_size 0
		.amdhsa_wavefront_size32 1
		.amdhsa_uses_dynamic_stack 0
		.amdhsa_enable_private_segment 0
		.amdhsa_system_sgpr_workgroup_id_x 1
		.amdhsa_system_sgpr_workgroup_id_y 0
		.amdhsa_system_sgpr_workgroup_id_z 0
		.amdhsa_system_sgpr_workgroup_info 0
		.amdhsa_system_vgpr_workitem_id 0
		.amdhsa_next_free_vgpr 74
		.amdhsa_next_free_sgpr 18
		.amdhsa_reserve_vcc 1
		.amdhsa_float_round_mode_32 0
		.amdhsa_float_round_mode_16_64 0
		.amdhsa_float_denorm_mode_32 3
		.amdhsa_float_denorm_mode_16_64 3
		.amdhsa_dx10_clamp 1
		.amdhsa_ieee_mode 1
		.amdhsa_fp16_overflow 0
		.amdhsa_workgroup_processor_mode 1
		.amdhsa_memory_ordered 1
		.amdhsa_forward_progress 0
		.amdhsa_shared_vgpr_count 0
		.amdhsa_exception_fp_ieee_invalid_op 0
		.amdhsa_exception_fp_denorm_src 0
		.amdhsa_exception_fp_ieee_div_zero 0
		.amdhsa_exception_fp_ieee_overflow 0
		.amdhsa_exception_fp_ieee_underflow 0
		.amdhsa_exception_fp_ieee_inexact 0
		.amdhsa_exception_int_div_zero 0
	.end_amdhsa_kernel
	.section	.text._ZN7rocprim17ROCPRIM_400000_NS6detail17trampoline_kernelINS0_14default_configENS1_25partition_config_selectorILNS1_17partition_subalgoE6EiNS0_10empty_typeEbEEZZNS1_14partition_implILS5_6ELb0ES3_mN6thrust23THRUST_200600_302600_NS6detail15normal_iteratorINSA_10device_ptrIiEEEEPS6_SG_NS0_5tupleIJSF_S6_EEENSH_IJSG_SG_EEES6_PlJ5mod_3IiEEEE10hipError_tPvRmT3_T4_T5_T6_T7_T9_mT8_P12ihipStream_tbDpT10_ENKUlT_T0_E_clISt17integral_constantIbLb0EES16_EEDaS11_S12_EUlS11_E_NS1_11comp_targetILNS1_3genE9ELNS1_11target_archE1100ELNS1_3gpuE3ELNS1_3repE0EEENS1_30default_config_static_selectorELNS0_4arch9wavefront6targetE0EEEvT1_,"axG",@progbits,_ZN7rocprim17ROCPRIM_400000_NS6detail17trampoline_kernelINS0_14default_configENS1_25partition_config_selectorILNS1_17partition_subalgoE6EiNS0_10empty_typeEbEEZZNS1_14partition_implILS5_6ELb0ES3_mN6thrust23THRUST_200600_302600_NS6detail15normal_iteratorINSA_10device_ptrIiEEEEPS6_SG_NS0_5tupleIJSF_S6_EEENSH_IJSG_SG_EEES6_PlJ5mod_3IiEEEE10hipError_tPvRmT3_T4_T5_T6_T7_T9_mT8_P12ihipStream_tbDpT10_ENKUlT_T0_E_clISt17integral_constantIbLb0EES16_EEDaS11_S12_EUlS11_E_NS1_11comp_targetILNS1_3genE9ELNS1_11target_archE1100ELNS1_3gpuE3ELNS1_3repE0EEENS1_30default_config_static_selectorELNS0_4arch9wavefront6targetE0EEEvT1_,comdat
.Lfunc_end590:
	.size	_ZN7rocprim17ROCPRIM_400000_NS6detail17trampoline_kernelINS0_14default_configENS1_25partition_config_selectorILNS1_17partition_subalgoE6EiNS0_10empty_typeEbEEZZNS1_14partition_implILS5_6ELb0ES3_mN6thrust23THRUST_200600_302600_NS6detail15normal_iteratorINSA_10device_ptrIiEEEEPS6_SG_NS0_5tupleIJSF_S6_EEENSH_IJSG_SG_EEES6_PlJ5mod_3IiEEEE10hipError_tPvRmT3_T4_T5_T6_T7_T9_mT8_P12ihipStream_tbDpT10_ENKUlT_T0_E_clISt17integral_constantIbLb0EES16_EEDaS11_S12_EUlS11_E_NS1_11comp_targetILNS1_3genE9ELNS1_11target_archE1100ELNS1_3gpuE3ELNS1_3repE0EEENS1_30default_config_static_selectorELNS0_4arch9wavefront6targetE0EEEvT1_, .Lfunc_end590-_ZN7rocprim17ROCPRIM_400000_NS6detail17trampoline_kernelINS0_14default_configENS1_25partition_config_selectorILNS1_17partition_subalgoE6EiNS0_10empty_typeEbEEZZNS1_14partition_implILS5_6ELb0ES3_mN6thrust23THRUST_200600_302600_NS6detail15normal_iteratorINSA_10device_ptrIiEEEEPS6_SG_NS0_5tupleIJSF_S6_EEENSH_IJSG_SG_EEES6_PlJ5mod_3IiEEEE10hipError_tPvRmT3_T4_T5_T6_T7_T9_mT8_P12ihipStream_tbDpT10_ENKUlT_T0_E_clISt17integral_constantIbLb0EES16_EEDaS11_S12_EUlS11_E_NS1_11comp_targetILNS1_3genE9ELNS1_11target_archE1100ELNS1_3gpuE3ELNS1_3repE0EEENS1_30default_config_static_selectorELNS0_4arch9wavefront6targetE0EEEvT1_
                                        ; -- End function
	.section	.AMDGPU.csdata,"",@progbits
; Kernel info:
; codeLenInByte = 9344
; NumSgprs: 20
; NumVgprs: 74
; ScratchSize: 0
; MemoryBound: 0
; FloatMode: 240
; IeeeMode: 1
; LDSByteSize: 7184 bytes/workgroup (compile time only)
; SGPRBlocks: 2
; VGPRBlocks: 9
; NumSGPRsForWavesPerEU: 20
; NumVGPRsForWavesPerEU: 74
; Occupancy: 16
; WaveLimiterHint : 1
; COMPUTE_PGM_RSRC2:SCRATCH_EN: 0
; COMPUTE_PGM_RSRC2:USER_SGPR: 15
; COMPUTE_PGM_RSRC2:TRAP_HANDLER: 0
; COMPUTE_PGM_RSRC2:TGID_X_EN: 1
; COMPUTE_PGM_RSRC2:TGID_Y_EN: 0
; COMPUTE_PGM_RSRC2:TGID_Z_EN: 0
; COMPUTE_PGM_RSRC2:TIDIG_COMP_CNT: 0
	.section	.text._ZN7rocprim17ROCPRIM_400000_NS6detail17trampoline_kernelINS0_14default_configENS1_25partition_config_selectorILNS1_17partition_subalgoE6EiNS0_10empty_typeEbEEZZNS1_14partition_implILS5_6ELb0ES3_mN6thrust23THRUST_200600_302600_NS6detail15normal_iteratorINSA_10device_ptrIiEEEEPS6_SG_NS0_5tupleIJSF_S6_EEENSH_IJSG_SG_EEES6_PlJ5mod_3IiEEEE10hipError_tPvRmT3_T4_T5_T6_T7_T9_mT8_P12ihipStream_tbDpT10_ENKUlT_T0_E_clISt17integral_constantIbLb0EES16_EEDaS11_S12_EUlS11_E_NS1_11comp_targetILNS1_3genE8ELNS1_11target_archE1030ELNS1_3gpuE2ELNS1_3repE0EEENS1_30default_config_static_selectorELNS0_4arch9wavefront6targetE0EEEvT1_,"axG",@progbits,_ZN7rocprim17ROCPRIM_400000_NS6detail17trampoline_kernelINS0_14default_configENS1_25partition_config_selectorILNS1_17partition_subalgoE6EiNS0_10empty_typeEbEEZZNS1_14partition_implILS5_6ELb0ES3_mN6thrust23THRUST_200600_302600_NS6detail15normal_iteratorINSA_10device_ptrIiEEEEPS6_SG_NS0_5tupleIJSF_S6_EEENSH_IJSG_SG_EEES6_PlJ5mod_3IiEEEE10hipError_tPvRmT3_T4_T5_T6_T7_T9_mT8_P12ihipStream_tbDpT10_ENKUlT_T0_E_clISt17integral_constantIbLb0EES16_EEDaS11_S12_EUlS11_E_NS1_11comp_targetILNS1_3genE8ELNS1_11target_archE1030ELNS1_3gpuE2ELNS1_3repE0EEENS1_30default_config_static_selectorELNS0_4arch9wavefront6targetE0EEEvT1_,comdat
	.protected	_ZN7rocprim17ROCPRIM_400000_NS6detail17trampoline_kernelINS0_14default_configENS1_25partition_config_selectorILNS1_17partition_subalgoE6EiNS0_10empty_typeEbEEZZNS1_14partition_implILS5_6ELb0ES3_mN6thrust23THRUST_200600_302600_NS6detail15normal_iteratorINSA_10device_ptrIiEEEEPS6_SG_NS0_5tupleIJSF_S6_EEENSH_IJSG_SG_EEES6_PlJ5mod_3IiEEEE10hipError_tPvRmT3_T4_T5_T6_T7_T9_mT8_P12ihipStream_tbDpT10_ENKUlT_T0_E_clISt17integral_constantIbLb0EES16_EEDaS11_S12_EUlS11_E_NS1_11comp_targetILNS1_3genE8ELNS1_11target_archE1030ELNS1_3gpuE2ELNS1_3repE0EEENS1_30default_config_static_selectorELNS0_4arch9wavefront6targetE0EEEvT1_ ; -- Begin function _ZN7rocprim17ROCPRIM_400000_NS6detail17trampoline_kernelINS0_14default_configENS1_25partition_config_selectorILNS1_17partition_subalgoE6EiNS0_10empty_typeEbEEZZNS1_14partition_implILS5_6ELb0ES3_mN6thrust23THRUST_200600_302600_NS6detail15normal_iteratorINSA_10device_ptrIiEEEEPS6_SG_NS0_5tupleIJSF_S6_EEENSH_IJSG_SG_EEES6_PlJ5mod_3IiEEEE10hipError_tPvRmT3_T4_T5_T6_T7_T9_mT8_P12ihipStream_tbDpT10_ENKUlT_T0_E_clISt17integral_constantIbLb0EES16_EEDaS11_S12_EUlS11_E_NS1_11comp_targetILNS1_3genE8ELNS1_11target_archE1030ELNS1_3gpuE2ELNS1_3repE0EEENS1_30default_config_static_selectorELNS0_4arch9wavefront6targetE0EEEvT1_
	.globl	_ZN7rocprim17ROCPRIM_400000_NS6detail17trampoline_kernelINS0_14default_configENS1_25partition_config_selectorILNS1_17partition_subalgoE6EiNS0_10empty_typeEbEEZZNS1_14partition_implILS5_6ELb0ES3_mN6thrust23THRUST_200600_302600_NS6detail15normal_iteratorINSA_10device_ptrIiEEEEPS6_SG_NS0_5tupleIJSF_S6_EEENSH_IJSG_SG_EEES6_PlJ5mod_3IiEEEE10hipError_tPvRmT3_T4_T5_T6_T7_T9_mT8_P12ihipStream_tbDpT10_ENKUlT_T0_E_clISt17integral_constantIbLb0EES16_EEDaS11_S12_EUlS11_E_NS1_11comp_targetILNS1_3genE8ELNS1_11target_archE1030ELNS1_3gpuE2ELNS1_3repE0EEENS1_30default_config_static_selectorELNS0_4arch9wavefront6targetE0EEEvT1_
	.p2align	8
	.type	_ZN7rocprim17ROCPRIM_400000_NS6detail17trampoline_kernelINS0_14default_configENS1_25partition_config_selectorILNS1_17partition_subalgoE6EiNS0_10empty_typeEbEEZZNS1_14partition_implILS5_6ELb0ES3_mN6thrust23THRUST_200600_302600_NS6detail15normal_iteratorINSA_10device_ptrIiEEEEPS6_SG_NS0_5tupleIJSF_S6_EEENSH_IJSG_SG_EEES6_PlJ5mod_3IiEEEE10hipError_tPvRmT3_T4_T5_T6_T7_T9_mT8_P12ihipStream_tbDpT10_ENKUlT_T0_E_clISt17integral_constantIbLb0EES16_EEDaS11_S12_EUlS11_E_NS1_11comp_targetILNS1_3genE8ELNS1_11target_archE1030ELNS1_3gpuE2ELNS1_3repE0EEENS1_30default_config_static_selectorELNS0_4arch9wavefront6targetE0EEEvT1_,@function
_ZN7rocprim17ROCPRIM_400000_NS6detail17trampoline_kernelINS0_14default_configENS1_25partition_config_selectorILNS1_17partition_subalgoE6EiNS0_10empty_typeEbEEZZNS1_14partition_implILS5_6ELb0ES3_mN6thrust23THRUST_200600_302600_NS6detail15normal_iteratorINSA_10device_ptrIiEEEEPS6_SG_NS0_5tupleIJSF_S6_EEENSH_IJSG_SG_EEES6_PlJ5mod_3IiEEEE10hipError_tPvRmT3_T4_T5_T6_T7_T9_mT8_P12ihipStream_tbDpT10_ENKUlT_T0_E_clISt17integral_constantIbLb0EES16_EEDaS11_S12_EUlS11_E_NS1_11comp_targetILNS1_3genE8ELNS1_11target_archE1030ELNS1_3gpuE2ELNS1_3repE0EEENS1_30default_config_static_selectorELNS0_4arch9wavefront6targetE0EEEvT1_: ; @_ZN7rocprim17ROCPRIM_400000_NS6detail17trampoline_kernelINS0_14default_configENS1_25partition_config_selectorILNS1_17partition_subalgoE6EiNS0_10empty_typeEbEEZZNS1_14partition_implILS5_6ELb0ES3_mN6thrust23THRUST_200600_302600_NS6detail15normal_iteratorINSA_10device_ptrIiEEEEPS6_SG_NS0_5tupleIJSF_S6_EEENSH_IJSG_SG_EEES6_PlJ5mod_3IiEEEE10hipError_tPvRmT3_T4_T5_T6_T7_T9_mT8_P12ihipStream_tbDpT10_ENKUlT_T0_E_clISt17integral_constantIbLb0EES16_EEDaS11_S12_EUlS11_E_NS1_11comp_targetILNS1_3genE8ELNS1_11target_archE1030ELNS1_3gpuE2ELNS1_3repE0EEENS1_30default_config_static_selectorELNS0_4arch9wavefront6targetE0EEEvT1_
; %bb.0:
	.section	.rodata,"a",@progbits
	.p2align	6, 0x0
	.amdhsa_kernel _ZN7rocprim17ROCPRIM_400000_NS6detail17trampoline_kernelINS0_14default_configENS1_25partition_config_selectorILNS1_17partition_subalgoE6EiNS0_10empty_typeEbEEZZNS1_14partition_implILS5_6ELb0ES3_mN6thrust23THRUST_200600_302600_NS6detail15normal_iteratorINSA_10device_ptrIiEEEEPS6_SG_NS0_5tupleIJSF_S6_EEENSH_IJSG_SG_EEES6_PlJ5mod_3IiEEEE10hipError_tPvRmT3_T4_T5_T6_T7_T9_mT8_P12ihipStream_tbDpT10_ENKUlT_T0_E_clISt17integral_constantIbLb0EES16_EEDaS11_S12_EUlS11_E_NS1_11comp_targetILNS1_3genE8ELNS1_11target_archE1030ELNS1_3gpuE2ELNS1_3repE0EEENS1_30default_config_static_selectorELNS0_4arch9wavefront6targetE0EEEvT1_
		.amdhsa_group_segment_fixed_size 0
		.amdhsa_private_segment_fixed_size 0
		.amdhsa_kernarg_size 112
		.amdhsa_user_sgpr_count 15
		.amdhsa_user_sgpr_dispatch_ptr 0
		.amdhsa_user_sgpr_queue_ptr 0
		.amdhsa_user_sgpr_kernarg_segment_ptr 1
		.amdhsa_user_sgpr_dispatch_id 0
		.amdhsa_user_sgpr_private_segment_size 0
		.amdhsa_wavefront_size32 1
		.amdhsa_uses_dynamic_stack 0
		.amdhsa_enable_private_segment 0
		.amdhsa_system_sgpr_workgroup_id_x 1
		.amdhsa_system_sgpr_workgroup_id_y 0
		.amdhsa_system_sgpr_workgroup_id_z 0
		.amdhsa_system_sgpr_workgroup_info 0
		.amdhsa_system_vgpr_workitem_id 0
		.amdhsa_next_free_vgpr 1
		.amdhsa_next_free_sgpr 1
		.amdhsa_reserve_vcc 0
		.amdhsa_float_round_mode_32 0
		.amdhsa_float_round_mode_16_64 0
		.amdhsa_float_denorm_mode_32 3
		.amdhsa_float_denorm_mode_16_64 3
		.amdhsa_dx10_clamp 1
		.amdhsa_ieee_mode 1
		.amdhsa_fp16_overflow 0
		.amdhsa_workgroup_processor_mode 1
		.amdhsa_memory_ordered 1
		.amdhsa_forward_progress 0
		.amdhsa_shared_vgpr_count 0
		.amdhsa_exception_fp_ieee_invalid_op 0
		.amdhsa_exception_fp_denorm_src 0
		.amdhsa_exception_fp_ieee_div_zero 0
		.amdhsa_exception_fp_ieee_overflow 0
		.amdhsa_exception_fp_ieee_underflow 0
		.amdhsa_exception_fp_ieee_inexact 0
		.amdhsa_exception_int_div_zero 0
	.end_amdhsa_kernel
	.section	.text._ZN7rocprim17ROCPRIM_400000_NS6detail17trampoline_kernelINS0_14default_configENS1_25partition_config_selectorILNS1_17partition_subalgoE6EiNS0_10empty_typeEbEEZZNS1_14partition_implILS5_6ELb0ES3_mN6thrust23THRUST_200600_302600_NS6detail15normal_iteratorINSA_10device_ptrIiEEEEPS6_SG_NS0_5tupleIJSF_S6_EEENSH_IJSG_SG_EEES6_PlJ5mod_3IiEEEE10hipError_tPvRmT3_T4_T5_T6_T7_T9_mT8_P12ihipStream_tbDpT10_ENKUlT_T0_E_clISt17integral_constantIbLb0EES16_EEDaS11_S12_EUlS11_E_NS1_11comp_targetILNS1_3genE8ELNS1_11target_archE1030ELNS1_3gpuE2ELNS1_3repE0EEENS1_30default_config_static_selectorELNS0_4arch9wavefront6targetE0EEEvT1_,"axG",@progbits,_ZN7rocprim17ROCPRIM_400000_NS6detail17trampoline_kernelINS0_14default_configENS1_25partition_config_selectorILNS1_17partition_subalgoE6EiNS0_10empty_typeEbEEZZNS1_14partition_implILS5_6ELb0ES3_mN6thrust23THRUST_200600_302600_NS6detail15normal_iteratorINSA_10device_ptrIiEEEEPS6_SG_NS0_5tupleIJSF_S6_EEENSH_IJSG_SG_EEES6_PlJ5mod_3IiEEEE10hipError_tPvRmT3_T4_T5_T6_T7_T9_mT8_P12ihipStream_tbDpT10_ENKUlT_T0_E_clISt17integral_constantIbLb0EES16_EEDaS11_S12_EUlS11_E_NS1_11comp_targetILNS1_3genE8ELNS1_11target_archE1030ELNS1_3gpuE2ELNS1_3repE0EEENS1_30default_config_static_selectorELNS0_4arch9wavefront6targetE0EEEvT1_,comdat
.Lfunc_end591:
	.size	_ZN7rocprim17ROCPRIM_400000_NS6detail17trampoline_kernelINS0_14default_configENS1_25partition_config_selectorILNS1_17partition_subalgoE6EiNS0_10empty_typeEbEEZZNS1_14partition_implILS5_6ELb0ES3_mN6thrust23THRUST_200600_302600_NS6detail15normal_iteratorINSA_10device_ptrIiEEEEPS6_SG_NS0_5tupleIJSF_S6_EEENSH_IJSG_SG_EEES6_PlJ5mod_3IiEEEE10hipError_tPvRmT3_T4_T5_T6_T7_T9_mT8_P12ihipStream_tbDpT10_ENKUlT_T0_E_clISt17integral_constantIbLb0EES16_EEDaS11_S12_EUlS11_E_NS1_11comp_targetILNS1_3genE8ELNS1_11target_archE1030ELNS1_3gpuE2ELNS1_3repE0EEENS1_30default_config_static_selectorELNS0_4arch9wavefront6targetE0EEEvT1_, .Lfunc_end591-_ZN7rocprim17ROCPRIM_400000_NS6detail17trampoline_kernelINS0_14default_configENS1_25partition_config_selectorILNS1_17partition_subalgoE6EiNS0_10empty_typeEbEEZZNS1_14partition_implILS5_6ELb0ES3_mN6thrust23THRUST_200600_302600_NS6detail15normal_iteratorINSA_10device_ptrIiEEEEPS6_SG_NS0_5tupleIJSF_S6_EEENSH_IJSG_SG_EEES6_PlJ5mod_3IiEEEE10hipError_tPvRmT3_T4_T5_T6_T7_T9_mT8_P12ihipStream_tbDpT10_ENKUlT_T0_E_clISt17integral_constantIbLb0EES16_EEDaS11_S12_EUlS11_E_NS1_11comp_targetILNS1_3genE8ELNS1_11target_archE1030ELNS1_3gpuE2ELNS1_3repE0EEENS1_30default_config_static_selectorELNS0_4arch9wavefront6targetE0EEEvT1_
                                        ; -- End function
	.section	.AMDGPU.csdata,"",@progbits
; Kernel info:
; codeLenInByte = 0
; NumSgprs: 0
; NumVgprs: 0
; ScratchSize: 0
; MemoryBound: 0
; FloatMode: 240
; IeeeMode: 1
; LDSByteSize: 0 bytes/workgroup (compile time only)
; SGPRBlocks: 0
; VGPRBlocks: 0
; NumSGPRsForWavesPerEU: 1
; NumVGPRsForWavesPerEU: 1
; Occupancy: 16
; WaveLimiterHint : 0
; COMPUTE_PGM_RSRC2:SCRATCH_EN: 0
; COMPUTE_PGM_RSRC2:USER_SGPR: 15
; COMPUTE_PGM_RSRC2:TRAP_HANDLER: 0
; COMPUTE_PGM_RSRC2:TGID_X_EN: 1
; COMPUTE_PGM_RSRC2:TGID_Y_EN: 0
; COMPUTE_PGM_RSRC2:TGID_Z_EN: 0
; COMPUTE_PGM_RSRC2:TIDIG_COMP_CNT: 0
	.section	.text._ZN7rocprim17ROCPRIM_400000_NS6detail17trampoline_kernelINS0_14default_configENS1_25partition_config_selectorILNS1_17partition_subalgoE6EiNS0_10empty_typeEbEEZZNS1_14partition_implILS5_6ELb0ES3_mN6thrust23THRUST_200600_302600_NS6detail15normal_iteratorINSA_10device_ptrIiEEEEPS6_SG_NS0_5tupleIJSF_S6_EEENSH_IJSG_SG_EEES6_PlJ5mod_3IiEEEE10hipError_tPvRmT3_T4_T5_T6_T7_T9_mT8_P12ihipStream_tbDpT10_ENKUlT_T0_E_clISt17integral_constantIbLb1EES16_EEDaS11_S12_EUlS11_E_NS1_11comp_targetILNS1_3genE0ELNS1_11target_archE4294967295ELNS1_3gpuE0ELNS1_3repE0EEENS1_30default_config_static_selectorELNS0_4arch9wavefront6targetE0EEEvT1_,"axG",@progbits,_ZN7rocprim17ROCPRIM_400000_NS6detail17trampoline_kernelINS0_14default_configENS1_25partition_config_selectorILNS1_17partition_subalgoE6EiNS0_10empty_typeEbEEZZNS1_14partition_implILS5_6ELb0ES3_mN6thrust23THRUST_200600_302600_NS6detail15normal_iteratorINSA_10device_ptrIiEEEEPS6_SG_NS0_5tupleIJSF_S6_EEENSH_IJSG_SG_EEES6_PlJ5mod_3IiEEEE10hipError_tPvRmT3_T4_T5_T6_T7_T9_mT8_P12ihipStream_tbDpT10_ENKUlT_T0_E_clISt17integral_constantIbLb1EES16_EEDaS11_S12_EUlS11_E_NS1_11comp_targetILNS1_3genE0ELNS1_11target_archE4294967295ELNS1_3gpuE0ELNS1_3repE0EEENS1_30default_config_static_selectorELNS0_4arch9wavefront6targetE0EEEvT1_,comdat
	.protected	_ZN7rocprim17ROCPRIM_400000_NS6detail17trampoline_kernelINS0_14default_configENS1_25partition_config_selectorILNS1_17partition_subalgoE6EiNS0_10empty_typeEbEEZZNS1_14partition_implILS5_6ELb0ES3_mN6thrust23THRUST_200600_302600_NS6detail15normal_iteratorINSA_10device_ptrIiEEEEPS6_SG_NS0_5tupleIJSF_S6_EEENSH_IJSG_SG_EEES6_PlJ5mod_3IiEEEE10hipError_tPvRmT3_T4_T5_T6_T7_T9_mT8_P12ihipStream_tbDpT10_ENKUlT_T0_E_clISt17integral_constantIbLb1EES16_EEDaS11_S12_EUlS11_E_NS1_11comp_targetILNS1_3genE0ELNS1_11target_archE4294967295ELNS1_3gpuE0ELNS1_3repE0EEENS1_30default_config_static_selectorELNS0_4arch9wavefront6targetE0EEEvT1_ ; -- Begin function _ZN7rocprim17ROCPRIM_400000_NS6detail17trampoline_kernelINS0_14default_configENS1_25partition_config_selectorILNS1_17partition_subalgoE6EiNS0_10empty_typeEbEEZZNS1_14partition_implILS5_6ELb0ES3_mN6thrust23THRUST_200600_302600_NS6detail15normal_iteratorINSA_10device_ptrIiEEEEPS6_SG_NS0_5tupleIJSF_S6_EEENSH_IJSG_SG_EEES6_PlJ5mod_3IiEEEE10hipError_tPvRmT3_T4_T5_T6_T7_T9_mT8_P12ihipStream_tbDpT10_ENKUlT_T0_E_clISt17integral_constantIbLb1EES16_EEDaS11_S12_EUlS11_E_NS1_11comp_targetILNS1_3genE0ELNS1_11target_archE4294967295ELNS1_3gpuE0ELNS1_3repE0EEENS1_30default_config_static_selectorELNS0_4arch9wavefront6targetE0EEEvT1_
	.globl	_ZN7rocprim17ROCPRIM_400000_NS6detail17trampoline_kernelINS0_14default_configENS1_25partition_config_selectorILNS1_17partition_subalgoE6EiNS0_10empty_typeEbEEZZNS1_14partition_implILS5_6ELb0ES3_mN6thrust23THRUST_200600_302600_NS6detail15normal_iteratorINSA_10device_ptrIiEEEEPS6_SG_NS0_5tupleIJSF_S6_EEENSH_IJSG_SG_EEES6_PlJ5mod_3IiEEEE10hipError_tPvRmT3_T4_T5_T6_T7_T9_mT8_P12ihipStream_tbDpT10_ENKUlT_T0_E_clISt17integral_constantIbLb1EES16_EEDaS11_S12_EUlS11_E_NS1_11comp_targetILNS1_3genE0ELNS1_11target_archE4294967295ELNS1_3gpuE0ELNS1_3repE0EEENS1_30default_config_static_selectorELNS0_4arch9wavefront6targetE0EEEvT1_
	.p2align	8
	.type	_ZN7rocprim17ROCPRIM_400000_NS6detail17trampoline_kernelINS0_14default_configENS1_25partition_config_selectorILNS1_17partition_subalgoE6EiNS0_10empty_typeEbEEZZNS1_14partition_implILS5_6ELb0ES3_mN6thrust23THRUST_200600_302600_NS6detail15normal_iteratorINSA_10device_ptrIiEEEEPS6_SG_NS0_5tupleIJSF_S6_EEENSH_IJSG_SG_EEES6_PlJ5mod_3IiEEEE10hipError_tPvRmT3_T4_T5_T6_T7_T9_mT8_P12ihipStream_tbDpT10_ENKUlT_T0_E_clISt17integral_constantIbLb1EES16_EEDaS11_S12_EUlS11_E_NS1_11comp_targetILNS1_3genE0ELNS1_11target_archE4294967295ELNS1_3gpuE0ELNS1_3repE0EEENS1_30default_config_static_selectorELNS0_4arch9wavefront6targetE0EEEvT1_,@function
_ZN7rocprim17ROCPRIM_400000_NS6detail17trampoline_kernelINS0_14default_configENS1_25partition_config_selectorILNS1_17partition_subalgoE6EiNS0_10empty_typeEbEEZZNS1_14partition_implILS5_6ELb0ES3_mN6thrust23THRUST_200600_302600_NS6detail15normal_iteratorINSA_10device_ptrIiEEEEPS6_SG_NS0_5tupleIJSF_S6_EEENSH_IJSG_SG_EEES6_PlJ5mod_3IiEEEE10hipError_tPvRmT3_T4_T5_T6_T7_T9_mT8_P12ihipStream_tbDpT10_ENKUlT_T0_E_clISt17integral_constantIbLb1EES16_EEDaS11_S12_EUlS11_E_NS1_11comp_targetILNS1_3genE0ELNS1_11target_archE4294967295ELNS1_3gpuE0ELNS1_3repE0EEENS1_30default_config_static_selectorELNS0_4arch9wavefront6targetE0EEEvT1_: ; @_ZN7rocprim17ROCPRIM_400000_NS6detail17trampoline_kernelINS0_14default_configENS1_25partition_config_selectorILNS1_17partition_subalgoE6EiNS0_10empty_typeEbEEZZNS1_14partition_implILS5_6ELb0ES3_mN6thrust23THRUST_200600_302600_NS6detail15normal_iteratorINSA_10device_ptrIiEEEEPS6_SG_NS0_5tupleIJSF_S6_EEENSH_IJSG_SG_EEES6_PlJ5mod_3IiEEEE10hipError_tPvRmT3_T4_T5_T6_T7_T9_mT8_P12ihipStream_tbDpT10_ENKUlT_T0_E_clISt17integral_constantIbLb1EES16_EEDaS11_S12_EUlS11_E_NS1_11comp_targetILNS1_3genE0ELNS1_11target_archE4294967295ELNS1_3gpuE0ELNS1_3repE0EEENS1_30default_config_static_selectorELNS0_4arch9wavefront6targetE0EEEvT1_
; %bb.0:
	.section	.rodata,"a",@progbits
	.p2align	6, 0x0
	.amdhsa_kernel _ZN7rocprim17ROCPRIM_400000_NS6detail17trampoline_kernelINS0_14default_configENS1_25partition_config_selectorILNS1_17partition_subalgoE6EiNS0_10empty_typeEbEEZZNS1_14partition_implILS5_6ELb0ES3_mN6thrust23THRUST_200600_302600_NS6detail15normal_iteratorINSA_10device_ptrIiEEEEPS6_SG_NS0_5tupleIJSF_S6_EEENSH_IJSG_SG_EEES6_PlJ5mod_3IiEEEE10hipError_tPvRmT3_T4_T5_T6_T7_T9_mT8_P12ihipStream_tbDpT10_ENKUlT_T0_E_clISt17integral_constantIbLb1EES16_EEDaS11_S12_EUlS11_E_NS1_11comp_targetILNS1_3genE0ELNS1_11target_archE4294967295ELNS1_3gpuE0ELNS1_3repE0EEENS1_30default_config_static_selectorELNS0_4arch9wavefront6targetE0EEEvT1_
		.amdhsa_group_segment_fixed_size 0
		.amdhsa_private_segment_fixed_size 0
		.amdhsa_kernarg_size 128
		.amdhsa_user_sgpr_count 15
		.amdhsa_user_sgpr_dispatch_ptr 0
		.amdhsa_user_sgpr_queue_ptr 0
		.amdhsa_user_sgpr_kernarg_segment_ptr 1
		.amdhsa_user_sgpr_dispatch_id 0
		.amdhsa_user_sgpr_private_segment_size 0
		.amdhsa_wavefront_size32 1
		.amdhsa_uses_dynamic_stack 0
		.amdhsa_enable_private_segment 0
		.amdhsa_system_sgpr_workgroup_id_x 1
		.amdhsa_system_sgpr_workgroup_id_y 0
		.amdhsa_system_sgpr_workgroup_id_z 0
		.amdhsa_system_sgpr_workgroup_info 0
		.amdhsa_system_vgpr_workitem_id 0
		.amdhsa_next_free_vgpr 1
		.amdhsa_next_free_sgpr 1
		.amdhsa_reserve_vcc 0
		.amdhsa_float_round_mode_32 0
		.amdhsa_float_round_mode_16_64 0
		.amdhsa_float_denorm_mode_32 3
		.amdhsa_float_denorm_mode_16_64 3
		.amdhsa_dx10_clamp 1
		.amdhsa_ieee_mode 1
		.amdhsa_fp16_overflow 0
		.amdhsa_workgroup_processor_mode 1
		.amdhsa_memory_ordered 1
		.amdhsa_forward_progress 0
		.amdhsa_shared_vgpr_count 0
		.amdhsa_exception_fp_ieee_invalid_op 0
		.amdhsa_exception_fp_denorm_src 0
		.amdhsa_exception_fp_ieee_div_zero 0
		.amdhsa_exception_fp_ieee_overflow 0
		.amdhsa_exception_fp_ieee_underflow 0
		.amdhsa_exception_fp_ieee_inexact 0
		.amdhsa_exception_int_div_zero 0
	.end_amdhsa_kernel
	.section	.text._ZN7rocprim17ROCPRIM_400000_NS6detail17trampoline_kernelINS0_14default_configENS1_25partition_config_selectorILNS1_17partition_subalgoE6EiNS0_10empty_typeEbEEZZNS1_14partition_implILS5_6ELb0ES3_mN6thrust23THRUST_200600_302600_NS6detail15normal_iteratorINSA_10device_ptrIiEEEEPS6_SG_NS0_5tupleIJSF_S6_EEENSH_IJSG_SG_EEES6_PlJ5mod_3IiEEEE10hipError_tPvRmT3_T4_T5_T6_T7_T9_mT8_P12ihipStream_tbDpT10_ENKUlT_T0_E_clISt17integral_constantIbLb1EES16_EEDaS11_S12_EUlS11_E_NS1_11comp_targetILNS1_3genE0ELNS1_11target_archE4294967295ELNS1_3gpuE0ELNS1_3repE0EEENS1_30default_config_static_selectorELNS0_4arch9wavefront6targetE0EEEvT1_,"axG",@progbits,_ZN7rocprim17ROCPRIM_400000_NS6detail17trampoline_kernelINS0_14default_configENS1_25partition_config_selectorILNS1_17partition_subalgoE6EiNS0_10empty_typeEbEEZZNS1_14partition_implILS5_6ELb0ES3_mN6thrust23THRUST_200600_302600_NS6detail15normal_iteratorINSA_10device_ptrIiEEEEPS6_SG_NS0_5tupleIJSF_S6_EEENSH_IJSG_SG_EEES6_PlJ5mod_3IiEEEE10hipError_tPvRmT3_T4_T5_T6_T7_T9_mT8_P12ihipStream_tbDpT10_ENKUlT_T0_E_clISt17integral_constantIbLb1EES16_EEDaS11_S12_EUlS11_E_NS1_11comp_targetILNS1_3genE0ELNS1_11target_archE4294967295ELNS1_3gpuE0ELNS1_3repE0EEENS1_30default_config_static_selectorELNS0_4arch9wavefront6targetE0EEEvT1_,comdat
.Lfunc_end592:
	.size	_ZN7rocprim17ROCPRIM_400000_NS6detail17trampoline_kernelINS0_14default_configENS1_25partition_config_selectorILNS1_17partition_subalgoE6EiNS0_10empty_typeEbEEZZNS1_14partition_implILS5_6ELb0ES3_mN6thrust23THRUST_200600_302600_NS6detail15normal_iteratorINSA_10device_ptrIiEEEEPS6_SG_NS0_5tupleIJSF_S6_EEENSH_IJSG_SG_EEES6_PlJ5mod_3IiEEEE10hipError_tPvRmT3_T4_T5_T6_T7_T9_mT8_P12ihipStream_tbDpT10_ENKUlT_T0_E_clISt17integral_constantIbLb1EES16_EEDaS11_S12_EUlS11_E_NS1_11comp_targetILNS1_3genE0ELNS1_11target_archE4294967295ELNS1_3gpuE0ELNS1_3repE0EEENS1_30default_config_static_selectorELNS0_4arch9wavefront6targetE0EEEvT1_, .Lfunc_end592-_ZN7rocprim17ROCPRIM_400000_NS6detail17trampoline_kernelINS0_14default_configENS1_25partition_config_selectorILNS1_17partition_subalgoE6EiNS0_10empty_typeEbEEZZNS1_14partition_implILS5_6ELb0ES3_mN6thrust23THRUST_200600_302600_NS6detail15normal_iteratorINSA_10device_ptrIiEEEEPS6_SG_NS0_5tupleIJSF_S6_EEENSH_IJSG_SG_EEES6_PlJ5mod_3IiEEEE10hipError_tPvRmT3_T4_T5_T6_T7_T9_mT8_P12ihipStream_tbDpT10_ENKUlT_T0_E_clISt17integral_constantIbLb1EES16_EEDaS11_S12_EUlS11_E_NS1_11comp_targetILNS1_3genE0ELNS1_11target_archE4294967295ELNS1_3gpuE0ELNS1_3repE0EEENS1_30default_config_static_selectorELNS0_4arch9wavefront6targetE0EEEvT1_
                                        ; -- End function
	.section	.AMDGPU.csdata,"",@progbits
; Kernel info:
; codeLenInByte = 0
; NumSgprs: 0
; NumVgprs: 0
; ScratchSize: 0
; MemoryBound: 0
; FloatMode: 240
; IeeeMode: 1
; LDSByteSize: 0 bytes/workgroup (compile time only)
; SGPRBlocks: 0
; VGPRBlocks: 0
; NumSGPRsForWavesPerEU: 1
; NumVGPRsForWavesPerEU: 1
; Occupancy: 16
; WaveLimiterHint : 0
; COMPUTE_PGM_RSRC2:SCRATCH_EN: 0
; COMPUTE_PGM_RSRC2:USER_SGPR: 15
; COMPUTE_PGM_RSRC2:TRAP_HANDLER: 0
; COMPUTE_PGM_RSRC2:TGID_X_EN: 1
; COMPUTE_PGM_RSRC2:TGID_Y_EN: 0
; COMPUTE_PGM_RSRC2:TGID_Z_EN: 0
; COMPUTE_PGM_RSRC2:TIDIG_COMP_CNT: 0
	.section	.text._ZN7rocprim17ROCPRIM_400000_NS6detail17trampoline_kernelINS0_14default_configENS1_25partition_config_selectorILNS1_17partition_subalgoE6EiNS0_10empty_typeEbEEZZNS1_14partition_implILS5_6ELb0ES3_mN6thrust23THRUST_200600_302600_NS6detail15normal_iteratorINSA_10device_ptrIiEEEEPS6_SG_NS0_5tupleIJSF_S6_EEENSH_IJSG_SG_EEES6_PlJ5mod_3IiEEEE10hipError_tPvRmT3_T4_T5_T6_T7_T9_mT8_P12ihipStream_tbDpT10_ENKUlT_T0_E_clISt17integral_constantIbLb1EES16_EEDaS11_S12_EUlS11_E_NS1_11comp_targetILNS1_3genE5ELNS1_11target_archE942ELNS1_3gpuE9ELNS1_3repE0EEENS1_30default_config_static_selectorELNS0_4arch9wavefront6targetE0EEEvT1_,"axG",@progbits,_ZN7rocprim17ROCPRIM_400000_NS6detail17trampoline_kernelINS0_14default_configENS1_25partition_config_selectorILNS1_17partition_subalgoE6EiNS0_10empty_typeEbEEZZNS1_14partition_implILS5_6ELb0ES3_mN6thrust23THRUST_200600_302600_NS6detail15normal_iteratorINSA_10device_ptrIiEEEEPS6_SG_NS0_5tupleIJSF_S6_EEENSH_IJSG_SG_EEES6_PlJ5mod_3IiEEEE10hipError_tPvRmT3_T4_T5_T6_T7_T9_mT8_P12ihipStream_tbDpT10_ENKUlT_T0_E_clISt17integral_constantIbLb1EES16_EEDaS11_S12_EUlS11_E_NS1_11comp_targetILNS1_3genE5ELNS1_11target_archE942ELNS1_3gpuE9ELNS1_3repE0EEENS1_30default_config_static_selectorELNS0_4arch9wavefront6targetE0EEEvT1_,comdat
	.protected	_ZN7rocprim17ROCPRIM_400000_NS6detail17trampoline_kernelINS0_14default_configENS1_25partition_config_selectorILNS1_17partition_subalgoE6EiNS0_10empty_typeEbEEZZNS1_14partition_implILS5_6ELb0ES3_mN6thrust23THRUST_200600_302600_NS6detail15normal_iteratorINSA_10device_ptrIiEEEEPS6_SG_NS0_5tupleIJSF_S6_EEENSH_IJSG_SG_EEES6_PlJ5mod_3IiEEEE10hipError_tPvRmT3_T4_T5_T6_T7_T9_mT8_P12ihipStream_tbDpT10_ENKUlT_T0_E_clISt17integral_constantIbLb1EES16_EEDaS11_S12_EUlS11_E_NS1_11comp_targetILNS1_3genE5ELNS1_11target_archE942ELNS1_3gpuE9ELNS1_3repE0EEENS1_30default_config_static_selectorELNS0_4arch9wavefront6targetE0EEEvT1_ ; -- Begin function _ZN7rocprim17ROCPRIM_400000_NS6detail17trampoline_kernelINS0_14default_configENS1_25partition_config_selectorILNS1_17partition_subalgoE6EiNS0_10empty_typeEbEEZZNS1_14partition_implILS5_6ELb0ES3_mN6thrust23THRUST_200600_302600_NS6detail15normal_iteratorINSA_10device_ptrIiEEEEPS6_SG_NS0_5tupleIJSF_S6_EEENSH_IJSG_SG_EEES6_PlJ5mod_3IiEEEE10hipError_tPvRmT3_T4_T5_T6_T7_T9_mT8_P12ihipStream_tbDpT10_ENKUlT_T0_E_clISt17integral_constantIbLb1EES16_EEDaS11_S12_EUlS11_E_NS1_11comp_targetILNS1_3genE5ELNS1_11target_archE942ELNS1_3gpuE9ELNS1_3repE0EEENS1_30default_config_static_selectorELNS0_4arch9wavefront6targetE0EEEvT1_
	.globl	_ZN7rocprim17ROCPRIM_400000_NS6detail17trampoline_kernelINS0_14default_configENS1_25partition_config_selectorILNS1_17partition_subalgoE6EiNS0_10empty_typeEbEEZZNS1_14partition_implILS5_6ELb0ES3_mN6thrust23THRUST_200600_302600_NS6detail15normal_iteratorINSA_10device_ptrIiEEEEPS6_SG_NS0_5tupleIJSF_S6_EEENSH_IJSG_SG_EEES6_PlJ5mod_3IiEEEE10hipError_tPvRmT3_T4_T5_T6_T7_T9_mT8_P12ihipStream_tbDpT10_ENKUlT_T0_E_clISt17integral_constantIbLb1EES16_EEDaS11_S12_EUlS11_E_NS1_11comp_targetILNS1_3genE5ELNS1_11target_archE942ELNS1_3gpuE9ELNS1_3repE0EEENS1_30default_config_static_selectorELNS0_4arch9wavefront6targetE0EEEvT1_
	.p2align	8
	.type	_ZN7rocprim17ROCPRIM_400000_NS6detail17trampoline_kernelINS0_14default_configENS1_25partition_config_selectorILNS1_17partition_subalgoE6EiNS0_10empty_typeEbEEZZNS1_14partition_implILS5_6ELb0ES3_mN6thrust23THRUST_200600_302600_NS6detail15normal_iteratorINSA_10device_ptrIiEEEEPS6_SG_NS0_5tupleIJSF_S6_EEENSH_IJSG_SG_EEES6_PlJ5mod_3IiEEEE10hipError_tPvRmT3_T4_T5_T6_T7_T9_mT8_P12ihipStream_tbDpT10_ENKUlT_T0_E_clISt17integral_constantIbLb1EES16_EEDaS11_S12_EUlS11_E_NS1_11comp_targetILNS1_3genE5ELNS1_11target_archE942ELNS1_3gpuE9ELNS1_3repE0EEENS1_30default_config_static_selectorELNS0_4arch9wavefront6targetE0EEEvT1_,@function
_ZN7rocprim17ROCPRIM_400000_NS6detail17trampoline_kernelINS0_14default_configENS1_25partition_config_selectorILNS1_17partition_subalgoE6EiNS0_10empty_typeEbEEZZNS1_14partition_implILS5_6ELb0ES3_mN6thrust23THRUST_200600_302600_NS6detail15normal_iteratorINSA_10device_ptrIiEEEEPS6_SG_NS0_5tupleIJSF_S6_EEENSH_IJSG_SG_EEES6_PlJ5mod_3IiEEEE10hipError_tPvRmT3_T4_T5_T6_T7_T9_mT8_P12ihipStream_tbDpT10_ENKUlT_T0_E_clISt17integral_constantIbLb1EES16_EEDaS11_S12_EUlS11_E_NS1_11comp_targetILNS1_3genE5ELNS1_11target_archE942ELNS1_3gpuE9ELNS1_3repE0EEENS1_30default_config_static_selectorELNS0_4arch9wavefront6targetE0EEEvT1_: ; @_ZN7rocprim17ROCPRIM_400000_NS6detail17trampoline_kernelINS0_14default_configENS1_25partition_config_selectorILNS1_17partition_subalgoE6EiNS0_10empty_typeEbEEZZNS1_14partition_implILS5_6ELb0ES3_mN6thrust23THRUST_200600_302600_NS6detail15normal_iteratorINSA_10device_ptrIiEEEEPS6_SG_NS0_5tupleIJSF_S6_EEENSH_IJSG_SG_EEES6_PlJ5mod_3IiEEEE10hipError_tPvRmT3_T4_T5_T6_T7_T9_mT8_P12ihipStream_tbDpT10_ENKUlT_T0_E_clISt17integral_constantIbLb1EES16_EEDaS11_S12_EUlS11_E_NS1_11comp_targetILNS1_3genE5ELNS1_11target_archE942ELNS1_3gpuE9ELNS1_3repE0EEENS1_30default_config_static_selectorELNS0_4arch9wavefront6targetE0EEEvT1_
; %bb.0:
	.section	.rodata,"a",@progbits
	.p2align	6, 0x0
	.amdhsa_kernel _ZN7rocprim17ROCPRIM_400000_NS6detail17trampoline_kernelINS0_14default_configENS1_25partition_config_selectorILNS1_17partition_subalgoE6EiNS0_10empty_typeEbEEZZNS1_14partition_implILS5_6ELb0ES3_mN6thrust23THRUST_200600_302600_NS6detail15normal_iteratorINSA_10device_ptrIiEEEEPS6_SG_NS0_5tupleIJSF_S6_EEENSH_IJSG_SG_EEES6_PlJ5mod_3IiEEEE10hipError_tPvRmT3_T4_T5_T6_T7_T9_mT8_P12ihipStream_tbDpT10_ENKUlT_T0_E_clISt17integral_constantIbLb1EES16_EEDaS11_S12_EUlS11_E_NS1_11comp_targetILNS1_3genE5ELNS1_11target_archE942ELNS1_3gpuE9ELNS1_3repE0EEENS1_30default_config_static_selectorELNS0_4arch9wavefront6targetE0EEEvT1_
		.amdhsa_group_segment_fixed_size 0
		.amdhsa_private_segment_fixed_size 0
		.amdhsa_kernarg_size 128
		.amdhsa_user_sgpr_count 15
		.amdhsa_user_sgpr_dispatch_ptr 0
		.amdhsa_user_sgpr_queue_ptr 0
		.amdhsa_user_sgpr_kernarg_segment_ptr 1
		.amdhsa_user_sgpr_dispatch_id 0
		.amdhsa_user_sgpr_private_segment_size 0
		.amdhsa_wavefront_size32 1
		.amdhsa_uses_dynamic_stack 0
		.amdhsa_enable_private_segment 0
		.amdhsa_system_sgpr_workgroup_id_x 1
		.amdhsa_system_sgpr_workgroup_id_y 0
		.amdhsa_system_sgpr_workgroup_id_z 0
		.amdhsa_system_sgpr_workgroup_info 0
		.amdhsa_system_vgpr_workitem_id 0
		.amdhsa_next_free_vgpr 1
		.amdhsa_next_free_sgpr 1
		.amdhsa_reserve_vcc 0
		.amdhsa_float_round_mode_32 0
		.amdhsa_float_round_mode_16_64 0
		.amdhsa_float_denorm_mode_32 3
		.amdhsa_float_denorm_mode_16_64 3
		.amdhsa_dx10_clamp 1
		.amdhsa_ieee_mode 1
		.amdhsa_fp16_overflow 0
		.amdhsa_workgroup_processor_mode 1
		.amdhsa_memory_ordered 1
		.amdhsa_forward_progress 0
		.amdhsa_shared_vgpr_count 0
		.amdhsa_exception_fp_ieee_invalid_op 0
		.amdhsa_exception_fp_denorm_src 0
		.amdhsa_exception_fp_ieee_div_zero 0
		.amdhsa_exception_fp_ieee_overflow 0
		.amdhsa_exception_fp_ieee_underflow 0
		.amdhsa_exception_fp_ieee_inexact 0
		.amdhsa_exception_int_div_zero 0
	.end_amdhsa_kernel
	.section	.text._ZN7rocprim17ROCPRIM_400000_NS6detail17trampoline_kernelINS0_14default_configENS1_25partition_config_selectorILNS1_17partition_subalgoE6EiNS0_10empty_typeEbEEZZNS1_14partition_implILS5_6ELb0ES3_mN6thrust23THRUST_200600_302600_NS6detail15normal_iteratorINSA_10device_ptrIiEEEEPS6_SG_NS0_5tupleIJSF_S6_EEENSH_IJSG_SG_EEES6_PlJ5mod_3IiEEEE10hipError_tPvRmT3_T4_T5_T6_T7_T9_mT8_P12ihipStream_tbDpT10_ENKUlT_T0_E_clISt17integral_constantIbLb1EES16_EEDaS11_S12_EUlS11_E_NS1_11comp_targetILNS1_3genE5ELNS1_11target_archE942ELNS1_3gpuE9ELNS1_3repE0EEENS1_30default_config_static_selectorELNS0_4arch9wavefront6targetE0EEEvT1_,"axG",@progbits,_ZN7rocprim17ROCPRIM_400000_NS6detail17trampoline_kernelINS0_14default_configENS1_25partition_config_selectorILNS1_17partition_subalgoE6EiNS0_10empty_typeEbEEZZNS1_14partition_implILS5_6ELb0ES3_mN6thrust23THRUST_200600_302600_NS6detail15normal_iteratorINSA_10device_ptrIiEEEEPS6_SG_NS0_5tupleIJSF_S6_EEENSH_IJSG_SG_EEES6_PlJ5mod_3IiEEEE10hipError_tPvRmT3_T4_T5_T6_T7_T9_mT8_P12ihipStream_tbDpT10_ENKUlT_T0_E_clISt17integral_constantIbLb1EES16_EEDaS11_S12_EUlS11_E_NS1_11comp_targetILNS1_3genE5ELNS1_11target_archE942ELNS1_3gpuE9ELNS1_3repE0EEENS1_30default_config_static_selectorELNS0_4arch9wavefront6targetE0EEEvT1_,comdat
.Lfunc_end593:
	.size	_ZN7rocprim17ROCPRIM_400000_NS6detail17trampoline_kernelINS0_14default_configENS1_25partition_config_selectorILNS1_17partition_subalgoE6EiNS0_10empty_typeEbEEZZNS1_14partition_implILS5_6ELb0ES3_mN6thrust23THRUST_200600_302600_NS6detail15normal_iteratorINSA_10device_ptrIiEEEEPS6_SG_NS0_5tupleIJSF_S6_EEENSH_IJSG_SG_EEES6_PlJ5mod_3IiEEEE10hipError_tPvRmT3_T4_T5_T6_T7_T9_mT8_P12ihipStream_tbDpT10_ENKUlT_T0_E_clISt17integral_constantIbLb1EES16_EEDaS11_S12_EUlS11_E_NS1_11comp_targetILNS1_3genE5ELNS1_11target_archE942ELNS1_3gpuE9ELNS1_3repE0EEENS1_30default_config_static_selectorELNS0_4arch9wavefront6targetE0EEEvT1_, .Lfunc_end593-_ZN7rocprim17ROCPRIM_400000_NS6detail17trampoline_kernelINS0_14default_configENS1_25partition_config_selectorILNS1_17partition_subalgoE6EiNS0_10empty_typeEbEEZZNS1_14partition_implILS5_6ELb0ES3_mN6thrust23THRUST_200600_302600_NS6detail15normal_iteratorINSA_10device_ptrIiEEEEPS6_SG_NS0_5tupleIJSF_S6_EEENSH_IJSG_SG_EEES6_PlJ5mod_3IiEEEE10hipError_tPvRmT3_T4_T5_T6_T7_T9_mT8_P12ihipStream_tbDpT10_ENKUlT_T0_E_clISt17integral_constantIbLb1EES16_EEDaS11_S12_EUlS11_E_NS1_11comp_targetILNS1_3genE5ELNS1_11target_archE942ELNS1_3gpuE9ELNS1_3repE0EEENS1_30default_config_static_selectorELNS0_4arch9wavefront6targetE0EEEvT1_
                                        ; -- End function
	.section	.AMDGPU.csdata,"",@progbits
; Kernel info:
; codeLenInByte = 0
; NumSgprs: 0
; NumVgprs: 0
; ScratchSize: 0
; MemoryBound: 0
; FloatMode: 240
; IeeeMode: 1
; LDSByteSize: 0 bytes/workgroup (compile time only)
; SGPRBlocks: 0
; VGPRBlocks: 0
; NumSGPRsForWavesPerEU: 1
; NumVGPRsForWavesPerEU: 1
; Occupancy: 16
; WaveLimiterHint : 0
; COMPUTE_PGM_RSRC2:SCRATCH_EN: 0
; COMPUTE_PGM_RSRC2:USER_SGPR: 15
; COMPUTE_PGM_RSRC2:TRAP_HANDLER: 0
; COMPUTE_PGM_RSRC2:TGID_X_EN: 1
; COMPUTE_PGM_RSRC2:TGID_Y_EN: 0
; COMPUTE_PGM_RSRC2:TGID_Z_EN: 0
; COMPUTE_PGM_RSRC2:TIDIG_COMP_CNT: 0
	.section	.text._ZN7rocprim17ROCPRIM_400000_NS6detail17trampoline_kernelINS0_14default_configENS1_25partition_config_selectorILNS1_17partition_subalgoE6EiNS0_10empty_typeEbEEZZNS1_14partition_implILS5_6ELb0ES3_mN6thrust23THRUST_200600_302600_NS6detail15normal_iteratorINSA_10device_ptrIiEEEEPS6_SG_NS0_5tupleIJSF_S6_EEENSH_IJSG_SG_EEES6_PlJ5mod_3IiEEEE10hipError_tPvRmT3_T4_T5_T6_T7_T9_mT8_P12ihipStream_tbDpT10_ENKUlT_T0_E_clISt17integral_constantIbLb1EES16_EEDaS11_S12_EUlS11_E_NS1_11comp_targetILNS1_3genE4ELNS1_11target_archE910ELNS1_3gpuE8ELNS1_3repE0EEENS1_30default_config_static_selectorELNS0_4arch9wavefront6targetE0EEEvT1_,"axG",@progbits,_ZN7rocprim17ROCPRIM_400000_NS6detail17trampoline_kernelINS0_14default_configENS1_25partition_config_selectorILNS1_17partition_subalgoE6EiNS0_10empty_typeEbEEZZNS1_14partition_implILS5_6ELb0ES3_mN6thrust23THRUST_200600_302600_NS6detail15normal_iteratorINSA_10device_ptrIiEEEEPS6_SG_NS0_5tupleIJSF_S6_EEENSH_IJSG_SG_EEES6_PlJ5mod_3IiEEEE10hipError_tPvRmT3_T4_T5_T6_T7_T9_mT8_P12ihipStream_tbDpT10_ENKUlT_T0_E_clISt17integral_constantIbLb1EES16_EEDaS11_S12_EUlS11_E_NS1_11comp_targetILNS1_3genE4ELNS1_11target_archE910ELNS1_3gpuE8ELNS1_3repE0EEENS1_30default_config_static_selectorELNS0_4arch9wavefront6targetE0EEEvT1_,comdat
	.protected	_ZN7rocprim17ROCPRIM_400000_NS6detail17trampoline_kernelINS0_14default_configENS1_25partition_config_selectorILNS1_17partition_subalgoE6EiNS0_10empty_typeEbEEZZNS1_14partition_implILS5_6ELb0ES3_mN6thrust23THRUST_200600_302600_NS6detail15normal_iteratorINSA_10device_ptrIiEEEEPS6_SG_NS0_5tupleIJSF_S6_EEENSH_IJSG_SG_EEES6_PlJ5mod_3IiEEEE10hipError_tPvRmT3_T4_T5_T6_T7_T9_mT8_P12ihipStream_tbDpT10_ENKUlT_T0_E_clISt17integral_constantIbLb1EES16_EEDaS11_S12_EUlS11_E_NS1_11comp_targetILNS1_3genE4ELNS1_11target_archE910ELNS1_3gpuE8ELNS1_3repE0EEENS1_30default_config_static_selectorELNS0_4arch9wavefront6targetE0EEEvT1_ ; -- Begin function _ZN7rocprim17ROCPRIM_400000_NS6detail17trampoline_kernelINS0_14default_configENS1_25partition_config_selectorILNS1_17partition_subalgoE6EiNS0_10empty_typeEbEEZZNS1_14partition_implILS5_6ELb0ES3_mN6thrust23THRUST_200600_302600_NS6detail15normal_iteratorINSA_10device_ptrIiEEEEPS6_SG_NS0_5tupleIJSF_S6_EEENSH_IJSG_SG_EEES6_PlJ5mod_3IiEEEE10hipError_tPvRmT3_T4_T5_T6_T7_T9_mT8_P12ihipStream_tbDpT10_ENKUlT_T0_E_clISt17integral_constantIbLb1EES16_EEDaS11_S12_EUlS11_E_NS1_11comp_targetILNS1_3genE4ELNS1_11target_archE910ELNS1_3gpuE8ELNS1_3repE0EEENS1_30default_config_static_selectorELNS0_4arch9wavefront6targetE0EEEvT1_
	.globl	_ZN7rocprim17ROCPRIM_400000_NS6detail17trampoline_kernelINS0_14default_configENS1_25partition_config_selectorILNS1_17partition_subalgoE6EiNS0_10empty_typeEbEEZZNS1_14partition_implILS5_6ELb0ES3_mN6thrust23THRUST_200600_302600_NS6detail15normal_iteratorINSA_10device_ptrIiEEEEPS6_SG_NS0_5tupleIJSF_S6_EEENSH_IJSG_SG_EEES6_PlJ5mod_3IiEEEE10hipError_tPvRmT3_T4_T5_T6_T7_T9_mT8_P12ihipStream_tbDpT10_ENKUlT_T0_E_clISt17integral_constantIbLb1EES16_EEDaS11_S12_EUlS11_E_NS1_11comp_targetILNS1_3genE4ELNS1_11target_archE910ELNS1_3gpuE8ELNS1_3repE0EEENS1_30default_config_static_selectorELNS0_4arch9wavefront6targetE0EEEvT1_
	.p2align	8
	.type	_ZN7rocprim17ROCPRIM_400000_NS6detail17trampoline_kernelINS0_14default_configENS1_25partition_config_selectorILNS1_17partition_subalgoE6EiNS0_10empty_typeEbEEZZNS1_14partition_implILS5_6ELb0ES3_mN6thrust23THRUST_200600_302600_NS6detail15normal_iteratorINSA_10device_ptrIiEEEEPS6_SG_NS0_5tupleIJSF_S6_EEENSH_IJSG_SG_EEES6_PlJ5mod_3IiEEEE10hipError_tPvRmT3_T4_T5_T6_T7_T9_mT8_P12ihipStream_tbDpT10_ENKUlT_T0_E_clISt17integral_constantIbLb1EES16_EEDaS11_S12_EUlS11_E_NS1_11comp_targetILNS1_3genE4ELNS1_11target_archE910ELNS1_3gpuE8ELNS1_3repE0EEENS1_30default_config_static_selectorELNS0_4arch9wavefront6targetE0EEEvT1_,@function
_ZN7rocprim17ROCPRIM_400000_NS6detail17trampoline_kernelINS0_14default_configENS1_25partition_config_selectorILNS1_17partition_subalgoE6EiNS0_10empty_typeEbEEZZNS1_14partition_implILS5_6ELb0ES3_mN6thrust23THRUST_200600_302600_NS6detail15normal_iteratorINSA_10device_ptrIiEEEEPS6_SG_NS0_5tupleIJSF_S6_EEENSH_IJSG_SG_EEES6_PlJ5mod_3IiEEEE10hipError_tPvRmT3_T4_T5_T6_T7_T9_mT8_P12ihipStream_tbDpT10_ENKUlT_T0_E_clISt17integral_constantIbLb1EES16_EEDaS11_S12_EUlS11_E_NS1_11comp_targetILNS1_3genE4ELNS1_11target_archE910ELNS1_3gpuE8ELNS1_3repE0EEENS1_30default_config_static_selectorELNS0_4arch9wavefront6targetE0EEEvT1_: ; @_ZN7rocprim17ROCPRIM_400000_NS6detail17trampoline_kernelINS0_14default_configENS1_25partition_config_selectorILNS1_17partition_subalgoE6EiNS0_10empty_typeEbEEZZNS1_14partition_implILS5_6ELb0ES3_mN6thrust23THRUST_200600_302600_NS6detail15normal_iteratorINSA_10device_ptrIiEEEEPS6_SG_NS0_5tupleIJSF_S6_EEENSH_IJSG_SG_EEES6_PlJ5mod_3IiEEEE10hipError_tPvRmT3_T4_T5_T6_T7_T9_mT8_P12ihipStream_tbDpT10_ENKUlT_T0_E_clISt17integral_constantIbLb1EES16_EEDaS11_S12_EUlS11_E_NS1_11comp_targetILNS1_3genE4ELNS1_11target_archE910ELNS1_3gpuE8ELNS1_3repE0EEENS1_30default_config_static_selectorELNS0_4arch9wavefront6targetE0EEEvT1_
; %bb.0:
	.section	.rodata,"a",@progbits
	.p2align	6, 0x0
	.amdhsa_kernel _ZN7rocprim17ROCPRIM_400000_NS6detail17trampoline_kernelINS0_14default_configENS1_25partition_config_selectorILNS1_17partition_subalgoE6EiNS0_10empty_typeEbEEZZNS1_14partition_implILS5_6ELb0ES3_mN6thrust23THRUST_200600_302600_NS6detail15normal_iteratorINSA_10device_ptrIiEEEEPS6_SG_NS0_5tupleIJSF_S6_EEENSH_IJSG_SG_EEES6_PlJ5mod_3IiEEEE10hipError_tPvRmT3_T4_T5_T6_T7_T9_mT8_P12ihipStream_tbDpT10_ENKUlT_T0_E_clISt17integral_constantIbLb1EES16_EEDaS11_S12_EUlS11_E_NS1_11comp_targetILNS1_3genE4ELNS1_11target_archE910ELNS1_3gpuE8ELNS1_3repE0EEENS1_30default_config_static_selectorELNS0_4arch9wavefront6targetE0EEEvT1_
		.amdhsa_group_segment_fixed_size 0
		.amdhsa_private_segment_fixed_size 0
		.amdhsa_kernarg_size 128
		.amdhsa_user_sgpr_count 15
		.amdhsa_user_sgpr_dispatch_ptr 0
		.amdhsa_user_sgpr_queue_ptr 0
		.amdhsa_user_sgpr_kernarg_segment_ptr 1
		.amdhsa_user_sgpr_dispatch_id 0
		.amdhsa_user_sgpr_private_segment_size 0
		.amdhsa_wavefront_size32 1
		.amdhsa_uses_dynamic_stack 0
		.amdhsa_enable_private_segment 0
		.amdhsa_system_sgpr_workgroup_id_x 1
		.amdhsa_system_sgpr_workgroup_id_y 0
		.amdhsa_system_sgpr_workgroup_id_z 0
		.amdhsa_system_sgpr_workgroup_info 0
		.amdhsa_system_vgpr_workitem_id 0
		.amdhsa_next_free_vgpr 1
		.amdhsa_next_free_sgpr 1
		.amdhsa_reserve_vcc 0
		.amdhsa_float_round_mode_32 0
		.amdhsa_float_round_mode_16_64 0
		.amdhsa_float_denorm_mode_32 3
		.amdhsa_float_denorm_mode_16_64 3
		.amdhsa_dx10_clamp 1
		.amdhsa_ieee_mode 1
		.amdhsa_fp16_overflow 0
		.amdhsa_workgroup_processor_mode 1
		.amdhsa_memory_ordered 1
		.amdhsa_forward_progress 0
		.amdhsa_shared_vgpr_count 0
		.amdhsa_exception_fp_ieee_invalid_op 0
		.amdhsa_exception_fp_denorm_src 0
		.amdhsa_exception_fp_ieee_div_zero 0
		.amdhsa_exception_fp_ieee_overflow 0
		.amdhsa_exception_fp_ieee_underflow 0
		.amdhsa_exception_fp_ieee_inexact 0
		.amdhsa_exception_int_div_zero 0
	.end_amdhsa_kernel
	.section	.text._ZN7rocprim17ROCPRIM_400000_NS6detail17trampoline_kernelINS0_14default_configENS1_25partition_config_selectorILNS1_17partition_subalgoE6EiNS0_10empty_typeEbEEZZNS1_14partition_implILS5_6ELb0ES3_mN6thrust23THRUST_200600_302600_NS6detail15normal_iteratorINSA_10device_ptrIiEEEEPS6_SG_NS0_5tupleIJSF_S6_EEENSH_IJSG_SG_EEES6_PlJ5mod_3IiEEEE10hipError_tPvRmT3_T4_T5_T6_T7_T9_mT8_P12ihipStream_tbDpT10_ENKUlT_T0_E_clISt17integral_constantIbLb1EES16_EEDaS11_S12_EUlS11_E_NS1_11comp_targetILNS1_3genE4ELNS1_11target_archE910ELNS1_3gpuE8ELNS1_3repE0EEENS1_30default_config_static_selectorELNS0_4arch9wavefront6targetE0EEEvT1_,"axG",@progbits,_ZN7rocprim17ROCPRIM_400000_NS6detail17trampoline_kernelINS0_14default_configENS1_25partition_config_selectorILNS1_17partition_subalgoE6EiNS0_10empty_typeEbEEZZNS1_14partition_implILS5_6ELb0ES3_mN6thrust23THRUST_200600_302600_NS6detail15normal_iteratorINSA_10device_ptrIiEEEEPS6_SG_NS0_5tupleIJSF_S6_EEENSH_IJSG_SG_EEES6_PlJ5mod_3IiEEEE10hipError_tPvRmT3_T4_T5_T6_T7_T9_mT8_P12ihipStream_tbDpT10_ENKUlT_T0_E_clISt17integral_constantIbLb1EES16_EEDaS11_S12_EUlS11_E_NS1_11comp_targetILNS1_3genE4ELNS1_11target_archE910ELNS1_3gpuE8ELNS1_3repE0EEENS1_30default_config_static_selectorELNS0_4arch9wavefront6targetE0EEEvT1_,comdat
.Lfunc_end594:
	.size	_ZN7rocprim17ROCPRIM_400000_NS6detail17trampoline_kernelINS0_14default_configENS1_25partition_config_selectorILNS1_17partition_subalgoE6EiNS0_10empty_typeEbEEZZNS1_14partition_implILS5_6ELb0ES3_mN6thrust23THRUST_200600_302600_NS6detail15normal_iteratorINSA_10device_ptrIiEEEEPS6_SG_NS0_5tupleIJSF_S6_EEENSH_IJSG_SG_EEES6_PlJ5mod_3IiEEEE10hipError_tPvRmT3_T4_T5_T6_T7_T9_mT8_P12ihipStream_tbDpT10_ENKUlT_T0_E_clISt17integral_constantIbLb1EES16_EEDaS11_S12_EUlS11_E_NS1_11comp_targetILNS1_3genE4ELNS1_11target_archE910ELNS1_3gpuE8ELNS1_3repE0EEENS1_30default_config_static_selectorELNS0_4arch9wavefront6targetE0EEEvT1_, .Lfunc_end594-_ZN7rocprim17ROCPRIM_400000_NS6detail17trampoline_kernelINS0_14default_configENS1_25partition_config_selectorILNS1_17partition_subalgoE6EiNS0_10empty_typeEbEEZZNS1_14partition_implILS5_6ELb0ES3_mN6thrust23THRUST_200600_302600_NS6detail15normal_iteratorINSA_10device_ptrIiEEEEPS6_SG_NS0_5tupleIJSF_S6_EEENSH_IJSG_SG_EEES6_PlJ5mod_3IiEEEE10hipError_tPvRmT3_T4_T5_T6_T7_T9_mT8_P12ihipStream_tbDpT10_ENKUlT_T0_E_clISt17integral_constantIbLb1EES16_EEDaS11_S12_EUlS11_E_NS1_11comp_targetILNS1_3genE4ELNS1_11target_archE910ELNS1_3gpuE8ELNS1_3repE0EEENS1_30default_config_static_selectorELNS0_4arch9wavefront6targetE0EEEvT1_
                                        ; -- End function
	.section	.AMDGPU.csdata,"",@progbits
; Kernel info:
; codeLenInByte = 0
; NumSgprs: 0
; NumVgprs: 0
; ScratchSize: 0
; MemoryBound: 0
; FloatMode: 240
; IeeeMode: 1
; LDSByteSize: 0 bytes/workgroup (compile time only)
; SGPRBlocks: 0
; VGPRBlocks: 0
; NumSGPRsForWavesPerEU: 1
; NumVGPRsForWavesPerEU: 1
; Occupancy: 16
; WaveLimiterHint : 0
; COMPUTE_PGM_RSRC2:SCRATCH_EN: 0
; COMPUTE_PGM_RSRC2:USER_SGPR: 15
; COMPUTE_PGM_RSRC2:TRAP_HANDLER: 0
; COMPUTE_PGM_RSRC2:TGID_X_EN: 1
; COMPUTE_PGM_RSRC2:TGID_Y_EN: 0
; COMPUTE_PGM_RSRC2:TGID_Z_EN: 0
; COMPUTE_PGM_RSRC2:TIDIG_COMP_CNT: 0
	.section	.text._ZN7rocprim17ROCPRIM_400000_NS6detail17trampoline_kernelINS0_14default_configENS1_25partition_config_selectorILNS1_17partition_subalgoE6EiNS0_10empty_typeEbEEZZNS1_14partition_implILS5_6ELb0ES3_mN6thrust23THRUST_200600_302600_NS6detail15normal_iteratorINSA_10device_ptrIiEEEEPS6_SG_NS0_5tupleIJSF_S6_EEENSH_IJSG_SG_EEES6_PlJ5mod_3IiEEEE10hipError_tPvRmT3_T4_T5_T6_T7_T9_mT8_P12ihipStream_tbDpT10_ENKUlT_T0_E_clISt17integral_constantIbLb1EES16_EEDaS11_S12_EUlS11_E_NS1_11comp_targetILNS1_3genE3ELNS1_11target_archE908ELNS1_3gpuE7ELNS1_3repE0EEENS1_30default_config_static_selectorELNS0_4arch9wavefront6targetE0EEEvT1_,"axG",@progbits,_ZN7rocprim17ROCPRIM_400000_NS6detail17trampoline_kernelINS0_14default_configENS1_25partition_config_selectorILNS1_17partition_subalgoE6EiNS0_10empty_typeEbEEZZNS1_14partition_implILS5_6ELb0ES3_mN6thrust23THRUST_200600_302600_NS6detail15normal_iteratorINSA_10device_ptrIiEEEEPS6_SG_NS0_5tupleIJSF_S6_EEENSH_IJSG_SG_EEES6_PlJ5mod_3IiEEEE10hipError_tPvRmT3_T4_T5_T6_T7_T9_mT8_P12ihipStream_tbDpT10_ENKUlT_T0_E_clISt17integral_constantIbLb1EES16_EEDaS11_S12_EUlS11_E_NS1_11comp_targetILNS1_3genE3ELNS1_11target_archE908ELNS1_3gpuE7ELNS1_3repE0EEENS1_30default_config_static_selectorELNS0_4arch9wavefront6targetE0EEEvT1_,comdat
	.protected	_ZN7rocprim17ROCPRIM_400000_NS6detail17trampoline_kernelINS0_14default_configENS1_25partition_config_selectorILNS1_17partition_subalgoE6EiNS0_10empty_typeEbEEZZNS1_14partition_implILS5_6ELb0ES3_mN6thrust23THRUST_200600_302600_NS6detail15normal_iteratorINSA_10device_ptrIiEEEEPS6_SG_NS0_5tupleIJSF_S6_EEENSH_IJSG_SG_EEES6_PlJ5mod_3IiEEEE10hipError_tPvRmT3_T4_T5_T6_T7_T9_mT8_P12ihipStream_tbDpT10_ENKUlT_T0_E_clISt17integral_constantIbLb1EES16_EEDaS11_S12_EUlS11_E_NS1_11comp_targetILNS1_3genE3ELNS1_11target_archE908ELNS1_3gpuE7ELNS1_3repE0EEENS1_30default_config_static_selectorELNS0_4arch9wavefront6targetE0EEEvT1_ ; -- Begin function _ZN7rocprim17ROCPRIM_400000_NS6detail17trampoline_kernelINS0_14default_configENS1_25partition_config_selectorILNS1_17partition_subalgoE6EiNS0_10empty_typeEbEEZZNS1_14partition_implILS5_6ELb0ES3_mN6thrust23THRUST_200600_302600_NS6detail15normal_iteratorINSA_10device_ptrIiEEEEPS6_SG_NS0_5tupleIJSF_S6_EEENSH_IJSG_SG_EEES6_PlJ5mod_3IiEEEE10hipError_tPvRmT3_T4_T5_T6_T7_T9_mT8_P12ihipStream_tbDpT10_ENKUlT_T0_E_clISt17integral_constantIbLb1EES16_EEDaS11_S12_EUlS11_E_NS1_11comp_targetILNS1_3genE3ELNS1_11target_archE908ELNS1_3gpuE7ELNS1_3repE0EEENS1_30default_config_static_selectorELNS0_4arch9wavefront6targetE0EEEvT1_
	.globl	_ZN7rocprim17ROCPRIM_400000_NS6detail17trampoline_kernelINS0_14default_configENS1_25partition_config_selectorILNS1_17partition_subalgoE6EiNS0_10empty_typeEbEEZZNS1_14partition_implILS5_6ELb0ES3_mN6thrust23THRUST_200600_302600_NS6detail15normal_iteratorINSA_10device_ptrIiEEEEPS6_SG_NS0_5tupleIJSF_S6_EEENSH_IJSG_SG_EEES6_PlJ5mod_3IiEEEE10hipError_tPvRmT3_T4_T5_T6_T7_T9_mT8_P12ihipStream_tbDpT10_ENKUlT_T0_E_clISt17integral_constantIbLb1EES16_EEDaS11_S12_EUlS11_E_NS1_11comp_targetILNS1_3genE3ELNS1_11target_archE908ELNS1_3gpuE7ELNS1_3repE0EEENS1_30default_config_static_selectorELNS0_4arch9wavefront6targetE0EEEvT1_
	.p2align	8
	.type	_ZN7rocprim17ROCPRIM_400000_NS6detail17trampoline_kernelINS0_14default_configENS1_25partition_config_selectorILNS1_17partition_subalgoE6EiNS0_10empty_typeEbEEZZNS1_14partition_implILS5_6ELb0ES3_mN6thrust23THRUST_200600_302600_NS6detail15normal_iteratorINSA_10device_ptrIiEEEEPS6_SG_NS0_5tupleIJSF_S6_EEENSH_IJSG_SG_EEES6_PlJ5mod_3IiEEEE10hipError_tPvRmT3_T4_T5_T6_T7_T9_mT8_P12ihipStream_tbDpT10_ENKUlT_T0_E_clISt17integral_constantIbLb1EES16_EEDaS11_S12_EUlS11_E_NS1_11comp_targetILNS1_3genE3ELNS1_11target_archE908ELNS1_3gpuE7ELNS1_3repE0EEENS1_30default_config_static_selectorELNS0_4arch9wavefront6targetE0EEEvT1_,@function
_ZN7rocprim17ROCPRIM_400000_NS6detail17trampoline_kernelINS0_14default_configENS1_25partition_config_selectorILNS1_17partition_subalgoE6EiNS0_10empty_typeEbEEZZNS1_14partition_implILS5_6ELb0ES3_mN6thrust23THRUST_200600_302600_NS6detail15normal_iteratorINSA_10device_ptrIiEEEEPS6_SG_NS0_5tupleIJSF_S6_EEENSH_IJSG_SG_EEES6_PlJ5mod_3IiEEEE10hipError_tPvRmT3_T4_T5_T6_T7_T9_mT8_P12ihipStream_tbDpT10_ENKUlT_T0_E_clISt17integral_constantIbLb1EES16_EEDaS11_S12_EUlS11_E_NS1_11comp_targetILNS1_3genE3ELNS1_11target_archE908ELNS1_3gpuE7ELNS1_3repE0EEENS1_30default_config_static_selectorELNS0_4arch9wavefront6targetE0EEEvT1_: ; @_ZN7rocprim17ROCPRIM_400000_NS6detail17trampoline_kernelINS0_14default_configENS1_25partition_config_selectorILNS1_17partition_subalgoE6EiNS0_10empty_typeEbEEZZNS1_14partition_implILS5_6ELb0ES3_mN6thrust23THRUST_200600_302600_NS6detail15normal_iteratorINSA_10device_ptrIiEEEEPS6_SG_NS0_5tupleIJSF_S6_EEENSH_IJSG_SG_EEES6_PlJ5mod_3IiEEEE10hipError_tPvRmT3_T4_T5_T6_T7_T9_mT8_P12ihipStream_tbDpT10_ENKUlT_T0_E_clISt17integral_constantIbLb1EES16_EEDaS11_S12_EUlS11_E_NS1_11comp_targetILNS1_3genE3ELNS1_11target_archE908ELNS1_3gpuE7ELNS1_3repE0EEENS1_30default_config_static_selectorELNS0_4arch9wavefront6targetE0EEEvT1_
; %bb.0:
	.section	.rodata,"a",@progbits
	.p2align	6, 0x0
	.amdhsa_kernel _ZN7rocprim17ROCPRIM_400000_NS6detail17trampoline_kernelINS0_14default_configENS1_25partition_config_selectorILNS1_17partition_subalgoE6EiNS0_10empty_typeEbEEZZNS1_14partition_implILS5_6ELb0ES3_mN6thrust23THRUST_200600_302600_NS6detail15normal_iteratorINSA_10device_ptrIiEEEEPS6_SG_NS0_5tupleIJSF_S6_EEENSH_IJSG_SG_EEES6_PlJ5mod_3IiEEEE10hipError_tPvRmT3_T4_T5_T6_T7_T9_mT8_P12ihipStream_tbDpT10_ENKUlT_T0_E_clISt17integral_constantIbLb1EES16_EEDaS11_S12_EUlS11_E_NS1_11comp_targetILNS1_3genE3ELNS1_11target_archE908ELNS1_3gpuE7ELNS1_3repE0EEENS1_30default_config_static_selectorELNS0_4arch9wavefront6targetE0EEEvT1_
		.amdhsa_group_segment_fixed_size 0
		.amdhsa_private_segment_fixed_size 0
		.amdhsa_kernarg_size 128
		.amdhsa_user_sgpr_count 15
		.amdhsa_user_sgpr_dispatch_ptr 0
		.amdhsa_user_sgpr_queue_ptr 0
		.amdhsa_user_sgpr_kernarg_segment_ptr 1
		.amdhsa_user_sgpr_dispatch_id 0
		.amdhsa_user_sgpr_private_segment_size 0
		.amdhsa_wavefront_size32 1
		.amdhsa_uses_dynamic_stack 0
		.amdhsa_enable_private_segment 0
		.amdhsa_system_sgpr_workgroup_id_x 1
		.amdhsa_system_sgpr_workgroup_id_y 0
		.amdhsa_system_sgpr_workgroup_id_z 0
		.amdhsa_system_sgpr_workgroup_info 0
		.amdhsa_system_vgpr_workitem_id 0
		.amdhsa_next_free_vgpr 1
		.amdhsa_next_free_sgpr 1
		.amdhsa_reserve_vcc 0
		.amdhsa_float_round_mode_32 0
		.amdhsa_float_round_mode_16_64 0
		.amdhsa_float_denorm_mode_32 3
		.amdhsa_float_denorm_mode_16_64 3
		.amdhsa_dx10_clamp 1
		.amdhsa_ieee_mode 1
		.amdhsa_fp16_overflow 0
		.amdhsa_workgroup_processor_mode 1
		.amdhsa_memory_ordered 1
		.amdhsa_forward_progress 0
		.amdhsa_shared_vgpr_count 0
		.amdhsa_exception_fp_ieee_invalid_op 0
		.amdhsa_exception_fp_denorm_src 0
		.amdhsa_exception_fp_ieee_div_zero 0
		.amdhsa_exception_fp_ieee_overflow 0
		.amdhsa_exception_fp_ieee_underflow 0
		.amdhsa_exception_fp_ieee_inexact 0
		.amdhsa_exception_int_div_zero 0
	.end_amdhsa_kernel
	.section	.text._ZN7rocprim17ROCPRIM_400000_NS6detail17trampoline_kernelINS0_14default_configENS1_25partition_config_selectorILNS1_17partition_subalgoE6EiNS0_10empty_typeEbEEZZNS1_14partition_implILS5_6ELb0ES3_mN6thrust23THRUST_200600_302600_NS6detail15normal_iteratorINSA_10device_ptrIiEEEEPS6_SG_NS0_5tupleIJSF_S6_EEENSH_IJSG_SG_EEES6_PlJ5mod_3IiEEEE10hipError_tPvRmT3_T4_T5_T6_T7_T9_mT8_P12ihipStream_tbDpT10_ENKUlT_T0_E_clISt17integral_constantIbLb1EES16_EEDaS11_S12_EUlS11_E_NS1_11comp_targetILNS1_3genE3ELNS1_11target_archE908ELNS1_3gpuE7ELNS1_3repE0EEENS1_30default_config_static_selectorELNS0_4arch9wavefront6targetE0EEEvT1_,"axG",@progbits,_ZN7rocprim17ROCPRIM_400000_NS6detail17trampoline_kernelINS0_14default_configENS1_25partition_config_selectorILNS1_17partition_subalgoE6EiNS0_10empty_typeEbEEZZNS1_14partition_implILS5_6ELb0ES3_mN6thrust23THRUST_200600_302600_NS6detail15normal_iteratorINSA_10device_ptrIiEEEEPS6_SG_NS0_5tupleIJSF_S6_EEENSH_IJSG_SG_EEES6_PlJ5mod_3IiEEEE10hipError_tPvRmT3_T4_T5_T6_T7_T9_mT8_P12ihipStream_tbDpT10_ENKUlT_T0_E_clISt17integral_constantIbLb1EES16_EEDaS11_S12_EUlS11_E_NS1_11comp_targetILNS1_3genE3ELNS1_11target_archE908ELNS1_3gpuE7ELNS1_3repE0EEENS1_30default_config_static_selectorELNS0_4arch9wavefront6targetE0EEEvT1_,comdat
.Lfunc_end595:
	.size	_ZN7rocprim17ROCPRIM_400000_NS6detail17trampoline_kernelINS0_14default_configENS1_25partition_config_selectorILNS1_17partition_subalgoE6EiNS0_10empty_typeEbEEZZNS1_14partition_implILS5_6ELb0ES3_mN6thrust23THRUST_200600_302600_NS6detail15normal_iteratorINSA_10device_ptrIiEEEEPS6_SG_NS0_5tupleIJSF_S6_EEENSH_IJSG_SG_EEES6_PlJ5mod_3IiEEEE10hipError_tPvRmT3_T4_T5_T6_T7_T9_mT8_P12ihipStream_tbDpT10_ENKUlT_T0_E_clISt17integral_constantIbLb1EES16_EEDaS11_S12_EUlS11_E_NS1_11comp_targetILNS1_3genE3ELNS1_11target_archE908ELNS1_3gpuE7ELNS1_3repE0EEENS1_30default_config_static_selectorELNS0_4arch9wavefront6targetE0EEEvT1_, .Lfunc_end595-_ZN7rocprim17ROCPRIM_400000_NS6detail17trampoline_kernelINS0_14default_configENS1_25partition_config_selectorILNS1_17partition_subalgoE6EiNS0_10empty_typeEbEEZZNS1_14partition_implILS5_6ELb0ES3_mN6thrust23THRUST_200600_302600_NS6detail15normal_iteratorINSA_10device_ptrIiEEEEPS6_SG_NS0_5tupleIJSF_S6_EEENSH_IJSG_SG_EEES6_PlJ5mod_3IiEEEE10hipError_tPvRmT3_T4_T5_T6_T7_T9_mT8_P12ihipStream_tbDpT10_ENKUlT_T0_E_clISt17integral_constantIbLb1EES16_EEDaS11_S12_EUlS11_E_NS1_11comp_targetILNS1_3genE3ELNS1_11target_archE908ELNS1_3gpuE7ELNS1_3repE0EEENS1_30default_config_static_selectorELNS0_4arch9wavefront6targetE0EEEvT1_
                                        ; -- End function
	.section	.AMDGPU.csdata,"",@progbits
; Kernel info:
; codeLenInByte = 0
; NumSgprs: 0
; NumVgprs: 0
; ScratchSize: 0
; MemoryBound: 0
; FloatMode: 240
; IeeeMode: 1
; LDSByteSize: 0 bytes/workgroup (compile time only)
; SGPRBlocks: 0
; VGPRBlocks: 0
; NumSGPRsForWavesPerEU: 1
; NumVGPRsForWavesPerEU: 1
; Occupancy: 16
; WaveLimiterHint : 0
; COMPUTE_PGM_RSRC2:SCRATCH_EN: 0
; COMPUTE_PGM_RSRC2:USER_SGPR: 15
; COMPUTE_PGM_RSRC2:TRAP_HANDLER: 0
; COMPUTE_PGM_RSRC2:TGID_X_EN: 1
; COMPUTE_PGM_RSRC2:TGID_Y_EN: 0
; COMPUTE_PGM_RSRC2:TGID_Z_EN: 0
; COMPUTE_PGM_RSRC2:TIDIG_COMP_CNT: 0
	.section	.text._ZN7rocprim17ROCPRIM_400000_NS6detail17trampoline_kernelINS0_14default_configENS1_25partition_config_selectorILNS1_17partition_subalgoE6EiNS0_10empty_typeEbEEZZNS1_14partition_implILS5_6ELb0ES3_mN6thrust23THRUST_200600_302600_NS6detail15normal_iteratorINSA_10device_ptrIiEEEEPS6_SG_NS0_5tupleIJSF_S6_EEENSH_IJSG_SG_EEES6_PlJ5mod_3IiEEEE10hipError_tPvRmT3_T4_T5_T6_T7_T9_mT8_P12ihipStream_tbDpT10_ENKUlT_T0_E_clISt17integral_constantIbLb1EES16_EEDaS11_S12_EUlS11_E_NS1_11comp_targetILNS1_3genE2ELNS1_11target_archE906ELNS1_3gpuE6ELNS1_3repE0EEENS1_30default_config_static_selectorELNS0_4arch9wavefront6targetE0EEEvT1_,"axG",@progbits,_ZN7rocprim17ROCPRIM_400000_NS6detail17trampoline_kernelINS0_14default_configENS1_25partition_config_selectorILNS1_17partition_subalgoE6EiNS0_10empty_typeEbEEZZNS1_14partition_implILS5_6ELb0ES3_mN6thrust23THRUST_200600_302600_NS6detail15normal_iteratorINSA_10device_ptrIiEEEEPS6_SG_NS0_5tupleIJSF_S6_EEENSH_IJSG_SG_EEES6_PlJ5mod_3IiEEEE10hipError_tPvRmT3_T4_T5_T6_T7_T9_mT8_P12ihipStream_tbDpT10_ENKUlT_T0_E_clISt17integral_constantIbLb1EES16_EEDaS11_S12_EUlS11_E_NS1_11comp_targetILNS1_3genE2ELNS1_11target_archE906ELNS1_3gpuE6ELNS1_3repE0EEENS1_30default_config_static_selectorELNS0_4arch9wavefront6targetE0EEEvT1_,comdat
	.protected	_ZN7rocprim17ROCPRIM_400000_NS6detail17trampoline_kernelINS0_14default_configENS1_25partition_config_selectorILNS1_17partition_subalgoE6EiNS0_10empty_typeEbEEZZNS1_14partition_implILS5_6ELb0ES3_mN6thrust23THRUST_200600_302600_NS6detail15normal_iteratorINSA_10device_ptrIiEEEEPS6_SG_NS0_5tupleIJSF_S6_EEENSH_IJSG_SG_EEES6_PlJ5mod_3IiEEEE10hipError_tPvRmT3_T4_T5_T6_T7_T9_mT8_P12ihipStream_tbDpT10_ENKUlT_T0_E_clISt17integral_constantIbLb1EES16_EEDaS11_S12_EUlS11_E_NS1_11comp_targetILNS1_3genE2ELNS1_11target_archE906ELNS1_3gpuE6ELNS1_3repE0EEENS1_30default_config_static_selectorELNS0_4arch9wavefront6targetE0EEEvT1_ ; -- Begin function _ZN7rocprim17ROCPRIM_400000_NS6detail17trampoline_kernelINS0_14default_configENS1_25partition_config_selectorILNS1_17partition_subalgoE6EiNS0_10empty_typeEbEEZZNS1_14partition_implILS5_6ELb0ES3_mN6thrust23THRUST_200600_302600_NS6detail15normal_iteratorINSA_10device_ptrIiEEEEPS6_SG_NS0_5tupleIJSF_S6_EEENSH_IJSG_SG_EEES6_PlJ5mod_3IiEEEE10hipError_tPvRmT3_T4_T5_T6_T7_T9_mT8_P12ihipStream_tbDpT10_ENKUlT_T0_E_clISt17integral_constantIbLb1EES16_EEDaS11_S12_EUlS11_E_NS1_11comp_targetILNS1_3genE2ELNS1_11target_archE906ELNS1_3gpuE6ELNS1_3repE0EEENS1_30default_config_static_selectorELNS0_4arch9wavefront6targetE0EEEvT1_
	.globl	_ZN7rocprim17ROCPRIM_400000_NS6detail17trampoline_kernelINS0_14default_configENS1_25partition_config_selectorILNS1_17partition_subalgoE6EiNS0_10empty_typeEbEEZZNS1_14partition_implILS5_6ELb0ES3_mN6thrust23THRUST_200600_302600_NS6detail15normal_iteratorINSA_10device_ptrIiEEEEPS6_SG_NS0_5tupleIJSF_S6_EEENSH_IJSG_SG_EEES6_PlJ5mod_3IiEEEE10hipError_tPvRmT3_T4_T5_T6_T7_T9_mT8_P12ihipStream_tbDpT10_ENKUlT_T0_E_clISt17integral_constantIbLb1EES16_EEDaS11_S12_EUlS11_E_NS1_11comp_targetILNS1_3genE2ELNS1_11target_archE906ELNS1_3gpuE6ELNS1_3repE0EEENS1_30default_config_static_selectorELNS0_4arch9wavefront6targetE0EEEvT1_
	.p2align	8
	.type	_ZN7rocprim17ROCPRIM_400000_NS6detail17trampoline_kernelINS0_14default_configENS1_25partition_config_selectorILNS1_17partition_subalgoE6EiNS0_10empty_typeEbEEZZNS1_14partition_implILS5_6ELb0ES3_mN6thrust23THRUST_200600_302600_NS6detail15normal_iteratorINSA_10device_ptrIiEEEEPS6_SG_NS0_5tupleIJSF_S6_EEENSH_IJSG_SG_EEES6_PlJ5mod_3IiEEEE10hipError_tPvRmT3_T4_T5_T6_T7_T9_mT8_P12ihipStream_tbDpT10_ENKUlT_T0_E_clISt17integral_constantIbLb1EES16_EEDaS11_S12_EUlS11_E_NS1_11comp_targetILNS1_3genE2ELNS1_11target_archE906ELNS1_3gpuE6ELNS1_3repE0EEENS1_30default_config_static_selectorELNS0_4arch9wavefront6targetE0EEEvT1_,@function
_ZN7rocprim17ROCPRIM_400000_NS6detail17trampoline_kernelINS0_14default_configENS1_25partition_config_selectorILNS1_17partition_subalgoE6EiNS0_10empty_typeEbEEZZNS1_14partition_implILS5_6ELb0ES3_mN6thrust23THRUST_200600_302600_NS6detail15normal_iteratorINSA_10device_ptrIiEEEEPS6_SG_NS0_5tupleIJSF_S6_EEENSH_IJSG_SG_EEES6_PlJ5mod_3IiEEEE10hipError_tPvRmT3_T4_T5_T6_T7_T9_mT8_P12ihipStream_tbDpT10_ENKUlT_T0_E_clISt17integral_constantIbLb1EES16_EEDaS11_S12_EUlS11_E_NS1_11comp_targetILNS1_3genE2ELNS1_11target_archE906ELNS1_3gpuE6ELNS1_3repE0EEENS1_30default_config_static_selectorELNS0_4arch9wavefront6targetE0EEEvT1_: ; @_ZN7rocprim17ROCPRIM_400000_NS6detail17trampoline_kernelINS0_14default_configENS1_25partition_config_selectorILNS1_17partition_subalgoE6EiNS0_10empty_typeEbEEZZNS1_14partition_implILS5_6ELb0ES3_mN6thrust23THRUST_200600_302600_NS6detail15normal_iteratorINSA_10device_ptrIiEEEEPS6_SG_NS0_5tupleIJSF_S6_EEENSH_IJSG_SG_EEES6_PlJ5mod_3IiEEEE10hipError_tPvRmT3_T4_T5_T6_T7_T9_mT8_P12ihipStream_tbDpT10_ENKUlT_T0_E_clISt17integral_constantIbLb1EES16_EEDaS11_S12_EUlS11_E_NS1_11comp_targetILNS1_3genE2ELNS1_11target_archE906ELNS1_3gpuE6ELNS1_3repE0EEENS1_30default_config_static_selectorELNS0_4arch9wavefront6targetE0EEEvT1_
; %bb.0:
	.section	.rodata,"a",@progbits
	.p2align	6, 0x0
	.amdhsa_kernel _ZN7rocprim17ROCPRIM_400000_NS6detail17trampoline_kernelINS0_14default_configENS1_25partition_config_selectorILNS1_17partition_subalgoE6EiNS0_10empty_typeEbEEZZNS1_14partition_implILS5_6ELb0ES3_mN6thrust23THRUST_200600_302600_NS6detail15normal_iteratorINSA_10device_ptrIiEEEEPS6_SG_NS0_5tupleIJSF_S6_EEENSH_IJSG_SG_EEES6_PlJ5mod_3IiEEEE10hipError_tPvRmT3_T4_T5_T6_T7_T9_mT8_P12ihipStream_tbDpT10_ENKUlT_T0_E_clISt17integral_constantIbLb1EES16_EEDaS11_S12_EUlS11_E_NS1_11comp_targetILNS1_3genE2ELNS1_11target_archE906ELNS1_3gpuE6ELNS1_3repE0EEENS1_30default_config_static_selectorELNS0_4arch9wavefront6targetE0EEEvT1_
		.amdhsa_group_segment_fixed_size 0
		.amdhsa_private_segment_fixed_size 0
		.amdhsa_kernarg_size 128
		.amdhsa_user_sgpr_count 15
		.amdhsa_user_sgpr_dispatch_ptr 0
		.amdhsa_user_sgpr_queue_ptr 0
		.amdhsa_user_sgpr_kernarg_segment_ptr 1
		.amdhsa_user_sgpr_dispatch_id 0
		.amdhsa_user_sgpr_private_segment_size 0
		.amdhsa_wavefront_size32 1
		.amdhsa_uses_dynamic_stack 0
		.amdhsa_enable_private_segment 0
		.amdhsa_system_sgpr_workgroup_id_x 1
		.amdhsa_system_sgpr_workgroup_id_y 0
		.amdhsa_system_sgpr_workgroup_id_z 0
		.amdhsa_system_sgpr_workgroup_info 0
		.amdhsa_system_vgpr_workitem_id 0
		.amdhsa_next_free_vgpr 1
		.amdhsa_next_free_sgpr 1
		.amdhsa_reserve_vcc 0
		.amdhsa_float_round_mode_32 0
		.amdhsa_float_round_mode_16_64 0
		.amdhsa_float_denorm_mode_32 3
		.amdhsa_float_denorm_mode_16_64 3
		.amdhsa_dx10_clamp 1
		.amdhsa_ieee_mode 1
		.amdhsa_fp16_overflow 0
		.amdhsa_workgroup_processor_mode 1
		.amdhsa_memory_ordered 1
		.amdhsa_forward_progress 0
		.amdhsa_shared_vgpr_count 0
		.amdhsa_exception_fp_ieee_invalid_op 0
		.amdhsa_exception_fp_denorm_src 0
		.amdhsa_exception_fp_ieee_div_zero 0
		.amdhsa_exception_fp_ieee_overflow 0
		.amdhsa_exception_fp_ieee_underflow 0
		.amdhsa_exception_fp_ieee_inexact 0
		.amdhsa_exception_int_div_zero 0
	.end_amdhsa_kernel
	.section	.text._ZN7rocprim17ROCPRIM_400000_NS6detail17trampoline_kernelINS0_14default_configENS1_25partition_config_selectorILNS1_17partition_subalgoE6EiNS0_10empty_typeEbEEZZNS1_14partition_implILS5_6ELb0ES3_mN6thrust23THRUST_200600_302600_NS6detail15normal_iteratorINSA_10device_ptrIiEEEEPS6_SG_NS0_5tupleIJSF_S6_EEENSH_IJSG_SG_EEES6_PlJ5mod_3IiEEEE10hipError_tPvRmT3_T4_T5_T6_T7_T9_mT8_P12ihipStream_tbDpT10_ENKUlT_T0_E_clISt17integral_constantIbLb1EES16_EEDaS11_S12_EUlS11_E_NS1_11comp_targetILNS1_3genE2ELNS1_11target_archE906ELNS1_3gpuE6ELNS1_3repE0EEENS1_30default_config_static_selectorELNS0_4arch9wavefront6targetE0EEEvT1_,"axG",@progbits,_ZN7rocprim17ROCPRIM_400000_NS6detail17trampoline_kernelINS0_14default_configENS1_25partition_config_selectorILNS1_17partition_subalgoE6EiNS0_10empty_typeEbEEZZNS1_14partition_implILS5_6ELb0ES3_mN6thrust23THRUST_200600_302600_NS6detail15normal_iteratorINSA_10device_ptrIiEEEEPS6_SG_NS0_5tupleIJSF_S6_EEENSH_IJSG_SG_EEES6_PlJ5mod_3IiEEEE10hipError_tPvRmT3_T4_T5_T6_T7_T9_mT8_P12ihipStream_tbDpT10_ENKUlT_T0_E_clISt17integral_constantIbLb1EES16_EEDaS11_S12_EUlS11_E_NS1_11comp_targetILNS1_3genE2ELNS1_11target_archE906ELNS1_3gpuE6ELNS1_3repE0EEENS1_30default_config_static_selectorELNS0_4arch9wavefront6targetE0EEEvT1_,comdat
.Lfunc_end596:
	.size	_ZN7rocprim17ROCPRIM_400000_NS6detail17trampoline_kernelINS0_14default_configENS1_25partition_config_selectorILNS1_17partition_subalgoE6EiNS0_10empty_typeEbEEZZNS1_14partition_implILS5_6ELb0ES3_mN6thrust23THRUST_200600_302600_NS6detail15normal_iteratorINSA_10device_ptrIiEEEEPS6_SG_NS0_5tupleIJSF_S6_EEENSH_IJSG_SG_EEES6_PlJ5mod_3IiEEEE10hipError_tPvRmT3_T4_T5_T6_T7_T9_mT8_P12ihipStream_tbDpT10_ENKUlT_T0_E_clISt17integral_constantIbLb1EES16_EEDaS11_S12_EUlS11_E_NS1_11comp_targetILNS1_3genE2ELNS1_11target_archE906ELNS1_3gpuE6ELNS1_3repE0EEENS1_30default_config_static_selectorELNS0_4arch9wavefront6targetE0EEEvT1_, .Lfunc_end596-_ZN7rocprim17ROCPRIM_400000_NS6detail17trampoline_kernelINS0_14default_configENS1_25partition_config_selectorILNS1_17partition_subalgoE6EiNS0_10empty_typeEbEEZZNS1_14partition_implILS5_6ELb0ES3_mN6thrust23THRUST_200600_302600_NS6detail15normal_iteratorINSA_10device_ptrIiEEEEPS6_SG_NS0_5tupleIJSF_S6_EEENSH_IJSG_SG_EEES6_PlJ5mod_3IiEEEE10hipError_tPvRmT3_T4_T5_T6_T7_T9_mT8_P12ihipStream_tbDpT10_ENKUlT_T0_E_clISt17integral_constantIbLb1EES16_EEDaS11_S12_EUlS11_E_NS1_11comp_targetILNS1_3genE2ELNS1_11target_archE906ELNS1_3gpuE6ELNS1_3repE0EEENS1_30default_config_static_selectorELNS0_4arch9wavefront6targetE0EEEvT1_
                                        ; -- End function
	.section	.AMDGPU.csdata,"",@progbits
; Kernel info:
; codeLenInByte = 0
; NumSgprs: 0
; NumVgprs: 0
; ScratchSize: 0
; MemoryBound: 0
; FloatMode: 240
; IeeeMode: 1
; LDSByteSize: 0 bytes/workgroup (compile time only)
; SGPRBlocks: 0
; VGPRBlocks: 0
; NumSGPRsForWavesPerEU: 1
; NumVGPRsForWavesPerEU: 1
; Occupancy: 15
; WaveLimiterHint : 0
; COMPUTE_PGM_RSRC2:SCRATCH_EN: 0
; COMPUTE_PGM_RSRC2:USER_SGPR: 15
; COMPUTE_PGM_RSRC2:TRAP_HANDLER: 0
; COMPUTE_PGM_RSRC2:TGID_X_EN: 1
; COMPUTE_PGM_RSRC2:TGID_Y_EN: 0
; COMPUTE_PGM_RSRC2:TGID_Z_EN: 0
; COMPUTE_PGM_RSRC2:TIDIG_COMP_CNT: 0
	.section	.text._ZN7rocprim17ROCPRIM_400000_NS6detail17trampoline_kernelINS0_14default_configENS1_25partition_config_selectorILNS1_17partition_subalgoE6EiNS0_10empty_typeEbEEZZNS1_14partition_implILS5_6ELb0ES3_mN6thrust23THRUST_200600_302600_NS6detail15normal_iteratorINSA_10device_ptrIiEEEEPS6_SG_NS0_5tupleIJSF_S6_EEENSH_IJSG_SG_EEES6_PlJ5mod_3IiEEEE10hipError_tPvRmT3_T4_T5_T6_T7_T9_mT8_P12ihipStream_tbDpT10_ENKUlT_T0_E_clISt17integral_constantIbLb1EES16_EEDaS11_S12_EUlS11_E_NS1_11comp_targetILNS1_3genE10ELNS1_11target_archE1200ELNS1_3gpuE4ELNS1_3repE0EEENS1_30default_config_static_selectorELNS0_4arch9wavefront6targetE0EEEvT1_,"axG",@progbits,_ZN7rocprim17ROCPRIM_400000_NS6detail17trampoline_kernelINS0_14default_configENS1_25partition_config_selectorILNS1_17partition_subalgoE6EiNS0_10empty_typeEbEEZZNS1_14partition_implILS5_6ELb0ES3_mN6thrust23THRUST_200600_302600_NS6detail15normal_iteratorINSA_10device_ptrIiEEEEPS6_SG_NS0_5tupleIJSF_S6_EEENSH_IJSG_SG_EEES6_PlJ5mod_3IiEEEE10hipError_tPvRmT3_T4_T5_T6_T7_T9_mT8_P12ihipStream_tbDpT10_ENKUlT_T0_E_clISt17integral_constantIbLb1EES16_EEDaS11_S12_EUlS11_E_NS1_11comp_targetILNS1_3genE10ELNS1_11target_archE1200ELNS1_3gpuE4ELNS1_3repE0EEENS1_30default_config_static_selectorELNS0_4arch9wavefront6targetE0EEEvT1_,comdat
	.protected	_ZN7rocprim17ROCPRIM_400000_NS6detail17trampoline_kernelINS0_14default_configENS1_25partition_config_selectorILNS1_17partition_subalgoE6EiNS0_10empty_typeEbEEZZNS1_14partition_implILS5_6ELb0ES3_mN6thrust23THRUST_200600_302600_NS6detail15normal_iteratorINSA_10device_ptrIiEEEEPS6_SG_NS0_5tupleIJSF_S6_EEENSH_IJSG_SG_EEES6_PlJ5mod_3IiEEEE10hipError_tPvRmT3_T4_T5_T6_T7_T9_mT8_P12ihipStream_tbDpT10_ENKUlT_T0_E_clISt17integral_constantIbLb1EES16_EEDaS11_S12_EUlS11_E_NS1_11comp_targetILNS1_3genE10ELNS1_11target_archE1200ELNS1_3gpuE4ELNS1_3repE0EEENS1_30default_config_static_selectorELNS0_4arch9wavefront6targetE0EEEvT1_ ; -- Begin function _ZN7rocprim17ROCPRIM_400000_NS6detail17trampoline_kernelINS0_14default_configENS1_25partition_config_selectorILNS1_17partition_subalgoE6EiNS0_10empty_typeEbEEZZNS1_14partition_implILS5_6ELb0ES3_mN6thrust23THRUST_200600_302600_NS6detail15normal_iteratorINSA_10device_ptrIiEEEEPS6_SG_NS0_5tupleIJSF_S6_EEENSH_IJSG_SG_EEES6_PlJ5mod_3IiEEEE10hipError_tPvRmT3_T4_T5_T6_T7_T9_mT8_P12ihipStream_tbDpT10_ENKUlT_T0_E_clISt17integral_constantIbLb1EES16_EEDaS11_S12_EUlS11_E_NS1_11comp_targetILNS1_3genE10ELNS1_11target_archE1200ELNS1_3gpuE4ELNS1_3repE0EEENS1_30default_config_static_selectorELNS0_4arch9wavefront6targetE0EEEvT1_
	.globl	_ZN7rocprim17ROCPRIM_400000_NS6detail17trampoline_kernelINS0_14default_configENS1_25partition_config_selectorILNS1_17partition_subalgoE6EiNS0_10empty_typeEbEEZZNS1_14partition_implILS5_6ELb0ES3_mN6thrust23THRUST_200600_302600_NS6detail15normal_iteratorINSA_10device_ptrIiEEEEPS6_SG_NS0_5tupleIJSF_S6_EEENSH_IJSG_SG_EEES6_PlJ5mod_3IiEEEE10hipError_tPvRmT3_T4_T5_T6_T7_T9_mT8_P12ihipStream_tbDpT10_ENKUlT_T0_E_clISt17integral_constantIbLb1EES16_EEDaS11_S12_EUlS11_E_NS1_11comp_targetILNS1_3genE10ELNS1_11target_archE1200ELNS1_3gpuE4ELNS1_3repE0EEENS1_30default_config_static_selectorELNS0_4arch9wavefront6targetE0EEEvT1_
	.p2align	8
	.type	_ZN7rocprim17ROCPRIM_400000_NS6detail17trampoline_kernelINS0_14default_configENS1_25partition_config_selectorILNS1_17partition_subalgoE6EiNS0_10empty_typeEbEEZZNS1_14partition_implILS5_6ELb0ES3_mN6thrust23THRUST_200600_302600_NS6detail15normal_iteratorINSA_10device_ptrIiEEEEPS6_SG_NS0_5tupleIJSF_S6_EEENSH_IJSG_SG_EEES6_PlJ5mod_3IiEEEE10hipError_tPvRmT3_T4_T5_T6_T7_T9_mT8_P12ihipStream_tbDpT10_ENKUlT_T0_E_clISt17integral_constantIbLb1EES16_EEDaS11_S12_EUlS11_E_NS1_11comp_targetILNS1_3genE10ELNS1_11target_archE1200ELNS1_3gpuE4ELNS1_3repE0EEENS1_30default_config_static_selectorELNS0_4arch9wavefront6targetE0EEEvT1_,@function
_ZN7rocprim17ROCPRIM_400000_NS6detail17trampoline_kernelINS0_14default_configENS1_25partition_config_selectorILNS1_17partition_subalgoE6EiNS0_10empty_typeEbEEZZNS1_14partition_implILS5_6ELb0ES3_mN6thrust23THRUST_200600_302600_NS6detail15normal_iteratorINSA_10device_ptrIiEEEEPS6_SG_NS0_5tupleIJSF_S6_EEENSH_IJSG_SG_EEES6_PlJ5mod_3IiEEEE10hipError_tPvRmT3_T4_T5_T6_T7_T9_mT8_P12ihipStream_tbDpT10_ENKUlT_T0_E_clISt17integral_constantIbLb1EES16_EEDaS11_S12_EUlS11_E_NS1_11comp_targetILNS1_3genE10ELNS1_11target_archE1200ELNS1_3gpuE4ELNS1_3repE0EEENS1_30default_config_static_selectorELNS0_4arch9wavefront6targetE0EEEvT1_: ; @_ZN7rocprim17ROCPRIM_400000_NS6detail17trampoline_kernelINS0_14default_configENS1_25partition_config_selectorILNS1_17partition_subalgoE6EiNS0_10empty_typeEbEEZZNS1_14partition_implILS5_6ELb0ES3_mN6thrust23THRUST_200600_302600_NS6detail15normal_iteratorINSA_10device_ptrIiEEEEPS6_SG_NS0_5tupleIJSF_S6_EEENSH_IJSG_SG_EEES6_PlJ5mod_3IiEEEE10hipError_tPvRmT3_T4_T5_T6_T7_T9_mT8_P12ihipStream_tbDpT10_ENKUlT_T0_E_clISt17integral_constantIbLb1EES16_EEDaS11_S12_EUlS11_E_NS1_11comp_targetILNS1_3genE10ELNS1_11target_archE1200ELNS1_3gpuE4ELNS1_3repE0EEENS1_30default_config_static_selectorELNS0_4arch9wavefront6targetE0EEEvT1_
; %bb.0:
	.section	.rodata,"a",@progbits
	.p2align	6, 0x0
	.amdhsa_kernel _ZN7rocprim17ROCPRIM_400000_NS6detail17trampoline_kernelINS0_14default_configENS1_25partition_config_selectorILNS1_17partition_subalgoE6EiNS0_10empty_typeEbEEZZNS1_14partition_implILS5_6ELb0ES3_mN6thrust23THRUST_200600_302600_NS6detail15normal_iteratorINSA_10device_ptrIiEEEEPS6_SG_NS0_5tupleIJSF_S6_EEENSH_IJSG_SG_EEES6_PlJ5mod_3IiEEEE10hipError_tPvRmT3_T4_T5_T6_T7_T9_mT8_P12ihipStream_tbDpT10_ENKUlT_T0_E_clISt17integral_constantIbLb1EES16_EEDaS11_S12_EUlS11_E_NS1_11comp_targetILNS1_3genE10ELNS1_11target_archE1200ELNS1_3gpuE4ELNS1_3repE0EEENS1_30default_config_static_selectorELNS0_4arch9wavefront6targetE0EEEvT1_
		.amdhsa_group_segment_fixed_size 0
		.amdhsa_private_segment_fixed_size 0
		.amdhsa_kernarg_size 128
		.amdhsa_user_sgpr_count 15
		.amdhsa_user_sgpr_dispatch_ptr 0
		.amdhsa_user_sgpr_queue_ptr 0
		.amdhsa_user_sgpr_kernarg_segment_ptr 1
		.amdhsa_user_sgpr_dispatch_id 0
		.amdhsa_user_sgpr_private_segment_size 0
		.amdhsa_wavefront_size32 1
		.amdhsa_uses_dynamic_stack 0
		.amdhsa_enable_private_segment 0
		.amdhsa_system_sgpr_workgroup_id_x 1
		.amdhsa_system_sgpr_workgroup_id_y 0
		.amdhsa_system_sgpr_workgroup_id_z 0
		.amdhsa_system_sgpr_workgroup_info 0
		.amdhsa_system_vgpr_workitem_id 0
		.amdhsa_next_free_vgpr 1
		.amdhsa_next_free_sgpr 1
		.amdhsa_reserve_vcc 0
		.amdhsa_float_round_mode_32 0
		.amdhsa_float_round_mode_16_64 0
		.amdhsa_float_denorm_mode_32 3
		.amdhsa_float_denorm_mode_16_64 3
		.amdhsa_dx10_clamp 1
		.amdhsa_ieee_mode 1
		.amdhsa_fp16_overflow 0
		.amdhsa_workgroup_processor_mode 1
		.amdhsa_memory_ordered 1
		.amdhsa_forward_progress 0
		.amdhsa_shared_vgpr_count 0
		.amdhsa_exception_fp_ieee_invalid_op 0
		.amdhsa_exception_fp_denorm_src 0
		.amdhsa_exception_fp_ieee_div_zero 0
		.amdhsa_exception_fp_ieee_overflow 0
		.amdhsa_exception_fp_ieee_underflow 0
		.amdhsa_exception_fp_ieee_inexact 0
		.amdhsa_exception_int_div_zero 0
	.end_amdhsa_kernel
	.section	.text._ZN7rocprim17ROCPRIM_400000_NS6detail17trampoline_kernelINS0_14default_configENS1_25partition_config_selectorILNS1_17partition_subalgoE6EiNS0_10empty_typeEbEEZZNS1_14partition_implILS5_6ELb0ES3_mN6thrust23THRUST_200600_302600_NS6detail15normal_iteratorINSA_10device_ptrIiEEEEPS6_SG_NS0_5tupleIJSF_S6_EEENSH_IJSG_SG_EEES6_PlJ5mod_3IiEEEE10hipError_tPvRmT3_T4_T5_T6_T7_T9_mT8_P12ihipStream_tbDpT10_ENKUlT_T0_E_clISt17integral_constantIbLb1EES16_EEDaS11_S12_EUlS11_E_NS1_11comp_targetILNS1_3genE10ELNS1_11target_archE1200ELNS1_3gpuE4ELNS1_3repE0EEENS1_30default_config_static_selectorELNS0_4arch9wavefront6targetE0EEEvT1_,"axG",@progbits,_ZN7rocprim17ROCPRIM_400000_NS6detail17trampoline_kernelINS0_14default_configENS1_25partition_config_selectorILNS1_17partition_subalgoE6EiNS0_10empty_typeEbEEZZNS1_14partition_implILS5_6ELb0ES3_mN6thrust23THRUST_200600_302600_NS6detail15normal_iteratorINSA_10device_ptrIiEEEEPS6_SG_NS0_5tupleIJSF_S6_EEENSH_IJSG_SG_EEES6_PlJ5mod_3IiEEEE10hipError_tPvRmT3_T4_T5_T6_T7_T9_mT8_P12ihipStream_tbDpT10_ENKUlT_T0_E_clISt17integral_constantIbLb1EES16_EEDaS11_S12_EUlS11_E_NS1_11comp_targetILNS1_3genE10ELNS1_11target_archE1200ELNS1_3gpuE4ELNS1_3repE0EEENS1_30default_config_static_selectorELNS0_4arch9wavefront6targetE0EEEvT1_,comdat
.Lfunc_end597:
	.size	_ZN7rocprim17ROCPRIM_400000_NS6detail17trampoline_kernelINS0_14default_configENS1_25partition_config_selectorILNS1_17partition_subalgoE6EiNS0_10empty_typeEbEEZZNS1_14partition_implILS5_6ELb0ES3_mN6thrust23THRUST_200600_302600_NS6detail15normal_iteratorINSA_10device_ptrIiEEEEPS6_SG_NS0_5tupleIJSF_S6_EEENSH_IJSG_SG_EEES6_PlJ5mod_3IiEEEE10hipError_tPvRmT3_T4_T5_T6_T7_T9_mT8_P12ihipStream_tbDpT10_ENKUlT_T0_E_clISt17integral_constantIbLb1EES16_EEDaS11_S12_EUlS11_E_NS1_11comp_targetILNS1_3genE10ELNS1_11target_archE1200ELNS1_3gpuE4ELNS1_3repE0EEENS1_30default_config_static_selectorELNS0_4arch9wavefront6targetE0EEEvT1_, .Lfunc_end597-_ZN7rocprim17ROCPRIM_400000_NS6detail17trampoline_kernelINS0_14default_configENS1_25partition_config_selectorILNS1_17partition_subalgoE6EiNS0_10empty_typeEbEEZZNS1_14partition_implILS5_6ELb0ES3_mN6thrust23THRUST_200600_302600_NS6detail15normal_iteratorINSA_10device_ptrIiEEEEPS6_SG_NS0_5tupleIJSF_S6_EEENSH_IJSG_SG_EEES6_PlJ5mod_3IiEEEE10hipError_tPvRmT3_T4_T5_T6_T7_T9_mT8_P12ihipStream_tbDpT10_ENKUlT_T0_E_clISt17integral_constantIbLb1EES16_EEDaS11_S12_EUlS11_E_NS1_11comp_targetILNS1_3genE10ELNS1_11target_archE1200ELNS1_3gpuE4ELNS1_3repE0EEENS1_30default_config_static_selectorELNS0_4arch9wavefront6targetE0EEEvT1_
                                        ; -- End function
	.section	.AMDGPU.csdata,"",@progbits
; Kernel info:
; codeLenInByte = 0
; NumSgprs: 0
; NumVgprs: 0
; ScratchSize: 0
; MemoryBound: 0
; FloatMode: 240
; IeeeMode: 1
; LDSByteSize: 0 bytes/workgroup (compile time only)
; SGPRBlocks: 0
; VGPRBlocks: 0
; NumSGPRsForWavesPerEU: 1
; NumVGPRsForWavesPerEU: 1
; Occupancy: 15
; WaveLimiterHint : 0
; COMPUTE_PGM_RSRC2:SCRATCH_EN: 0
; COMPUTE_PGM_RSRC2:USER_SGPR: 15
; COMPUTE_PGM_RSRC2:TRAP_HANDLER: 0
; COMPUTE_PGM_RSRC2:TGID_X_EN: 1
; COMPUTE_PGM_RSRC2:TGID_Y_EN: 0
; COMPUTE_PGM_RSRC2:TGID_Z_EN: 0
; COMPUTE_PGM_RSRC2:TIDIG_COMP_CNT: 0
	.section	.text._ZN7rocprim17ROCPRIM_400000_NS6detail17trampoline_kernelINS0_14default_configENS1_25partition_config_selectorILNS1_17partition_subalgoE6EiNS0_10empty_typeEbEEZZNS1_14partition_implILS5_6ELb0ES3_mN6thrust23THRUST_200600_302600_NS6detail15normal_iteratorINSA_10device_ptrIiEEEEPS6_SG_NS0_5tupleIJSF_S6_EEENSH_IJSG_SG_EEES6_PlJ5mod_3IiEEEE10hipError_tPvRmT3_T4_T5_T6_T7_T9_mT8_P12ihipStream_tbDpT10_ENKUlT_T0_E_clISt17integral_constantIbLb1EES16_EEDaS11_S12_EUlS11_E_NS1_11comp_targetILNS1_3genE9ELNS1_11target_archE1100ELNS1_3gpuE3ELNS1_3repE0EEENS1_30default_config_static_selectorELNS0_4arch9wavefront6targetE0EEEvT1_,"axG",@progbits,_ZN7rocprim17ROCPRIM_400000_NS6detail17trampoline_kernelINS0_14default_configENS1_25partition_config_selectorILNS1_17partition_subalgoE6EiNS0_10empty_typeEbEEZZNS1_14partition_implILS5_6ELb0ES3_mN6thrust23THRUST_200600_302600_NS6detail15normal_iteratorINSA_10device_ptrIiEEEEPS6_SG_NS0_5tupleIJSF_S6_EEENSH_IJSG_SG_EEES6_PlJ5mod_3IiEEEE10hipError_tPvRmT3_T4_T5_T6_T7_T9_mT8_P12ihipStream_tbDpT10_ENKUlT_T0_E_clISt17integral_constantIbLb1EES16_EEDaS11_S12_EUlS11_E_NS1_11comp_targetILNS1_3genE9ELNS1_11target_archE1100ELNS1_3gpuE3ELNS1_3repE0EEENS1_30default_config_static_selectorELNS0_4arch9wavefront6targetE0EEEvT1_,comdat
	.protected	_ZN7rocprim17ROCPRIM_400000_NS6detail17trampoline_kernelINS0_14default_configENS1_25partition_config_selectorILNS1_17partition_subalgoE6EiNS0_10empty_typeEbEEZZNS1_14partition_implILS5_6ELb0ES3_mN6thrust23THRUST_200600_302600_NS6detail15normal_iteratorINSA_10device_ptrIiEEEEPS6_SG_NS0_5tupleIJSF_S6_EEENSH_IJSG_SG_EEES6_PlJ5mod_3IiEEEE10hipError_tPvRmT3_T4_T5_T6_T7_T9_mT8_P12ihipStream_tbDpT10_ENKUlT_T0_E_clISt17integral_constantIbLb1EES16_EEDaS11_S12_EUlS11_E_NS1_11comp_targetILNS1_3genE9ELNS1_11target_archE1100ELNS1_3gpuE3ELNS1_3repE0EEENS1_30default_config_static_selectorELNS0_4arch9wavefront6targetE0EEEvT1_ ; -- Begin function _ZN7rocprim17ROCPRIM_400000_NS6detail17trampoline_kernelINS0_14default_configENS1_25partition_config_selectorILNS1_17partition_subalgoE6EiNS0_10empty_typeEbEEZZNS1_14partition_implILS5_6ELb0ES3_mN6thrust23THRUST_200600_302600_NS6detail15normal_iteratorINSA_10device_ptrIiEEEEPS6_SG_NS0_5tupleIJSF_S6_EEENSH_IJSG_SG_EEES6_PlJ5mod_3IiEEEE10hipError_tPvRmT3_T4_T5_T6_T7_T9_mT8_P12ihipStream_tbDpT10_ENKUlT_T0_E_clISt17integral_constantIbLb1EES16_EEDaS11_S12_EUlS11_E_NS1_11comp_targetILNS1_3genE9ELNS1_11target_archE1100ELNS1_3gpuE3ELNS1_3repE0EEENS1_30default_config_static_selectorELNS0_4arch9wavefront6targetE0EEEvT1_
	.globl	_ZN7rocprim17ROCPRIM_400000_NS6detail17trampoline_kernelINS0_14default_configENS1_25partition_config_selectorILNS1_17partition_subalgoE6EiNS0_10empty_typeEbEEZZNS1_14partition_implILS5_6ELb0ES3_mN6thrust23THRUST_200600_302600_NS6detail15normal_iteratorINSA_10device_ptrIiEEEEPS6_SG_NS0_5tupleIJSF_S6_EEENSH_IJSG_SG_EEES6_PlJ5mod_3IiEEEE10hipError_tPvRmT3_T4_T5_T6_T7_T9_mT8_P12ihipStream_tbDpT10_ENKUlT_T0_E_clISt17integral_constantIbLb1EES16_EEDaS11_S12_EUlS11_E_NS1_11comp_targetILNS1_3genE9ELNS1_11target_archE1100ELNS1_3gpuE3ELNS1_3repE0EEENS1_30default_config_static_selectorELNS0_4arch9wavefront6targetE0EEEvT1_
	.p2align	8
	.type	_ZN7rocprim17ROCPRIM_400000_NS6detail17trampoline_kernelINS0_14default_configENS1_25partition_config_selectorILNS1_17partition_subalgoE6EiNS0_10empty_typeEbEEZZNS1_14partition_implILS5_6ELb0ES3_mN6thrust23THRUST_200600_302600_NS6detail15normal_iteratorINSA_10device_ptrIiEEEEPS6_SG_NS0_5tupleIJSF_S6_EEENSH_IJSG_SG_EEES6_PlJ5mod_3IiEEEE10hipError_tPvRmT3_T4_T5_T6_T7_T9_mT8_P12ihipStream_tbDpT10_ENKUlT_T0_E_clISt17integral_constantIbLb1EES16_EEDaS11_S12_EUlS11_E_NS1_11comp_targetILNS1_3genE9ELNS1_11target_archE1100ELNS1_3gpuE3ELNS1_3repE0EEENS1_30default_config_static_selectorELNS0_4arch9wavefront6targetE0EEEvT1_,@function
_ZN7rocprim17ROCPRIM_400000_NS6detail17trampoline_kernelINS0_14default_configENS1_25partition_config_selectorILNS1_17partition_subalgoE6EiNS0_10empty_typeEbEEZZNS1_14partition_implILS5_6ELb0ES3_mN6thrust23THRUST_200600_302600_NS6detail15normal_iteratorINSA_10device_ptrIiEEEEPS6_SG_NS0_5tupleIJSF_S6_EEENSH_IJSG_SG_EEES6_PlJ5mod_3IiEEEE10hipError_tPvRmT3_T4_T5_T6_T7_T9_mT8_P12ihipStream_tbDpT10_ENKUlT_T0_E_clISt17integral_constantIbLb1EES16_EEDaS11_S12_EUlS11_E_NS1_11comp_targetILNS1_3genE9ELNS1_11target_archE1100ELNS1_3gpuE3ELNS1_3repE0EEENS1_30default_config_static_selectorELNS0_4arch9wavefront6targetE0EEEvT1_: ; @_ZN7rocprim17ROCPRIM_400000_NS6detail17trampoline_kernelINS0_14default_configENS1_25partition_config_selectorILNS1_17partition_subalgoE6EiNS0_10empty_typeEbEEZZNS1_14partition_implILS5_6ELb0ES3_mN6thrust23THRUST_200600_302600_NS6detail15normal_iteratorINSA_10device_ptrIiEEEEPS6_SG_NS0_5tupleIJSF_S6_EEENSH_IJSG_SG_EEES6_PlJ5mod_3IiEEEE10hipError_tPvRmT3_T4_T5_T6_T7_T9_mT8_P12ihipStream_tbDpT10_ENKUlT_T0_E_clISt17integral_constantIbLb1EES16_EEDaS11_S12_EUlS11_E_NS1_11comp_targetILNS1_3genE9ELNS1_11target_archE1100ELNS1_3gpuE3ELNS1_3repE0EEENS1_30default_config_static_selectorELNS0_4arch9wavefront6targetE0EEEvT1_
; %bb.0:
	s_clause 0x3
	s_load_b64 s[12:13], s[0:1], 0x28
	s_load_b128 s[4:7], s[0:1], 0x40
	s_load_b64 s[16:17], s[0:1], 0x50
	s_load_b64 s[14:15], s[0:1], 0x60
	v_cmp_eq_u32_e64 s2, 0, v0
	s_delay_alu instid0(VALU_DEP_1)
	s_and_saveexec_b32 s3, s2
	s_cbranch_execz .LBB598_4
; %bb.1:
	s_mov_b32 s9, exec_lo
	s_mov_b32 s8, exec_lo
	v_mbcnt_lo_u32_b32 v1, s9, 0
                                        ; implicit-def: $vgpr2
	s_delay_alu instid0(VALU_DEP_1)
	v_cmpx_eq_u32_e32 0, v1
	s_cbranch_execz .LBB598_3
; %bb.2:
	s_load_b64 s[10:11], s[0:1], 0x70
	s_bcnt1_i32_b32 s9, s9
	s_delay_alu instid0(SALU_CYCLE_1)
	v_dual_mov_b32 v2, 0 :: v_dual_mov_b32 v3, s9
	s_waitcnt lgkmcnt(0)
	global_atomic_add_u32 v2, v2, v3, s[10:11] glc
.LBB598_3:
	s_or_b32 exec_lo, exec_lo, s8
	s_waitcnt vmcnt(0)
	v_readfirstlane_b32 s8, v2
	s_delay_alu instid0(VALU_DEP_1)
	v_dual_mov_b32 v2, 0 :: v_dual_add_nc_u32 v1, s8, v1
	ds_store_b32 v2, v1
.LBB598_4:
	s_or_b32 exec_lo, exec_lo, s3
	v_dual_mov_b32 v2, 0 :: v_dual_lshlrev_b32 v17, 2, v0
	s_clause 0x1
	s_load_b128 s[8:11], s[0:1], 0x8
	s_load_b32 s0, s[0:1], 0x68
	s_waitcnt lgkmcnt(0)
	s_barrier
	buffer_gl0_inv
	ds_load_b32 v1, v2
	s_waitcnt lgkmcnt(0)
	s_barrier
	buffer_gl0_inv
	global_load_b64 v[49:50], v2, s[6:7]
	s_lshl_b64 s[6:7], s[10:11], 2
	s_mul_i32 s3, s0, 0x700
	s_add_u32 s1, s8, s6
	s_addc_u32 s18, s9, s7
	s_add_i32 s6, s3, s10
	v_readfirstlane_b32 s7, v1
	v_mul_lo_u32 v1, 0x700, v1
	s_add_i32 s19, s0, -1
	s_sub_i32 s0, s16, s6
	s_add_u32 s8, s10, s3
	s_addc_u32 s9, s11, 0
	s_cmp_eq_u32 s7, s19
	v_cmp_ge_u64_e64 s6, s[8:9], s[16:17]
	s_cselect_b32 s3, -1, 0
	v_lshlrev_b64 v[1:2], 2, v[1:2]
	s_delay_alu instid0(VALU_DEP_2) | instskip(NEXT) | instid1(VALU_DEP_1)
	s_and_b32 s6, s6, s3
	v_add_co_u32 v18, vcc_lo, s1, v1
	s_delay_alu instid0(VALU_DEP_2)
	v_add_co_ci_u32_e32 v19, vcc_lo, s18, v2, vcc_lo
	s_xor_b32 s6, s6, -1
	s_mov_b32 s1, -1
	s_and_b32 vcc_lo, exec_lo, s6
	s_cbranch_vccz .LBB598_6
; %bb.5:
	v_add_co_u32 v1, vcc_lo, v18, v17
	v_add_co_ci_u32_e32 v2, vcc_lo, 0, v19, vcc_lo
	s_mov_b32 s1, 0
	s_delay_alu instid0(VALU_DEP_2) | instskip(NEXT) | instid1(VALU_DEP_2)
	v_add_co_u32 v3, vcc_lo, 0x1000, v1
	v_add_co_ci_u32_e32 v4, vcc_lo, 0, v2, vcc_lo
	s_clause 0xd
	flat_load_b32 v5, v[1:2]
	flat_load_b32 v6, v[1:2] offset:512
	flat_load_b32 v7, v[1:2] offset:1024
	;; [unrolled: 1-line block ×7, first 2 shown]
	flat_load_b32 v2, v[3:4]
	flat_load_b32 v12, v[3:4] offset:512
	flat_load_b32 v13, v[3:4] offset:1024
	;; [unrolled: 1-line block ×5, first 2 shown]
	s_waitcnt vmcnt(12) lgkmcnt(12)
	ds_store_2addr_stride64_b32 v17, v5, v6 offset1:2
	s_waitcnt vmcnt(10) lgkmcnt(11)
	ds_store_2addr_stride64_b32 v17, v7, v8 offset0:4 offset1:6
	s_waitcnt vmcnt(8) lgkmcnt(10)
	ds_store_2addr_stride64_b32 v17, v9, v10 offset0:8 offset1:10
	;; [unrolled: 2-line block ×6, first 2 shown]
	s_waitcnt lgkmcnt(0)
	s_barrier
.LBB598_6:
	s_and_not1_b32 vcc_lo, exec_lo, s1
	s_addk_i32 s0, 0x700
	s_cbranch_vccnz .LBB598_36
; %bb.7:
	s_mov_b32 s1, exec_lo
                                        ; implicit-def: $vgpr1_vgpr2_vgpr3_vgpr4_vgpr5_vgpr6_vgpr7_vgpr8_vgpr9_vgpr10_vgpr11_vgpr12_vgpr13_vgpr14_vgpr15_vgpr16
	v_cmpx_gt_u32_e64 s0, v0
	s_cbranch_execz .LBB598_9
; %bb.8:
	v_add_co_u32 v1, vcc_lo, v18, v17
	v_add_co_ci_u32_e32 v2, vcc_lo, 0, v19, vcc_lo
	flat_load_b32 v1, v[1:2]
.LBB598_9:
	s_or_b32 exec_lo, exec_lo, s1
	v_or_b32_e32 v15, 0x80, v0
	s_mov_b32 s1, exec_lo
	s_delay_alu instid0(VALU_DEP_1)
	v_cmpx_gt_u32_e64 s0, v15
	s_cbranch_execz .LBB598_11
; %bb.10:
	v_add_co_u32 v15, vcc_lo, v18, v17
	v_add_co_ci_u32_e32 v16, vcc_lo, 0, v19, vcc_lo
	flat_load_b32 v2, v[15:16] offset:512
.LBB598_11:
	s_or_b32 exec_lo, exec_lo, s1
	v_or_b32_e32 v15, 0x100, v0
	s_mov_b32 s1, exec_lo
	s_delay_alu instid0(VALU_DEP_1)
	v_cmpx_gt_u32_e64 s0, v15
	s_cbranch_execz .LBB598_13
; %bb.12:
	v_add_co_u32 v15, vcc_lo, v18, v17
	v_add_co_ci_u32_e32 v16, vcc_lo, 0, v19, vcc_lo
	flat_load_b32 v3, v[15:16] offset:1024
.LBB598_13:
	;; [unrolled: 11-line block ×7, first 2 shown]
	s_or_b32 exec_lo, exec_lo, s1
	v_or_b32_e32 v15, 0x400, v0
	s_mov_b32 s1, exec_lo
	s_delay_alu instid0(VALU_DEP_1)
	v_cmpx_gt_u32_e64 s0, v15
	s_cbranch_execz .LBB598_25
; %bb.24:
	v_lshlrev_b32_e32 v9, 2, v15
	s_delay_alu instid0(VALU_DEP_1)
	v_add_co_u32 v15, vcc_lo, v18, v9
	v_add_co_ci_u32_e32 v16, vcc_lo, 0, v19, vcc_lo
	flat_load_b32 v9, v[15:16]
.LBB598_25:
	s_or_b32 exec_lo, exec_lo, s1
	v_or_b32_e32 v15, 0x480, v0
	s_mov_b32 s1, exec_lo
	s_delay_alu instid0(VALU_DEP_1)
	v_cmpx_gt_u32_e64 s0, v15
	s_cbranch_execz .LBB598_27
; %bb.26:
	v_lshlrev_b32_e32 v10, 2, v15
	s_delay_alu instid0(VALU_DEP_1)
	v_add_co_u32 v15, vcc_lo, v18, v10
	v_add_co_ci_u32_e32 v16, vcc_lo, 0, v19, vcc_lo
	flat_load_b32 v10, v[15:16]
.LBB598_27:
	;; [unrolled: 13-line block ×6, first 2 shown]
	s_or_b32 exec_lo, exec_lo, s1
	s_waitcnt vmcnt(0) lgkmcnt(0)
	ds_store_2addr_stride64_b32 v17, v1, v2 offset1:2
	ds_store_2addr_stride64_b32 v17, v3, v4 offset0:4 offset1:6
	ds_store_2addr_stride64_b32 v17, v5, v6 offset0:8 offset1:10
	;; [unrolled: 1-line block ×6, first 2 shown]
	s_waitcnt lgkmcnt(0)
	s_barrier
.LBB598_36:
	v_mul_u32_u24_e32 v1, 14, v0
	s_waitcnt vmcnt(0)
	buffer_gl0_inv
	s_and_not1_b32 vcc_lo, exec_lo, s6
	v_lshlrev_b32_e32 v63, 2, v1
	ds_load_2addr_b64 v[41:44], v63 offset1:1
	ds_load_2addr_b64 v[37:40], v63 offset0:2 offset1:3
	ds_load_2addr_b64 v[33:36], v63 offset0:4 offset1:5
	ds_load_b64 v[51:52], v63 offset:48
	s_waitcnt lgkmcnt(0)
	s_barrier
	buffer_gl0_inv
	s_cbranch_vccnz .LBB598_38
; %bb.37:
	v_mul_lo_u32 v2, 0xaaaaaaab, v41
	v_mul_lo_u32 v3, 0xaaaaaaab, v42
	;; [unrolled: 1-line block ×8, first 2 shown]
	v_cmp_lt_u32_e32 vcc_lo, 0x55555555, v2
	v_mul_lo_u32 v10, 0xaaaaaaab, v33
	v_mul_lo_u32 v11, 0xaaaaaaab, v34
	v_mul_lo_u32 v12, 0xaaaaaaab, v35
	v_mul_lo_u32 v13, 0xaaaaaaab, v36
	v_cndmask_b32_e64 v2, 0, 1, vcc_lo
	v_cmp_lt_u32_e32 vcc_lo, 0x55555555, v3
	v_mul_lo_u32 v14, 0xaaaaaaab, v51
	v_cndmask_b32_e64 v3, 0, 1, vcc_lo
	v_cmp_lt_u32_e32 vcc_lo, 0x55555555, v4
	s_delay_alu instid0(VALU_DEP_2) | instskip(SKIP_2) | instid1(VALU_DEP_3)
	v_lshlrev_b16 v3, 8, v3
	v_cndmask_b32_e64 v4, 0, 1, vcc_lo
	v_cmp_lt_u32_e32 vcc_lo, 0x55555555, v5
	v_or_b32_e32 v2, v2, v3
	v_cndmask_b32_e64 v5, 0, 1, vcc_lo
	v_cmp_lt_u32_e32 vcc_lo, 0x55555555, v6
	s_delay_alu instid0(VALU_DEP_3) | instskip(NEXT) | instid1(VALU_DEP_3)
	v_and_b32_e32 v2, 0xffff, v2
	v_lshlrev_b16 v5, 8, v5
	v_cndmask_b32_e64 v6, 0, 1, vcc_lo
	v_cmp_lt_u32_e32 vcc_lo, 0x55555555, v7
	s_delay_alu instid0(VALU_DEP_3) | instskip(SKIP_2) | instid1(VALU_DEP_3)
	v_or_b32_e32 v4, v4, v5
	v_cndmask_b32_e64 v7, 0, 1, vcc_lo
	v_cmp_lt_u32_e32 vcc_lo, 0x55555555, v8
	v_lshlrev_b32_e32 v4, 16, v4
	s_delay_alu instid0(VALU_DEP_3) | instskip(SKIP_2) | instid1(VALU_DEP_4)
	v_lshlrev_b16 v7, 8, v7
	v_cndmask_b32_e64 v8, 0, 1, vcc_lo
	v_cmp_lt_u32_e32 vcc_lo, 0x55555555, v9
	v_or_b32_e32 v61, v2, v4
	s_delay_alu instid0(VALU_DEP_4) | instskip(SKIP_2) | instid1(VALU_DEP_3)
	v_or_b32_e32 v5, v6, v7
	v_cndmask_b32_e64 v9, 0, 1, vcc_lo
	v_cmp_lt_u32_e32 vcc_lo, 0x55555555, v10
	v_and_b32_e32 v5, 0xffff, v5
	s_delay_alu instid0(VALU_DEP_3) | instskip(SKIP_2) | instid1(VALU_DEP_3)
	v_lshlrev_b16 v9, 8, v9
	v_cndmask_b32_e64 v10, 0, 1, vcc_lo
	v_cmp_lt_u32_e32 vcc_lo, 0x55555555, v11
	v_or_b32_e32 v6, v8, v9
	v_cndmask_b32_e64 v11, 0, 1, vcc_lo
	v_cmp_lt_u32_e32 vcc_lo, 0x55555555, v12
	s_delay_alu instid0(VALU_DEP_3) | instskip(NEXT) | instid1(VALU_DEP_3)
	v_lshlrev_b32_e32 v6, 16, v6
	v_lshlrev_b16 v11, 8, v11
	v_cndmask_b32_e64 v12, 0, 1, vcc_lo
	v_cmp_lt_u32_e32 vcc_lo, 0x55555555, v13
	v_mul_lo_u32 v13, 0xaaaaaaab, v52
	v_or_b32_e32 v58, v5, v6
	v_or_b32_e32 v7, v10, v11
	v_cndmask_b32_e64 v3, 0, 1, vcc_lo
	v_cmp_lt_u32_e32 vcc_lo, 0x55555555, v14
	s_delay_alu instid0(VALU_DEP_3) | instskip(NEXT) | instid1(VALU_DEP_3)
	v_and_b32_e32 v7, 0xffff, v7
	v_lshlrev_b16 v3, 8, v3
	v_cndmask_b32_e64 v55, 0, 1, vcc_lo
	v_cmp_lt_u32_e32 vcc_lo, 0x55555555, v13
	s_delay_alu instid0(VALU_DEP_3) | instskip(SKIP_1) | instid1(VALU_DEP_2)
	v_or_b32_e32 v3, v12, v3
	v_cndmask_b32_e64 v56, 0, 1, vcc_lo
	v_lshlrev_b32_e32 v3, 16, v3
	s_delay_alu instid0(VALU_DEP_1)
	v_or_b32_e32 v57, v7, v3
	s_cbranch_execz .LBB598_39
	s_branch .LBB598_68
.LBB598_38:
                                        ; implicit-def: $vgpr56
                                        ; implicit-def: $vgpr55
                                        ; implicit-def: $vgpr57
                                        ; implicit-def: $vgpr58
                                        ; implicit-def: $vgpr61
.LBB598_39:
	v_dual_mov_b32 v3, 0 :: v_dual_mov_b32 v2, 0
	s_mov_b32 s1, exec_lo
	v_cmpx_gt_u32_e64 s0, v1
; %bb.40:
	v_mul_lo_u32 v2, 0xaaaaaaab, v41
	s_delay_alu instid0(VALU_DEP_1)
	v_cmp_lt_u32_e32 vcc_lo, 0x55555555, v2
	v_cndmask_b32_e64 v2, 0, 1, vcc_lo
; %bb.41:
	s_or_b32 exec_lo, exec_lo, s1
	v_or_b32_e32 v4, 1, v1
	s_mov_b32 s1, exec_lo
	s_delay_alu instid0(VALU_DEP_1)
	v_cmpx_gt_u32_e64 s0, v4
; %bb.42:
	v_mul_lo_u32 v3, 0xaaaaaaab, v42
	s_delay_alu instid0(VALU_DEP_1)
	v_cmp_lt_u32_e32 vcc_lo, 0x55555555, v3
	v_cndmask_b32_e64 v3, 0, 1, vcc_lo
; %bb.43:
	s_or_b32 exec_lo, exec_lo, s1
	v_dual_mov_b32 v5, 0 :: v_dual_add_nc_u32 v4, 2, v1
	s_delay_alu instid0(VALU_DEP_1)
	v_cmp_gt_u32_e32 vcc_lo, s0, v4
	v_mov_b32_e32 v4, 0
	s_and_saveexec_b32 s1, vcc_lo
; %bb.44:
	v_mul_lo_u32 v4, 0xaaaaaaab, v43
	s_delay_alu instid0(VALU_DEP_1)
	v_cmp_lt_u32_e32 vcc_lo, 0x55555555, v4
	v_cndmask_b32_e64 v4, 0, 1, vcc_lo
; %bb.45:
	s_or_b32 exec_lo, exec_lo, s1
	v_add_nc_u32_e32 v6, 3, v1
	s_mov_b32 s1, exec_lo
	s_delay_alu instid0(VALU_DEP_1)
	v_cmpx_gt_u32_e64 s0, v6
; %bb.46:
	v_mul_lo_u32 v5, 0xaaaaaaab, v44
	s_delay_alu instid0(VALU_DEP_1)
	v_cmp_lt_u32_e32 vcc_lo, 0x55555555, v5
	v_cndmask_b32_e64 v5, 0, 1, vcc_lo
; %bb.47:
	s_or_b32 exec_lo, exec_lo, s1
	v_dual_mov_b32 v7, 0 :: v_dual_add_nc_u32 v6, 4, v1
	s_delay_alu instid0(VALU_DEP_1)
	v_cmp_gt_u32_e32 vcc_lo, s0, v6
	v_mov_b32_e32 v6, 0
	s_and_saveexec_b32 s1, vcc_lo
; %bb.48:
	v_mul_lo_u32 v6, 0xaaaaaaab, v37
	s_delay_alu instid0(VALU_DEP_1)
	v_cmp_lt_u32_e32 vcc_lo, 0x55555555, v6
	v_cndmask_b32_e64 v6, 0, 1, vcc_lo
; %bb.49:
	s_or_b32 exec_lo, exec_lo, s1
	v_add_nc_u32_e32 v8, 5, v1
	;; [unrolled: 23-line block ×5, first 2 shown]
	s_mov_b32 s1, exec_lo
	s_delay_alu instid0(VALU_DEP_1)
	v_cmpx_gt_u32_e64 s0, v14
; %bb.62:
	v_mul_lo_u32 v13, 0xaaaaaaab, v36
	s_delay_alu instid0(VALU_DEP_1)
	v_cmp_lt_u32_e32 vcc_lo, 0x55555555, v13
	v_cndmask_b32_e64 v13, 0, 1, vcc_lo
; %bb.63:
	s_or_b32 exec_lo, exec_lo, s1
	v_dual_mov_b32 v55, 0 :: v_dual_add_nc_u32 v14, 12, v1
	v_mov_b32_e32 v56, 0
	s_mov_b32 s1, exec_lo
	s_delay_alu instid0(VALU_DEP_2)
	v_cmpx_gt_u32_e64 s0, v14
; %bb.64:
	v_mul_lo_u32 v14, 0xaaaaaaab, v51
	s_delay_alu instid0(VALU_DEP_1)
	v_cmp_lt_u32_e32 vcc_lo, 0x55555555, v14
	v_cndmask_b32_e64 v55, 0, 1, vcc_lo
; %bb.65:
	s_or_b32 exec_lo, exec_lo, s1
	v_add_nc_u32_e32 v1, 13, v1
	s_delay_alu instid0(VALU_DEP_1)
	v_cmp_gt_u32_e32 vcc_lo, s0, v1
	s_and_saveexec_b32 s0, vcc_lo
; %bb.66:
	v_mul_lo_u32 v1, 0xaaaaaaab, v52
	s_delay_alu instid0(VALU_DEP_1)
	v_cmp_lt_u32_e32 vcc_lo, 0x55555555, v1
	v_cndmask_b32_e64 v56, 0, 1, vcc_lo
; %bb.67:
	s_or_b32 exec_lo, exec_lo, s0
	v_lshlrev_b16 v1, 8, v3
	v_lshlrev_b16 v3, 8, v5
	v_lshlrev_b16 v5, 8, v7
	v_lshlrev_b16 v7, 8, v9
	v_lshlrev_b16 v9, 8, v11
	v_or_b32_e32 v1, v2, v1
	v_lshlrev_b16 v2, 8, v13
	v_or_b32_e32 v3, v4, v3
	v_or_b32_e32 v4, v6, v5
	;; [unrolled: 1-line block ×5, first 2 shown]
	v_and_b32_e32 v1, 0xffff, v1
	v_lshlrev_b32_e32 v3, 16, v3
	v_and_b32_e32 v4, 0xffff, v4
	v_lshlrev_b32_e32 v5, 16, v5
	;; [unrolled: 2-line block ×3, first 2 shown]
	v_or_b32_e32 v61, v1, v3
	s_delay_alu instid0(VALU_DEP_4) | instskip(NEXT) | instid1(VALU_DEP_3)
	v_or_b32_e32 v58, v4, v5
	v_or_b32_e32 v57, v6, v2
.LBB598_68:
	s_delay_alu instid0(VALU_DEP_3)
	v_dual_mov_b32 v2, 0 :: v_dual_and_b32 v65, 0xff, v61
	v_bfe_u32 v66, v61, 8, 8
	v_bfe_u32 v67, v61, 16, 8
	v_lshrrev_b32_e32 v62, 24, v61
	v_and_b32_e32 v68, 0xff, v58
	v_bfe_u32 v69, v58, 8, 8
	v_add_co_u32 v1, s0, v66, v65
	s_delay_alu instid0(VALU_DEP_1) | instskip(SKIP_1) | instid1(VALU_DEP_3)
	v_add_co_ci_u32_e64 v3, null, 0, 0, s0
	v_bfe_u32 v70, v58, 16, 8
	v_add_co_u32 v1, vcc_lo, v1, v67
	s_delay_alu instid0(VALU_DEP_3) | instskip(SKIP_1) | instid1(VALU_DEP_3)
	v_add_co_ci_u32_e32 v3, vcc_lo, 0, v3, vcc_lo
	v_lshrrev_b32_e32 v60, 24, v58
	v_add_co_u32 v1, vcc_lo, v1, v62
	s_delay_alu instid0(VALU_DEP_3) | instskip(SKIP_1) | instid1(VALU_DEP_3)
	v_add_co_ci_u32_e32 v3, vcc_lo, 0, v3, vcc_lo
	v_and_b32_e32 v71, 0xff, v57
	v_add_co_u32 v1, vcc_lo, v1, v68
	s_delay_alu instid0(VALU_DEP_3) | instskip(SKIP_1) | instid1(VALU_DEP_3)
	v_add_co_ci_u32_e32 v3, vcc_lo, 0, v3, vcc_lo
	v_bfe_u32 v72, v57, 8, 8
	v_add_co_u32 v1, vcc_lo, v1, v69
	s_delay_alu instid0(VALU_DEP_3) | instskip(SKIP_1) | instid1(VALU_DEP_3)
	v_add_co_ci_u32_e32 v3, vcc_lo, 0, v3, vcc_lo
	v_bfe_u32 v73, v57, 16, 8
	v_add_co_u32 v1, vcc_lo, v1, v70
	s_delay_alu instid0(VALU_DEP_3) | instskip(SKIP_1) | instid1(VALU_DEP_3)
	v_add_co_ci_u32_e32 v3, vcc_lo, 0, v3, vcc_lo
	v_lshrrev_b32_e32 v59, 24, v57
	v_add_co_u32 v1, vcc_lo, v1, v60
	s_delay_alu instid0(VALU_DEP_3) | instskip(SKIP_1) | instid1(VALU_DEP_3)
	v_add_co_ci_u32_e32 v3, vcc_lo, 0, v3, vcc_lo
	v_and_b32_e32 v64, 0xff, v55
	v_add_co_u32 v1, vcc_lo, v1, v71
	s_delay_alu instid0(VALU_DEP_3) | instskip(SKIP_1) | instid1(VALU_DEP_3)
	v_add_co_ci_u32_e32 v3, vcc_lo, 0, v3, vcc_lo
	v_mbcnt_lo_u32_b32 v74, -1, 0
	v_add_co_u32 v1, vcc_lo, v1, v72
	s_delay_alu instid0(VALU_DEP_3) | instskip(SKIP_1) | instid1(VALU_DEP_3)
	v_add_co_ci_u32_e32 v3, vcc_lo, 0, v3, vcc_lo
	v_and_b32_e32 v4, 0xff, v56
	v_add_co_u32 v1, vcc_lo, v1, v73
	s_delay_alu instid0(VALU_DEP_3) | instskip(SKIP_1) | instid1(VALU_DEP_3)
	v_add_co_ci_u32_e32 v3, vcc_lo, 0, v3, vcc_lo
	v_and_b32_e32 v75, 15, v74
	v_add_co_u32 v1, vcc_lo, v1, v59
	s_delay_alu instid0(VALU_DEP_3) | instskip(NEXT) | instid1(VALU_DEP_3)
	v_add_co_ci_u32_e32 v3, vcc_lo, 0, v3, vcc_lo
	v_cmp_ne_u32_e64 s0, 0, v75
	s_delay_alu instid0(VALU_DEP_3) | instskip(NEXT) | instid1(VALU_DEP_3)
	v_add_co_u32 v1, vcc_lo, v1, v64
	v_add_co_ci_u32_e32 v3, vcc_lo, 0, v3, vcc_lo
	s_cmp_lg_u32 s7, 0
	s_delay_alu instid0(VALU_DEP_2) | instskip(NEXT) | instid1(VALU_DEP_2)
	v_add_co_u32 v53, vcc_lo, v1, v4
	v_add_co_ci_u32_e32 v54, vcc_lo, 0, v3, vcc_lo
	s_mov_b32 s1, -1
	s_cbranch_scc0 .LBB598_133
; %bb.69:
	s_delay_alu instid0(VALU_DEP_2)
	v_mov_b32_e32 v3, v53
	v_mov_b32_dpp v1, v53 row_shr:1 row_mask:0xf bank_mask:0xf
	v_mov_b32_dpp v6, v2 row_shr:1 row_mask:0xf bank_mask:0xf
	v_dual_mov_b32 v5, v53 :: v_dual_mov_b32 v4, v54
	s_and_saveexec_b32 s1, s0
; %bb.70:
	s_delay_alu instid0(VALU_DEP_3) | instskip(SKIP_1) | instid1(VALU_DEP_2)
	v_add_co_u32 v5, vcc_lo, v53, v1
	v_add_co_ci_u32_e32 v2, vcc_lo, 0, v54, vcc_lo
	v_add_co_u32 v1, vcc_lo, 0, v5
	s_delay_alu instid0(VALU_DEP_2) | instskip(NEXT) | instid1(VALU_DEP_1)
	v_add_co_ci_u32_e32 v2, vcc_lo, v6, v2, vcc_lo
	v_dual_mov_b32 v4, v2 :: v_dual_mov_b32 v3, v1
; %bb.71:
	s_or_b32 exec_lo, exec_lo, s1
	v_mov_b32_dpp v1, v5 row_shr:2 row_mask:0xf bank_mask:0xf
	v_mov_b32_dpp v6, v2 row_shr:2 row_mask:0xf bank_mask:0xf
	s_mov_b32 s1, exec_lo
	v_cmpx_lt_u32_e32 1, v75
; %bb.72:
	s_delay_alu instid0(VALU_DEP_3) | instskip(SKIP_1) | instid1(VALU_DEP_2)
	v_add_co_u32 v5, vcc_lo, v3, v1
	v_add_co_ci_u32_e32 v2, vcc_lo, 0, v4, vcc_lo
	v_add_co_u32 v1, vcc_lo, 0, v5
	s_delay_alu instid0(VALU_DEP_2) | instskip(NEXT) | instid1(VALU_DEP_1)
	v_add_co_ci_u32_e32 v2, vcc_lo, v6, v2, vcc_lo
	v_dual_mov_b32 v4, v2 :: v_dual_mov_b32 v3, v1
; %bb.73:
	s_or_b32 exec_lo, exec_lo, s1
	v_mov_b32_dpp v1, v5 row_shr:4 row_mask:0xf bank_mask:0xf
	v_mov_b32_dpp v6, v2 row_shr:4 row_mask:0xf bank_mask:0xf
	s_mov_b32 s1, exec_lo
	v_cmpx_lt_u32_e32 3, v75
	;; [unrolled: 14-line block ×3, first 2 shown]
; %bb.76:
	s_delay_alu instid0(VALU_DEP_3) | instskip(SKIP_1) | instid1(VALU_DEP_2)
	v_add_co_u32 v5, vcc_lo, v3, v6
	v_add_co_ci_u32_e32 v2, vcc_lo, 0, v4, vcc_lo
	v_add_co_u32 v3, vcc_lo, 0, v5
	s_delay_alu instid0(VALU_DEP_2) | instskip(NEXT) | instid1(VALU_DEP_1)
	v_add_co_ci_u32_e32 v4, vcc_lo, v1, v2, vcc_lo
	v_mov_b32_e32 v2, v4
; %bb.77:
	s_or_b32 exec_lo, exec_lo, s1
	ds_swizzle_b32 v1, v5 offset:swizzle(BROADCAST,32,15)
	ds_swizzle_b32 v6, v2 offset:swizzle(BROADCAST,32,15)
	v_and_b32_e32 v7, 16, v74
	s_mov_b32 s1, exec_lo
	s_delay_alu instid0(VALU_DEP_1)
	v_cmpx_ne_u32_e32 0, v7
	s_cbranch_execz .LBB598_79
; %bb.78:
	s_waitcnt lgkmcnt(1)
	v_add_co_u32 v5, vcc_lo, v3, v1
	v_add_co_ci_u32_e32 v2, vcc_lo, 0, v4, vcc_lo
	s_delay_alu instid0(VALU_DEP_2) | instskip(SKIP_1) | instid1(VALU_DEP_2)
	v_add_co_u32 v1, vcc_lo, 0, v5
	s_waitcnt lgkmcnt(0)
	v_add_co_ci_u32_e32 v2, vcc_lo, v6, v2, vcc_lo
	s_delay_alu instid0(VALU_DEP_1)
	v_dual_mov_b32 v4, v2 :: v_dual_mov_b32 v3, v1
.LBB598_79:
	s_or_b32 exec_lo, exec_lo, s1
	s_waitcnt lgkmcnt(0)
	v_or_b32_e32 v6, 31, v0
	v_lshrrev_b32_e32 v1, 5, v0
	s_mov_b32 s1, exec_lo
	s_delay_alu instid0(VALU_DEP_2)
	v_cmpx_eq_u32_e64 v6, v0
	s_cbranch_execz .LBB598_81
; %bb.80:
	s_delay_alu instid0(VALU_DEP_2)
	v_lshlrev_b32_e32 v6, 3, v1
	ds_store_b64 v6, v[3:4]
.LBB598_81:
	s_or_b32 exec_lo, exec_lo, s1
	s_delay_alu instid0(SALU_CYCLE_1)
	s_mov_b32 s1, exec_lo
	s_waitcnt lgkmcnt(0)
	s_barrier
	buffer_gl0_inv
	v_cmpx_gt_u32_e32 4, v0
	s_cbranch_execz .LBB598_87
; %bb.82:
	v_lshlrev_b32_e32 v6, 3, v0
	s_mov_b32 s8, exec_lo
	ds_load_b64 v[3:4], v6
	s_waitcnt lgkmcnt(0)
	v_dual_mov_b32 v8, v3 :: v_dual_and_b32 v7, 3, v74
	v_mov_b32_dpp v10, v3 row_shr:1 row_mask:0xf bank_mask:0xf
	v_mov_b32_dpp v9, v4 row_shr:1 row_mask:0xf bank_mask:0xf
	s_delay_alu instid0(VALU_DEP_3)
	v_cmpx_ne_u32_e32 0, v7
; %bb.83:
	s_delay_alu instid0(VALU_DEP_3) | instskip(SKIP_1) | instid1(VALU_DEP_2)
	v_add_co_u32 v8, vcc_lo, v3, v10
	v_add_co_ci_u32_e32 v4, vcc_lo, 0, v4, vcc_lo
	v_add_co_u32 v3, vcc_lo, 0, v8
	s_delay_alu instid0(VALU_DEP_2)
	v_add_co_ci_u32_e32 v4, vcc_lo, v9, v4, vcc_lo
; %bb.84:
	s_or_b32 exec_lo, exec_lo, s8
	v_mov_b32_dpp v9, v8 row_shr:2 row_mask:0xf bank_mask:0xf
	s_delay_alu instid0(VALU_DEP_2)
	v_mov_b32_dpp v8, v4 row_shr:2 row_mask:0xf bank_mask:0xf
	s_mov_b32 s8, exec_lo
	v_cmpx_lt_u32_e32 1, v7
; %bb.85:
	s_delay_alu instid0(VALU_DEP_3) | instskip(SKIP_1) | instid1(VALU_DEP_2)
	v_add_co_u32 v3, vcc_lo, v3, v9
	v_add_co_ci_u32_e32 v4, vcc_lo, 0, v4, vcc_lo
	v_add_co_u32 v3, vcc_lo, v3, 0
	s_delay_alu instid0(VALU_DEP_2)
	v_add_co_ci_u32_e32 v4, vcc_lo, v4, v8, vcc_lo
; %bb.86:
	s_or_b32 exec_lo, exec_lo, s8
	ds_store_b64 v6, v[3:4]
.LBB598_87:
	s_or_b32 exec_lo, exec_lo, s1
	v_cmp_gt_u32_e32 vcc_lo, 32, v0
	s_mov_b32 s8, exec_lo
	s_waitcnt lgkmcnt(0)
	s_barrier
	buffer_gl0_inv
                                        ; implicit-def: $vgpr9_vgpr10
	v_cmpx_lt_u32_e32 31, v0
	s_cbranch_execz .LBB598_89
; %bb.88:
	v_lshl_add_u32 v1, v1, 3, -8
	ds_load_b64 v[9:10], v1
	s_waitcnt lgkmcnt(0)
	v_add_co_u32 v5, s1, v5, v9
	s_delay_alu instid0(VALU_DEP_1)
	v_add_co_ci_u32_e64 v2, s1, v2, v10, s1
.LBB598_89:
	s_or_b32 exec_lo, exec_lo, s8
	v_add_nc_u32_e32 v1, -1, v74
	s_delay_alu instid0(VALU_DEP_1) | instskip(NEXT) | instid1(VALU_DEP_1)
	v_cmp_gt_i32_e64 s1, 0, v1
	v_cndmask_b32_e64 v1, v1, v74, s1
	v_cmp_eq_u32_e64 s1, 0, v74
	s_delay_alu instid0(VALU_DEP_2)
	v_lshlrev_b32_e32 v1, 2, v1
	ds_bpermute_b32 v15, v1, v5
	ds_bpermute_b32 v16, v1, v2
	s_and_saveexec_b32 s8, vcc_lo
	s_cbranch_execz .LBB598_132
; %bb.90:
	v_mov_b32_e32 v4, 0
	ds_load_b64 v[1:2], v4 offset:24
	s_and_saveexec_b32 s9, s1
	s_cbranch_execz .LBB598_92
; %bb.91:
	s_add_i32 s10, s7, 32
	s_mov_b32 s11, 0
	s_delay_alu instid0(SALU_CYCLE_1) | instskip(NEXT) | instid1(SALU_CYCLE_1)
	s_lshl_b64 s[10:11], s[10:11], 4
	s_add_u32 s10, s14, s10
	s_addc_u32 s11, s15, s11
	v_mov_b32_e32 v5, s10
	v_dual_mov_b32 v3, 1 :: v_dual_mov_b32 v6, s11
	s_waitcnt lgkmcnt(0)
	;;#ASMSTART
	global_store_dwordx4 v[5:6], v[1:4] off	
s_waitcnt vmcnt(0)
	;;#ASMEND
.LBB598_92:
	s_or_b32 exec_lo, exec_lo, s9
	v_xad_u32 v11, v74, -1, s7
	s_mov_b32 s10, 0
	s_mov_b32 s9, exec_lo
	s_delay_alu instid0(VALU_DEP_1) | instskip(NEXT) | instid1(VALU_DEP_1)
	v_add_nc_u32_e32 v3, 32, v11
	v_lshlrev_b64 v[3:4], 4, v[3:4]
	s_delay_alu instid0(VALU_DEP_1) | instskip(NEXT) | instid1(VALU_DEP_2)
	v_add_co_u32 v3, vcc_lo, s14, v3
	v_add_co_ci_u32_e32 v4, vcc_lo, s15, v4, vcc_lo
	;;#ASMSTART
	global_load_dwordx4 v[5:8], v[3:4] off glc	
s_waitcnt vmcnt(0)
	;;#ASMEND
	v_and_b32_e32 v8, 0xff, v6
	v_and_b32_e32 v12, 0xff00, v6
	v_or3_b32 v5, v5, 0, 0
	v_and_b32_e32 v13, 0xff000000, v6
	v_and_b32_e32 v6, 0xff0000, v6
	s_delay_alu instid0(VALU_DEP_4) | instskip(SKIP_2) | instid1(VALU_DEP_3)
	v_or3_b32 v8, 0, v8, v12
	v_and_b32_e32 v12, 0xff, v7
	v_or3_b32 v5, v5, 0, 0
	v_or3_b32 v6, v8, v6, v13
	s_delay_alu instid0(VALU_DEP_3)
	v_cmpx_eq_u16_e32 0, v12
	s_cbranch_execz .LBB598_98
; %bb.93:
	s_mov_b32 s11, 1
	.p2align	6
.LBB598_94:                             ; =>This Loop Header: Depth=1
                                        ;     Child Loop BB598_95 Depth 2
	s_delay_alu instid0(SALU_CYCLE_1)
	s_max_u32 s16, s11, 1
.LBB598_95:                             ;   Parent Loop BB598_94 Depth=1
                                        ; =>  This Inner Loop Header: Depth=2
	s_delay_alu instid0(SALU_CYCLE_1)
	s_add_i32 s16, s16, -1
	s_sleep 1
	s_cmp_eq_u32 s16, 0
	s_cbranch_scc0 .LBB598_95
; %bb.96:                               ;   in Loop: Header=BB598_94 Depth=1
	;;#ASMSTART
	global_load_dwordx4 v[5:8], v[3:4] off glc	
s_waitcnt vmcnt(0)
	;;#ASMEND
	v_and_b32_e32 v8, 0xff, v7
	s_cmp_lt_u32 s11, 32
	s_cselect_b32 s16, -1, 0
	s_delay_alu instid0(SALU_CYCLE_1) | instskip(NEXT) | instid1(VALU_DEP_1)
	s_cmp_lg_u32 s16, 0
	v_cmp_ne_u16_e32 vcc_lo, 0, v8
	s_addc_u32 s11, s11, 0
	s_or_b32 s10, vcc_lo, s10
	s_delay_alu instid0(SALU_CYCLE_1)
	s_and_not1_b32 exec_lo, exec_lo, s10
	s_cbranch_execnz .LBB598_94
; %bb.97:
	s_or_b32 exec_lo, exec_lo, s10
.LBB598_98:
	s_delay_alu instid0(SALU_CYCLE_1)
	s_or_b32 exec_lo, exec_lo, s9
	v_cmp_ne_u32_e32 vcc_lo, 31, v74
	v_and_b32_e32 v4, 0xff, v7
	v_lshlrev_b32_e64 v18, v74, -1
	s_mov_b32 s9, exec_lo
	v_add_co_ci_u32_e32 v3, vcc_lo, 0, v74, vcc_lo
	s_delay_alu instid0(VALU_DEP_3) | instskip(NEXT) | instid1(VALU_DEP_2)
	v_cmp_eq_u16_e32 vcc_lo, 2, v4
	v_dual_mov_b32 v4, v5 :: v_dual_lshlrev_b32 v17, 2, v3
	v_and_or_b32 v3, vcc_lo, v18, 0x80000000
	ds_bpermute_b32 v12, v17, v5
	ds_bpermute_b32 v8, v17, v6
	v_ctz_i32_b32_e32 v3, v3
	s_delay_alu instid0(VALU_DEP_1)
	v_cmpx_lt_u32_e64 v74, v3
	s_cbranch_execz .LBB598_100
; %bb.99:
	s_waitcnt lgkmcnt(1)
	v_add_co_u32 v4, vcc_lo, v5, v12
	v_add_co_ci_u32_e32 v6, vcc_lo, 0, v6, vcc_lo
	s_delay_alu instid0(VALU_DEP_2) | instskip(SKIP_1) | instid1(VALU_DEP_2)
	v_add_co_u32 v5, vcc_lo, 0, v4
	s_waitcnt lgkmcnt(0)
	v_add_co_ci_u32_e32 v6, vcc_lo, v8, v6, vcc_lo
.LBB598_100:
	s_or_b32 exec_lo, exec_lo, s9
	v_cmp_gt_u32_e32 vcc_lo, 30, v74
	v_add_nc_u32_e32 v20, 2, v74
	s_mov_b32 s9, exec_lo
	s_waitcnt lgkmcnt(0)
	v_cndmask_b32_e64 v8, 0, 1, vcc_lo
	s_delay_alu instid0(VALU_DEP_1) | instskip(NEXT) | instid1(VALU_DEP_1)
	v_lshlrev_b32_e32 v8, 1, v8
	v_add_lshl_u32 v19, v8, v74, 2
	ds_bpermute_b32 v12, v19, v4
	ds_bpermute_b32 v8, v19, v6
	v_cmpx_le_u32_e64 v20, v3
	s_cbranch_execz .LBB598_102
; %bb.101:
	s_waitcnt lgkmcnt(1)
	v_add_co_u32 v4, vcc_lo, v5, v12
	v_add_co_ci_u32_e32 v6, vcc_lo, 0, v6, vcc_lo
	s_delay_alu instid0(VALU_DEP_2) | instskip(SKIP_1) | instid1(VALU_DEP_2)
	v_add_co_u32 v5, vcc_lo, 0, v4
	s_waitcnt lgkmcnt(0)
	v_add_co_ci_u32_e32 v6, vcc_lo, v8, v6, vcc_lo
.LBB598_102:
	s_or_b32 exec_lo, exec_lo, s9
	v_cmp_gt_u32_e32 vcc_lo, 28, v74
	v_add_nc_u32_e32 v22, 4, v74
	s_mov_b32 s9, exec_lo
	s_waitcnt lgkmcnt(0)
	v_cndmask_b32_e64 v8, 0, 1, vcc_lo
	s_delay_alu instid0(VALU_DEP_1) | instskip(NEXT) | instid1(VALU_DEP_1)
	v_lshlrev_b32_e32 v8, 2, v8
	v_add_lshl_u32 v21, v8, v74, 2
	ds_bpermute_b32 v12, v21, v4
	ds_bpermute_b32 v8, v21, v6
	v_cmpx_le_u32_e64 v22, v3
	;; [unrolled: 22-line block ×4, first 2 shown]
	s_cbranch_execz .LBB598_108
; %bb.107:
	s_waitcnt lgkmcnt(1)
	v_add_co_u32 v3, vcc_lo, v5, v8
	v_add_co_ci_u32_e32 v6, vcc_lo, 0, v6, vcc_lo
	s_delay_alu instid0(VALU_DEP_2) | instskip(SKIP_1) | instid1(VALU_DEP_2)
	v_add_co_u32 v5, vcc_lo, v3, 0
	s_waitcnt lgkmcnt(0)
	v_add_co_ci_u32_e32 v6, vcc_lo, v6, v4, vcc_lo
.LBB598_108:
	s_or_b32 exec_lo, exec_lo, s9
	v_mov_b32_e32 v12, 0
	s_branch .LBB598_110
.LBB598_109:                            ;   in Loop: Header=BB598_110 Depth=1
	s_or_b32 exec_lo, exec_lo, s9
	v_add_co_u32 v5, vcc_lo, v5, v3
	v_subrev_nc_u32_e32 v11, 32, v11
	v_add_co_ci_u32_e32 v6, vcc_lo, v6, v4, vcc_lo
.LBB598_110:                            ; =>This Loop Header: Depth=1
                                        ;     Child Loop BB598_113 Depth 2
                                        ;       Child Loop BB598_114 Depth 3
	v_and_b32_e32 v3, 0xff, v7
	s_delay_alu instid0(VALU_DEP_1) | instskip(SKIP_2) | instid1(VALU_DEP_1)
	v_cmp_ne_u16_e32 vcc_lo, 2, v3
	v_cndmask_b32_e64 v3, 0, 1, vcc_lo
	;;#ASMSTART
	;;#ASMEND
	v_cmp_ne_u32_e32 vcc_lo, 0, v3
	s_waitcnt lgkmcnt(0)
	v_dual_mov_b32 v3, v5 :: v_dual_mov_b32 v4, v6
	s_cmp_lg_u32 vcc_lo, exec_lo
	s_cbranch_scc1 .LBB598_127
; %bb.111:                              ;   in Loop: Header=BB598_110 Depth=1
	v_lshlrev_b64 v[5:6], 4, v[11:12]
	s_mov_b32 s9, exec_lo
	s_delay_alu instid0(VALU_DEP_1) | instskip(NEXT) | instid1(VALU_DEP_2)
	v_add_co_u32 v13, vcc_lo, s14, v5
	v_add_co_ci_u32_e32 v14, vcc_lo, s15, v6, vcc_lo
	;;#ASMSTART
	global_load_dwordx4 v[5:8], v[13:14] off glc	
s_waitcnt vmcnt(0)
	;;#ASMEND
	v_and_b32_e32 v8, 0xff, v6
	v_and_b32_e32 v27, 0xff00, v6
	v_or3_b32 v5, v5, 0, 0
	v_and_b32_e32 v28, 0xff000000, v6
	v_and_b32_e32 v6, 0xff0000, v6
	s_delay_alu instid0(VALU_DEP_4) | instskip(SKIP_2) | instid1(VALU_DEP_3)
	v_or3_b32 v8, 0, v8, v27
	v_and_b32_e32 v27, 0xff, v7
	v_or3_b32 v5, v5, 0, 0
	v_or3_b32 v6, v8, v6, v28
	s_delay_alu instid0(VALU_DEP_3)
	v_cmpx_eq_u16_e32 0, v27
	s_cbranch_execz .LBB598_117
; %bb.112:                              ;   in Loop: Header=BB598_110 Depth=1
	s_mov_b32 s11, 1
	s_mov_b32 s10, 0
	.p2align	6
.LBB598_113:                            ;   Parent Loop BB598_110 Depth=1
                                        ; =>  This Loop Header: Depth=2
                                        ;       Child Loop BB598_114 Depth 3
	s_max_u32 s16, s11, 1
.LBB598_114:                            ;   Parent Loop BB598_110 Depth=1
                                        ;     Parent Loop BB598_113 Depth=2
                                        ; =>    This Inner Loop Header: Depth=3
	s_delay_alu instid0(SALU_CYCLE_1)
	s_add_i32 s16, s16, -1
	s_sleep 1
	s_cmp_eq_u32 s16, 0
	s_cbranch_scc0 .LBB598_114
; %bb.115:                              ;   in Loop: Header=BB598_113 Depth=2
	;;#ASMSTART
	global_load_dwordx4 v[5:8], v[13:14] off glc	
s_waitcnt vmcnt(0)
	;;#ASMEND
	v_and_b32_e32 v8, 0xff, v7
	s_cmp_lt_u32 s11, 32
	s_cselect_b32 s16, -1, 0
	s_delay_alu instid0(SALU_CYCLE_1) | instskip(NEXT) | instid1(VALU_DEP_1)
	s_cmp_lg_u32 s16, 0
	v_cmp_ne_u16_e32 vcc_lo, 0, v8
	s_addc_u32 s11, s11, 0
	s_or_b32 s10, vcc_lo, s10
	s_delay_alu instid0(SALU_CYCLE_1)
	s_and_not1_b32 exec_lo, exec_lo, s10
	s_cbranch_execnz .LBB598_113
; %bb.116:                              ;   in Loop: Header=BB598_110 Depth=1
	s_or_b32 exec_lo, exec_lo, s10
.LBB598_117:                            ;   in Loop: Header=BB598_110 Depth=1
	s_delay_alu instid0(SALU_CYCLE_1)
	s_or_b32 exec_lo, exec_lo, s9
	v_dual_mov_b32 v13, v5 :: v_dual_and_b32 v8, 0xff, v7
	ds_bpermute_b32 v27, v17, v5
	ds_bpermute_b32 v14, v17, v6
	s_mov_b32 s9, exec_lo
	v_cmp_eq_u16_e32 vcc_lo, 2, v8
	v_and_or_b32 v8, vcc_lo, v18, 0x80000000
	s_delay_alu instid0(VALU_DEP_1) | instskip(NEXT) | instid1(VALU_DEP_1)
	v_ctz_i32_b32_e32 v8, v8
	v_cmpx_lt_u32_e64 v74, v8
	s_cbranch_execz .LBB598_119
; %bb.118:                              ;   in Loop: Header=BB598_110 Depth=1
	s_waitcnt lgkmcnt(1)
	v_add_co_u32 v13, vcc_lo, v5, v27
	v_add_co_ci_u32_e32 v6, vcc_lo, 0, v6, vcc_lo
	s_delay_alu instid0(VALU_DEP_2) | instskip(SKIP_1) | instid1(VALU_DEP_2)
	v_add_co_u32 v5, vcc_lo, 0, v13
	s_waitcnt lgkmcnt(0)
	v_add_co_ci_u32_e32 v6, vcc_lo, v14, v6, vcc_lo
.LBB598_119:                            ;   in Loop: Header=BB598_110 Depth=1
	s_or_b32 exec_lo, exec_lo, s9
	s_waitcnt lgkmcnt(1)
	ds_bpermute_b32 v27, v19, v13
	s_waitcnt lgkmcnt(1)
	ds_bpermute_b32 v14, v19, v6
	s_mov_b32 s9, exec_lo
	v_cmpx_le_u32_e64 v20, v8
	s_cbranch_execz .LBB598_121
; %bb.120:                              ;   in Loop: Header=BB598_110 Depth=1
	s_waitcnt lgkmcnt(1)
	v_add_co_u32 v13, vcc_lo, v5, v27
	v_add_co_ci_u32_e32 v6, vcc_lo, 0, v6, vcc_lo
	s_delay_alu instid0(VALU_DEP_2) | instskip(SKIP_1) | instid1(VALU_DEP_2)
	v_add_co_u32 v5, vcc_lo, 0, v13
	s_waitcnt lgkmcnt(0)
	v_add_co_ci_u32_e32 v6, vcc_lo, v14, v6, vcc_lo
.LBB598_121:                            ;   in Loop: Header=BB598_110 Depth=1
	s_or_b32 exec_lo, exec_lo, s9
	s_waitcnt lgkmcnt(1)
	ds_bpermute_b32 v27, v21, v13
	s_waitcnt lgkmcnt(1)
	ds_bpermute_b32 v14, v21, v6
	s_mov_b32 s9, exec_lo
	v_cmpx_le_u32_e64 v22, v8
	;; [unrolled: 17-line block ×3, first 2 shown]
	s_cbranch_execz .LBB598_125
; %bb.124:                              ;   in Loop: Header=BB598_110 Depth=1
	s_waitcnt lgkmcnt(1)
	v_add_co_u32 v13, vcc_lo, v5, v27
	v_add_co_ci_u32_e32 v6, vcc_lo, 0, v6, vcc_lo
	s_delay_alu instid0(VALU_DEP_2) | instskip(SKIP_1) | instid1(VALU_DEP_2)
	v_add_co_u32 v5, vcc_lo, 0, v13
	s_waitcnt lgkmcnt(0)
	v_add_co_ci_u32_e32 v6, vcc_lo, v14, v6, vcc_lo
.LBB598_125:                            ;   in Loop: Header=BB598_110 Depth=1
	s_or_b32 exec_lo, exec_lo, s9
	s_waitcnt lgkmcnt(0)
	ds_bpermute_b32 v14, v25, v13
	ds_bpermute_b32 v13, v25, v6
	s_mov_b32 s9, exec_lo
	v_cmpx_le_u32_e64 v26, v8
	s_cbranch_execz .LBB598_109
; %bb.126:                              ;   in Loop: Header=BB598_110 Depth=1
	s_waitcnt lgkmcnt(1)
	v_add_co_u32 v5, vcc_lo, v5, v14
	v_add_co_ci_u32_e32 v6, vcc_lo, 0, v6, vcc_lo
	s_delay_alu instid0(VALU_DEP_2) | instskip(SKIP_1) | instid1(VALU_DEP_2)
	v_add_co_u32 v5, vcc_lo, v5, 0
	s_waitcnt lgkmcnt(0)
	v_add_co_ci_u32_e32 v6, vcc_lo, v6, v13, vcc_lo
	s_branch .LBB598_109
.LBB598_127:                            ;   in Loop: Header=BB598_110 Depth=1
                                        ; implicit-def: $vgpr5_vgpr6
	s_cbranch_execz .LBB598_110
; %bb.128:
	s_and_saveexec_b32 s9, s1
	s_cbranch_execz .LBB598_130
; %bb.129:
	s_add_i32 s10, s7, 32
	s_mov_b32 s11, 0
	v_add_co_u32 v5, vcc_lo, v3, v1
	s_lshl_b64 s[10:11], s[10:11], 4
	v_dual_mov_b32 v7, 2 :: v_dual_mov_b32 v8, 0
	s_add_u32 s10, s14, s10
	s_addc_u32 s11, s15, s11
	v_add_co_ci_u32_e32 v6, vcc_lo, v4, v2, vcc_lo
	v_dual_mov_b32 v12, s11 :: v_dual_mov_b32 v11, s10
	;;#ASMSTART
	global_store_dwordx4 v[11:12], v[5:8] off	
s_waitcnt vmcnt(0)
	;;#ASMEND
	ds_store_b128 v8, v[1:4] offset:7168
.LBB598_130:
	s_or_b32 exec_lo, exec_lo, s9
	s_delay_alu instid0(SALU_CYCLE_1)
	s_and_b32 exec_lo, exec_lo, s2
	s_cbranch_execz .LBB598_132
; %bb.131:
	v_mov_b32_e32 v1, 0
	ds_store_b64 v1, v[3:4] offset:24
.LBB598_132:
	s_or_b32 exec_lo, exec_lo, s8
	v_mov_b32_e32 v21, 0
	s_waitcnt lgkmcnt(0)
	s_barrier
	buffer_gl0_inv
	v_cndmask_b32_e64 v3, v15, v9, s1
	ds_load_b64 v[1:2], v21 offset:24
	v_cndmask_b32_e64 v4, v16, v10, s1
	s_waitcnt lgkmcnt(0)
	s_barrier
	v_cndmask_b32_e64 v3, v3, 0, s2
	buffer_gl0_inv
	v_cndmask_b32_e64 v4, v4, 0, s2
	ds_load_b128 v[45:48], v21 offset:7168
	v_add_co_u32 v1, vcc_lo, v1, v3
	v_add_co_ci_u32_e32 v2, vcc_lo, v2, v4, vcc_lo
	s_delay_alu instid0(VALU_DEP_2) | instskip(NEXT) | instid1(VALU_DEP_2)
	v_add_co_u32 v3, vcc_lo, v1, v65
	v_add_co_ci_u32_e32 v4, vcc_lo, 0, v2, vcc_lo
	s_delay_alu instid0(VALU_DEP_2) | instskip(NEXT) | instid1(VALU_DEP_2)
	;; [unrolled: 3-line block ×13, first 2 shown]
	v_add_co_u32 v27, vcc_lo, v25, v64
	v_add_co_ci_u32_e32 v28, vcc_lo, 0, v26, vcc_lo
	s_branch .LBB598_157
.LBB598_133:
                                        ; implicit-def: $vgpr47_vgpr48
                                        ; implicit-def: $vgpr1_vgpr2_vgpr3_vgpr4_vgpr5_vgpr6_vgpr7_vgpr8_vgpr9_vgpr10_vgpr11_vgpr12_vgpr13_vgpr14_vgpr15_vgpr16_vgpr17_vgpr18_vgpr19_vgpr20_vgpr21_vgpr22_vgpr23_vgpr24_vgpr25_vgpr26_vgpr27_vgpr28_vgpr29_vgpr30_vgpr31_vgpr32
	s_and_b32 vcc_lo, exec_lo, s1
	s_cbranch_vccz .LBB598_157
; %bb.134:
	v_dual_mov_b32 v2, 0 :: v_dual_mov_b32 v3, v53
	v_mov_b32_dpp v4, v53 row_shr:1 row_mask:0xf bank_mask:0xf
	s_delay_alu instid0(VALU_DEP_2)
	v_mov_b32_dpp v1, v2 row_shr:1 row_mask:0xf bank_mask:0xf
	s_and_saveexec_b32 s1, s0
; %bb.135:
	s_delay_alu instid0(VALU_DEP_2) | instskip(SKIP_1) | instid1(VALU_DEP_2)
	v_add_co_u32 v3, vcc_lo, v53, v4
	v_add_co_ci_u32_e32 v2, vcc_lo, 0, v54, vcc_lo
	v_add_co_u32 v53, vcc_lo, 0, v3
	s_delay_alu instid0(VALU_DEP_2) | instskip(NEXT) | instid1(VALU_DEP_1)
	v_add_co_ci_u32_e32 v54, vcc_lo, v1, v2, vcc_lo
	v_mov_b32_e32 v2, v54
; %bb.136:
	s_or_b32 exec_lo, exec_lo, s1
	v_mov_b32_dpp v1, v3 row_shr:2 row_mask:0xf bank_mask:0xf
	s_delay_alu instid0(VALU_DEP_2)
	v_mov_b32_dpp v4, v2 row_shr:2 row_mask:0xf bank_mask:0xf
	s_mov_b32 s0, exec_lo
	v_cmpx_lt_u32_e32 1, v75
; %bb.137:
	s_delay_alu instid0(VALU_DEP_3) | instskip(SKIP_1) | instid1(VALU_DEP_2)
	v_add_co_u32 v3, vcc_lo, v53, v1
	v_add_co_ci_u32_e32 v2, vcc_lo, 0, v54, vcc_lo
	v_add_co_u32 v1, vcc_lo, 0, v3
	s_delay_alu instid0(VALU_DEP_2) | instskip(NEXT) | instid1(VALU_DEP_1)
	v_add_co_ci_u32_e32 v2, vcc_lo, v4, v2, vcc_lo
	v_dual_mov_b32 v54, v2 :: v_dual_mov_b32 v53, v1
; %bb.138:
	s_or_b32 exec_lo, exec_lo, s0
	v_mov_b32_dpp v1, v3 row_shr:4 row_mask:0xf bank_mask:0xf
	v_mov_b32_dpp v4, v2 row_shr:4 row_mask:0xf bank_mask:0xf
	s_mov_b32 s0, exec_lo
	v_cmpx_lt_u32_e32 3, v75
; %bb.139:
	s_delay_alu instid0(VALU_DEP_3) | instskip(SKIP_1) | instid1(VALU_DEP_2)
	v_add_co_u32 v3, vcc_lo, v53, v1
	v_add_co_ci_u32_e32 v2, vcc_lo, 0, v54, vcc_lo
	v_add_co_u32 v1, vcc_lo, 0, v3
	s_delay_alu instid0(VALU_DEP_2) | instskip(NEXT) | instid1(VALU_DEP_1)
	v_add_co_ci_u32_e32 v2, vcc_lo, v4, v2, vcc_lo
	v_dual_mov_b32 v54, v2 :: v_dual_mov_b32 v53, v1
; %bb.140:
	s_or_b32 exec_lo, exec_lo, s0
	v_mov_b32_dpp v4, v3 row_shr:8 row_mask:0xf bank_mask:0xf
	v_mov_b32_dpp v1, v2 row_shr:8 row_mask:0xf bank_mask:0xf
	s_mov_b32 s0, exec_lo
	v_cmpx_lt_u32_e32 7, v75
; %bb.141:
	s_delay_alu instid0(VALU_DEP_3) | instskip(SKIP_1) | instid1(VALU_DEP_2)
	v_add_co_u32 v3, vcc_lo, v53, v4
	v_add_co_ci_u32_e32 v2, vcc_lo, 0, v54, vcc_lo
	v_add_co_u32 v53, vcc_lo, 0, v3
	s_delay_alu instid0(VALU_DEP_2) | instskip(NEXT) | instid1(VALU_DEP_1)
	v_add_co_ci_u32_e32 v54, vcc_lo, v1, v2, vcc_lo
	v_mov_b32_e32 v2, v54
; %bb.142:
	s_or_b32 exec_lo, exec_lo, s0
	ds_swizzle_b32 v3, v3 offset:swizzle(BROADCAST,32,15)
	ds_swizzle_b32 v1, v2 offset:swizzle(BROADCAST,32,15)
	v_and_b32_e32 v2, 16, v74
	s_mov_b32 s0, exec_lo
	s_delay_alu instid0(VALU_DEP_1)
	v_cmpx_ne_u32_e32 0, v2
	s_cbranch_execz .LBB598_144
; %bb.143:
	s_waitcnt lgkmcnt(1)
	v_add_co_u32 v2, vcc_lo, v53, v3
	v_add_co_ci_u32_e32 v3, vcc_lo, 0, v54, vcc_lo
	s_delay_alu instid0(VALU_DEP_2) | instskip(SKIP_1) | instid1(VALU_DEP_2)
	v_add_co_u32 v53, vcc_lo, v2, 0
	s_waitcnt lgkmcnt(0)
	v_add_co_ci_u32_e32 v54, vcc_lo, v3, v1, vcc_lo
.LBB598_144:
	s_or_b32 exec_lo, exec_lo, s0
	s_waitcnt lgkmcnt(0)
	v_or_b32_e32 v1, 31, v0
	v_lshrrev_b32_e32 v3, 5, v0
	s_mov_b32 s0, exec_lo
	s_delay_alu instid0(VALU_DEP_2)
	v_cmpx_eq_u32_e64 v1, v0
	s_cbranch_execz .LBB598_146
; %bb.145:
	s_delay_alu instid0(VALU_DEP_2)
	v_lshlrev_b32_e32 v1, 3, v3
	ds_store_b64 v1, v[53:54]
.LBB598_146:
	s_or_b32 exec_lo, exec_lo, s0
	s_delay_alu instid0(SALU_CYCLE_1)
	s_mov_b32 s0, exec_lo
	s_waitcnt lgkmcnt(0)
	s_barrier
	buffer_gl0_inv
	v_cmpx_gt_u32_e32 4, v0
	s_cbranch_execz .LBB598_152
; %bb.147:
	v_mad_i32_i24 v1, 0xffffffd0, v0, v63
	s_mov_b32 s1, exec_lo
	ds_load_b64 v[1:2], v1
	s_waitcnt lgkmcnt(0)
	v_dual_mov_b32 v5, v1 :: v_dual_and_b32 v4, 3, v74
	v_mov_b32_dpp v7, v1 row_shr:1 row_mask:0xf bank_mask:0xf
	v_mov_b32_dpp v6, v2 row_shr:1 row_mask:0xf bank_mask:0xf
	s_delay_alu instid0(VALU_DEP_3)
	v_cmpx_ne_u32_e32 0, v4
; %bb.148:
	s_delay_alu instid0(VALU_DEP_3) | instskip(SKIP_1) | instid1(VALU_DEP_2)
	v_add_co_u32 v5, vcc_lo, v1, v7
	v_add_co_ci_u32_e32 v2, vcc_lo, 0, v2, vcc_lo
	v_add_co_u32 v1, vcc_lo, 0, v5
	s_delay_alu instid0(VALU_DEP_2)
	v_add_co_ci_u32_e32 v2, vcc_lo, v6, v2, vcc_lo
; %bb.149:
	s_or_b32 exec_lo, exec_lo, s1
	v_mul_i32_i24_e32 v6, 0xffffffd0, v0
	v_mov_b32_dpp v7, v5 row_shr:2 row_mask:0xf bank_mask:0xf
	s_delay_alu instid0(VALU_DEP_3)
	v_mov_b32_dpp v5, v2 row_shr:2 row_mask:0xf bank_mask:0xf
	s_mov_b32 s1, exec_lo
	v_cmpx_lt_u32_e32 1, v4
; %bb.150:
	s_delay_alu instid0(VALU_DEP_3) | instskip(SKIP_1) | instid1(VALU_DEP_2)
	v_add_co_u32 v1, vcc_lo, v1, v7
	v_add_co_ci_u32_e32 v2, vcc_lo, 0, v2, vcc_lo
	v_add_co_u32 v1, vcc_lo, v1, 0
	s_delay_alu instid0(VALU_DEP_2)
	v_add_co_ci_u32_e32 v2, vcc_lo, v2, v5, vcc_lo
; %bb.151:
	s_or_b32 exec_lo, exec_lo, s1
	v_add_nc_u32_e32 v4, v63, v6
	ds_store_b64 v4, v[1:2]
.LBB598_152:
	s_or_b32 exec_lo, exec_lo, s0
	v_mov_b32_e32 v1, 0
	v_mov_b32_e32 v2, 0
	s_mov_b32 s0, exec_lo
	s_waitcnt lgkmcnt(0)
	s_barrier
	buffer_gl0_inv
	v_cmpx_lt_u32_e32 31, v0
	s_cbranch_execz .LBB598_154
; %bb.153:
	v_lshl_add_u32 v1, v3, 3, -8
	ds_load_b64 v[1:2], v1
.LBB598_154:
	s_or_b32 exec_lo, exec_lo, s0
	v_dual_mov_b32 v48, 0 :: v_dual_add_nc_u32 v3, -1, v74
	s_delay_alu instid0(VALU_DEP_1) | instskip(SKIP_2) | instid1(VALU_DEP_1)
	v_cmp_gt_i32_e32 vcc_lo, 0, v3
	ds_load_b64 v[45:46], v48 offset:24
	v_cndmask_b32_e32 v3, v3, v74, vcc_lo
	v_lshlrev_b32_e32 v4, 2, v3
	s_waitcnt lgkmcnt(1)
	v_add_co_u32 v3, vcc_lo, v1, v53
	v_add_co_ci_u32_e32 v5, vcc_lo, v2, v54, vcc_lo
	ds_bpermute_b32 v3, v4, v3
	ds_bpermute_b32 v4, v4, v5
	s_and_saveexec_b32 s0, s2
	s_cbranch_execz .LBB598_156
; %bb.155:
	s_add_u32 s8, s14, 0x200
	s_addc_u32 s9, s15, 0
	v_mov_b32_e32 v5, s8
	v_dual_mov_b32 v47, 2 :: v_dual_mov_b32 v6, s9
	s_waitcnt lgkmcnt(2)
	;;#ASMSTART
	global_store_dwordx4 v[5:6], v[45:48] off	
s_waitcnt vmcnt(0)
	;;#ASMEND
.LBB598_156:
	s_or_b32 exec_lo, exec_lo, s0
	v_cmp_eq_u32_e32 vcc_lo, 0, v74
	v_mov_b32_e32 v47, 0
	v_mov_b32_e32 v48, 0
	s_waitcnt lgkmcnt(0)
	s_barrier
	v_dual_cndmask_b32 v1, v3, v1 :: v_dual_cndmask_b32 v2, v4, v2
	buffer_gl0_inv
	v_cndmask_b32_e64 v1, v1, 0, s2
	v_cndmask_b32_e64 v2, v2, 0, s2
	s_delay_alu instid0(VALU_DEP_2) | instskip(NEXT) | instid1(VALU_DEP_2)
	v_add_co_u32 v3, vcc_lo, v1, v65
	v_add_co_ci_u32_e32 v4, vcc_lo, 0, v2, vcc_lo
	s_delay_alu instid0(VALU_DEP_2) | instskip(NEXT) | instid1(VALU_DEP_2)
	v_add_co_u32 v5, vcc_lo, v3, v66
	v_add_co_ci_u32_e32 v6, vcc_lo, 0, v4, vcc_lo
	s_delay_alu instid0(VALU_DEP_2) | instskip(NEXT) | instid1(VALU_DEP_2)
	v_add_co_u32 v7, vcc_lo, v5, v67
	v_add_co_ci_u32_e32 v8, vcc_lo, 0, v6, vcc_lo
	s_delay_alu instid0(VALU_DEP_2) | instskip(NEXT) | instid1(VALU_DEP_2)
	v_add_co_u32 v9, vcc_lo, v7, v62
	v_add_co_ci_u32_e32 v10, vcc_lo, 0, v8, vcc_lo
	s_delay_alu instid0(VALU_DEP_2) | instskip(NEXT) | instid1(VALU_DEP_2)
	v_add_co_u32 v11, vcc_lo, v9, v68
	v_add_co_ci_u32_e32 v12, vcc_lo, 0, v10, vcc_lo
	s_delay_alu instid0(VALU_DEP_2) | instskip(NEXT) | instid1(VALU_DEP_2)
	v_add_co_u32 v13, vcc_lo, v11, v69
	v_add_co_ci_u32_e32 v14, vcc_lo, 0, v12, vcc_lo
	s_delay_alu instid0(VALU_DEP_2) | instskip(NEXT) | instid1(VALU_DEP_2)
	v_add_co_u32 v15, vcc_lo, v13, v70
	v_add_co_ci_u32_e32 v16, vcc_lo, 0, v14, vcc_lo
	s_delay_alu instid0(VALU_DEP_2) | instskip(NEXT) | instid1(VALU_DEP_2)
	v_add_co_u32 v17, vcc_lo, v15, v60
	v_add_co_ci_u32_e32 v18, vcc_lo, 0, v16, vcc_lo
	s_delay_alu instid0(VALU_DEP_2) | instskip(NEXT) | instid1(VALU_DEP_2)
	v_add_co_u32 v19, vcc_lo, v17, v71
	v_add_co_ci_u32_e32 v20, vcc_lo, 0, v18, vcc_lo
	s_delay_alu instid0(VALU_DEP_2) | instskip(NEXT) | instid1(VALU_DEP_2)
	v_add_co_u32 v21, vcc_lo, v19, v72
	v_add_co_ci_u32_e32 v22, vcc_lo, 0, v20, vcc_lo
	s_delay_alu instid0(VALU_DEP_2) | instskip(NEXT) | instid1(VALU_DEP_2)
	v_add_co_u32 v23, vcc_lo, v21, v73
	v_add_co_ci_u32_e32 v24, vcc_lo, 0, v22, vcc_lo
	s_delay_alu instid0(VALU_DEP_2) | instskip(NEXT) | instid1(VALU_DEP_2)
	v_add_co_u32 v25, vcc_lo, v23, v59
	v_add_co_ci_u32_e32 v26, vcc_lo, 0, v24, vcc_lo
	s_delay_alu instid0(VALU_DEP_2) | instskip(NEXT) | instid1(VALU_DEP_2)
	v_add_co_u32 v27, vcc_lo, v25, v64
	v_add_co_ci_u32_e32 v28, vcc_lo, 0, v26, vcc_lo
.LBB598_157:
	s_waitcnt lgkmcnt(0)
	v_cmp_gt_u64_e32 vcc_lo, 0x81, v[45:46]
	v_lshrrev_b32_e32 v53, 16, v58
	v_lshrrev_b32_e32 v54, 8, v58
	;; [unrolled: 1-line block ×6, first 2 shown]
	s_mov_b32 s0, -1
	s_cbranch_vccnz .LBB598_161
; %bb.158:
	s_and_b32 vcc_lo, exec_lo, s0
	s_cbranch_vccnz .LBB598_204
.LBB598_159:
	s_and_b32 s0, s2, s3
	s_delay_alu instid0(SALU_CYCLE_1)
	s_and_saveexec_b32 s1, s0
	s_cbranch_execnz .LBB598_236
.LBB598_160:
	s_nop 0
	s_sendmsg sendmsg(MSG_DEALLOC_VGPRS)
	s_endpgm
.LBB598_161:
	v_add_co_u32 v29, vcc_lo, v47, v45
	v_add_co_ci_u32_e32 v30, vcc_lo, v48, v46, vcc_lo
	v_lshlrev_b64 v[65:66], 2, v[49:50]
	s_delay_alu instid0(VALU_DEP_2) | instskip(NEXT) | instid1(VALU_DEP_2)
	v_cmp_lt_u64_e32 vcc_lo, v[1:2], v[29:30]
	v_add_co_u32 v65, s0, s12, v65
	s_delay_alu instid0(VALU_DEP_1) | instskip(SKIP_1) | instid1(SALU_CYCLE_1)
	v_add_co_ci_u32_e64 v66, s0, s13, v66, s0
	s_or_b32 s1, s6, vcc_lo
	s_and_saveexec_b32 s0, s1
	s_cbranch_execz .LBB598_164
; %bb.162:
	v_and_b32_e32 v67, 1, v61
	s_delay_alu instid0(VALU_DEP_1)
	v_cmp_eq_u32_e32 vcc_lo, 1, v67
	s_and_b32 exec_lo, exec_lo, vcc_lo
	s_cbranch_execz .LBB598_164
; %bb.163:
	v_lshlrev_b64 v[67:68], 2, v[1:2]
	s_delay_alu instid0(VALU_DEP_1) | instskip(NEXT) | instid1(VALU_DEP_2)
	v_add_co_u32 v67, vcc_lo, v65, v67
	v_add_co_ci_u32_e32 v68, vcc_lo, v66, v68, vcc_lo
	global_store_b32 v[67:68], v41, off
.LBB598_164:
	s_or_b32 exec_lo, exec_lo, s0
	v_cmp_lt_u64_e32 vcc_lo, v[3:4], v[29:30]
	s_or_b32 s1, s6, vcc_lo
	s_delay_alu instid0(SALU_CYCLE_1)
	s_and_saveexec_b32 s0, s1
	s_cbranch_execz .LBB598_167
; %bb.165:
	v_and_b32_e32 v2, 1, v64
	s_delay_alu instid0(VALU_DEP_1)
	v_cmp_eq_u32_e32 vcc_lo, 1, v2
	s_and_b32 exec_lo, exec_lo, vcc_lo
	s_cbranch_execz .LBB598_167
; %bb.166:
	v_lshlrev_b64 v[67:68], 2, v[3:4]
	s_delay_alu instid0(VALU_DEP_1) | instskip(NEXT) | instid1(VALU_DEP_2)
	v_add_co_u32 v67, vcc_lo, v65, v67
	v_add_co_ci_u32_e32 v68, vcc_lo, v66, v68, vcc_lo
	global_store_b32 v[67:68], v42, off
.LBB598_167:
	s_or_b32 exec_lo, exec_lo, s0
	v_cmp_lt_u64_e32 vcc_lo, v[5:6], v[29:30]
	s_or_b32 s1, s6, vcc_lo
	s_delay_alu instid0(SALU_CYCLE_1)
	;; [unrolled: 19-line block ×13, first 2 shown]
	s_and_saveexec_b32 s0, s1
	s_cbranch_execz .LBB598_203
; %bb.201:
	v_and_b32_e32 v2, 1, v56
	s_delay_alu instid0(VALU_DEP_1)
	v_cmp_eq_u32_e32 vcc_lo, 1, v2
	s_and_b32 exec_lo, exec_lo, vcc_lo
	s_cbranch_execz .LBB598_203
; %bb.202:
	v_lshlrev_b64 v[28:29], 2, v[27:28]
	s_delay_alu instid0(VALU_DEP_1) | instskip(NEXT) | instid1(VALU_DEP_2)
	v_add_co_u32 v28, vcc_lo, v65, v28
	v_add_co_ci_u32_e32 v29, vcc_lo, v66, v29, vcc_lo
	global_store_b32 v[28:29], v52, off
.LBB598_203:
	s_or_b32 exec_lo, exec_lo, s0
	s_branch .LBB598_159
.LBB598_204:
	v_and_b32_e32 v2, 1, v61
	s_mov_b32 s0, exec_lo
	s_delay_alu instid0(VALU_DEP_1)
	v_cmpx_eq_u32_e32 1, v2
	s_cbranch_execz .LBB598_206
; %bb.205:
	v_sub_nc_u32_e32 v1, v1, v47
	s_delay_alu instid0(VALU_DEP_1)
	v_lshlrev_b32_e32 v1, 2, v1
	ds_store_b32 v1, v41
.LBB598_206:
	s_or_b32 exec_lo, exec_lo, s0
	v_and_b32_e32 v1, 1, v64
	s_mov_b32 s0, exec_lo
	s_delay_alu instid0(VALU_DEP_1)
	v_cmpx_eq_u32_e32 1, v1
	s_cbranch_execz .LBB598_208
; %bb.207:
	v_sub_nc_u32_e32 v1, v3, v47
	s_delay_alu instid0(VALU_DEP_1)
	v_lshlrev_b32_e32 v1, 2, v1
	ds_store_b32 v1, v42
.LBB598_208:
	s_or_b32 exec_lo, exec_lo, s0
	v_and_b32_e32 v1, 1, v63
	s_mov_b32 s0, exec_lo
	s_delay_alu instid0(VALU_DEP_1)
	v_cmpx_eq_u32_e32 1, v1
	s_cbranch_execz .LBB598_210
; %bb.209:
	v_sub_nc_u32_e32 v1, v5, v47
	s_delay_alu instid0(VALU_DEP_1)
	v_lshlrev_b32_e32 v1, 2, v1
	ds_store_b32 v1, v43
.LBB598_210:
	s_or_b32 exec_lo, exec_lo, s0
	v_and_b32_e32 v1, 1, v62
	s_mov_b32 s0, exec_lo
	s_delay_alu instid0(VALU_DEP_1)
	v_cmpx_eq_u32_e32 1, v1
	s_cbranch_execz .LBB598_212
; %bb.211:
	v_sub_nc_u32_e32 v1, v7, v47
	s_delay_alu instid0(VALU_DEP_1)
	v_lshlrev_b32_e32 v1, 2, v1
	ds_store_b32 v1, v44
.LBB598_212:
	s_or_b32 exec_lo, exec_lo, s0
	v_and_b32_e32 v1, 1, v58
	s_mov_b32 s0, exec_lo
	s_delay_alu instid0(VALU_DEP_1)
	v_cmpx_eq_u32_e32 1, v1
	s_cbranch_execz .LBB598_214
; %bb.213:
	v_sub_nc_u32_e32 v1, v9, v47
	s_delay_alu instid0(VALU_DEP_1)
	v_lshlrev_b32_e32 v1, 2, v1
	ds_store_b32 v1, v37
.LBB598_214:
	s_or_b32 exec_lo, exec_lo, s0
	v_and_b32_e32 v1, 1, v54
	s_mov_b32 s0, exec_lo
	s_delay_alu instid0(VALU_DEP_1)
	v_cmpx_eq_u32_e32 1, v1
	s_cbranch_execz .LBB598_216
; %bb.215:
	v_sub_nc_u32_e32 v1, v11, v47
	s_delay_alu instid0(VALU_DEP_1)
	v_lshlrev_b32_e32 v1, 2, v1
	ds_store_b32 v1, v38
.LBB598_216:
	s_or_b32 exec_lo, exec_lo, s0
	v_and_b32_e32 v1, 1, v53
	s_mov_b32 s0, exec_lo
	s_delay_alu instid0(VALU_DEP_1)
	v_cmpx_eq_u32_e32 1, v1
	s_cbranch_execz .LBB598_218
; %bb.217:
	v_sub_nc_u32_e32 v1, v13, v47
	s_delay_alu instid0(VALU_DEP_1)
	v_lshlrev_b32_e32 v1, 2, v1
	ds_store_b32 v1, v39
.LBB598_218:
	s_or_b32 exec_lo, exec_lo, s0
	v_and_b32_e32 v1, 1, v60
	s_mov_b32 s0, exec_lo
	s_delay_alu instid0(VALU_DEP_1)
	v_cmpx_eq_u32_e32 1, v1
	s_cbranch_execz .LBB598_220
; %bb.219:
	v_sub_nc_u32_e32 v1, v15, v47
	s_delay_alu instid0(VALU_DEP_1)
	v_lshlrev_b32_e32 v1, 2, v1
	ds_store_b32 v1, v40
.LBB598_220:
	s_or_b32 exec_lo, exec_lo, s0
	v_and_b32_e32 v1, 1, v57
	s_mov_b32 s0, exec_lo
	s_delay_alu instid0(VALU_DEP_1)
	v_cmpx_eq_u32_e32 1, v1
	s_cbranch_execz .LBB598_222
; %bb.221:
	v_sub_nc_u32_e32 v1, v17, v47
	s_delay_alu instid0(VALU_DEP_1)
	v_lshlrev_b32_e32 v1, 2, v1
	ds_store_b32 v1, v33
.LBB598_222:
	s_or_b32 exec_lo, exec_lo, s0
	v_and_b32_e32 v1, 1, v32
	s_mov_b32 s0, exec_lo
	s_delay_alu instid0(VALU_DEP_1)
	v_cmpx_eq_u32_e32 1, v1
	s_cbranch_execz .LBB598_224
; %bb.223:
	v_sub_nc_u32_e32 v1, v19, v47
	s_delay_alu instid0(VALU_DEP_1)
	v_lshlrev_b32_e32 v1, 2, v1
	ds_store_b32 v1, v34
.LBB598_224:
	s_or_b32 exec_lo, exec_lo, s0
	v_and_b32_e32 v1, 1, v31
	s_mov_b32 s0, exec_lo
	s_delay_alu instid0(VALU_DEP_1)
	v_cmpx_eq_u32_e32 1, v1
	s_cbranch_execz .LBB598_226
; %bb.225:
	v_sub_nc_u32_e32 v1, v21, v47
	s_delay_alu instid0(VALU_DEP_1)
	v_lshlrev_b32_e32 v1, 2, v1
	ds_store_b32 v1, v35
.LBB598_226:
	s_or_b32 exec_lo, exec_lo, s0
	v_and_b32_e32 v1, 1, v59
	s_mov_b32 s0, exec_lo
	s_delay_alu instid0(VALU_DEP_1)
	v_cmpx_eq_u32_e32 1, v1
	s_cbranch_execz .LBB598_228
; %bb.227:
	v_sub_nc_u32_e32 v1, v23, v47
	s_delay_alu instid0(VALU_DEP_1)
	v_lshlrev_b32_e32 v1, 2, v1
	ds_store_b32 v1, v36
.LBB598_228:
	s_or_b32 exec_lo, exec_lo, s0
	v_and_b32_e32 v1, 1, v55
	s_mov_b32 s0, exec_lo
	s_delay_alu instid0(VALU_DEP_1)
	v_cmpx_eq_u32_e32 1, v1
	s_cbranch_execz .LBB598_230
; %bb.229:
	v_sub_nc_u32_e32 v1, v25, v47
	s_delay_alu instid0(VALU_DEP_1)
	v_lshlrev_b32_e32 v1, 2, v1
	ds_store_b32 v1, v51
.LBB598_230:
	s_or_b32 exec_lo, exec_lo, s0
	v_and_b32_e32 v1, 1, v56
	s_mov_b32 s0, exec_lo
	s_delay_alu instid0(VALU_DEP_1)
	v_cmpx_eq_u32_e32 1, v1
	s_cbranch_execz .LBB598_232
; %bb.231:
	v_sub_nc_u32_e32 v1, v27, v47
	s_delay_alu instid0(VALU_DEP_1)
	v_lshlrev_b32_e32 v1, 2, v1
	ds_store_b32 v1, v52
.LBB598_232:
	s_or_b32 exec_lo, exec_lo, s0
	v_mov_b32_e32 v1, 0
	s_mov_b32 s1, exec_lo
	s_waitcnt lgkmcnt(0)
	s_waitcnt_vscnt null, 0x0
	s_barrier
	buffer_gl0_inv
	v_cmpx_gt_u64_e64 v[45:46], v[0:1]
	s_cbranch_execz .LBB598_235
; %bb.233:
	v_lshlrev_b64 v[2:3], 2, v[47:48]
	v_lshlrev_b64 v[4:5], 2, v[49:50]
	s_mov_b32 s6, 0
	s_delay_alu instid0(VALU_DEP_2) | instskip(NEXT) | instid1(VALU_DEP_3)
	v_add_co_u32 v6, vcc_lo, s12, v2
	v_add_co_ci_u32_e32 v7, vcc_lo, s13, v3, vcc_lo
	v_dual_mov_b32 v3, v1 :: v_dual_mov_b32 v2, v0
	s_delay_alu instid0(VALU_DEP_3) | instskip(NEXT) | instid1(VALU_DEP_3)
	v_add_co_u32 v4, vcc_lo, v6, v4
	v_add_co_ci_u32_e32 v5, vcc_lo, v7, v5, vcc_lo
	v_or_b32_e32 v0, 0x80, v0
	.p2align	6
.LBB598_234:                            ; =>This Inner Loop Header: Depth=1
	s_delay_alu instid0(VALU_DEP_4) | instskip(NEXT) | instid1(VALU_DEP_2)
	v_lshlrev_b32_e32 v6, 2, v2
	v_cmp_le_u64_e32 vcc_lo, v[45:46], v[0:1]
	ds_load_b32 v8, v6
	v_lshlrev_b64 v[6:7], 2, v[2:3]
	v_dual_mov_b32 v3, v1 :: v_dual_mov_b32 v2, v0
	v_add_nc_u32_e32 v0, 0x80, v0
	s_or_b32 s6, vcc_lo, s6
	s_delay_alu instid0(VALU_DEP_3) | instskip(NEXT) | instid1(VALU_DEP_1)
	v_add_co_u32 v6, s0, v4, v6
	v_add_co_ci_u32_e64 v7, s0, v5, v7, s0
	s_waitcnt lgkmcnt(0)
	global_store_b32 v[6:7], v8, off
	s_and_not1_b32 exec_lo, exec_lo, s6
	s_cbranch_execnz .LBB598_234
.LBB598_235:
	s_or_b32 exec_lo, exec_lo, s1
	s_and_b32 s0, s2, s3
	s_delay_alu instid0(SALU_CYCLE_1)
	s_and_saveexec_b32 s1, s0
	s_cbranch_execz .LBB598_160
.LBB598_236:
	v_add_co_u32 v0, vcc_lo, v47, v45
	v_add_co_ci_u32_e32 v1, vcc_lo, v48, v46, vcc_lo
	v_mov_b32_e32 v2, 0
	s_delay_alu instid0(VALU_DEP_3) | instskip(NEXT) | instid1(VALU_DEP_3)
	v_add_co_u32 v0, vcc_lo, v0, v49
	v_add_co_ci_u32_e32 v1, vcc_lo, v1, v50, vcc_lo
	global_store_b64 v2, v[0:1], s[4:5]
	s_nop 0
	s_sendmsg sendmsg(MSG_DEALLOC_VGPRS)
	s_endpgm
	.section	.rodata,"a",@progbits
	.p2align	6, 0x0
	.amdhsa_kernel _ZN7rocprim17ROCPRIM_400000_NS6detail17trampoline_kernelINS0_14default_configENS1_25partition_config_selectorILNS1_17partition_subalgoE6EiNS0_10empty_typeEbEEZZNS1_14partition_implILS5_6ELb0ES3_mN6thrust23THRUST_200600_302600_NS6detail15normal_iteratorINSA_10device_ptrIiEEEEPS6_SG_NS0_5tupleIJSF_S6_EEENSH_IJSG_SG_EEES6_PlJ5mod_3IiEEEE10hipError_tPvRmT3_T4_T5_T6_T7_T9_mT8_P12ihipStream_tbDpT10_ENKUlT_T0_E_clISt17integral_constantIbLb1EES16_EEDaS11_S12_EUlS11_E_NS1_11comp_targetILNS1_3genE9ELNS1_11target_archE1100ELNS1_3gpuE3ELNS1_3repE0EEENS1_30default_config_static_selectorELNS0_4arch9wavefront6targetE0EEEvT1_
		.amdhsa_group_segment_fixed_size 7184
		.amdhsa_private_segment_fixed_size 0
		.amdhsa_kernarg_size 128
		.amdhsa_user_sgpr_count 15
		.amdhsa_user_sgpr_dispatch_ptr 0
		.amdhsa_user_sgpr_queue_ptr 0
		.amdhsa_user_sgpr_kernarg_segment_ptr 1
		.amdhsa_user_sgpr_dispatch_id 0
		.amdhsa_user_sgpr_private_segment_size 0
		.amdhsa_wavefront_size32 1
		.amdhsa_uses_dynamic_stack 0
		.amdhsa_enable_private_segment 0
		.amdhsa_system_sgpr_workgroup_id_x 1
		.amdhsa_system_sgpr_workgroup_id_y 0
		.amdhsa_system_sgpr_workgroup_id_z 0
		.amdhsa_system_sgpr_workgroup_info 0
		.amdhsa_system_vgpr_workitem_id 0
		.amdhsa_next_free_vgpr 76
		.amdhsa_next_free_sgpr 20
		.amdhsa_reserve_vcc 1
		.amdhsa_float_round_mode_32 0
		.amdhsa_float_round_mode_16_64 0
		.amdhsa_float_denorm_mode_32 3
		.amdhsa_float_denorm_mode_16_64 3
		.amdhsa_dx10_clamp 1
		.amdhsa_ieee_mode 1
		.amdhsa_fp16_overflow 0
		.amdhsa_workgroup_processor_mode 1
		.amdhsa_memory_ordered 1
		.amdhsa_forward_progress 0
		.amdhsa_shared_vgpr_count 0
		.amdhsa_exception_fp_ieee_invalid_op 0
		.amdhsa_exception_fp_denorm_src 0
		.amdhsa_exception_fp_ieee_div_zero 0
		.amdhsa_exception_fp_ieee_overflow 0
		.amdhsa_exception_fp_ieee_underflow 0
		.amdhsa_exception_fp_ieee_inexact 0
		.amdhsa_exception_int_div_zero 0
	.end_amdhsa_kernel
	.section	.text._ZN7rocprim17ROCPRIM_400000_NS6detail17trampoline_kernelINS0_14default_configENS1_25partition_config_selectorILNS1_17partition_subalgoE6EiNS0_10empty_typeEbEEZZNS1_14partition_implILS5_6ELb0ES3_mN6thrust23THRUST_200600_302600_NS6detail15normal_iteratorINSA_10device_ptrIiEEEEPS6_SG_NS0_5tupleIJSF_S6_EEENSH_IJSG_SG_EEES6_PlJ5mod_3IiEEEE10hipError_tPvRmT3_T4_T5_T6_T7_T9_mT8_P12ihipStream_tbDpT10_ENKUlT_T0_E_clISt17integral_constantIbLb1EES16_EEDaS11_S12_EUlS11_E_NS1_11comp_targetILNS1_3genE9ELNS1_11target_archE1100ELNS1_3gpuE3ELNS1_3repE0EEENS1_30default_config_static_selectorELNS0_4arch9wavefront6targetE0EEEvT1_,"axG",@progbits,_ZN7rocprim17ROCPRIM_400000_NS6detail17trampoline_kernelINS0_14default_configENS1_25partition_config_selectorILNS1_17partition_subalgoE6EiNS0_10empty_typeEbEEZZNS1_14partition_implILS5_6ELb0ES3_mN6thrust23THRUST_200600_302600_NS6detail15normal_iteratorINSA_10device_ptrIiEEEEPS6_SG_NS0_5tupleIJSF_S6_EEENSH_IJSG_SG_EEES6_PlJ5mod_3IiEEEE10hipError_tPvRmT3_T4_T5_T6_T7_T9_mT8_P12ihipStream_tbDpT10_ENKUlT_T0_E_clISt17integral_constantIbLb1EES16_EEDaS11_S12_EUlS11_E_NS1_11comp_targetILNS1_3genE9ELNS1_11target_archE1100ELNS1_3gpuE3ELNS1_3repE0EEENS1_30default_config_static_selectorELNS0_4arch9wavefront6targetE0EEEvT1_,comdat
.Lfunc_end598:
	.size	_ZN7rocprim17ROCPRIM_400000_NS6detail17trampoline_kernelINS0_14default_configENS1_25partition_config_selectorILNS1_17partition_subalgoE6EiNS0_10empty_typeEbEEZZNS1_14partition_implILS5_6ELb0ES3_mN6thrust23THRUST_200600_302600_NS6detail15normal_iteratorINSA_10device_ptrIiEEEEPS6_SG_NS0_5tupleIJSF_S6_EEENSH_IJSG_SG_EEES6_PlJ5mod_3IiEEEE10hipError_tPvRmT3_T4_T5_T6_T7_T9_mT8_P12ihipStream_tbDpT10_ENKUlT_T0_E_clISt17integral_constantIbLb1EES16_EEDaS11_S12_EUlS11_E_NS1_11comp_targetILNS1_3genE9ELNS1_11target_archE1100ELNS1_3gpuE3ELNS1_3repE0EEENS1_30default_config_static_selectorELNS0_4arch9wavefront6targetE0EEEvT1_, .Lfunc_end598-_ZN7rocprim17ROCPRIM_400000_NS6detail17trampoline_kernelINS0_14default_configENS1_25partition_config_selectorILNS1_17partition_subalgoE6EiNS0_10empty_typeEbEEZZNS1_14partition_implILS5_6ELb0ES3_mN6thrust23THRUST_200600_302600_NS6detail15normal_iteratorINSA_10device_ptrIiEEEEPS6_SG_NS0_5tupleIJSF_S6_EEENSH_IJSG_SG_EEES6_PlJ5mod_3IiEEEE10hipError_tPvRmT3_T4_T5_T6_T7_T9_mT8_P12ihipStream_tbDpT10_ENKUlT_T0_E_clISt17integral_constantIbLb1EES16_EEDaS11_S12_EUlS11_E_NS1_11comp_targetILNS1_3genE9ELNS1_11target_archE1100ELNS1_3gpuE3ELNS1_3repE0EEENS1_30default_config_static_selectorELNS0_4arch9wavefront6targetE0EEEvT1_
                                        ; -- End function
	.section	.AMDGPU.csdata,"",@progbits
; Kernel info:
; codeLenInByte = 9488
; NumSgprs: 22
; NumVgprs: 76
; ScratchSize: 0
; MemoryBound: 0
; FloatMode: 240
; IeeeMode: 1
; LDSByteSize: 7184 bytes/workgroup (compile time only)
; SGPRBlocks: 2
; VGPRBlocks: 9
; NumSGPRsForWavesPerEU: 22
; NumVGPRsForWavesPerEU: 76
; Occupancy: 16
; WaveLimiterHint : 1
; COMPUTE_PGM_RSRC2:SCRATCH_EN: 0
; COMPUTE_PGM_RSRC2:USER_SGPR: 15
; COMPUTE_PGM_RSRC2:TRAP_HANDLER: 0
; COMPUTE_PGM_RSRC2:TGID_X_EN: 1
; COMPUTE_PGM_RSRC2:TGID_Y_EN: 0
; COMPUTE_PGM_RSRC2:TGID_Z_EN: 0
; COMPUTE_PGM_RSRC2:TIDIG_COMP_CNT: 0
	.section	.text._ZN7rocprim17ROCPRIM_400000_NS6detail17trampoline_kernelINS0_14default_configENS1_25partition_config_selectorILNS1_17partition_subalgoE6EiNS0_10empty_typeEbEEZZNS1_14partition_implILS5_6ELb0ES3_mN6thrust23THRUST_200600_302600_NS6detail15normal_iteratorINSA_10device_ptrIiEEEEPS6_SG_NS0_5tupleIJSF_S6_EEENSH_IJSG_SG_EEES6_PlJ5mod_3IiEEEE10hipError_tPvRmT3_T4_T5_T6_T7_T9_mT8_P12ihipStream_tbDpT10_ENKUlT_T0_E_clISt17integral_constantIbLb1EES16_EEDaS11_S12_EUlS11_E_NS1_11comp_targetILNS1_3genE8ELNS1_11target_archE1030ELNS1_3gpuE2ELNS1_3repE0EEENS1_30default_config_static_selectorELNS0_4arch9wavefront6targetE0EEEvT1_,"axG",@progbits,_ZN7rocprim17ROCPRIM_400000_NS6detail17trampoline_kernelINS0_14default_configENS1_25partition_config_selectorILNS1_17partition_subalgoE6EiNS0_10empty_typeEbEEZZNS1_14partition_implILS5_6ELb0ES3_mN6thrust23THRUST_200600_302600_NS6detail15normal_iteratorINSA_10device_ptrIiEEEEPS6_SG_NS0_5tupleIJSF_S6_EEENSH_IJSG_SG_EEES6_PlJ5mod_3IiEEEE10hipError_tPvRmT3_T4_T5_T6_T7_T9_mT8_P12ihipStream_tbDpT10_ENKUlT_T0_E_clISt17integral_constantIbLb1EES16_EEDaS11_S12_EUlS11_E_NS1_11comp_targetILNS1_3genE8ELNS1_11target_archE1030ELNS1_3gpuE2ELNS1_3repE0EEENS1_30default_config_static_selectorELNS0_4arch9wavefront6targetE0EEEvT1_,comdat
	.protected	_ZN7rocprim17ROCPRIM_400000_NS6detail17trampoline_kernelINS0_14default_configENS1_25partition_config_selectorILNS1_17partition_subalgoE6EiNS0_10empty_typeEbEEZZNS1_14partition_implILS5_6ELb0ES3_mN6thrust23THRUST_200600_302600_NS6detail15normal_iteratorINSA_10device_ptrIiEEEEPS6_SG_NS0_5tupleIJSF_S6_EEENSH_IJSG_SG_EEES6_PlJ5mod_3IiEEEE10hipError_tPvRmT3_T4_T5_T6_T7_T9_mT8_P12ihipStream_tbDpT10_ENKUlT_T0_E_clISt17integral_constantIbLb1EES16_EEDaS11_S12_EUlS11_E_NS1_11comp_targetILNS1_3genE8ELNS1_11target_archE1030ELNS1_3gpuE2ELNS1_3repE0EEENS1_30default_config_static_selectorELNS0_4arch9wavefront6targetE0EEEvT1_ ; -- Begin function _ZN7rocprim17ROCPRIM_400000_NS6detail17trampoline_kernelINS0_14default_configENS1_25partition_config_selectorILNS1_17partition_subalgoE6EiNS0_10empty_typeEbEEZZNS1_14partition_implILS5_6ELb0ES3_mN6thrust23THRUST_200600_302600_NS6detail15normal_iteratorINSA_10device_ptrIiEEEEPS6_SG_NS0_5tupleIJSF_S6_EEENSH_IJSG_SG_EEES6_PlJ5mod_3IiEEEE10hipError_tPvRmT3_T4_T5_T6_T7_T9_mT8_P12ihipStream_tbDpT10_ENKUlT_T0_E_clISt17integral_constantIbLb1EES16_EEDaS11_S12_EUlS11_E_NS1_11comp_targetILNS1_3genE8ELNS1_11target_archE1030ELNS1_3gpuE2ELNS1_3repE0EEENS1_30default_config_static_selectorELNS0_4arch9wavefront6targetE0EEEvT1_
	.globl	_ZN7rocprim17ROCPRIM_400000_NS6detail17trampoline_kernelINS0_14default_configENS1_25partition_config_selectorILNS1_17partition_subalgoE6EiNS0_10empty_typeEbEEZZNS1_14partition_implILS5_6ELb0ES3_mN6thrust23THRUST_200600_302600_NS6detail15normal_iteratorINSA_10device_ptrIiEEEEPS6_SG_NS0_5tupleIJSF_S6_EEENSH_IJSG_SG_EEES6_PlJ5mod_3IiEEEE10hipError_tPvRmT3_T4_T5_T6_T7_T9_mT8_P12ihipStream_tbDpT10_ENKUlT_T0_E_clISt17integral_constantIbLb1EES16_EEDaS11_S12_EUlS11_E_NS1_11comp_targetILNS1_3genE8ELNS1_11target_archE1030ELNS1_3gpuE2ELNS1_3repE0EEENS1_30default_config_static_selectorELNS0_4arch9wavefront6targetE0EEEvT1_
	.p2align	8
	.type	_ZN7rocprim17ROCPRIM_400000_NS6detail17trampoline_kernelINS0_14default_configENS1_25partition_config_selectorILNS1_17partition_subalgoE6EiNS0_10empty_typeEbEEZZNS1_14partition_implILS5_6ELb0ES3_mN6thrust23THRUST_200600_302600_NS6detail15normal_iteratorINSA_10device_ptrIiEEEEPS6_SG_NS0_5tupleIJSF_S6_EEENSH_IJSG_SG_EEES6_PlJ5mod_3IiEEEE10hipError_tPvRmT3_T4_T5_T6_T7_T9_mT8_P12ihipStream_tbDpT10_ENKUlT_T0_E_clISt17integral_constantIbLb1EES16_EEDaS11_S12_EUlS11_E_NS1_11comp_targetILNS1_3genE8ELNS1_11target_archE1030ELNS1_3gpuE2ELNS1_3repE0EEENS1_30default_config_static_selectorELNS0_4arch9wavefront6targetE0EEEvT1_,@function
_ZN7rocprim17ROCPRIM_400000_NS6detail17trampoline_kernelINS0_14default_configENS1_25partition_config_selectorILNS1_17partition_subalgoE6EiNS0_10empty_typeEbEEZZNS1_14partition_implILS5_6ELb0ES3_mN6thrust23THRUST_200600_302600_NS6detail15normal_iteratorINSA_10device_ptrIiEEEEPS6_SG_NS0_5tupleIJSF_S6_EEENSH_IJSG_SG_EEES6_PlJ5mod_3IiEEEE10hipError_tPvRmT3_T4_T5_T6_T7_T9_mT8_P12ihipStream_tbDpT10_ENKUlT_T0_E_clISt17integral_constantIbLb1EES16_EEDaS11_S12_EUlS11_E_NS1_11comp_targetILNS1_3genE8ELNS1_11target_archE1030ELNS1_3gpuE2ELNS1_3repE0EEENS1_30default_config_static_selectorELNS0_4arch9wavefront6targetE0EEEvT1_: ; @_ZN7rocprim17ROCPRIM_400000_NS6detail17trampoline_kernelINS0_14default_configENS1_25partition_config_selectorILNS1_17partition_subalgoE6EiNS0_10empty_typeEbEEZZNS1_14partition_implILS5_6ELb0ES3_mN6thrust23THRUST_200600_302600_NS6detail15normal_iteratorINSA_10device_ptrIiEEEEPS6_SG_NS0_5tupleIJSF_S6_EEENSH_IJSG_SG_EEES6_PlJ5mod_3IiEEEE10hipError_tPvRmT3_T4_T5_T6_T7_T9_mT8_P12ihipStream_tbDpT10_ENKUlT_T0_E_clISt17integral_constantIbLb1EES16_EEDaS11_S12_EUlS11_E_NS1_11comp_targetILNS1_3genE8ELNS1_11target_archE1030ELNS1_3gpuE2ELNS1_3repE0EEENS1_30default_config_static_selectorELNS0_4arch9wavefront6targetE0EEEvT1_
; %bb.0:
	.section	.rodata,"a",@progbits
	.p2align	6, 0x0
	.amdhsa_kernel _ZN7rocprim17ROCPRIM_400000_NS6detail17trampoline_kernelINS0_14default_configENS1_25partition_config_selectorILNS1_17partition_subalgoE6EiNS0_10empty_typeEbEEZZNS1_14partition_implILS5_6ELb0ES3_mN6thrust23THRUST_200600_302600_NS6detail15normal_iteratorINSA_10device_ptrIiEEEEPS6_SG_NS0_5tupleIJSF_S6_EEENSH_IJSG_SG_EEES6_PlJ5mod_3IiEEEE10hipError_tPvRmT3_T4_T5_T6_T7_T9_mT8_P12ihipStream_tbDpT10_ENKUlT_T0_E_clISt17integral_constantIbLb1EES16_EEDaS11_S12_EUlS11_E_NS1_11comp_targetILNS1_3genE8ELNS1_11target_archE1030ELNS1_3gpuE2ELNS1_3repE0EEENS1_30default_config_static_selectorELNS0_4arch9wavefront6targetE0EEEvT1_
		.amdhsa_group_segment_fixed_size 0
		.amdhsa_private_segment_fixed_size 0
		.amdhsa_kernarg_size 128
		.amdhsa_user_sgpr_count 15
		.amdhsa_user_sgpr_dispatch_ptr 0
		.amdhsa_user_sgpr_queue_ptr 0
		.amdhsa_user_sgpr_kernarg_segment_ptr 1
		.amdhsa_user_sgpr_dispatch_id 0
		.amdhsa_user_sgpr_private_segment_size 0
		.amdhsa_wavefront_size32 1
		.amdhsa_uses_dynamic_stack 0
		.amdhsa_enable_private_segment 0
		.amdhsa_system_sgpr_workgroup_id_x 1
		.amdhsa_system_sgpr_workgroup_id_y 0
		.amdhsa_system_sgpr_workgroup_id_z 0
		.amdhsa_system_sgpr_workgroup_info 0
		.amdhsa_system_vgpr_workitem_id 0
		.amdhsa_next_free_vgpr 1
		.amdhsa_next_free_sgpr 1
		.amdhsa_reserve_vcc 0
		.amdhsa_float_round_mode_32 0
		.amdhsa_float_round_mode_16_64 0
		.amdhsa_float_denorm_mode_32 3
		.amdhsa_float_denorm_mode_16_64 3
		.amdhsa_dx10_clamp 1
		.amdhsa_ieee_mode 1
		.amdhsa_fp16_overflow 0
		.amdhsa_workgroup_processor_mode 1
		.amdhsa_memory_ordered 1
		.amdhsa_forward_progress 0
		.amdhsa_shared_vgpr_count 0
		.amdhsa_exception_fp_ieee_invalid_op 0
		.amdhsa_exception_fp_denorm_src 0
		.amdhsa_exception_fp_ieee_div_zero 0
		.amdhsa_exception_fp_ieee_overflow 0
		.amdhsa_exception_fp_ieee_underflow 0
		.amdhsa_exception_fp_ieee_inexact 0
		.amdhsa_exception_int_div_zero 0
	.end_amdhsa_kernel
	.section	.text._ZN7rocprim17ROCPRIM_400000_NS6detail17trampoline_kernelINS0_14default_configENS1_25partition_config_selectorILNS1_17partition_subalgoE6EiNS0_10empty_typeEbEEZZNS1_14partition_implILS5_6ELb0ES3_mN6thrust23THRUST_200600_302600_NS6detail15normal_iteratorINSA_10device_ptrIiEEEEPS6_SG_NS0_5tupleIJSF_S6_EEENSH_IJSG_SG_EEES6_PlJ5mod_3IiEEEE10hipError_tPvRmT3_T4_T5_T6_T7_T9_mT8_P12ihipStream_tbDpT10_ENKUlT_T0_E_clISt17integral_constantIbLb1EES16_EEDaS11_S12_EUlS11_E_NS1_11comp_targetILNS1_3genE8ELNS1_11target_archE1030ELNS1_3gpuE2ELNS1_3repE0EEENS1_30default_config_static_selectorELNS0_4arch9wavefront6targetE0EEEvT1_,"axG",@progbits,_ZN7rocprim17ROCPRIM_400000_NS6detail17trampoline_kernelINS0_14default_configENS1_25partition_config_selectorILNS1_17partition_subalgoE6EiNS0_10empty_typeEbEEZZNS1_14partition_implILS5_6ELb0ES3_mN6thrust23THRUST_200600_302600_NS6detail15normal_iteratorINSA_10device_ptrIiEEEEPS6_SG_NS0_5tupleIJSF_S6_EEENSH_IJSG_SG_EEES6_PlJ5mod_3IiEEEE10hipError_tPvRmT3_T4_T5_T6_T7_T9_mT8_P12ihipStream_tbDpT10_ENKUlT_T0_E_clISt17integral_constantIbLb1EES16_EEDaS11_S12_EUlS11_E_NS1_11comp_targetILNS1_3genE8ELNS1_11target_archE1030ELNS1_3gpuE2ELNS1_3repE0EEENS1_30default_config_static_selectorELNS0_4arch9wavefront6targetE0EEEvT1_,comdat
.Lfunc_end599:
	.size	_ZN7rocprim17ROCPRIM_400000_NS6detail17trampoline_kernelINS0_14default_configENS1_25partition_config_selectorILNS1_17partition_subalgoE6EiNS0_10empty_typeEbEEZZNS1_14partition_implILS5_6ELb0ES3_mN6thrust23THRUST_200600_302600_NS6detail15normal_iteratorINSA_10device_ptrIiEEEEPS6_SG_NS0_5tupleIJSF_S6_EEENSH_IJSG_SG_EEES6_PlJ5mod_3IiEEEE10hipError_tPvRmT3_T4_T5_T6_T7_T9_mT8_P12ihipStream_tbDpT10_ENKUlT_T0_E_clISt17integral_constantIbLb1EES16_EEDaS11_S12_EUlS11_E_NS1_11comp_targetILNS1_3genE8ELNS1_11target_archE1030ELNS1_3gpuE2ELNS1_3repE0EEENS1_30default_config_static_selectorELNS0_4arch9wavefront6targetE0EEEvT1_, .Lfunc_end599-_ZN7rocprim17ROCPRIM_400000_NS6detail17trampoline_kernelINS0_14default_configENS1_25partition_config_selectorILNS1_17partition_subalgoE6EiNS0_10empty_typeEbEEZZNS1_14partition_implILS5_6ELb0ES3_mN6thrust23THRUST_200600_302600_NS6detail15normal_iteratorINSA_10device_ptrIiEEEEPS6_SG_NS0_5tupleIJSF_S6_EEENSH_IJSG_SG_EEES6_PlJ5mod_3IiEEEE10hipError_tPvRmT3_T4_T5_T6_T7_T9_mT8_P12ihipStream_tbDpT10_ENKUlT_T0_E_clISt17integral_constantIbLb1EES16_EEDaS11_S12_EUlS11_E_NS1_11comp_targetILNS1_3genE8ELNS1_11target_archE1030ELNS1_3gpuE2ELNS1_3repE0EEENS1_30default_config_static_selectorELNS0_4arch9wavefront6targetE0EEEvT1_
                                        ; -- End function
	.section	.AMDGPU.csdata,"",@progbits
; Kernel info:
; codeLenInByte = 0
; NumSgprs: 0
; NumVgprs: 0
; ScratchSize: 0
; MemoryBound: 0
; FloatMode: 240
; IeeeMode: 1
; LDSByteSize: 0 bytes/workgroup (compile time only)
; SGPRBlocks: 0
; VGPRBlocks: 0
; NumSGPRsForWavesPerEU: 1
; NumVGPRsForWavesPerEU: 1
; Occupancy: 16
; WaveLimiterHint : 0
; COMPUTE_PGM_RSRC2:SCRATCH_EN: 0
; COMPUTE_PGM_RSRC2:USER_SGPR: 15
; COMPUTE_PGM_RSRC2:TRAP_HANDLER: 0
; COMPUTE_PGM_RSRC2:TGID_X_EN: 1
; COMPUTE_PGM_RSRC2:TGID_Y_EN: 0
; COMPUTE_PGM_RSRC2:TGID_Z_EN: 0
; COMPUTE_PGM_RSRC2:TIDIG_COMP_CNT: 0
	.section	.text._ZN7rocprim17ROCPRIM_400000_NS6detail17trampoline_kernelINS0_14default_configENS1_25partition_config_selectorILNS1_17partition_subalgoE6EiNS0_10empty_typeEbEEZZNS1_14partition_implILS5_6ELb0ES3_mN6thrust23THRUST_200600_302600_NS6detail15normal_iteratorINSA_10device_ptrIiEEEEPS6_SG_NS0_5tupleIJSF_S6_EEENSH_IJSG_SG_EEES6_PlJ5mod_3IiEEEE10hipError_tPvRmT3_T4_T5_T6_T7_T9_mT8_P12ihipStream_tbDpT10_ENKUlT_T0_E_clISt17integral_constantIbLb1EES15_IbLb0EEEEDaS11_S12_EUlS11_E_NS1_11comp_targetILNS1_3genE0ELNS1_11target_archE4294967295ELNS1_3gpuE0ELNS1_3repE0EEENS1_30default_config_static_selectorELNS0_4arch9wavefront6targetE0EEEvT1_,"axG",@progbits,_ZN7rocprim17ROCPRIM_400000_NS6detail17trampoline_kernelINS0_14default_configENS1_25partition_config_selectorILNS1_17partition_subalgoE6EiNS0_10empty_typeEbEEZZNS1_14partition_implILS5_6ELb0ES3_mN6thrust23THRUST_200600_302600_NS6detail15normal_iteratorINSA_10device_ptrIiEEEEPS6_SG_NS0_5tupleIJSF_S6_EEENSH_IJSG_SG_EEES6_PlJ5mod_3IiEEEE10hipError_tPvRmT3_T4_T5_T6_T7_T9_mT8_P12ihipStream_tbDpT10_ENKUlT_T0_E_clISt17integral_constantIbLb1EES15_IbLb0EEEEDaS11_S12_EUlS11_E_NS1_11comp_targetILNS1_3genE0ELNS1_11target_archE4294967295ELNS1_3gpuE0ELNS1_3repE0EEENS1_30default_config_static_selectorELNS0_4arch9wavefront6targetE0EEEvT1_,comdat
	.protected	_ZN7rocprim17ROCPRIM_400000_NS6detail17trampoline_kernelINS0_14default_configENS1_25partition_config_selectorILNS1_17partition_subalgoE6EiNS0_10empty_typeEbEEZZNS1_14partition_implILS5_6ELb0ES3_mN6thrust23THRUST_200600_302600_NS6detail15normal_iteratorINSA_10device_ptrIiEEEEPS6_SG_NS0_5tupleIJSF_S6_EEENSH_IJSG_SG_EEES6_PlJ5mod_3IiEEEE10hipError_tPvRmT3_T4_T5_T6_T7_T9_mT8_P12ihipStream_tbDpT10_ENKUlT_T0_E_clISt17integral_constantIbLb1EES15_IbLb0EEEEDaS11_S12_EUlS11_E_NS1_11comp_targetILNS1_3genE0ELNS1_11target_archE4294967295ELNS1_3gpuE0ELNS1_3repE0EEENS1_30default_config_static_selectorELNS0_4arch9wavefront6targetE0EEEvT1_ ; -- Begin function _ZN7rocprim17ROCPRIM_400000_NS6detail17trampoline_kernelINS0_14default_configENS1_25partition_config_selectorILNS1_17partition_subalgoE6EiNS0_10empty_typeEbEEZZNS1_14partition_implILS5_6ELb0ES3_mN6thrust23THRUST_200600_302600_NS6detail15normal_iteratorINSA_10device_ptrIiEEEEPS6_SG_NS0_5tupleIJSF_S6_EEENSH_IJSG_SG_EEES6_PlJ5mod_3IiEEEE10hipError_tPvRmT3_T4_T5_T6_T7_T9_mT8_P12ihipStream_tbDpT10_ENKUlT_T0_E_clISt17integral_constantIbLb1EES15_IbLb0EEEEDaS11_S12_EUlS11_E_NS1_11comp_targetILNS1_3genE0ELNS1_11target_archE4294967295ELNS1_3gpuE0ELNS1_3repE0EEENS1_30default_config_static_selectorELNS0_4arch9wavefront6targetE0EEEvT1_
	.globl	_ZN7rocprim17ROCPRIM_400000_NS6detail17trampoline_kernelINS0_14default_configENS1_25partition_config_selectorILNS1_17partition_subalgoE6EiNS0_10empty_typeEbEEZZNS1_14partition_implILS5_6ELb0ES3_mN6thrust23THRUST_200600_302600_NS6detail15normal_iteratorINSA_10device_ptrIiEEEEPS6_SG_NS0_5tupleIJSF_S6_EEENSH_IJSG_SG_EEES6_PlJ5mod_3IiEEEE10hipError_tPvRmT3_T4_T5_T6_T7_T9_mT8_P12ihipStream_tbDpT10_ENKUlT_T0_E_clISt17integral_constantIbLb1EES15_IbLb0EEEEDaS11_S12_EUlS11_E_NS1_11comp_targetILNS1_3genE0ELNS1_11target_archE4294967295ELNS1_3gpuE0ELNS1_3repE0EEENS1_30default_config_static_selectorELNS0_4arch9wavefront6targetE0EEEvT1_
	.p2align	8
	.type	_ZN7rocprim17ROCPRIM_400000_NS6detail17trampoline_kernelINS0_14default_configENS1_25partition_config_selectorILNS1_17partition_subalgoE6EiNS0_10empty_typeEbEEZZNS1_14partition_implILS5_6ELb0ES3_mN6thrust23THRUST_200600_302600_NS6detail15normal_iteratorINSA_10device_ptrIiEEEEPS6_SG_NS0_5tupleIJSF_S6_EEENSH_IJSG_SG_EEES6_PlJ5mod_3IiEEEE10hipError_tPvRmT3_T4_T5_T6_T7_T9_mT8_P12ihipStream_tbDpT10_ENKUlT_T0_E_clISt17integral_constantIbLb1EES15_IbLb0EEEEDaS11_S12_EUlS11_E_NS1_11comp_targetILNS1_3genE0ELNS1_11target_archE4294967295ELNS1_3gpuE0ELNS1_3repE0EEENS1_30default_config_static_selectorELNS0_4arch9wavefront6targetE0EEEvT1_,@function
_ZN7rocprim17ROCPRIM_400000_NS6detail17trampoline_kernelINS0_14default_configENS1_25partition_config_selectorILNS1_17partition_subalgoE6EiNS0_10empty_typeEbEEZZNS1_14partition_implILS5_6ELb0ES3_mN6thrust23THRUST_200600_302600_NS6detail15normal_iteratorINSA_10device_ptrIiEEEEPS6_SG_NS0_5tupleIJSF_S6_EEENSH_IJSG_SG_EEES6_PlJ5mod_3IiEEEE10hipError_tPvRmT3_T4_T5_T6_T7_T9_mT8_P12ihipStream_tbDpT10_ENKUlT_T0_E_clISt17integral_constantIbLb1EES15_IbLb0EEEEDaS11_S12_EUlS11_E_NS1_11comp_targetILNS1_3genE0ELNS1_11target_archE4294967295ELNS1_3gpuE0ELNS1_3repE0EEENS1_30default_config_static_selectorELNS0_4arch9wavefront6targetE0EEEvT1_: ; @_ZN7rocprim17ROCPRIM_400000_NS6detail17trampoline_kernelINS0_14default_configENS1_25partition_config_selectorILNS1_17partition_subalgoE6EiNS0_10empty_typeEbEEZZNS1_14partition_implILS5_6ELb0ES3_mN6thrust23THRUST_200600_302600_NS6detail15normal_iteratorINSA_10device_ptrIiEEEEPS6_SG_NS0_5tupleIJSF_S6_EEENSH_IJSG_SG_EEES6_PlJ5mod_3IiEEEE10hipError_tPvRmT3_T4_T5_T6_T7_T9_mT8_P12ihipStream_tbDpT10_ENKUlT_T0_E_clISt17integral_constantIbLb1EES15_IbLb0EEEEDaS11_S12_EUlS11_E_NS1_11comp_targetILNS1_3genE0ELNS1_11target_archE4294967295ELNS1_3gpuE0ELNS1_3repE0EEENS1_30default_config_static_selectorELNS0_4arch9wavefront6targetE0EEEvT1_
; %bb.0:
	.section	.rodata,"a",@progbits
	.p2align	6, 0x0
	.amdhsa_kernel _ZN7rocprim17ROCPRIM_400000_NS6detail17trampoline_kernelINS0_14default_configENS1_25partition_config_selectorILNS1_17partition_subalgoE6EiNS0_10empty_typeEbEEZZNS1_14partition_implILS5_6ELb0ES3_mN6thrust23THRUST_200600_302600_NS6detail15normal_iteratorINSA_10device_ptrIiEEEEPS6_SG_NS0_5tupleIJSF_S6_EEENSH_IJSG_SG_EEES6_PlJ5mod_3IiEEEE10hipError_tPvRmT3_T4_T5_T6_T7_T9_mT8_P12ihipStream_tbDpT10_ENKUlT_T0_E_clISt17integral_constantIbLb1EES15_IbLb0EEEEDaS11_S12_EUlS11_E_NS1_11comp_targetILNS1_3genE0ELNS1_11target_archE4294967295ELNS1_3gpuE0ELNS1_3repE0EEENS1_30default_config_static_selectorELNS0_4arch9wavefront6targetE0EEEvT1_
		.amdhsa_group_segment_fixed_size 0
		.amdhsa_private_segment_fixed_size 0
		.amdhsa_kernarg_size 112
		.amdhsa_user_sgpr_count 15
		.amdhsa_user_sgpr_dispatch_ptr 0
		.amdhsa_user_sgpr_queue_ptr 0
		.amdhsa_user_sgpr_kernarg_segment_ptr 1
		.amdhsa_user_sgpr_dispatch_id 0
		.amdhsa_user_sgpr_private_segment_size 0
		.amdhsa_wavefront_size32 1
		.amdhsa_uses_dynamic_stack 0
		.amdhsa_enable_private_segment 0
		.amdhsa_system_sgpr_workgroup_id_x 1
		.amdhsa_system_sgpr_workgroup_id_y 0
		.amdhsa_system_sgpr_workgroup_id_z 0
		.amdhsa_system_sgpr_workgroup_info 0
		.amdhsa_system_vgpr_workitem_id 0
		.amdhsa_next_free_vgpr 1
		.amdhsa_next_free_sgpr 1
		.amdhsa_reserve_vcc 0
		.amdhsa_float_round_mode_32 0
		.amdhsa_float_round_mode_16_64 0
		.amdhsa_float_denorm_mode_32 3
		.amdhsa_float_denorm_mode_16_64 3
		.amdhsa_dx10_clamp 1
		.amdhsa_ieee_mode 1
		.amdhsa_fp16_overflow 0
		.amdhsa_workgroup_processor_mode 1
		.amdhsa_memory_ordered 1
		.amdhsa_forward_progress 0
		.amdhsa_shared_vgpr_count 0
		.amdhsa_exception_fp_ieee_invalid_op 0
		.amdhsa_exception_fp_denorm_src 0
		.amdhsa_exception_fp_ieee_div_zero 0
		.amdhsa_exception_fp_ieee_overflow 0
		.amdhsa_exception_fp_ieee_underflow 0
		.amdhsa_exception_fp_ieee_inexact 0
		.amdhsa_exception_int_div_zero 0
	.end_amdhsa_kernel
	.section	.text._ZN7rocprim17ROCPRIM_400000_NS6detail17trampoline_kernelINS0_14default_configENS1_25partition_config_selectorILNS1_17partition_subalgoE6EiNS0_10empty_typeEbEEZZNS1_14partition_implILS5_6ELb0ES3_mN6thrust23THRUST_200600_302600_NS6detail15normal_iteratorINSA_10device_ptrIiEEEEPS6_SG_NS0_5tupleIJSF_S6_EEENSH_IJSG_SG_EEES6_PlJ5mod_3IiEEEE10hipError_tPvRmT3_T4_T5_T6_T7_T9_mT8_P12ihipStream_tbDpT10_ENKUlT_T0_E_clISt17integral_constantIbLb1EES15_IbLb0EEEEDaS11_S12_EUlS11_E_NS1_11comp_targetILNS1_3genE0ELNS1_11target_archE4294967295ELNS1_3gpuE0ELNS1_3repE0EEENS1_30default_config_static_selectorELNS0_4arch9wavefront6targetE0EEEvT1_,"axG",@progbits,_ZN7rocprim17ROCPRIM_400000_NS6detail17trampoline_kernelINS0_14default_configENS1_25partition_config_selectorILNS1_17partition_subalgoE6EiNS0_10empty_typeEbEEZZNS1_14partition_implILS5_6ELb0ES3_mN6thrust23THRUST_200600_302600_NS6detail15normal_iteratorINSA_10device_ptrIiEEEEPS6_SG_NS0_5tupleIJSF_S6_EEENSH_IJSG_SG_EEES6_PlJ5mod_3IiEEEE10hipError_tPvRmT3_T4_T5_T6_T7_T9_mT8_P12ihipStream_tbDpT10_ENKUlT_T0_E_clISt17integral_constantIbLb1EES15_IbLb0EEEEDaS11_S12_EUlS11_E_NS1_11comp_targetILNS1_3genE0ELNS1_11target_archE4294967295ELNS1_3gpuE0ELNS1_3repE0EEENS1_30default_config_static_selectorELNS0_4arch9wavefront6targetE0EEEvT1_,comdat
.Lfunc_end600:
	.size	_ZN7rocprim17ROCPRIM_400000_NS6detail17trampoline_kernelINS0_14default_configENS1_25partition_config_selectorILNS1_17partition_subalgoE6EiNS0_10empty_typeEbEEZZNS1_14partition_implILS5_6ELb0ES3_mN6thrust23THRUST_200600_302600_NS6detail15normal_iteratorINSA_10device_ptrIiEEEEPS6_SG_NS0_5tupleIJSF_S6_EEENSH_IJSG_SG_EEES6_PlJ5mod_3IiEEEE10hipError_tPvRmT3_T4_T5_T6_T7_T9_mT8_P12ihipStream_tbDpT10_ENKUlT_T0_E_clISt17integral_constantIbLb1EES15_IbLb0EEEEDaS11_S12_EUlS11_E_NS1_11comp_targetILNS1_3genE0ELNS1_11target_archE4294967295ELNS1_3gpuE0ELNS1_3repE0EEENS1_30default_config_static_selectorELNS0_4arch9wavefront6targetE0EEEvT1_, .Lfunc_end600-_ZN7rocprim17ROCPRIM_400000_NS6detail17trampoline_kernelINS0_14default_configENS1_25partition_config_selectorILNS1_17partition_subalgoE6EiNS0_10empty_typeEbEEZZNS1_14partition_implILS5_6ELb0ES3_mN6thrust23THRUST_200600_302600_NS6detail15normal_iteratorINSA_10device_ptrIiEEEEPS6_SG_NS0_5tupleIJSF_S6_EEENSH_IJSG_SG_EEES6_PlJ5mod_3IiEEEE10hipError_tPvRmT3_T4_T5_T6_T7_T9_mT8_P12ihipStream_tbDpT10_ENKUlT_T0_E_clISt17integral_constantIbLb1EES15_IbLb0EEEEDaS11_S12_EUlS11_E_NS1_11comp_targetILNS1_3genE0ELNS1_11target_archE4294967295ELNS1_3gpuE0ELNS1_3repE0EEENS1_30default_config_static_selectorELNS0_4arch9wavefront6targetE0EEEvT1_
                                        ; -- End function
	.section	.AMDGPU.csdata,"",@progbits
; Kernel info:
; codeLenInByte = 0
; NumSgprs: 0
; NumVgprs: 0
; ScratchSize: 0
; MemoryBound: 0
; FloatMode: 240
; IeeeMode: 1
; LDSByteSize: 0 bytes/workgroup (compile time only)
; SGPRBlocks: 0
; VGPRBlocks: 0
; NumSGPRsForWavesPerEU: 1
; NumVGPRsForWavesPerEU: 1
; Occupancy: 16
; WaveLimiterHint : 0
; COMPUTE_PGM_RSRC2:SCRATCH_EN: 0
; COMPUTE_PGM_RSRC2:USER_SGPR: 15
; COMPUTE_PGM_RSRC2:TRAP_HANDLER: 0
; COMPUTE_PGM_RSRC2:TGID_X_EN: 1
; COMPUTE_PGM_RSRC2:TGID_Y_EN: 0
; COMPUTE_PGM_RSRC2:TGID_Z_EN: 0
; COMPUTE_PGM_RSRC2:TIDIG_COMP_CNT: 0
	.section	.text._ZN7rocprim17ROCPRIM_400000_NS6detail17trampoline_kernelINS0_14default_configENS1_25partition_config_selectorILNS1_17partition_subalgoE6EiNS0_10empty_typeEbEEZZNS1_14partition_implILS5_6ELb0ES3_mN6thrust23THRUST_200600_302600_NS6detail15normal_iteratorINSA_10device_ptrIiEEEEPS6_SG_NS0_5tupleIJSF_S6_EEENSH_IJSG_SG_EEES6_PlJ5mod_3IiEEEE10hipError_tPvRmT3_T4_T5_T6_T7_T9_mT8_P12ihipStream_tbDpT10_ENKUlT_T0_E_clISt17integral_constantIbLb1EES15_IbLb0EEEEDaS11_S12_EUlS11_E_NS1_11comp_targetILNS1_3genE5ELNS1_11target_archE942ELNS1_3gpuE9ELNS1_3repE0EEENS1_30default_config_static_selectorELNS0_4arch9wavefront6targetE0EEEvT1_,"axG",@progbits,_ZN7rocprim17ROCPRIM_400000_NS6detail17trampoline_kernelINS0_14default_configENS1_25partition_config_selectorILNS1_17partition_subalgoE6EiNS0_10empty_typeEbEEZZNS1_14partition_implILS5_6ELb0ES3_mN6thrust23THRUST_200600_302600_NS6detail15normal_iteratorINSA_10device_ptrIiEEEEPS6_SG_NS0_5tupleIJSF_S6_EEENSH_IJSG_SG_EEES6_PlJ5mod_3IiEEEE10hipError_tPvRmT3_T4_T5_T6_T7_T9_mT8_P12ihipStream_tbDpT10_ENKUlT_T0_E_clISt17integral_constantIbLb1EES15_IbLb0EEEEDaS11_S12_EUlS11_E_NS1_11comp_targetILNS1_3genE5ELNS1_11target_archE942ELNS1_3gpuE9ELNS1_3repE0EEENS1_30default_config_static_selectorELNS0_4arch9wavefront6targetE0EEEvT1_,comdat
	.protected	_ZN7rocprim17ROCPRIM_400000_NS6detail17trampoline_kernelINS0_14default_configENS1_25partition_config_selectorILNS1_17partition_subalgoE6EiNS0_10empty_typeEbEEZZNS1_14partition_implILS5_6ELb0ES3_mN6thrust23THRUST_200600_302600_NS6detail15normal_iteratorINSA_10device_ptrIiEEEEPS6_SG_NS0_5tupleIJSF_S6_EEENSH_IJSG_SG_EEES6_PlJ5mod_3IiEEEE10hipError_tPvRmT3_T4_T5_T6_T7_T9_mT8_P12ihipStream_tbDpT10_ENKUlT_T0_E_clISt17integral_constantIbLb1EES15_IbLb0EEEEDaS11_S12_EUlS11_E_NS1_11comp_targetILNS1_3genE5ELNS1_11target_archE942ELNS1_3gpuE9ELNS1_3repE0EEENS1_30default_config_static_selectorELNS0_4arch9wavefront6targetE0EEEvT1_ ; -- Begin function _ZN7rocprim17ROCPRIM_400000_NS6detail17trampoline_kernelINS0_14default_configENS1_25partition_config_selectorILNS1_17partition_subalgoE6EiNS0_10empty_typeEbEEZZNS1_14partition_implILS5_6ELb0ES3_mN6thrust23THRUST_200600_302600_NS6detail15normal_iteratorINSA_10device_ptrIiEEEEPS6_SG_NS0_5tupleIJSF_S6_EEENSH_IJSG_SG_EEES6_PlJ5mod_3IiEEEE10hipError_tPvRmT3_T4_T5_T6_T7_T9_mT8_P12ihipStream_tbDpT10_ENKUlT_T0_E_clISt17integral_constantIbLb1EES15_IbLb0EEEEDaS11_S12_EUlS11_E_NS1_11comp_targetILNS1_3genE5ELNS1_11target_archE942ELNS1_3gpuE9ELNS1_3repE0EEENS1_30default_config_static_selectorELNS0_4arch9wavefront6targetE0EEEvT1_
	.globl	_ZN7rocprim17ROCPRIM_400000_NS6detail17trampoline_kernelINS0_14default_configENS1_25partition_config_selectorILNS1_17partition_subalgoE6EiNS0_10empty_typeEbEEZZNS1_14partition_implILS5_6ELb0ES3_mN6thrust23THRUST_200600_302600_NS6detail15normal_iteratorINSA_10device_ptrIiEEEEPS6_SG_NS0_5tupleIJSF_S6_EEENSH_IJSG_SG_EEES6_PlJ5mod_3IiEEEE10hipError_tPvRmT3_T4_T5_T6_T7_T9_mT8_P12ihipStream_tbDpT10_ENKUlT_T0_E_clISt17integral_constantIbLb1EES15_IbLb0EEEEDaS11_S12_EUlS11_E_NS1_11comp_targetILNS1_3genE5ELNS1_11target_archE942ELNS1_3gpuE9ELNS1_3repE0EEENS1_30default_config_static_selectorELNS0_4arch9wavefront6targetE0EEEvT1_
	.p2align	8
	.type	_ZN7rocprim17ROCPRIM_400000_NS6detail17trampoline_kernelINS0_14default_configENS1_25partition_config_selectorILNS1_17partition_subalgoE6EiNS0_10empty_typeEbEEZZNS1_14partition_implILS5_6ELb0ES3_mN6thrust23THRUST_200600_302600_NS6detail15normal_iteratorINSA_10device_ptrIiEEEEPS6_SG_NS0_5tupleIJSF_S6_EEENSH_IJSG_SG_EEES6_PlJ5mod_3IiEEEE10hipError_tPvRmT3_T4_T5_T6_T7_T9_mT8_P12ihipStream_tbDpT10_ENKUlT_T0_E_clISt17integral_constantIbLb1EES15_IbLb0EEEEDaS11_S12_EUlS11_E_NS1_11comp_targetILNS1_3genE5ELNS1_11target_archE942ELNS1_3gpuE9ELNS1_3repE0EEENS1_30default_config_static_selectorELNS0_4arch9wavefront6targetE0EEEvT1_,@function
_ZN7rocprim17ROCPRIM_400000_NS6detail17trampoline_kernelINS0_14default_configENS1_25partition_config_selectorILNS1_17partition_subalgoE6EiNS0_10empty_typeEbEEZZNS1_14partition_implILS5_6ELb0ES3_mN6thrust23THRUST_200600_302600_NS6detail15normal_iteratorINSA_10device_ptrIiEEEEPS6_SG_NS0_5tupleIJSF_S6_EEENSH_IJSG_SG_EEES6_PlJ5mod_3IiEEEE10hipError_tPvRmT3_T4_T5_T6_T7_T9_mT8_P12ihipStream_tbDpT10_ENKUlT_T0_E_clISt17integral_constantIbLb1EES15_IbLb0EEEEDaS11_S12_EUlS11_E_NS1_11comp_targetILNS1_3genE5ELNS1_11target_archE942ELNS1_3gpuE9ELNS1_3repE0EEENS1_30default_config_static_selectorELNS0_4arch9wavefront6targetE0EEEvT1_: ; @_ZN7rocprim17ROCPRIM_400000_NS6detail17trampoline_kernelINS0_14default_configENS1_25partition_config_selectorILNS1_17partition_subalgoE6EiNS0_10empty_typeEbEEZZNS1_14partition_implILS5_6ELb0ES3_mN6thrust23THRUST_200600_302600_NS6detail15normal_iteratorINSA_10device_ptrIiEEEEPS6_SG_NS0_5tupleIJSF_S6_EEENSH_IJSG_SG_EEES6_PlJ5mod_3IiEEEE10hipError_tPvRmT3_T4_T5_T6_T7_T9_mT8_P12ihipStream_tbDpT10_ENKUlT_T0_E_clISt17integral_constantIbLb1EES15_IbLb0EEEEDaS11_S12_EUlS11_E_NS1_11comp_targetILNS1_3genE5ELNS1_11target_archE942ELNS1_3gpuE9ELNS1_3repE0EEENS1_30default_config_static_selectorELNS0_4arch9wavefront6targetE0EEEvT1_
; %bb.0:
	.section	.rodata,"a",@progbits
	.p2align	6, 0x0
	.amdhsa_kernel _ZN7rocprim17ROCPRIM_400000_NS6detail17trampoline_kernelINS0_14default_configENS1_25partition_config_selectorILNS1_17partition_subalgoE6EiNS0_10empty_typeEbEEZZNS1_14partition_implILS5_6ELb0ES3_mN6thrust23THRUST_200600_302600_NS6detail15normal_iteratorINSA_10device_ptrIiEEEEPS6_SG_NS0_5tupleIJSF_S6_EEENSH_IJSG_SG_EEES6_PlJ5mod_3IiEEEE10hipError_tPvRmT3_T4_T5_T6_T7_T9_mT8_P12ihipStream_tbDpT10_ENKUlT_T0_E_clISt17integral_constantIbLb1EES15_IbLb0EEEEDaS11_S12_EUlS11_E_NS1_11comp_targetILNS1_3genE5ELNS1_11target_archE942ELNS1_3gpuE9ELNS1_3repE0EEENS1_30default_config_static_selectorELNS0_4arch9wavefront6targetE0EEEvT1_
		.amdhsa_group_segment_fixed_size 0
		.amdhsa_private_segment_fixed_size 0
		.amdhsa_kernarg_size 112
		.amdhsa_user_sgpr_count 15
		.amdhsa_user_sgpr_dispatch_ptr 0
		.amdhsa_user_sgpr_queue_ptr 0
		.amdhsa_user_sgpr_kernarg_segment_ptr 1
		.amdhsa_user_sgpr_dispatch_id 0
		.amdhsa_user_sgpr_private_segment_size 0
		.amdhsa_wavefront_size32 1
		.amdhsa_uses_dynamic_stack 0
		.amdhsa_enable_private_segment 0
		.amdhsa_system_sgpr_workgroup_id_x 1
		.amdhsa_system_sgpr_workgroup_id_y 0
		.amdhsa_system_sgpr_workgroup_id_z 0
		.amdhsa_system_sgpr_workgroup_info 0
		.amdhsa_system_vgpr_workitem_id 0
		.amdhsa_next_free_vgpr 1
		.amdhsa_next_free_sgpr 1
		.amdhsa_reserve_vcc 0
		.amdhsa_float_round_mode_32 0
		.amdhsa_float_round_mode_16_64 0
		.amdhsa_float_denorm_mode_32 3
		.amdhsa_float_denorm_mode_16_64 3
		.amdhsa_dx10_clamp 1
		.amdhsa_ieee_mode 1
		.amdhsa_fp16_overflow 0
		.amdhsa_workgroup_processor_mode 1
		.amdhsa_memory_ordered 1
		.amdhsa_forward_progress 0
		.amdhsa_shared_vgpr_count 0
		.amdhsa_exception_fp_ieee_invalid_op 0
		.amdhsa_exception_fp_denorm_src 0
		.amdhsa_exception_fp_ieee_div_zero 0
		.amdhsa_exception_fp_ieee_overflow 0
		.amdhsa_exception_fp_ieee_underflow 0
		.amdhsa_exception_fp_ieee_inexact 0
		.amdhsa_exception_int_div_zero 0
	.end_amdhsa_kernel
	.section	.text._ZN7rocprim17ROCPRIM_400000_NS6detail17trampoline_kernelINS0_14default_configENS1_25partition_config_selectorILNS1_17partition_subalgoE6EiNS0_10empty_typeEbEEZZNS1_14partition_implILS5_6ELb0ES3_mN6thrust23THRUST_200600_302600_NS6detail15normal_iteratorINSA_10device_ptrIiEEEEPS6_SG_NS0_5tupleIJSF_S6_EEENSH_IJSG_SG_EEES6_PlJ5mod_3IiEEEE10hipError_tPvRmT3_T4_T5_T6_T7_T9_mT8_P12ihipStream_tbDpT10_ENKUlT_T0_E_clISt17integral_constantIbLb1EES15_IbLb0EEEEDaS11_S12_EUlS11_E_NS1_11comp_targetILNS1_3genE5ELNS1_11target_archE942ELNS1_3gpuE9ELNS1_3repE0EEENS1_30default_config_static_selectorELNS0_4arch9wavefront6targetE0EEEvT1_,"axG",@progbits,_ZN7rocprim17ROCPRIM_400000_NS6detail17trampoline_kernelINS0_14default_configENS1_25partition_config_selectorILNS1_17partition_subalgoE6EiNS0_10empty_typeEbEEZZNS1_14partition_implILS5_6ELb0ES3_mN6thrust23THRUST_200600_302600_NS6detail15normal_iteratorINSA_10device_ptrIiEEEEPS6_SG_NS0_5tupleIJSF_S6_EEENSH_IJSG_SG_EEES6_PlJ5mod_3IiEEEE10hipError_tPvRmT3_T4_T5_T6_T7_T9_mT8_P12ihipStream_tbDpT10_ENKUlT_T0_E_clISt17integral_constantIbLb1EES15_IbLb0EEEEDaS11_S12_EUlS11_E_NS1_11comp_targetILNS1_3genE5ELNS1_11target_archE942ELNS1_3gpuE9ELNS1_3repE0EEENS1_30default_config_static_selectorELNS0_4arch9wavefront6targetE0EEEvT1_,comdat
.Lfunc_end601:
	.size	_ZN7rocprim17ROCPRIM_400000_NS6detail17trampoline_kernelINS0_14default_configENS1_25partition_config_selectorILNS1_17partition_subalgoE6EiNS0_10empty_typeEbEEZZNS1_14partition_implILS5_6ELb0ES3_mN6thrust23THRUST_200600_302600_NS6detail15normal_iteratorINSA_10device_ptrIiEEEEPS6_SG_NS0_5tupleIJSF_S6_EEENSH_IJSG_SG_EEES6_PlJ5mod_3IiEEEE10hipError_tPvRmT3_T4_T5_T6_T7_T9_mT8_P12ihipStream_tbDpT10_ENKUlT_T0_E_clISt17integral_constantIbLb1EES15_IbLb0EEEEDaS11_S12_EUlS11_E_NS1_11comp_targetILNS1_3genE5ELNS1_11target_archE942ELNS1_3gpuE9ELNS1_3repE0EEENS1_30default_config_static_selectorELNS0_4arch9wavefront6targetE0EEEvT1_, .Lfunc_end601-_ZN7rocprim17ROCPRIM_400000_NS6detail17trampoline_kernelINS0_14default_configENS1_25partition_config_selectorILNS1_17partition_subalgoE6EiNS0_10empty_typeEbEEZZNS1_14partition_implILS5_6ELb0ES3_mN6thrust23THRUST_200600_302600_NS6detail15normal_iteratorINSA_10device_ptrIiEEEEPS6_SG_NS0_5tupleIJSF_S6_EEENSH_IJSG_SG_EEES6_PlJ5mod_3IiEEEE10hipError_tPvRmT3_T4_T5_T6_T7_T9_mT8_P12ihipStream_tbDpT10_ENKUlT_T0_E_clISt17integral_constantIbLb1EES15_IbLb0EEEEDaS11_S12_EUlS11_E_NS1_11comp_targetILNS1_3genE5ELNS1_11target_archE942ELNS1_3gpuE9ELNS1_3repE0EEENS1_30default_config_static_selectorELNS0_4arch9wavefront6targetE0EEEvT1_
                                        ; -- End function
	.section	.AMDGPU.csdata,"",@progbits
; Kernel info:
; codeLenInByte = 0
; NumSgprs: 0
; NumVgprs: 0
; ScratchSize: 0
; MemoryBound: 0
; FloatMode: 240
; IeeeMode: 1
; LDSByteSize: 0 bytes/workgroup (compile time only)
; SGPRBlocks: 0
; VGPRBlocks: 0
; NumSGPRsForWavesPerEU: 1
; NumVGPRsForWavesPerEU: 1
; Occupancy: 16
; WaveLimiterHint : 0
; COMPUTE_PGM_RSRC2:SCRATCH_EN: 0
; COMPUTE_PGM_RSRC2:USER_SGPR: 15
; COMPUTE_PGM_RSRC2:TRAP_HANDLER: 0
; COMPUTE_PGM_RSRC2:TGID_X_EN: 1
; COMPUTE_PGM_RSRC2:TGID_Y_EN: 0
; COMPUTE_PGM_RSRC2:TGID_Z_EN: 0
; COMPUTE_PGM_RSRC2:TIDIG_COMP_CNT: 0
	.section	.text._ZN7rocprim17ROCPRIM_400000_NS6detail17trampoline_kernelINS0_14default_configENS1_25partition_config_selectorILNS1_17partition_subalgoE6EiNS0_10empty_typeEbEEZZNS1_14partition_implILS5_6ELb0ES3_mN6thrust23THRUST_200600_302600_NS6detail15normal_iteratorINSA_10device_ptrIiEEEEPS6_SG_NS0_5tupleIJSF_S6_EEENSH_IJSG_SG_EEES6_PlJ5mod_3IiEEEE10hipError_tPvRmT3_T4_T5_T6_T7_T9_mT8_P12ihipStream_tbDpT10_ENKUlT_T0_E_clISt17integral_constantIbLb1EES15_IbLb0EEEEDaS11_S12_EUlS11_E_NS1_11comp_targetILNS1_3genE4ELNS1_11target_archE910ELNS1_3gpuE8ELNS1_3repE0EEENS1_30default_config_static_selectorELNS0_4arch9wavefront6targetE0EEEvT1_,"axG",@progbits,_ZN7rocprim17ROCPRIM_400000_NS6detail17trampoline_kernelINS0_14default_configENS1_25partition_config_selectorILNS1_17partition_subalgoE6EiNS0_10empty_typeEbEEZZNS1_14partition_implILS5_6ELb0ES3_mN6thrust23THRUST_200600_302600_NS6detail15normal_iteratorINSA_10device_ptrIiEEEEPS6_SG_NS0_5tupleIJSF_S6_EEENSH_IJSG_SG_EEES6_PlJ5mod_3IiEEEE10hipError_tPvRmT3_T4_T5_T6_T7_T9_mT8_P12ihipStream_tbDpT10_ENKUlT_T0_E_clISt17integral_constantIbLb1EES15_IbLb0EEEEDaS11_S12_EUlS11_E_NS1_11comp_targetILNS1_3genE4ELNS1_11target_archE910ELNS1_3gpuE8ELNS1_3repE0EEENS1_30default_config_static_selectorELNS0_4arch9wavefront6targetE0EEEvT1_,comdat
	.protected	_ZN7rocprim17ROCPRIM_400000_NS6detail17trampoline_kernelINS0_14default_configENS1_25partition_config_selectorILNS1_17partition_subalgoE6EiNS0_10empty_typeEbEEZZNS1_14partition_implILS5_6ELb0ES3_mN6thrust23THRUST_200600_302600_NS6detail15normal_iteratorINSA_10device_ptrIiEEEEPS6_SG_NS0_5tupleIJSF_S6_EEENSH_IJSG_SG_EEES6_PlJ5mod_3IiEEEE10hipError_tPvRmT3_T4_T5_T6_T7_T9_mT8_P12ihipStream_tbDpT10_ENKUlT_T0_E_clISt17integral_constantIbLb1EES15_IbLb0EEEEDaS11_S12_EUlS11_E_NS1_11comp_targetILNS1_3genE4ELNS1_11target_archE910ELNS1_3gpuE8ELNS1_3repE0EEENS1_30default_config_static_selectorELNS0_4arch9wavefront6targetE0EEEvT1_ ; -- Begin function _ZN7rocprim17ROCPRIM_400000_NS6detail17trampoline_kernelINS0_14default_configENS1_25partition_config_selectorILNS1_17partition_subalgoE6EiNS0_10empty_typeEbEEZZNS1_14partition_implILS5_6ELb0ES3_mN6thrust23THRUST_200600_302600_NS6detail15normal_iteratorINSA_10device_ptrIiEEEEPS6_SG_NS0_5tupleIJSF_S6_EEENSH_IJSG_SG_EEES6_PlJ5mod_3IiEEEE10hipError_tPvRmT3_T4_T5_T6_T7_T9_mT8_P12ihipStream_tbDpT10_ENKUlT_T0_E_clISt17integral_constantIbLb1EES15_IbLb0EEEEDaS11_S12_EUlS11_E_NS1_11comp_targetILNS1_3genE4ELNS1_11target_archE910ELNS1_3gpuE8ELNS1_3repE0EEENS1_30default_config_static_selectorELNS0_4arch9wavefront6targetE0EEEvT1_
	.globl	_ZN7rocprim17ROCPRIM_400000_NS6detail17trampoline_kernelINS0_14default_configENS1_25partition_config_selectorILNS1_17partition_subalgoE6EiNS0_10empty_typeEbEEZZNS1_14partition_implILS5_6ELb0ES3_mN6thrust23THRUST_200600_302600_NS6detail15normal_iteratorINSA_10device_ptrIiEEEEPS6_SG_NS0_5tupleIJSF_S6_EEENSH_IJSG_SG_EEES6_PlJ5mod_3IiEEEE10hipError_tPvRmT3_T4_T5_T6_T7_T9_mT8_P12ihipStream_tbDpT10_ENKUlT_T0_E_clISt17integral_constantIbLb1EES15_IbLb0EEEEDaS11_S12_EUlS11_E_NS1_11comp_targetILNS1_3genE4ELNS1_11target_archE910ELNS1_3gpuE8ELNS1_3repE0EEENS1_30default_config_static_selectorELNS0_4arch9wavefront6targetE0EEEvT1_
	.p2align	8
	.type	_ZN7rocprim17ROCPRIM_400000_NS6detail17trampoline_kernelINS0_14default_configENS1_25partition_config_selectorILNS1_17partition_subalgoE6EiNS0_10empty_typeEbEEZZNS1_14partition_implILS5_6ELb0ES3_mN6thrust23THRUST_200600_302600_NS6detail15normal_iteratorINSA_10device_ptrIiEEEEPS6_SG_NS0_5tupleIJSF_S6_EEENSH_IJSG_SG_EEES6_PlJ5mod_3IiEEEE10hipError_tPvRmT3_T4_T5_T6_T7_T9_mT8_P12ihipStream_tbDpT10_ENKUlT_T0_E_clISt17integral_constantIbLb1EES15_IbLb0EEEEDaS11_S12_EUlS11_E_NS1_11comp_targetILNS1_3genE4ELNS1_11target_archE910ELNS1_3gpuE8ELNS1_3repE0EEENS1_30default_config_static_selectorELNS0_4arch9wavefront6targetE0EEEvT1_,@function
_ZN7rocprim17ROCPRIM_400000_NS6detail17trampoline_kernelINS0_14default_configENS1_25partition_config_selectorILNS1_17partition_subalgoE6EiNS0_10empty_typeEbEEZZNS1_14partition_implILS5_6ELb0ES3_mN6thrust23THRUST_200600_302600_NS6detail15normal_iteratorINSA_10device_ptrIiEEEEPS6_SG_NS0_5tupleIJSF_S6_EEENSH_IJSG_SG_EEES6_PlJ5mod_3IiEEEE10hipError_tPvRmT3_T4_T5_T6_T7_T9_mT8_P12ihipStream_tbDpT10_ENKUlT_T0_E_clISt17integral_constantIbLb1EES15_IbLb0EEEEDaS11_S12_EUlS11_E_NS1_11comp_targetILNS1_3genE4ELNS1_11target_archE910ELNS1_3gpuE8ELNS1_3repE0EEENS1_30default_config_static_selectorELNS0_4arch9wavefront6targetE0EEEvT1_: ; @_ZN7rocprim17ROCPRIM_400000_NS6detail17trampoline_kernelINS0_14default_configENS1_25partition_config_selectorILNS1_17partition_subalgoE6EiNS0_10empty_typeEbEEZZNS1_14partition_implILS5_6ELb0ES3_mN6thrust23THRUST_200600_302600_NS6detail15normal_iteratorINSA_10device_ptrIiEEEEPS6_SG_NS0_5tupleIJSF_S6_EEENSH_IJSG_SG_EEES6_PlJ5mod_3IiEEEE10hipError_tPvRmT3_T4_T5_T6_T7_T9_mT8_P12ihipStream_tbDpT10_ENKUlT_T0_E_clISt17integral_constantIbLb1EES15_IbLb0EEEEDaS11_S12_EUlS11_E_NS1_11comp_targetILNS1_3genE4ELNS1_11target_archE910ELNS1_3gpuE8ELNS1_3repE0EEENS1_30default_config_static_selectorELNS0_4arch9wavefront6targetE0EEEvT1_
; %bb.0:
	.section	.rodata,"a",@progbits
	.p2align	6, 0x0
	.amdhsa_kernel _ZN7rocprim17ROCPRIM_400000_NS6detail17trampoline_kernelINS0_14default_configENS1_25partition_config_selectorILNS1_17partition_subalgoE6EiNS0_10empty_typeEbEEZZNS1_14partition_implILS5_6ELb0ES3_mN6thrust23THRUST_200600_302600_NS6detail15normal_iteratorINSA_10device_ptrIiEEEEPS6_SG_NS0_5tupleIJSF_S6_EEENSH_IJSG_SG_EEES6_PlJ5mod_3IiEEEE10hipError_tPvRmT3_T4_T5_T6_T7_T9_mT8_P12ihipStream_tbDpT10_ENKUlT_T0_E_clISt17integral_constantIbLb1EES15_IbLb0EEEEDaS11_S12_EUlS11_E_NS1_11comp_targetILNS1_3genE4ELNS1_11target_archE910ELNS1_3gpuE8ELNS1_3repE0EEENS1_30default_config_static_selectorELNS0_4arch9wavefront6targetE0EEEvT1_
		.amdhsa_group_segment_fixed_size 0
		.amdhsa_private_segment_fixed_size 0
		.amdhsa_kernarg_size 112
		.amdhsa_user_sgpr_count 15
		.amdhsa_user_sgpr_dispatch_ptr 0
		.amdhsa_user_sgpr_queue_ptr 0
		.amdhsa_user_sgpr_kernarg_segment_ptr 1
		.amdhsa_user_sgpr_dispatch_id 0
		.amdhsa_user_sgpr_private_segment_size 0
		.amdhsa_wavefront_size32 1
		.amdhsa_uses_dynamic_stack 0
		.amdhsa_enable_private_segment 0
		.amdhsa_system_sgpr_workgroup_id_x 1
		.amdhsa_system_sgpr_workgroup_id_y 0
		.amdhsa_system_sgpr_workgroup_id_z 0
		.amdhsa_system_sgpr_workgroup_info 0
		.amdhsa_system_vgpr_workitem_id 0
		.amdhsa_next_free_vgpr 1
		.amdhsa_next_free_sgpr 1
		.amdhsa_reserve_vcc 0
		.amdhsa_float_round_mode_32 0
		.amdhsa_float_round_mode_16_64 0
		.amdhsa_float_denorm_mode_32 3
		.amdhsa_float_denorm_mode_16_64 3
		.amdhsa_dx10_clamp 1
		.amdhsa_ieee_mode 1
		.amdhsa_fp16_overflow 0
		.amdhsa_workgroup_processor_mode 1
		.amdhsa_memory_ordered 1
		.amdhsa_forward_progress 0
		.amdhsa_shared_vgpr_count 0
		.amdhsa_exception_fp_ieee_invalid_op 0
		.amdhsa_exception_fp_denorm_src 0
		.amdhsa_exception_fp_ieee_div_zero 0
		.amdhsa_exception_fp_ieee_overflow 0
		.amdhsa_exception_fp_ieee_underflow 0
		.amdhsa_exception_fp_ieee_inexact 0
		.amdhsa_exception_int_div_zero 0
	.end_amdhsa_kernel
	.section	.text._ZN7rocprim17ROCPRIM_400000_NS6detail17trampoline_kernelINS0_14default_configENS1_25partition_config_selectorILNS1_17partition_subalgoE6EiNS0_10empty_typeEbEEZZNS1_14partition_implILS5_6ELb0ES3_mN6thrust23THRUST_200600_302600_NS6detail15normal_iteratorINSA_10device_ptrIiEEEEPS6_SG_NS0_5tupleIJSF_S6_EEENSH_IJSG_SG_EEES6_PlJ5mod_3IiEEEE10hipError_tPvRmT3_T4_T5_T6_T7_T9_mT8_P12ihipStream_tbDpT10_ENKUlT_T0_E_clISt17integral_constantIbLb1EES15_IbLb0EEEEDaS11_S12_EUlS11_E_NS1_11comp_targetILNS1_3genE4ELNS1_11target_archE910ELNS1_3gpuE8ELNS1_3repE0EEENS1_30default_config_static_selectorELNS0_4arch9wavefront6targetE0EEEvT1_,"axG",@progbits,_ZN7rocprim17ROCPRIM_400000_NS6detail17trampoline_kernelINS0_14default_configENS1_25partition_config_selectorILNS1_17partition_subalgoE6EiNS0_10empty_typeEbEEZZNS1_14partition_implILS5_6ELb0ES3_mN6thrust23THRUST_200600_302600_NS6detail15normal_iteratorINSA_10device_ptrIiEEEEPS6_SG_NS0_5tupleIJSF_S6_EEENSH_IJSG_SG_EEES6_PlJ5mod_3IiEEEE10hipError_tPvRmT3_T4_T5_T6_T7_T9_mT8_P12ihipStream_tbDpT10_ENKUlT_T0_E_clISt17integral_constantIbLb1EES15_IbLb0EEEEDaS11_S12_EUlS11_E_NS1_11comp_targetILNS1_3genE4ELNS1_11target_archE910ELNS1_3gpuE8ELNS1_3repE0EEENS1_30default_config_static_selectorELNS0_4arch9wavefront6targetE0EEEvT1_,comdat
.Lfunc_end602:
	.size	_ZN7rocprim17ROCPRIM_400000_NS6detail17trampoline_kernelINS0_14default_configENS1_25partition_config_selectorILNS1_17partition_subalgoE6EiNS0_10empty_typeEbEEZZNS1_14partition_implILS5_6ELb0ES3_mN6thrust23THRUST_200600_302600_NS6detail15normal_iteratorINSA_10device_ptrIiEEEEPS6_SG_NS0_5tupleIJSF_S6_EEENSH_IJSG_SG_EEES6_PlJ5mod_3IiEEEE10hipError_tPvRmT3_T4_T5_T6_T7_T9_mT8_P12ihipStream_tbDpT10_ENKUlT_T0_E_clISt17integral_constantIbLb1EES15_IbLb0EEEEDaS11_S12_EUlS11_E_NS1_11comp_targetILNS1_3genE4ELNS1_11target_archE910ELNS1_3gpuE8ELNS1_3repE0EEENS1_30default_config_static_selectorELNS0_4arch9wavefront6targetE0EEEvT1_, .Lfunc_end602-_ZN7rocprim17ROCPRIM_400000_NS6detail17trampoline_kernelINS0_14default_configENS1_25partition_config_selectorILNS1_17partition_subalgoE6EiNS0_10empty_typeEbEEZZNS1_14partition_implILS5_6ELb0ES3_mN6thrust23THRUST_200600_302600_NS6detail15normal_iteratorINSA_10device_ptrIiEEEEPS6_SG_NS0_5tupleIJSF_S6_EEENSH_IJSG_SG_EEES6_PlJ5mod_3IiEEEE10hipError_tPvRmT3_T4_T5_T6_T7_T9_mT8_P12ihipStream_tbDpT10_ENKUlT_T0_E_clISt17integral_constantIbLb1EES15_IbLb0EEEEDaS11_S12_EUlS11_E_NS1_11comp_targetILNS1_3genE4ELNS1_11target_archE910ELNS1_3gpuE8ELNS1_3repE0EEENS1_30default_config_static_selectorELNS0_4arch9wavefront6targetE0EEEvT1_
                                        ; -- End function
	.section	.AMDGPU.csdata,"",@progbits
; Kernel info:
; codeLenInByte = 0
; NumSgprs: 0
; NumVgprs: 0
; ScratchSize: 0
; MemoryBound: 0
; FloatMode: 240
; IeeeMode: 1
; LDSByteSize: 0 bytes/workgroup (compile time only)
; SGPRBlocks: 0
; VGPRBlocks: 0
; NumSGPRsForWavesPerEU: 1
; NumVGPRsForWavesPerEU: 1
; Occupancy: 16
; WaveLimiterHint : 0
; COMPUTE_PGM_RSRC2:SCRATCH_EN: 0
; COMPUTE_PGM_RSRC2:USER_SGPR: 15
; COMPUTE_PGM_RSRC2:TRAP_HANDLER: 0
; COMPUTE_PGM_RSRC2:TGID_X_EN: 1
; COMPUTE_PGM_RSRC2:TGID_Y_EN: 0
; COMPUTE_PGM_RSRC2:TGID_Z_EN: 0
; COMPUTE_PGM_RSRC2:TIDIG_COMP_CNT: 0
	.section	.text._ZN7rocprim17ROCPRIM_400000_NS6detail17trampoline_kernelINS0_14default_configENS1_25partition_config_selectorILNS1_17partition_subalgoE6EiNS0_10empty_typeEbEEZZNS1_14partition_implILS5_6ELb0ES3_mN6thrust23THRUST_200600_302600_NS6detail15normal_iteratorINSA_10device_ptrIiEEEEPS6_SG_NS0_5tupleIJSF_S6_EEENSH_IJSG_SG_EEES6_PlJ5mod_3IiEEEE10hipError_tPvRmT3_T4_T5_T6_T7_T9_mT8_P12ihipStream_tbDpT10_ENKUlT_T0_E_clISt17integral_constantIbLb1EES15_IbLb0EEEEDaS11_S12_EUlS11_E_NS1_11comp_targetILNS1_3genE3ELNS1_11target_archE908ELNS1_3gpuE7ELNS1_3repE0EEENS1_30default_config_static_selectorELNS0_4arch9wavefront6targetE0EEEvT1_,"axG",@progbits,_ZN7rocprim17ROCPRIM_400000_NS6detail17trampoline_kernelINS0_14default_configENS1_25partition_config_selectorILNS1_17partition_subalgoE6EiNS0_10empty_typeEbEEZZNS1_14partition_implILS5_6ELb0ES3_mN6thrust23THRUST_200600_302600_NS6detail15normal_iteratorINSA_10device_ptrIiEEEEPS6_SG_NS0_5tupleIJSF_S6_EEENSH_IJSG_SG_EEES6_PlJ5mod_3IiEEEE10hipError_tPvRmT3_T4_T5_T6_T7_T9_mT8_P12ihipStream_tbDpT10_ENKUlT_T0_E_clISt17integral_constantIbLb1EES15_IbLb0EEEEDaS11_S12_EUlS11_E_NS1_11comp_targetILNS1_3genE3ELNS1_11target_archE908ELNS1_3gpuE7ELNS1_3repE0EEENS1_30default_config_static_selectorELNS0_4arch9wavefront6targetE0EEEvT1_,comdat
	.protected	_ZN7rocprim17ROCPRIM_400000_NS6detail17trampoline_kernelINS0_14default_configENS1_25partition_config_selectorILNS1_17partition_subalgoE6EiNS0_10empty_typeEbEEZZNS1_14partition_implILS5_6ELb0ES3_mN6thrust23THRUST_200600_302600_NS6detail15normal_iteratorINSA_10device_ptrIiEEEEPS6_SG_NS0_5tupleIJSF_S6_EEENSH_IJSG_SG_EEES6_PlJ5mod_3IiEEEE10hipError_tPvRmT3_T4_T5_T6_T7_T9_mT8_P12ihipStream_tbDpT10_ENKUlT_T0_E_clISt17integral_constantIbLb1EES15_IbLb0EEEEDaS11_S12_EUlS11_E_NS1_11comp_targetILNS1_3genE3ELNS1_11target_archE908ELNS1_3gpuE7ELNS1_3repE0EEENS1_30default_config_static_selectorELNS0_4arch9wavefront6targetE0EEEvT1_ ; -- Begin function _ZN7rocprim17ROCPRIM_400000_NS6detail17trampoline_kernelINS0_14default_configENS1_25partition_config_selectorILNS1_17partition_subalgoE6EiNS0_10empty_typeEbEEZZNS1_14partition_implILS5_6ELb0ES3_mN6thrust23THRUST_200600_302600_NS6detail15normal_iteratorINSA_10device_ptrIiEEEEPS6_SG_NS0_5tupleIJSF_S6_EEENSH_IJSG_SG_EEES6_PlJ5mod_3IiEEEE10hipError_tPvRmT3_T4_T5_T6_T7_T9_mT8_P12ihipStream_tbDpT10_ENKUlT_T0_E_clISt17integral_constantIbLb1EES15_IbLb0EEEEDaS11_S12_EUlS11_E_NS1_11comp_targetILNS1_3genE3ELNS1_11target_archE908ELNS1_3gpuE7ELNS1_3repE0EEENS1_30default_config_static_selectorELNS0_4arch9wavefront6targetE0EEEvT1_
	.globl	_ZN7rocprim17ROCPRIM_400000_NS6detail17trampoline_kernelINS0_14default_configENS1_25partition_config_selectorILNS1_17partition_subalgoE6EiNS0_10empty_typeEbEEZZNS1_14partition_implILS5_6ELb0ES3_mN6thrust23THRUST_200600_302600_NS6detail15normal_iteratorINSA_10device_ptrIiEEEEPS6_SG_NS0_5tupleIJSF_S6_EEENSH_IJSG_SG_EEES6_PlJ5mod_3IiEEEE10hipError_tPvRmT3_T4_T5_T6_T7_T9_mT8_P12ihipStream_tbDpT10_ENKUlT_T0_E_clISt17integral_constantIbLb1EES15_IbLb0EEEEDaS11_S12_EUlS11_E_NS1_11comp_targetILNS1_3genE3ELNS1_11target_archE908ELNS1_3gpuE7ELNS1_3repE0EEENS1_30default_config_static_selectorELNS0_4arch9wavefront6targetE0EEEvT1_
	.p2align	8
	.type	_ZN7rocprim17ROCPRIM_400000_NS6detail17trampoline_kernelINS0_14default_configENS1_25partition_config_selectorILNS1_17partition_subalgoE6EiNS0_10empty_typeEbEEZZNS1_14partition_implILS5_6ELb0ES3_mN6thrust23THRUST_200600_302600_NS6detail15normal_iteratorINSA_10device_ptrIiEEEEPS6_SG_NS0_5tupleIJSF_S6_EEENSH_IJSG_SG_EEES6_PlJ5mod_3IiEEEE10hipError_tPvRmT3_T4_T5_T6_T7_T9_mT8_P12ihipStream_tbDpT10_ENKUlT_T0_E_clISt17integral_constantIbLb1EES15_IbLb0EEEEDaS11_S12_EUlS11_E_NS1_11comp_targetILNS1_3genE3ELNS1_11target_archE908ELNS1_3gpuE7ELNS1_3repE0EEENS1_30default_config_static_selectorELNS0_4arch9wavefront6targetE0EEEvT1_,@function
_ZN7rocprim17ROCPRIM_400000_NS6detail17trampoline_kernelINS0_14default_configENS1_25partition_config_selectorILNS1_17partition_subalgoE6EiNS0_10empty_typeEbEEZZNS1_14partition_implILS5_6ELb0ES3_mN6thrust23THRUST_200600_302600_NS6detail15normal_iteratorINSA_10device_ptrIiEEEEPS6_SG_NS0_5tupleIJSF_S6_EEENSH_IJSG_SG_EEES6_PlJ5mod_3IiEEEE10hipError_tPvRmT3_T4_T5_T6_T7_T9_mT8_P12ihipStream_tbDpT10_ENKUlT_T0_E_clISt17integral_constantIbLb1EES15_IbLb0EEEEDaS11_S12_EUlS11_E_NS1_11comp_targetILNS1_3genE3ELNS1_11target_archE908ELNS1_3gpuE7ELNS1_3repE0EEENS1_30default_config_static_selectorELNS0_4arch9wavefront6targetE0EEEvT1_: ; @_ZN7rocprim17ROCPRIM_400000_NS6detail17trampoline_kernelINS0_14default_configENS1_25partition_config_selectorILNS1_17partition_subalgoE6EiNS0_10empty_typeEbEEZZNS1_14partition_implILS5_6ELb0ES3_mN6thrust23THRUST_200600_302600_NS6detail15normal_iteratorINSA_10device_ptrIiEEEEPS6_SG_NS0_5tupleIJSF_S6_EEENSH_IJSG_SG_EEES6_PlJ5mod_3IiEEEE10hipError_tPvRmT3_T4_T5_T6_T7_T9_mT8_P12ihipStream_tbDpT10_ENKUlT_T0_E_clISt17integral_constantIbLb1EES15_IbLb0EEEEDaS11_S12_EUlS11_E_NS1_11comp_targetILNS1_3genE3ELNS1_11target_archE908ELNS1_3gpuE7ELNS1_3repE0EEENS1_30default_config_static_selectorELNS0_4arch9wavefront6targetE0EEEvT1_
; %bb.0:
	.section	.rodata,"a",@progbits
	.p2align	6, 0x0
	.amdhsa_kernel _ZN7rocprim17ROCPRIM_400000_NS6detail17trampoline_kernelINS0_14default_configENS1_25partition_config_selectorILNS1_17partition_subalgoE6EiNS0_10empty_typeEbEEZZNS1_14partition_implILS5_6ELb0ES3_mN6thrust23THRUST_200600_302600_NS6detail15normal_iteratorINSA_10device_ptrIiEEEEPS6_SG_NS0_5tupleIJSF_S6_EEENSH_IJSG_SG_EEES6_PlJ5mod_3IiEEEE10hipError_tPvRmT3_T4_T5_T6_T7_T9_mT8_P12ihipStream_tbDpT10_ENKUlT_T0_E_clISt17integral_constantIbLb1EES15_IbLb0EEEEDaS11_S12_EUlS11_E_NS1_11comp_targetILNS1_3genE3ELNS1_11target_archE908ELNS1_3gpuE7ELNS1_3repE0EEENS1_30default_config_static_selectorELNS0_4arch9wavefront6targetE0EEEvT1_
		.amdhsa_group_segment_fixed_size 0
		.amdhsa_private_segment_fixed_size 0
		.amdhsa_kernarg_size 112
		.amdhsa_user_sgpr_count 15
		.amdhsa_user_sgpr_dispatch_ptr 0
		.amdhsa_user_sgpr_queue_ptr 0
		.amdhsa_user_sgpr_kernarg_segment_ptr 1
		.amdhsa_user_sgpr_dispatch_id 0
		.amdhsa_user_sgpr_private_segment_size 0
		.amdhsa_wavefront_size32 1
		.amdhsa_uses_dynamic_stack 0
		.amdhsa_enable_private_segment 0
		.amdhsa_system_sgpr_workgroup_id_x 1
		.amdhsa_system_sgpr_workgroup_id_y 0
		.amdhsa_system_sgpr_workgroup_id_z 0
		.amdhsa_system_sgpr_workgroup_info 0
		.amdhsa_system_vgpr_workitem_id 0
		.amdhsa_next_free_vgpr 1
		.amdhsa_next_free_sgpr 1
		.amdhsa_reserve_vcc 0
		.amdhsa_float_round_mode_32 0
		.amdhsa_float_round_mode_16_64 0
		.amdhsa_float_denorm_mode_32 3
		.amdhsa_float_denorm_mode_16_64 3
		.amdhsa_dx10_clamp 1
		.amdhsa_ieee_mode 1
		.amdhsa_fp16_overflow 0
		.amdhsa_workgroup_processor_mode 1
		.amdhsa_memory_ordered 1
		.amdhsa_forward_progress 0
		.amdhsa_shared_vgpr_count 0
		.amdhsa_exception_fp_ieee_invalid_op 0
		.amdhsa_exception_fp_denorm_src 0
		.amdhsa_exception_fp_ieee_div_zero 0
		.amdhsa_exception_fp_ieee_overflow 0
		.amdhsa_exception_fp_ieee_underflow 0
		.amdhsa_exception_fp_ieee_inexact 0
		.amdhsa_exception_int_div_zero 0
	.end_amdhsa_kernel
	.section	.text._ZN7rocprim17ROCPRIM_400000_NS6detail17trampoline_kernelINS0_14default_configENS1_25partition_config_selectorILNS1_17partition_subalgoE6EiNS0_10empty_typeEbEEZZNS1_14partition_implILS5_6ELb0ES3_mN6thrust23THRUST_200600_302600_NS6detail15normal_iteratorINSA_10device_ptrIiEEEEPS6_SG_NS0_5tupleIJSF_S6_EEENSH_IJSG_SG_EEES6_PlJ5mod_3IiEEEE10hipError_tPvRmT3_T4_T5_T6_T7_T9_mT8_P12ihipStream_tbDpT10_ENKUlT_T0_E_clISt17integral_constantIbLb1EES15_IbLb0EEEEDaS11_S12_EUlS11_E_NS1_11comp_targetILNS1_3genE3ELNS1_11target_archE908ELNS1_3gpuE7ELNS1_3repE0EEENS1_30default_config_static_selectorELNS0_4arch9wavefront6targetE0EEEvT1_,"axG",@progbits,_ZN7rocprim17ROCPRIM_400000_NS6detail17trampoline_kernelINS0_14default_configENS1_25partition_config_selectorILNS1_17partition_subalgoE6EiNS0_10empty_typeEbEEZZNS1_14partition_implILS5_6ELb0ES3_mN6thrust23THRUST_200600_302600_NS6detail15normal_iteratorINSA_10device_ptrIiEEEEPS6_SG_NS0_5tupleIJSF_S6_EEENSH_IJSG_SG_EEES6_PlJ5mod_3IiEEEE10hipError_tPvRmT3_T4_T5_T6_T7_T9_mT8_P12ihipStream_tbDpT10_ENKUlT_T0_E_clISt17integral_constantIbLb1EES15_IbLb0EEEEDaS11_S12_EUlS11_E_NS1_11comp_targetILNS1_3genE3ELNS1_11target_archE908ELNS1_3gpuE7ELNS1_3repE0EEENS1_30default_config_static_selectorELNS0_4arch9wavefront6targetE0EEEvT1_,comdat
.Lfunc_end603:
	.size	_ZN7rocprim17ROCPRIM_400000_NS6detail17trampoline_kernelINS0_14default_configENS1_25partition_config_selectorILNS1_17partition_subalgoE6EiNS0_10empty_typeEbEEZZNS1_14partition_implILS5_6ELb0ES3_mN6thrust23THRUST_200600_302600_NS6detail15normal_iteratorINSA_10device_ptrIiEEEEPS6_SG_NS0_5tupleIJSF_S6_EEENSH_IJSG_SG_EEES6_PlJ5mod_3IiEEEE10hipError_tPvRmT3_T4_T5_T6_T7_T9_mT8_P12ihipStream_tbDpT10_ENKUlT_T0_E_clISt17integral_constantIbLb1EES15_IbLb0EEEEDaS11_S12_EUlS11_E_NS1_11comp_targetILNS1_3genE3ELNS1_11target_archE908ELNS1_3gpuE7ELNS1_3repE0EEENS1_30default_config_static_selectorELNS0_4arch9wavefront6targetE0EEEvT1_, .Lfunc_end603-_ZN7rocprim17ROCPRIM_400000_NS6detail17trampoline_kernelINS0_14default_configENS1_25partition_config_selectorILNS1_17partition_subalgoE6EiNS0_10empty_typeEbEEZZNS1_14partition_implILS5_6ELb0ES3_mN6thrust23THRUST_200600_302600_NS6detail15normal_iteratorINSA_10device_ptrIiEEEEPS6_SG_NS0_5tupleIJSF_S6_EEENSH_IJSG_SG_EEES6_PlJ5mod_3IiEEEE10hipError_tPvRmT3_T4_T5_T6_T7_T9_mT8_P12ihipStream_tbDpT10_ENKUlT_T0_E_clISt17integral_constantIbLb1EES15_IbLb0EEEEDaS11_S12_EUlS11_E_NS1_11comp_targetILNS1_3genE3ELNS1_11target_archE908ELNS1_3gpuE7ELNS1_3repE0EEENS1_30default_config_static_selectorELNS0_4arch9wavefront6targetE0EEEvT1_
                                        ; -- End function
	.section	.AMDGPU.csdata,"",@progbits
; Kernel info:
; codeLenInByte = 0
; NumSgprs: 0
; NumVgprs: 0
; ScratchSize: 0
; MemoryBound: 0
; FloatMode: 240
; IeeeMode: 1
; LDSByteSize: 0 bytes/workgroup (compile time only)
; SGPRBlocks: 0
; VGPRBlocks: 0
; NumSGPRsForWavesPerEU: 1
; NumVGPRsForWavesPerEU: 1
; Occupancy: 16
; WaveLimiterHint : 0
; COMPUTE_PGM_RSRC2:SCRATCH_EN: 0
; COMPUTE_PGM_RSRC2:USER_SGPR: 15
; COMPUTE_PGM_RSRC2:TRAP_HANDLER: 0
; COMPUTE_PGM_RSRC2:TGID_X_EN: 1
; COMPUTE_PGM_RSRC2:TGID_Y_EN: 0
; COMPUTE_PGM_RSRC2:TGID_Z_EN: 0
; COMPUTE_PGM_RSRC2:TIDIG_COMP_CNT: 0
	.section	.text._ZN7rocprim17ROCPRIM_400000_NS6detail17trampoline_kernelINS0_14default_configENS1_25partition_config_selectorILNS1_17partition_subalgoE6EiNS0_10empty_typeEbEEZZNS1_14partition_implILS5_6ELb0ES3_mN6thrust23THRUST_200600_302600_NS6detail15normal_iteratorINSA_10device_ptrIiEEEEPS6_SG_NS0_5tupleIJSF_S6_EEENSH_IJSG_SG_EEES6_PlJ5mod_3IiEEEE10hipError_tPvRmT3_T4_T5_T6_T7_T9_mT8_P12ihipStream_tbDpT10_ENKUlT_T0_E_clISt17integral_constantIbLb1EES15_IbLb0EEEEDaS11_S12_EUlS11_E_NS1_11comp_targetILNS1_3genE2ELNS1_11target_archE906ELNS1_3gpuE6ELNS1_3repE0EEENS1_30default_config_static_selectorELNS0_4arch9wavefront6targetE0EEEvT1_,"axG",@progbits,_ZN7rocprim17ROCPRIM_400000_NS6detail17trampoline_kernelINS0_14default_configENS1_25partition_config_selectorILNS1_17partition_subalgoE6EiNS0_10empty_typeEbEEZZNS1_14partition_implILS5_6ELb0ES3_mN6thrust23THRUST_200600_302600_NS6detail15normal_iteratorINSA_10device_ptrIiEEEEPS6_SG_NS0_5tupleIJSF_S6_EEENSH_IJSG_SG_EEES6_PlJ5mod_3IiEEEE10hipError_tPvRmT3_T4_T5_T6_T7_T9_mT8_P12ihipStream_tbDpT10_ENKUlT_T0_E_clISt17integral_constantIbLb1EES15_IbLb0EEEEDaS11_S12_EUlS11_E_NS1_11comp_targetILNS1_3genE2ELNS1_11target_archE906ELNS1_3gpuE6ELNS1_3repE0EEENS1_30default_config_static_selectorELNS0_4arch9wavefront6targetE0EEEvT1_,comdat
	.protected	_ZN7rocprim17ROCPRIM_400000_NS6detail17trampoline_kernelINS0_14default_configENS1_25partition_config_selectorILNS1_17partition_subalgoE6EiNS0_10empty_typeEbEEZZNS1_14partition_implILS5_6ELb0ES3_mN6thrust23THRUST_200600_302600_NS6detail15normal_iteratorINSA_10device_ptrIiEEEEPS6_SG_NS0_5tupleIJSF_S6_EEENSH_IJSG_SG_EEES6_PlJ5mod_3IiEEEE10hipError_tPvRmT3_T4_T5_T6_T7_T9_mT8_P12ihipStream_tbDpT10_ENKUlT_T0_E_clISt17integral_constantIbLb1EES15_IbLb0EEEEDaS11_S12_EUlS11_E_NS1_11comp_targetILNS1_3genE2ELNS1_11target_archE906ELNS1_3gpuE6ELNS1_3repE0EEENS1_30default_config_static_selectorELNS0_4arch9wavefront6targetE0EEEvT1_ ; -- Begin function _ZN7rocprim17ROCPRIM_400000_NS6detail17trampoline_kernelINS0_14default_configENS1_25partition_config_selectorILNS1_17partition_subalgoE6EiNS0_10empty_typeEbEEZZNS1_14partition_implILS5_6ELb0ES3_mN6thrust23THRUST_200600_302600_NS6detail15normal_iteratorINSA_10device_ptrIiEEEEPS6_SG_NS0_5tupleIJSF_S6_EEENSH_IJSG_SG_EEES6_PlJ5mod_3IiEEEE10hipError_tPvRmT3_T4_T5_T6_T7_T9_mT8_P12ihipStream_tbDpT10_ENKUlT_T0_E_clISt17integral_constantIbLb1EES15_IbLb0EEEEDaS11_S12_EUlS11_E_NS1_11comp_targetILNS1_3genE2ELNS1_11target_archE906ELNS1_3gpuE6ELNS1_3repE0EEENS1_30default_config_static_selectorELNS0_4arch9wavefront6targetE0EEEvT1_
	.globl	_ZN7rocprim17ROCPRIM_400000_NS6detail17trampoline_kernelINS0_14default_configENS1_25partition_config_selectorILNS1_17partition_subalgoE6EiNS0_10empty_typeEbEEZZNS1_14partition_implILS5_6ELb0ES3_mN6thrust23THRUST_200600_302600_NS6detail15normal_iteratorINSA_10device_ptrIiEEEEPS6_SG_NS0_5tupleIJSF_S6_EEENSH_IJSG_SG_EEES6_PlJ5mod_3IiEEEE10hipError_tPvRmT3_T4_T5_T6_T7_T9_mT8_P12ihipStream_tbDpT10_ENKUlT_T0_E_clISt17integral_constantIbLb1EES15_IbLb0EEEEDaS11_S12_EUlS11_E_NS1_11comp_targetILNS1_3genE2ELNS1_11target_archE906ELNS1_3gpuE6ELNS1_3repE0EEENS1_30default_config_static_selectorELNS0_4arch9wavefront6targetE0EEEvT1_
	.p2align	8
	.type	_ZN7rocprim17ROCPRIM_400000_NS6detail17trampoline_kernelINS0_14default_configENS1_25partition_config_selectorILNS1_17partition_subalgoE6EiNS0_10empty_typeEbEEZZNS1_14partition_implILS5_6ELb0ES3_mN6thrust23THRUST_200600_302600_NS6detail15normal_iteratorINSA_10device_ptrIiEEEEPS6_SG_NS0_5tupleIJSF_S6_EEENSH_IJSG_SG_EEES6_PlJ5mod_3IiEEEE10hipError_tPvRmT3_T4_T5_T6_T7_T9_mT8_P12ihipStream_tbDpT10_ENKUlT_T0_E_clISt17integral_constantIbLb1EES15_IbLb0EEEEDaS11_S12_EUlS11_E_NS1_11comp_targetILNS1_3genE2ELNS1_11target_archE906ELNS1_3gpuE6ELNS1_3repE0EEENS1_30default_config_static_selectorELNS0_4arch9wavefront6targetE0EEEvT1_,@function
_ZN7rocprim17ROCPRIM_400000_NS6detail17trampoline_kernelINS0_14default_configENS1_25partition_config_selectorILNS1_17partition_subalgoE6EiNS0_10empty_typeEbEEZZNS1_14partition_implILS5_6ELb0ES3_mN6thrust23THRUST_200600_302600_NS6detail15normal_iteratorINSA_10device_ptrIiEEEEPS6_SG_NS0_5tupleIJSF_S6_EEENSH_IJSG_SG_EEES6_PlJ5mod_3IiEEEE10hipError_tPvRmT3_T4_T5_T6_T7_T9_mT8_P12ihipStream_tbDpT10_ENKUlT_T0_E_clISt17integral_constantIbLb1EES15_IbLb0EEEEDaS11_S12_EUlS11_E_NS1_11comp_targetILNS1_3genE2ELNS1_11target_archE906ELNS1_3gpuE6ELNS1_3repE0EEENS1_30default_config_static_selectorELNS0_4arch9wavefront6targetE0EEEvT1_: ; @_ZN7rocprim17ROCPRIM_400000_NS6detail17trampoline_kernelINS0_14default_configENS1_25partition_config_selectorILNS1_17partition_subalgoE6EiNS0_10empty_typeEbEEZZNS1_14partition_implILS5_6ELb0ES3_mN6thrust23THRUST_200600_302600_NS6detail15normal_iteratorINSA_10device_ptrIiEEEEPS6_SG_NS0_5tupleIJSF_S6_EEENSH_IJSG_SG_EEES6_PlJ5mod_3IiEEEE10hipError_tPvRmT3_T4_T5_T6_T7_T9_mT8_P12ihipStream_tbDpT10_ENKUlT_T0_E_clISt17integral_constantIbLb1EES15_IbLb0EEEEDaS11_S12_EUlS11_E_NS1_11comp_targetILNS1_3genE2ELNS1_11target_archE906ELNS1_3gpuE6ELNS1_3repE0EEENS1_30default_config_static_selectorELNS0_4arch9wavefront6targetE0EEEvT1_
; %bb.0:
	.section	.rodata,"a",@progbits
	.p2align	6, 0x0
	.amdhsa_kernel _ZN7rocprim17ROCPRIM_400000_NS6detail17trampoline_kernelINS0_14default_configENS1_25partition_config_selectorILNS1_17partition_subalgoE6EiNS0_10empty_typeEbEEZZNS1_14partition_implILS5_6ELb0ES3_mN6thrust23THRUST_200600_302600_NS6detail15normal_iteratorINSA_10device_ptrIiEEEEPS6_SG_NS0_5tupleIJSF_S6_EEENSH_IJSG_SG_EEES6_PlJ5mod_3IiEEEE10hipError_tPvRmT3_T4_T5_T6_T7_T9_mT8_P12ihipStream_tbDpT10_ENKUlT_T0_E_clISt17integral_constantIbLb1EES15_IbLb0EEEEDaS11_S12_EUlS11_E_NS1_11comp_targetILNS1_3genE2ELNS1_11target_archE906ELNS1_3gpuE6ELNS1_3repE0EEENS1_30default_config_static_selectorELNS0_4arch9wavefront6targetE0EEEvT1_
		.amdhsa_group_segment_fixed_size 0
		.amdhsa_private_segment_fixed_size 0
		.amdhsa_kernarg_size 112
		.amdhsa_user_sgpr_count 15
		.amdhsa_user_sgpr_dispatch_ptr 0
		.amdhsa_user_sgpr_queue_ptr 0
		.amdhsa_user_sgpr_kernarg_segment_ptr 1
		.amdhsa_user_sgpr_dispatch_id 0
		.amdhsa_user_sgpr_private_segment_size 0
		.amdhsa_wavefront_size32 1
		.amdhsa_uses_dynamic_stack 0
		.amdhsa_enable_private_segment 0
		.amdhsa_system_sgpr_workgroup_id_x 1
		.amdhsa_system_sgpr_workgroup_id_y 0
		.amdhsa_system_sgpr_workgroup_id_z 0
		.amdhsa_system_sgpr_workgroup_info 0
		.amdhsa_system_vgpr_workitem_id 0
		.amdhsa_next_free_vgpr 1
		.amdhsa_next_free_sgpr 1
		.amdhsa_reserve_vcc 0
		.amdhsa_float_round_mode_32 0
		.amdhsa_float_round_mode_16_64 0
		.amdhsa_float_denorm_mode_32 3
		.amdhsa_float_denorm_mode_16_64 3
		.amdhsa_dx10_clamp 1
		.amdhsa_ieee_mode 1
		.amdhsa_fp16_overflow 0
		.amdhsa_workgroup_processor_mode 1
		.amdhsa_memory_ordered 1
		.amdhsa_forward_progress 0
		.amdhsa_shared_vgpr_count 0
		.amdhsa_exception_fp_ieee_invalid_op 0
		.amdhsa_exception_fp_denorm_src 0
		.amdhsa_exception_fp_ieee_div_zero 0
		.amdhsa_exception_fp_ieee_overflow 0
		.amdhsa_exception_fp_ieee_underflow 0
		.amdhsa_exception_fp_ieee_inexact 0
		.amdhsa_exception_int_div_zero 0
	.end_amdhsa_kernel
	.section	.text._ZN7rocprim17ROCPRIM_400000_NS6detail17trampoline_kernelINS0_14default_configENS1_25partition_config_selectorILNS1_17partition_subalgoE6EiNS0_10empty_typeEbEEZZNS1_14partition_implILS5_6ELb0ES3_mN6thrust23THRUST_200600_302600_NS6detail15normal_iteratorINSA_10device_ptrIiEEEEPS6_SG_NS0_5tupleIJSF_S6_EEENSH_IJSG_SG_EEES6_PlJ5mod_3IiEEEE10hipError_tPvRmT3_T4_T5_T6_T7_T9_mT8_P12ihipStream_tbDpT10_ENKUlT_T0_E_clISt17integral_constantIbLb1EES15_IbLb0EEEEDaS11_S12_EUlS11_E_NS1_11comp_targetILNS1_3genE2ELNS1_11target_archE906ELNS1_3gpuE6ELNS1_3repE0EEENS1_30default_config_static_selectorELNS0_4arch9wavefront6targetE0EEEvT1_,"axG",@progbits,_ZN7rocprim17ROCPRIM_400000_NS6detail17trampoline_kernelINS0_14default_configENS1_25partition_config_selectorILNS1_17partition_subalgoE6EiNS0_10empty_typeEbEEZZNS1_14partition_implILS5_6ELb0ES3_mN6thrust23THRUST_200600_302600_NS6detail15normal_iteratorINSA_10device_ptrIiEEEEPS6_SG_NS0_5tupleIJSF_S6_EEENSH_IJSG_SG_EEES6_PlJ5mod_3IiEEEE10hipError_tPvRmT3_T4_T5_T6_T7_T9_mT8_P12ihipStream_tbDpT10_ENKUlT_T0_E_clISt17integral_constantIbLb1EES15_IbLb0EEEEDaS11_S12_EUlS11_E_NS1_11comp_targetILNS1_3genE2ELNS1_11target_archE906ELNS1_3gpuE6ELNS1_3repE0EEENS1_30default_config_static_selectorELNS0_4arch9wavefront6targetE0EEEvT1_,comdat
.Lfunc_end604:
	.size	_ZN7rocprim17ROCPRIM_400000_NS6detail17trampoline_kernelINS0_14default_configENS1_25partition_config_selectorILNS1_17partition_subalgoE6EiNS0_10empty_typeEbEEZZNS1_14partition_implILS5_6ELb0ES3_mN6thrust23THRUST_200600_302600_NS6detail15normal_iteratorINSA_10device_ptrIiEEEEPS6_SG_NS0_5tupleIJSF_S6_EEENSH_IJSG_SG_EEES6_PlJ5mod_3IiEEEE10hipError_tPvRmT3_T4_T5_T6_T7_T9_mT8_P12ihipStream_tbDpT10_ENKUlT_T0_E_clISt17integral_constantIbLb1EES15_IbLb0EEEEDaS11_S12_EUlS11_E_NS1_11comp_targetILNS1_3genE2ELNS1_11target_archE906ELNS1_3gpuE6ELNS1_3repE0EEENS1_30default_config_static_selectorELNS0_4arch9wavefront6targetE0EEEvT1_, .Lfunc_end604-_ZN7rocprim17ROCPRIM_400000_NS6detail17trampoline_kernelINS0_14default_configENS1_25partition_config_selectorILNS1_17partition_subalgoE6EiNS0_10empty_typeEbEEZZNS1_14partition_implILS5_6ELb0ES3_mN6thrust23THRUST_200600_302600_NS6detail15normal_iteratorINSA_10device_ptrIiEEEEPS6_SG_NS0_5tupleIJSF_S6_EEENSH_IJSG_SG_EEES6_PlJ5mod_3IiEEEE10hipError_tPvRmT3_T4_T5_T6_T7_T9_mT8_P12ihipStream_tbDpT10_ENKUlT_T0_E_clISt17integral_constantIbLb1EES15_IbLb0EEEEDaS11_S12_EUlS11_E_NS1_11comp_targetILNS1_3genE2ELNS1_11target_archE906ELNS1_3gpuE6ELNS1_3repE0EEENS1_30default_config_static_selectorELNS0_4arch9wavefront6targetE0EEEvT1_
                                        ; -- End function
	.section	.AMDGPU.csdata,"",@progbits
; Kernel info:
; codeLenInByte = 0
; NumSgprs: 0
; NumVgprs: 0
; ScratchSize: 0
; MemoryBound: 0
; FloatMode: 240
; IeeeMode: 1
; LDSByteSize: 0 bytes/workgroup (compile time only)
; SGPRBlocks: 0
; VGPRBlocks: 0
; NumSGPRsForWavesPerEU: 1
; NumVGPRsForWavesPerEU: 1
; Occupancy: 15
; WaveLimiterHint : 0
; COMPUTE_PGM_RSRC2:SCRATCH_EN: 0
; COMPUTE_PGM_RSRC2:USER_SGPR: 15
; COMPUTE_PGM_RSRC2:TRAP_HANDLER: 0
; COMPUTE_PGM_RSRC2:TGID_X_EN: 1
; COMPUTE_PGM_RSRC2:TGID_Y_EN: 0
; COMPUTE_PGM_RSRC2:TGID_Z_EN: 0
; COMPUTE_PGM_RSRC2:TIDIG_COMP_CNT: 0
	.section	.text._ZN7rocprim17ROCPRIM_400000_NS6detail17trampoline_kernelINS0_14default_configENS1_25partition_config_selectorILNS1_17partition_subalgoE6EiNS0_10empty_typeEbEEZZNS1_14partition_implILS5_6ELb0ES3_mN6thrust23THRUST_200600_302600_NS6detail15normal_iteratorINSA_10device_ptrIiEEEEPS6_SG_NS0_5tupleIJSF_S6_EEENSH_IJSG_SG_EEES6_PlJ5mod_3IiEEEE10hipError_tPvRmT3_T4_T5_T6_T7_T9_mT8_P12ihipStream_tbDpT10_ENKUlT_T0_E_clISt17integral_constantIbLb1EES15_IbLb0EEEEDaS11_S12_EUlS11_E_NS1_11comp_targetILNS1_3genE10ELNS1_11target_archE1200ELNS1_3gpuE4ELNS1_3repE0EEENS1_30default_config_static_selectorELNS0_4arch9wavefront6targetE0EEEvT1_,"axG",@progbits,_ZN7rocprim17ROCPRIM_400000_NS6detail17trampoline_kernelINS0_14default_configENS1_25partition_config_selectorILNS1_17partition_subalgoE6EiNS0_10empty_typeEbEEZZNS1_14partition_implILS5_6ELb0ES3_mN6thrust23THRUST_200600_302600_NS6detail15normal_iteratorINSA_10device_ptrIiEEEEPS6_SG_NS0_5tupleIJSF_S6_EEENSH_IJSG_SG_EEES6_PlJ5mod_3IiEEEE10hipError_tPvRmT3_T4_T5_T6_T7_T9_mT8_P12ihipStream_tbDpT10_ENKUlT_T0_E_clISt17integral_constantIbLb1EES15_IbLb0EEEEDaS11_S12_EUlS11_E_NS1_11comp_targetILNS1_3genE10ELNS1_11target_archE1200ELNS1_3gpuE4ELNS1_3repE0EEENS1_30default_config_static_selectorELNS0_4arch9wavefront6targetE0EEEvT1_,comdat
	.protected	_ZN7rocprim17ROCPRIM_400000_NS6detail17trampoline_kernelINS0_14default_configENS1_25partition_config_selectorILNS1_17partition_subalgoE6EiNS0_10empty_typeEbEEZZNS1_14partition_implILS5_6ELb0ES3_mN6thrust23THRUST_200600_302600_NS6detail15normal_iteratorINSA_10device_ptrIiEEEEPS6_SG_NS0_5tupleIJSF_S6_EEENSH_IJSG_SG_EEES6_PlJ5mod_3IiEEEE10hipError_tPvRmT3_T4_T5_T6_T7_T9_mT8_P12ihipStream_tbDpT10_ENKUlT_T0_E_clISt17integral_constantIbLb1EES15_IbLb0EEEEDaS11_S12_EUlS11_E_NS1_11comp_targetILNS1_3genE10ELNS1_11target_archE1200ELNS1_3gpuE4ELNS1_3repE0EEENS1_30default_config_static_selectorELNS0_4arch9wavefront6targetE0EEEvT1_ ; -- Begin function _ZN7rocprim17ROCPRIM_400000_NS6detail17trampoline_kernelINS0_14default_configENS1_25partition_config_selectorILNS1_17partition_subalgoE6EiNS0_10empty_typeEbEEZZNS1_14partition_implILS5_6ELb0ES3_mN6thrust23THRUST_200600_302600_NS6detail15normal_iteratorINSA_10device_ptrIiEEEEPS6_SG_NS0_5tupleIJSF_S6_EEENSH_IJSG_SG_EEES6_PlJ5mod_3IiEEEE10hipError_tPvRmT3_T4_T5_T6_T7_T9_mT8_P12ihipStream_tbDpT10_ENKUlT_T0_E_clISt17integral_constantIbLb1EES15_IbLb0EEEEDaS11_S12_EUlS11_E_NS1_11comp_targetILNS1_3genE10ELNS1_11target_archE1200ELNS1_3gpuE4ELNS1_3repE0EEENS1_30default_config_static_selectorELNS0_4arch9wavefront6targetE0EEEvT1_
	.globl	_ZN7rocprim17ROCPRIM_400000_NS6detail17trampoline_kernelINS0_14default_configENS1_25partition_config_selectorILNS1_17partition_subalgoE6EiNS0_10empty_typeEbEEZZNS1_14partition_implILS5_6ELb0ES3_mN6thrust23THRUST_200600_302600_NS6detail15normal_iteratorINSA_10device_ptrIiEEEEPS6_SG_NS0_5tupleIJSF_S6_EEENSH_IJSG_SG_EEES6_PlJ5mod_3IiEEEE10hipError_tPvRmT3_T4_T5_T6_T7_T9_mT8_P12ihipStream_tbDpT10_ENKUlT_T0_E_clISt17integral_constantIbLb1EES15_IbLb0EEEEDaS11_S12_EUlS11_E_NS1_11comp_targetILNS1_3genE10ELNS1_11target_archE1200ELNS1_3gpuE4ELNS1_3repE0EEENS1_30default_config_static_selectorELNS0_4arch9wavefront6targetE0EEEvT1_
	.p2align	8
	.type	_ZN7rocprim17ROCPRIM_400000_NS6detail17trampoline_kernelINS0_14default_configENS1_25partition_config_selectorILNS1_17partition_subalgoE6EiNS0_10empty_typeEbEEZZNS1_14partition_implILS5_6ELb0ES3_mN6thrust23THRUST_200600_302600_NS6detail15normal_iteratorINSA_10device_ptrIiEEEEPS6_SG_NS0_5tupleIJSF_S6_EEENSH_IJSG_SG_EEES6_PlJ5mod_3IiEEEE10hipError_tPvRmT3_T4_T5_T6_T7_T9_mT8_P12ihipStream_tbDpT10_ENKUlT_T0_E_clISt17integral_constantIbLb1EES15_IbLb0EEEEDaS11_S12_EUlS11_E_NS1_11comp_targetILNS1_3genE10ELNS1_11target_archE1200ELNS1_3gpuE4ELNS1_3repE0EEENS1_30default_config_static_selectorELNS0_4arch9wavefront6targetE0EEEvT1_,@function
_ZN7rocprim17ROCPRIM_400000_NS6detail17trampoline_kernelINS0_14default_configENS1_25partition_config_selectorILNS1_17partition_subalgoE6EiNS0_10empty_typeEbEEZZNS1_14partition_implILS5_6ELb0ES3_mN6thrust23THRUST_200600_302600_NS6detail15normal_iteratorINSA_10device_ptrIiEEEEPS6_SG_NS0_5tupleIJSF_S6_EEENSH_IJSG_SG_EEES6_PlJ5mod_3IiEEEE10hipError_tPvRmT3_T4_T5_T6_T7_T9_mT8_P12ihipStream_tbDpT10_ENKUlT_T0_E_clISt17integral_constantIbLb1EES15_IbLb0EEEEDaS11_S12_EUlS11_E_NS1_11comp_targetILNS1_3genE10ELNS1_11target_archE1200ELNS1_3gpuE4ELNS1_3repE0EEENS1_30default_config_static_selectorELNS0_4arch9wavefront6targetE0EEEvT1_: ; @_ZN7rocprim17ROCPRIM_400000_NS6detail17trampoline_kernelINS0_14default_configENS1_25partition_config_selectorILNS1_17partition_subalgoE6EiNS0_10empty_typeEbEEZZNS1_14partition_implILS5_6ELb0ES3_mN6thrust23THRUST_200600_302600_NS6detail15normal_iteratorINSA_10device_ptrIiEEEEPS6_SG_NS0_5tupleIJSF_S6_EEENSH_IJSG_SG_EEES6_PlJ5mod_3IiEEEE10hipError_tPvRmT3_T4_T5_T6_T7_T9_mT8_P12ihipStream_tbDpT10_ENKUlT_T0_E_clISt17integral_constantIbLb1EES15_IbLb0EEEEDaS11_S12_EUlS11_E_NS1_11comp_targetILNS1_3genE10ELNS1_11target_archE1200ELNS1_3gpuE4ELNS1_3repE0EEENS1_30default_config_static_selectorELNS0_4arch9wavefront6targetE0EEEvT1_
; %bb.0:
	.section	.rodata,"a",@progbits
	.p2align	6, 0x0
	.amdhsa_kernel _ZN7rocprim17ROCPRIM_400000_NS6detail17trampoline_kernelINS0_14default_configENS1_25partition_config_selectorILNS1_17partition_subalgoE6EiNS0_10empty_typeEbEEZZNS1_14partition_implILS5_6ELb0ES3_mN6thrust23THRUST_200600_302600_NS6detail15normal_iteratorINSA_10device_ptrIiEEEEPS6_SG_NS0_5tupleIJSF_S6_EEENSH_IJSG_SG_EEES6_PlJ5mod_3IiEEEE10hipError_tPvRmT3_T4_T5_T6_T7_T9_mT8_P12ihipStream_tbDpT10_ENKUlT_T0_E_clISt17integral_constantIbLb1EES15_IbLb0EEEEDaS11_S12_EUlS11_E_NS1_11comp_targetILNS1_3genE10ELNS1_11target_archE1200ELNS1_3gpuE4ELNS1_3repE0EEENS1_30default_config_static_selectorELNS0_4arch9wavefront6targetE0EEEvT1_
		.amdhsa_group_segment_fixed_size 0
		.amdhsa_private_segment_fixed_size 0
		.amdhsa_kernarg_size 112
		.amdhsa_user_sgpr_count 15
		.amdhsa_user_sgpr_dispatch_ptr 0
		.amdhsa_user_sgpr_queue_ptr 0
		.amdhsa_user_sgpr_kernarg_segment_ptr 1
		.amdhsa_user_sgpr_dispatch_id 0
		.amdhsa_user_sgpr_private_segment_size 0
		.amdhsa_wavefront_size32 1
		.amdhsa_uses_dynamic_stack 0
		.amdhsa_enable_private_segment 0
		.amdhsa_system_sgpr_workgroup_id_x 1
		.amdhsa_system_sgpr_workgroup_id_y 0
		.amdhsa_system_sgpr_workgroup_id_z 0
		.amdhsa_system_sgpr_workgroup_info 0
		.amdhsa_system_vgpr_workitem_id 0
		.amdhsa_next_free_vgpr 1
		.amdhsa_next_free_sgpr 1
		.amdhsa_reserve_vcc 0
		.amdhsa_float_round_mode_32 0
		.amdhsa_float_round_mode_16_64 0
		.amdhsa_float_denorm_mode_32 3
		.amdhsa_float_denorm_mode_16_64 3
		.amdhsa_dx10_clamp 1
		.amdhsa_ieee_mode 1
		.amdhsa_fp16_overflow 0
		.amdhsa_workgroup_processor_mode 1
		.amdhsa_memory_ordered 1
		.amdhsa_forward_progress 0
		.amdhsa_shared_vgpr_count 0
		.amdhsa_exception_fp_ieee_invalid_op 0
		.amdhsa_exception_fp_denorm_src 0
		.amdhsa_exception_fp_ieee_div_zero 0
		.amdhsa_exception_fp_ieee_overflow 0
		.amdhsa_exception_fp_ieee_underflow 0
		.amdhsa_exception_fp_ieee_inexact 0
		.amdhsa_exception_int_div_zero 0
	.end_amdhsa_kernel
	.section	.text._ZN7rocprim17ROCPRIM_400000_NS6detail17trampoline_kernelINS0_14default_configENS1_25partition_config_selectorILNS1_17partition_subalgoE6EiNS0_10empty_typeEbEEZZNS1_14partition_implILS5_6ELb0ES3_mN6thrust23THRUST_200600_302600_NS6detail15normal_iteratorINSA_10device_ptrIiEEEEPS6_SG_NS0_5tupleIJSF_S6_EEENSH_IJSG_SG_EEES6_PlJ5mod_3IiEEEE10hipError_tPvRmT3_T4_T5_T6_T7_T9_mT8_P12ihipStream_tbDpT10_ENKUlT_T0_E_clISt17integral_constantIbLb1EES15_IbLb0EEEEDaS11_S12_EUlS11_E_NS1_11comp_targetILNS1_3genE10ELNS1_11target_archE1200ELNS1_3gpuE4ELNS1_3repE0EEENS1_30default_config_static_selectorELNS0_4arch9wavefront6targetE0EEEvT1_,"axG",@progbits,_ZN7rocprim17ROCPRIM_400000_NS6detail17trampoline_kernelINS0_14default_configENS1_25partition_config_selectorILNS1_17partition_subalgoE6EiNS0_10empty_typeEbEEZZNS1_14partition_implILS5_6ELb0ES3_mN6thrust23THRUST_200600_302600_NS6detail15normal_iteratorINSA_10device_ptrIiEEEEPS6_SG_NS0_5tupleIJSF_S6_EEENSH_IJSG_SG_EEES6_PlJ5mod_3IiEEEE10hipError_tPvRmT3_T4_T5_T6_T7_T9_mT8_P12ihipStream_tbDpT10_ENKUlT_T0_E_clISt17integral_constantIbLb1EES15_IbLb0EEEEDaS11_S12_EUlS11_E_NS1_11comp_targetILNS1_3genE10ELNS1_11target_archE1200ELNS1_3gpuE4ELNS1_3repE0EEENS1_30default_config_static_selectorELNS0_4arch9wavefront6targetE0EEEvT1_,comdat
.Lfunc_end605:
	.size	_ZN7rocprim17ROCPRIM_400000_NS6detail17trampoline_kernelINS0_14default_configENS1_25partition_config_selectorILNS1_17partition_subalgoE6EiNS0_10empty_typeEbEEZZNS1_14partition_implILS5_6ELb0ES3_mN6thrust23THRUST_200600_302600_NS6detail15normal_iteratorINSA_10device_ptrIiEEEEPS6_SG_NS0_5tupleIJSF_S6_EEENSH_IJSG_SG_EEES6_PlJ5mod_3IiEEEE10hipError_tPvRmT3_T4_T5_T6_T7_T9_mT8_P12ihipStream_tbDpT10_ENKUlT_T0_E_clISt17integral_constantIbLb1EES15_IbLb0EEEEDaS11_S12_EUlS11_E_NS1_11comp_targetILNS1_3genE10ELNS1_11target_archE1200ELNS1_3gpuE4ELNS1_3repE0EEENS1_30default_config_static_selectorELNS0_4arch9wavefront6targetE0EEEvT1_, .Lfunc_end605-_ZN7rocprim17ROCPRIM_400000_NS6detail17trampoline_kernelINS0_14default_configENS1_25partition_config_selectorILNS1_17partition_subalgoE6EiNS0_10empty_typeEbEEZZNS1_14partition_implILS5_6ELb0ES3_mN6thrust23THRUST_200600_302600_NS6detail15normal_iteratorINSA_10device_ptrIiEEEEPS6_SG_NS0_5tupleIJSF_S6_EEENSH_IJSG_SG_EEES6_PlJ5mod_3IiEEEE10hipError_tPvRmT3_T4_T5_T6_T7_T9_mT8_P12ihipStream_tbDpT10_ENKUlT_T0_E_clISt17integral_constantIbLb1EES15_IbLb0EEEEDaS11_S12_EUlS11_E_NS1_11comp_targetILNS1_3genE10ELNS1_11target_archE1200ELNS1_3gpuE4ELNS1_3repE0EEENS1_30default_config_static_selectorELNS0_4arch9wavefront6targetE0EEEvT1_
                                        ; -- End function
	.section	.AMDGPU.csdata,"",@progbits
; Kernel info:
; codeLenInByte = 0
; NumSgprs: 0
; NumVgprs: 0
; ScratchSize: 0
; MemoryBound: 0
; FloatMode: 240
; IeeeMode: 1
; LDSByteSize: 0 bytes/workgroup (compile time only)
; SGPRBlocks: 0
; VGPRBlocks: 0
; NumSGPRsForWavesPerEU: 1
; NumVGPRsForWavesPerEU: 1
; Occupancy: 15
; WaveLimiterHint : 0
; COMPUTE_PGM_RSRC2:SCRATCH_EN: 0
; COMPUTE_PGM_RSRC2:USER_SGPR: 15
; COMPUTE_PGM_RSRC2:TRAP_HANDLER: 0
; COMPUTE_PGM_RSRC2:TGID_X_EN: 1
; COMPUTE_PGM_RSRC2:TGID_Y_EN: 0
; COMPUTE_PGM_RSRC2:TGID_Z_EN: 0
; COMPUTE_PGM_RSRC2:TIDIG_COMP_CNT: 0
	.section	.text._ZN7rocprim17ROCPRIM_400000_NS6detail17trampoline_kernelINS0_14default_configENS1_25partition_config_selectorILNS1_17partition_subalgoE6EiNS0_10empty_typeEbEEZZNS1_14partition_implILS5_6ELb0ES3_mN6thrust23THRUST_200600_302600_NS6detail15normal_iteratorINSA_10device_ptrIiEEEEPS6_SG_NS0_5tupleIJSF_S6_EEENSH_IJSG_SG_EEES6_PlJ5mod_3IiEEEE10hipError_tPvRmT3_T4_T5_T6_T7_T9_mT8_P12ihipStream_tbDpT10_ENKUlT_T0_E_clISt17integral_constantIbLb1EES15_IbLb0EEEEDaS11_S12_EUlS11_E_NS1_11comp_targetILNS1_3genE9ELNS1_11target_archE1100ELNS1_3gpuE3ELNS1_3repE0EEENS1_30default_config_static_selectorELNS0_4arch9wavefront6targetE0EEEvT1_,"axG",@progbits,_ZN7rocprim17ROCPRIM_400000_NS6detail17trampoline_kernelINS0_14default_configENS1_25partition_config_selectorILNS1_17partition_subalgoE6EiNS0_10empty_typeEbEEZZNS1_14partition_implILS5_6ELb0ES3_mN6thrust23THRUST_200600_302600_NS6detail15normal_iteratorINSA_10device_ptrIiEEEEPS6_SG_NS0_5tupleIJSF_S6_EEENSH_IJSG_SG_EEES6_PlJ5mod_3IiEEEE10hipError_tPvRmT3_T4_T5_T6_T7_T9_mT8_P12ihipStream_tbDpT10_ENKUlT_T0_E_clISt17integral_constantIbLb1EES15_IbLb0EEEEDaS11_S12_EUlS11_E_NS1_11comp_targetILNS1_3genE9ELNS1_11target_archE1100ELNS1_3gpuE3ELNS1_3repE0EEENS1_30default_config_static_selectorELNS0_4arch9wavefront6targetE0EEEvT1_,comdat
	.protected	_ZN7rocprim17ROCPRIM_400000_NS6detail17trampoline_kernelINS0_14default_configENS1_25partition_config_selectorILNS1_17partition_subalgoE6EiNS0_10empty_typeEbEEZZNS1_14partition_implILS5_6ELb0ES3_mN6thrust23THRUST_200600_302600_NS6detail15normal_iteratorINSA_10device_ptrIiEEEEPS6_SG_NS0_5tupleIJSF_S6_EEENSH_IJSG_SG_EEES6_PlJ5mod_3IiEEEE10hipError_tPvRmT3_T4_T5_T6_T7_T9_mT8_P12ihipStream_tbDpT10_ENKUlT_T0_E_clISt17integral_constantIbLb1EES15_IbLb0EEEEDaS11_S12_EUlS11_E_NS1_11comp_targetILNS1_3genE9ELNS1_11target_archE1100ELNS1_3gpuE3ELNS1_3repE0EEENS1_30default_config_static_selectorELNS0_4arch9wavefront6targetE0EEEvT1_ ; -- Begin function _ZN7rocprim17ROCPRIM_400000_NS6detail17trampoline_kernelINS0_14default_configENS1_25partition_config_selectorILNS1_17partition_subalgoE6EiNS0_10empty_typeEbEEZZNS1_14partition_implILS5_6ELb0ES3_mN6thrust23THRUST_200600_302600_NS6detail15normal_iteratorINSA_10device_ptrIiEEEEPS6_SG_NS0_5tupleIJSF_S6_EEENSH_IJSG_SG_EEES6_PlJ5mod_3IiEEEE10hipError_tPvRmT3_T4_T5_T6_T7_T9_mT8_P12ihipStream_tbDpT10_ENKUlT_T0_E_clISt17integral_constantIbLb1EES15_IbLb0EEEEDaS11_S12_EUlS11_E_NS1_11comp_targetILNS1_3genE9ELNS1_11target_archE1100ELNS1_3gpuE3ELNS1_3repE0EEENS1_30default_config_static_selectorELNS0_4arch9wavefront6targetE0EEEvT1_
	.globl	_ZN7rocprim17ROCPRIM_400000_NS6detail17trampoline_kernelINS0_14default_configENS1_25partition_config_selectorILNS1_17partition_subalgoE6EiNS0_10empty_typeEbEEZZNS1_14partition_implILS5_6ELb0ES3_mN6thrust23THRUST_200600_302600_NS6detail15normal_iteratorINSA_10device_ptrIiEEEEPS6_SG_NS0_5tupleIJSF_S6_EEENSH_IJSG_SG_EEES6_PlJ5mod_3IiEEEE10hipError_tPvRmT3_T4_T5_T6_T7_T9_mT8_P12ihipStream_tbDpT10_ENKUlT_T0_E_clISt17integral_constantIbLb1EES15_IbLb0EEEEDaS11_S12_EUlS11_E_NS1_11comp_targetILNS1_3genE9ELNS1_11target_archE1100ELNS1_3gpuE3ELNS1_3repE0EEENS1_30default_config_static_selectorELNS0_4arch9wavefront6targetE0EEEvT1_
	.p2align	8
	.type	_ZN7rocprim17ROCPRIM_400000_NS6detail17trampoline_kernelINS0_14default_configENS1_25partition_config_selectorILNS1_17partition_subalgoE6EiNS0_10empty_typeEbEEZZNS1_14partition_implILS5_6ELb0ES3_mN6thrust23THRUST_200600_302600_NS6detail15normal_iteratorINSA_10device_ptrIiEEEEPS6_SG_NS0_5tupleIJSF_S6_EEENSH_IJSG_SG_EEES6_PlJ5mod_3IiEEEE10hipError_tPvRmT3_T4_T5_T6_T7_T9_mT8_P12ihipStream_tbDpT10_ENKUlT_T0_E_clISt17integral_constantIbLb1EES15_IbLb0EEEEDaS11_S12_EUlS11_E_NS1_11comp_targetILNS1_3genE9ELNS1_11target_archE1100ELNS1_3gpuE3ELNS1_3repE0EEENS1_30default_config_static_selectorELNS0_4arch9wavefront6targetE0EEEvT1_,@function
_ZN7rocprim17ROCPRIM_400000_NS6detail17trampoline_kernelINS0_14default_configENS1_25partition_config_selectorILNS1_17partition_subalgoE6EiNS0_10empty_typeEbEEZZNS1_14partition_implILS5_6ELb0ES3_mN6thrust23THRUST_200600_302600_NS6detail15normal_iteratorINSA_10device_ptrIiEEEEPS6_SG_NS0_5tupleIJSF_S6_EEENSH_IJSG_SG_EEES6_PlJ5mod_3IiEEEE10hipError_tPvRmT3_T4_T5_T6_T7_T9_mT8_P12ihipStream_tbDpT10_ENKUlT_T0_E_clISt17integral_constantIbLb1EES15_IbLb0EEEEDaS11_S12_EUlS11_E_NS1_11comp_targetILNS1_3genE9ELNS1_11target_archE1100ELNS1_3gpuE3ELNS1_3repE0EEENS1_30default_config_static_selectorELNS0_4arch9wavefront6targetE0EEEvT1_: ; @_ZN7rocprim17ROCPRIM_400000_NS6detail17trampoline_kernelINS0_14default_configENS1_25partition_config_selectorILNS1_17partition_subalgoE6EiNS0_10empty_typeEbEEZZNS1_14partition_implILS5_6ELb0ES3_mN6thrust23THRUST_200600_302600_NS6detail15normal_iteratorINSA_10device_ptrIiEEEEPS6_SG_NS0_5tupleIJSF_S6_EEENSH_IJSG_SG_EEES6_PlJ5mod_3IiEEEE10hipError_tPvRmT3_T4_T5_T6_T7_T9_mT8_P12ihipStream_tbDpT10_ENKUlT_T0_E_clISt17integral_constantIbLb1EES15_IbLb0EEEEDaS11_S12_EUlS11_E_NS1_11comp_targetILNS1_3genE9ELNS1_11target_archE1100ELNS1_3gpuE3ELNS1_3repE0EEENS1_30default_config_static_selectorELNS0_4arch9wavefront6targetE0EEEvT1_
; %bb.0:
	s_clause 0x3
	s_load_b128 s[8:11], s[0:1], 0x8
	s_load_b128 s[4:7], s[0:1], 0x40
	s_load_b32 s14, s[0:1], 0x68
	s_load_b64 s[16:17], s[0:1], 0x50
	v_lshlrev_b32_e32 v17, 2, v0
	s_waitcnt lgkmcnt(0)
	s_lshl_b64 s[12:13], s[10:11], 2
	s_load_b64 s[2:3], s[6:7], 0x0
	s_mul_i32 s6, s14, 0x700
	s_add_u32 s8, s8, s12
	s_addc_u32 s9, s9, s13
	s_add_i32 s7, s6, s10
	s_add_i32 s14, s14, -1
	s_sub_i32 s12, s16, s7
	s_add_u32 s6, s10, s6
	s_addc_u32 s7, s11, 0
	s_cmp_eq_u32 s15, s14
	v_cmp_ge_u64_e64 s11, s[6:7], s[16:17]
	s_cselect_b32 s10, -1, 0
	s_mov_b32 s7, 0
	s_mul_i32 s6, s15, 0x700
	s_delay_alu instid0(SALU_CYCLE_1) | instskip(NEXT) | instid1(VALU_DEP_1)
	s_lshl_b64 s[6:7], s[6:7], 2
	s_and_b32 s11, s10, s11
	s_delay_alu instid0(SALU_CYCLE_1)
	s_xor_b32 s11, s11, -1
	s_add_u32 s6, s8, s6
	s_addc_u32 s7, s9, s7
	s_and_b32 vcc_lo, exec_lo, s11
	s_mov_b32 s8, -1
	s_cbranch_vccz .LBB606_2
; %bb.1:
	v_add_co_u32 v1, s8, s6, v17
	s_delay_alu instid0(VALU_DEP_1) | instskip(SKIP_1) | instid1(VALU_DEP_2)
	v_add_co_ci_u32_e64 v2, null, s7, 0, s8
	s_mov_b32 s8, 0
	v_add_co_u32 v3, vcc_lo, 0x1000, v1
	s_delay_alu instid0(VALU_DEP_2)
	v_add_co_ci_u32_e32 v4, vcc_lo, 0, v2, vcc_lo
	s_clause 0xd
	flat_load_b32 v5, v[1:2]
	flat_load_b32 v6, v[1:2] offset:512
	flat_load_b32 v7, v[1:2] offset:1024
	flat_load_b32 v8, v[1:2] offset:1536
	flat_load_b32 v9, v[1:2] offset:2048
	flat_load_b32 v10, v[1:2] offset:2560
	flat_load_b32 v11, v[1:2] offset:3072
	flat_load_b32 v1, v[1:2] offset:3584
	flat_load_b32 v2, v[3:4]
	flat_load_b32 v12, v[3:4] offset:512
	flat_load_b32 v13, v[3:4] offset:1024
	;; [unrolled: 1-line block ×5, first 2 shown]
	s_waitcnt vmcnt(12) lgkmcnt(0)
	ds_store_2addr_stride64_b32 v17, v5, v6 offset1:2
	s_waitcnt vmcnt(10)
	ds_store_2addr_stride64_b32 v17, v7, v8 offset0:4 offset1:6
	s_waitcnt vmcnt(8)
	ds_store_2addr_stride64_b32 v17, v9, v10 offset0:8 offset1:10
	;; [unrolled: 2-line block ×6, first 2 shown]
	s_waitcnt lgkmcnt(0)
	s_barrier
.LBB606_2:
	s_and_not1_b32 vcc_lo, exec_lo, s8
	s_addk_i32 s12, 0x700
	s_cbranch_vccnz .LBB606_32
; %bb.3:
	s_mov_b32 s8, exec_lo
                                        ; implicit-def: $vgpr1_vgpr2_vgpr3_vgpr4_vgpr5_vgpr6_vgpr7_vgpr8_vgpr9_vgpr10_vgpr11_vgpr12_vgpr13_vgpr14_vgpr15_vgpr16
	v_cmpx_gt_u32_e64 s12, v0
	s_cbranch_execz .LBB606_5
; %bb.4:
	v_add_co_u32 v1, s9, s6, v17
	s_delay_alu instid0(VALU_DEP_1)
	v_add_co_ci_u32_e64 v2, null, s7, 0, s9
	flat_load_b32 v1, v[1:2]
.LBB606_5:
	s_or_b32 exec_lo, exec_lo, s8
	v_or_b32_e32 v15, 0x80, v0
	s_mov_b32 s8, exec_lo
	s_delay_alu instid0(VALU_DEP_1)
	v_cmpx_gt_u32_e64 s12, v15
	s_cbranch_execz .LBB606_7
; %bb.6:
	v_add_co_u32 v15, s9, s6, v17
	s_delay_alu instid0(VALU_DEP_1)
	v_add_co_ci_u32_e64 v16, null, s7, 0, s9
	flat_load_b32 v2, v[15:16] offset:512
.LBB606_7:
	s_or_b32 exec_lo, exec_lo, s8
	v_or_b32_e32 v15, 0x100, v0
	s_mov_b32 s8, exec_lo
	s_delay_alu instid0(VALU_DEP_1)
	v_cmpx_gt_u32_e64 s12, v15
	s_cbranch_execz .LBB606_9
; %bb.8:
	v_add_co_u32 v15, s9, s6, v17
	s_delay_alu instid0(VALU_DEP_1)
	v_add_co_ci_u32_e64 v16, null, s7, 0, s9
	flat_load_b32 v3, v[15:16] offset:1024
.LBB606_9:
	s_or_b32 exec_lo, exec_lo, s8
	v_or_b32_e32 v15, 0x180, v0
	s_mov_b32 s8, exec_lo
	s_delay_alu instid0(VALU_DEP_1)
	v_cmpx_gt_u32_e64 s12, v15
	s_cbranch_execz .LBB606_11
; %bb.10:
	v_add_co_u32 v15, s9, s6, v17
	s_delay_alu instid0(VALU_DEP_1)
	v_add_co_ci_u32_e64 v16, null, s7, 0, s9
	flat_load_b32 v4, v[15:16] offset:1536
.LBB606_11:
	s_or_b32 exec_lo, exec_lo, s8
	v_or_b32_e32 v15, 0x200, v0
	s_mov_b32 s8, exec_lo
	s_delay_alu instid0(VALU_DEP_1)
	v_cmpx_gt_u32_e64 s12, v15
	s_cbranch_execz .LBB606_13
; %bb.12:
	v_add_co_u32 v15, s9, s6, v17
	s_delay_alu instid0(VALU_DEP_1)
	v_add_co_ci_u32_e64 v16, null, s7, 0, s9
	flat_load_b32 v5, v[15:16] offset:2048
.LBB606_13:
	s_or_b32 exec_lo, exec_lo, s8
	v_or_b32_e32 v15, 0x280, v0
	s_mov_b32 s8, exec_lo
	s_delay_alu instid0(VALU_DEP_1)
	v_cmpx_gt_u32_e64 s12, v15
	s_cbranch_execz .LBB606_15
; %bb.14:
	v_add_co_u32 v15, s9, s6, v17
	s_delay_alu instid0(VALU_DEP_1)
	v_add_co_ci_u32_e64 v16, null, s7, 0, s9
	flat_load_b32 v6, v[15:16] offset:2560
.LBB606_15:
	s_or_b32 exec_lo, exec_lo, s8
	v_or_b32_e32 v15, 0x300, v0
	s_mov_b32 s8, exec_lo
	s_delay_alu instid0(VALU_DEP_1)
	v_cmpx_gt_u32_e64 s12, v15
	s_cbranch_execz .LBB606_17
; %bb.16:
	v_add_co_u32 v15, s9, s6, v17
	s_delay_alu instid0(VALU_DEP_1)
	v_add_co_ci_u32_e64 v16, null, s7, 0, s9
	flat_load_b32 v7, v[15:16] offset:3072
.LBB606_17:
	s_or_b32 exec_lo, exec_lo, s8
	v_or_b32_e32 v15, 0x380, v0
	s_mov_b32 s8, exec_lo
	s_delay_alu instid0(VALU_DEP_1)
	v_cmpx_gt_u32_e64 s12, v15
	s_cbranch_execz .LBB606_19
; %bb.18:
	v_add_co_u32 v15, s9, s6, v17
	s_delay_alu instid0(VALU_DEP_1)
	v_add_co_ci_u32_e64 v16, null, s7, 0, s9
	flat_load_b32 v8, v[15:16] offset:3584
.LBB606_19:
	s_or_b32 exec_lo, exec_lo, s8
	v_or_b32_e32 v15, 0x400, v0
	s_mov_b32 s8, exec_lo
	s_delay_alu instid0(VALU_DEP_1)
	v_cmpx_gt_u32_e64 s12, v15
	s_cbranch_execz .LBB606_21
; %bb.20:
	v_lshlrev_b32_e32 v9, 2, v15
	s_delay_alu instid0(VALU_DEP_1) | instskip(NEXT) | instid1(VALU_DEP_1)
	v_add_co_u32 v15, s9, s6, v9
	v_add_co_ci_u32_e64 v16, null, s7, 0, s9
	flat_load_b32 v9, v[15:16]
.LBB606_21:
	s_or_b32 exec_lo, exec_lo, s8
	v_or_b32_e32 v15, 0x480, v0
	s_mov_b32 s8, exec_lo
	s_delay_alu instid0(VALU_DEP_1)
	v_cmpx_gt_u32_e64 s12, v15
	s_cbranch_execz .LBB606_23
; %bb.22:
	v_lshlrev_b32_e32 v10, 2, v15
	s_delay_alu instid0(VALU_DEP_1) | instskip(NEXT) | instid1(VALU_DEP_1)
	v_add_co_u32 v15, s9, s6, v10
	v_add_co_ci_u32_e64 v16, null, s7, 0, s9
	flat_load_b32 v10, v[15:16]
.LBB606_23:
	;; [unrolled: 13-line block ×6, first 2 shown]
	s_or_b32 exec_lo, exec_lo, s8
	s_waitcnt vmcnt(0) lgkmcnt(0)
	ds_store_2addr_stride64_b32 v17, v1, v2 offset1:2
	ds_store_2addr_stride64_b32 v17, v3, v4 offset0:4 offset1:6
	ds_store_2addr_stride64_b32 v17, v5, v6 offset0:8 offset1:10
	;; [unrolled: 1-line block ×6, first 2 shown]
	s_waitcnt lgkmcnt(0)
	s_barrier
.LBB606_32:
	v_mul_u32_u24_e32 v1, 14, v0
	s_waitcnt lgkmcnt(0)
	buffer_gl0_inv
	s_and_not1_b32 vcc_lo, exec_lo, s11
	v_lshlrev_b32_e32 v61, 2, v1
	ds_load_2addr_b64 v[41:44], v61 offset1:1
	ds_load_2addr_b64 v[37:40], v61 offset0:2 offset1:3
	ds_load_2addr_b64 v[33:36], v61 offset0:4 offset1:5
	ds_load_b64 v[49:50], v61 offset:48
	s_waitcnt lgkmcnt(0)
	s_barrier
	buffer_gl0_inv
	s_cbranch_vccnz .LBB606_34
; %bb.33:
	v_mul_lo_u32 v2, 0xaaaaaaab, v41
	v_mul_lo_u32 v3, 0xaaaaaaab, v42
	;; [unrolled: 1-line block ×8, first 2 shown]
	v_cmp_lt_u32_e32 vcc_lo, 0x55555555, v2
	v_mul_lo_u32 v10, 0xaaaaaaab, v33
	v_mul_lo_u32 v11, 0xaaaaaaab, v34
	;; [unrolled: 1-line block ×4, first 2 shown]
	v_cndmask_b32_e64 v2, 0, 1, vcc_lo
	v_cmp_lt_u32_e32 vcc_lo, 0x55555555, v3
	v_mul_lo_u32 v14, 0xaaaaaaab, v49
	v_cndmask_b32_e64 v3, 0, 1, vcc_lo
	v_cmp_lt_u32_e32 vcc_lo, 0x55555555, v4
	s_delay_alu instid0(VALU_DEP_2) | instskip(SKIP_2) | instid1(VALU_DEP_3)
	v_lshlrev_b16 v3, 8, v3
	v_cndmask_b32_e64 v4, 0, 1, vcc_lo
	v_cmp_lt_u32_e32 vcc_lo, 0x55555555, v5
	v_or_b32_e32 v2, v2, v3
	v_cndmask_b32_e64 v5, 0, 1, vcc_lo
	v_cmp_lt_u32_e32 vcc_lo, 0x55555555, v6
	s_delay_alu instid0(VALU_DEP_3) | instskip(NEXT) | instid1(VALU_DEP_3)
	v_and_b32_e32 v2, 0xffff, v2
	v_lshlrev_b16 v5, 8, v5
	v_cndmask_b32_e64 v6, 0, 1, vcc_lo
	v_cmp_lt_u32_e32 vcc_lo, 0x55555555, v7
	s_delay_alu instid0(VALU_DEP_3) | instskip(SKIP_2) | instid1(VALU_DEP_3)
	v_or_b32_e32 v4, v4, v5
	v_cndmask_b32_e64 v7, 0, 1, vcc_lo
	v_cmp_lt_u32_e32 vcc_lo, 0x55555555, v8
	v_lshlrev_b32_e32 v4, 16, v4
	s_delay_alu instid0(VALU_DEP_3) | instskip(SKIP_2) | instid1(VALU_DEP_4)
	v_lshlrev_b16 v7, 8, v7
	v_cndmask_b32_e64 v8, 0, 1, vcc_lo
	v_cmp_lt_u32_e32 vcc_lo, 0x55555555, v9
	v_or_b32_e32 v59, v2, v4
	s_delay_alu instid0(VALU_DEP_4) | instskip(SKIP_2) | instid1(VALU_DEP_3)
	v_or_b32_e32 v5, v6, v7
	v_cndmask_b32_e64 v9, 0, 1, vcc_lo
	v_cmp_lt_u32_e32 vcc_lo, 0x55555555, v10
	v_and_b32_e32 v5, 0xffff, v5
	s_delay_alu instid0(VALU_DEP_3) | instskip(SKIP_2) | instid1(VALU_DEP_3)
	v_lshlrev_b16 v9, 8, v9
	v_cndmask_b32_e64 v10, 0, 1, vcc_lo
	v_cmp_lt_u32_e32 vcc_lo, 0x55555555, v11
	v_or_b32_e32 v6, v8, v9
	v_cndmask_b32_e64 v11, 0, 1, vcc_lo
	v_cmp_lt_u32_e32 vcc_lo, 0x55555555, v12
	s_delay_alu instid0(VALU_DEP_3) | instskip(NEXT) | instid1(VALU_DEP_3)
	v_lshlrev_b32_e32 v6, 16, v6
	v_lshlrev_b16 v11, 8, v11
	v_cndmask_b32_e64 v12, 0, 1, vcc_lo
	v_cmp_lt_u32_e32 vcc_lo, 0x55555555, v13
	v_mul_lo_u32 v13, 0xaaaaaaab, v50
	v_or_b32_e32 v56, v5, v6
	v_or_b32_e32 v7, v10, v11
	v_cndmask_b32_e64 v3, 0, 1, vcc_lo
	v_cmp_lt_u32_e32 vcc_lo, 0x55555555, v14
	s_delay_alu instid0(VALU_DEP_3) | instskip(NEXT) | instid1(VALU_DEP_3)
	v_and_b32_e32 v7, 0xffff, v7
	v_lshlrev_b16 v3, 8, v3
	v_cndmask_b32_e64 v53, 0, 1, vcc_lo
	v_cmp_lt_u32_e32 vcc_lo, 0x55555555, v13
	s_delay_alu instid0(VALU_DEP_3) | instskip(SKIP_1) | instid1(VALU_DEP_2)
	v_or_b32_e32 v3, v12, v3
	v_cndmask_b32_e64 v54, 0, 1, vcc_lo
	v_lshlrev_b32_e32 v3, 16, v3
	s_delay_alu instid0(VALU_DEP_1)
	v_or_b32_e32 v55, v7, v3
	s_clause 0x1
	s_load_b64 s[6:7], s[0:1], 0x28
	s_load_b64 s[8:9], s[0:1], 0x60
	s_cbranch_execz .LBB606_35
	s_branch .LBB606_64
.LBB606_34:
                                        ; implicit-def: $vgpr54
                                        ; implicit-def: $vgpr53
                                        ; implicit-def: $vgpr55
                                        ; implicit-def: $vgpr56
                                        ; implicit-def: $vgpr59
	s_clause 0x1
	s_load_b64 s[6:7], s[0:1], 0x28
	s_load_b64 s[8:9], s[0:1], 0x60
.LBB606_35:
	v_dual_mov_b32 v3, 0 :: v_dual_mov_b32 v2, 0
	s_mov_b32 s0, exec_lo
	v_cmpx_gt_u32_e64 s12, v1
; %bb.36:
	v_mul_lo_u32 v2, 0xaaaaaaab, v41
	s_delay_alu instid0(VALU_DEP_1)
	v_cmp_lt_u32_e32 vcc_lo, 0x55555555, v2
	v_cndmask_b32_e64 v2, 0, 1, vcc_lo
; %bb.37:
	s_or_b32 exec_lo, exec_lo, s0
	v_or_b32_e32 v4, 1, v1
	s_mov_b32 s0, exec_lo
	s_delay_alu instid0(VALU_DEP_1)
	v_cmpx_gt_u32_e64 s12, v4
; %bb.38:
	v_mul_lo_u32 v3, 0xaaaaaaab, v42
	s_delay_alu instid0(VALU_DEP_1)
	v_cmp_lt_u32_e32 vcc_lo, 0x55555555, v3
	v_cndmask_b32_e64 v3, 0, 1, vcc_lo
; %bb.39:
	s_or_b32 exec_lo, exec_lo, s0
	v_dual_mov_b32 v5, 0 :: v_dual_add_nc_u32 v4, 2, v1
	s_delay_alu instid0(VALU_DEP_1)
	v_cmp_gt_u32_e32 vcc_lo, s12, v4
	v_mov_b32_e32 v4, 0
	s_and_saveexec_b32 s0, vcc_lo
; %bb.40:
	v_mul_lo_u32 v4, 0xaaaaaaab, v43
	s_delay_alu instid0(VALU_DEP_1)
	v_cmp_lt_u32_e32 vcc_lo, 0x55555555, v4
	v_cndmask_b32_e64 v4, 0, 1, vcc_lo
; %bb.41:
	s_or_b32 exec_lo, exec_lo, s0
	v_add_nc_u32_e32 v6, 3, v1
	s_mov_b32 s0, exec_lo
	s_delay_alu instid0(VALU_DEP_1)
	v_cmpx_gt_u32_e64 s12, v6
; %bb.42:
	v_mul_lo_u32 v5, 0xaaaaaaab, v44
	s_delay_alu instid0(VALU_DEP_1)
	v_cmp_lt_u32_e32 vcc_lo, 0x55555555, v5
	v_cndmask_b32_e64 v5, 0, 1, vcc_lo
; %bb.43:
	s_or_b32 exec_lo, exec_lo, s0
	v_dual_mov_b32 v7, 0 :: v_dual_add_nc_u32 v6, 4, v1
	s_delay_alu instid0(VALU_DEP_1)
	v_cmp_gt_u32_e32 vcc_lo, s12, v6
	v_mov_b32_e32 v6, 0
	s_and_saveexec_b32 s0, vcc_lo
; %bb.44:
	v_mul_lo_u32 v6, 0xaaaaaaab, v37
	s_delay_alu instid0(VALU_DEP_1)
	v_cmp_lt_u32_e32 vcc_lo, 0x55555555, v6
	v_cndmask_b32_e64 v6, 0, 1, vcc_lo
; %bb.45:
	s_or_b32 exec_lo, exec_lo, s0
	v_add_nc_u32_e32 v8, 5, v1
	;; [unrolled: 23-line block ×5, first 2 shown]
	s_mov_b32 s0, exec_lo
	s_delay_alu instid0(VALU_DEP_1)
	v_cmpx_gt_u32_e64 s12, v14
; %bb.58:
	v_mul_lo_u32 v13, 0xaaaaaaab, v36
	s_delay_alu instid0(VALU_DEP_1)
	v_cmp_lt_u32_e32 vcc_lo, 0x55555555, v13
	v_cndmask_b32_e64 v13, 0, 1, vcc_lo
; %bb.59:
	s_or_b32 exec_lo, exec_lo, s0
	v_dual_mov_b32 v53, 0 :: v_dual_add_nc_u32 v14, 12, v1
	v_mov_b32_e32 v54, 0
	s_mov_b32 s0, exec_lo
	s_delay_alu instid0(VALU_DEP_2)
	v_cmpx_gt_u32_e64 s12, v14
; %bb.60:
	v_mul_lo_u32 v14, 0xaaaaaaab, v49
	s_delay_alu instid0(VALU_DEP_1)
	v_cmp_lt_u32_e32 vcc_lo, 0x55555555, v14
	v_cndmask_b32_e64 v53, 0, 1, vcc_lo
; %bb.61:
	s_or_b32 exec_lo, exec_lo, s0
	v_add_nc_u32_e32 v1, 13, v1
	s_mov_b32 s0, exec_lo
	s_delay_alu instid0(VALU_DEP_1)
	v_cmpx_gt_u32_e64 s12, v1
; %bb.62:
	v_mul_lo_u32 v1, 0xaaaaaaab, v50
	s_delay_alu instid0(VALU_DEP_1)
	v_cmp_lt_u32_e32 vcc_lo, 0x55555555, v1
	v_cndmask_b32_e64 v54, 0, 1, vcc_lo
; %bb.63:
	s_or_b32 exec_lo, exec_lo, s0
	v_lshlrev_b16 v1, 8, v3
	v_lshlrev_b16 v3, 8, v5
	;; [unrolled: 1-line block ×5, first 2 shown]
	v_or_b32_e32 v1, v2, v1
	v_lshlrev_b16 v2, 8, v13
	v_or_b32_e32 v3, v4, v3
	v_or_b32_e32 v4, v6, v5
	;; [unrolled: 1-line block ×5, first 2 shown]
	v_and_b32_e32 v1, 0xffff, v1
	v_lshlrev_b32_e32 v3, 16, v3
	v_and_b32_e32 v4, 0xffff, v4
	v_lshlrev_b32_e32 v5, 16, v5
	;; [unrolled: 2-line block ×3, first 2 shown]
	v_or_b32_e32 v59, v1, v3
	s_delay_alu instid0(VALU_DEP_4) | instskip(NEXT) | instid1(VALU_DEP_3)
	v_or_b32_e32 v56, v4, v5
	v_or_b32_e32 v55, v6, v2
.LBB606_64:
	s_delay_alu instid0(VALU_DEP_3)
	v_dual_mov_b32 v2, 0 :: v_dual_and_b32 v63, 0xff, v59
	v_bfe_u32 v64, v59, 8, 8
	v_bfe_u32 v65, v59, 16, 8
	v_lshrrev_b32_e32 v60, 24, v59
	v_and_b32_e32 v66, 0xff, v56
	v_bfe_u32 v67, v56, 8, 8
	v_add_co_u32 v1, s0, v64, v63
	s_delay_alu instid0(VALU_DEP_1) | instskip(SKIP_1) | instid1(VALU_DEP_3)
	v_add_co_ci_u32_e64 v3, null, 0, 0, s0
	v_bfe_u32 v68, v56, 16, 8
	v_add_co_u32 v1, vcc_lo, v1, v65
	s_delay_alu instid0(VALU_DEP_3) | instskip(SKIP_1) | instid1(VALU_DEP_3)
	v_add_co_ci_u32_e32 v3, vcc_lo, 0, v3, vcc_lo
	v_lshrrev_b32_e32 v58, 24, v56
	v_add_co_u32 v1, vcc_lo, v1, v60
	s_delay_alu instid0(VALU_DEP_3) | instskip(SKIP_1) | instid1(VALU_DEP_3)
	v_add_co_ci_u32_e32 v3, vcc_lo, 0, v3, vcc_lo
	v_and_b32_e32 v69, 0xff, v55
	v_add_co_u32 v1, vcc_lo, v1, v66
	s_delay_alu instid0(VALU_DEP_3) | instskip(SKIP_1) | instid1(VALU_DEP_3)
	v_add_co_ci_u32_e32 v3, vcc_lo, 0, v3, vcc_lo
	v_bfe_u32 v70, v55, 8, 8
	v_add_co_u32 v1, vcc_lo, v1, v67
	s_delay_alu instid0(VALU_DEP_3) | instskip(SKIP_1) | instid1(VALU_DEP_3)
	v_add_co_ci_u32_e32 v3, vcc_lo, 0, v3, vcc_lo
	v_bfe_u32 v71, v55, 16, 8
	v_add_co_u32 v1, vcc_lo, v1, v68
	s_delay_alu instid0(VALU_DEP_3) | instskip(SKIP_1) | instid1(VALU_DEP_3)
	v_add_co_ci_u32_e32 v3, vcc_lo, 0, v3, vcc_lo
	v_lshrrev_b32_e32 v57, 24, v55
	v_add_co_u32 v1, vcc_lo, v1, v58
	s_delay_alu instid0(VALU_DEP_3) | instskip(SKIP_1) | instid1(VALU_DEP_3)
	v_add_co_ci_u32_e32 v3, vcc_lo, 0, v3, vcc_lo
	v_and_b32_e32 v62, 0xff, v53
	v_add_co_u32 v1, vcc_lo, v1, v69
	s_delay_alu instid0(VALU_DEP_3) | instskip(SKIP_1) | instid1(VALU_DEP_3)
	v_add_co_ci_u32_e32 v3, vcc_lo, 0, v3, vcc_lo
	v_mbcnt_lo_u32_b32 v72, -1, 0
	v_add_co_u32 v1, vcc_lo, v1, v70
	s_delay_alu instid0(VALU_DEP_3) | instskip(SKIP_1) | instid1(VALU_DEP_3)
	v_add_co_ci_u32_e32 v3, vcc_lo, 0, v3, vcc_lo
	v_and_b32_e32 v4, 0xff, v54
	v_add_co_u32 v1, vcc_lo, v1, v71
	s_delay_alu instid0(VALU_DEP_3) | instskip(SKIP_1) | instid1(VALU_DEP_3)
	v_add_co_ci_u32_e32 v3, vcc_lo, 0, v3, vcc_lo
	v_and_b32_e32 v73, 15, v72
	v_add_co_u32 v1, vcc_lo, v1, v57
	s_delay_alu instid0(VALU_DEP_3) | instskip(NEXT) | instid1(VALU_DEP_3)
	v_add_co_ci_u32_e32 v3, vcc_lo, 0, v3, vcc_lo
	v_cmp_ne_u32_e64 s0, 0, v73
	s_delay_alu instid0(VALU_DEP_3) | instskip(NEXT) | instid1(VALU_DEP_3)
	v_add_co_u32 v1, vcc_lo, v1, v62
	v_add_co_ci_u32_e32 v3, vcc_lo, 0, v3, vcc_lo
	s_cmp_lg_u32 s15, 0
	s_delay_alu instid0(VALU_DEP_2) | instskip(NEXT) | instid1(VALU_DEP_2)
	v_add_co_u32 v51, vcc_lo, v1, v4
	v_add_co_ci_u32_e32 v52, vcc_lo, 0, v3, vcc_lo
	s_mov_b32 s1, -1
	s_cbranch_scc0 .LBB606_129
; %bb.65:
	s_delay_alu instid0(VALU_DEP_2)
	v_mov_b32_e32 v3, v51
	v_mov_b32_dpp v1, v51 row_shr:1 row_mask:0xf bank_mask:0xf
	v_mov_b32_dpp v6, v2 row_shr:1 row_mask:0xf bank_mask:0xf
	v_dual_mov_b32 v5, v51 :: v_dual_mov_b32 v4, v52
	s_and_saveexec_b32 s1, s0
; %bb.66:
	s_delay_alu instid0(VALU_DEP_3) | instskip(SKIP_1) | instid1(VALU_DEP_2)
	v_add_co_u32 v5, vcc_lo, v51, v1
	v_add_co_ci_u32_e32 v2, vcc_lo, 0, v52, vcc_lo
	v_add_co_u32 v1, vcc_lo, 0, v5
	s_delay_alu instid0(VALU_DEP_2) | instskip(NEXT) | instid1(VALU_DEP_1)
	v_add_co_ci_u32_e32 v2, vcc_lo, v6, v2, vcc_lo
	v_dual_mov_b32 v4, v2 :: v_dual_mov_b32 v3, v1
; %bb.67:
	s_or_b32 exec_lo, exec_lo, s1
	v_mov_b32_dpp v1, v5 row_shr:2 row_mask:0xf bank_mask:0xf
	v_mov_b32_dpp v6, v2 row_shr:2 row_mask:0xf bank_mask:0xf
	s_mov_b32 s1, exec_lo
	v_cmpx_lt_u32_e32 1, v73
; %bb.68:
	s_delay_alu instid0(VALU_DEP_3) | instskip(SKIP_1) | instid1(VALU_DEP_2)
	v_add_co_u32 v5, vcc_lo, v3, v1
	v_add_co_ci_u32_e32 v2, vcc_lo, 0, v4, vcc_lo
	v_add_co_u32 v1, vcc_lo, 0, v5
	s_delay_alu instid0(VALU_DEP_2) | instskip(NEXT) | instid1(VALU_DEP_1)
	v_add_co_ci_u32_e32 v2, vcc_lo, v6, v2, vcc_lo
	v_dual_mov_b32 v4, v2 :: v_dual_mov_b32 v3, v1
; %bb.69:
	s_or_b32 exec_lo, exec_lo, s1
	v_mov_b32_dpp v1, v5 row_shr:4 row_mask:0xf bank_mask:0xf
	v_mov_b32_dpp v6, v2 row_shr:4 row_mask:0xf bank_mask:0xf
	s_mov_b32 s1, exec_lo
	v_cmpx_lt_u32_e32 3, v73
	;; [unrolled: 14-line block ×3, first 2 shown]
; %bb.72:
	s_delay_alu instid0(VALU_DEP_3) | instskip(SKIP_1) | instid1(VALU_DEP_2)
	v_add_co_u32 v5, vcc_lo, v3, v6
	v_add_co_ci_u32_e32 v2, vcc_lo, 0, v4, vcc_lo
	v_add_co_u32 v3, vcc_lo, 0, v5
	s_delay_alu instid0(VALU_DEP_2) | instskip(NEXT) | instid1(VALU_DEP_1)
	v_add_co_ci_u32_e32 v4, vcc_lo, v1, v2, vcc_lo
	v_mov_b32_e32 v2, v4
; %bb.73:
	s_or_b32 exec_lo, exec_lo, s1
	ds_swizzle_b32 v1, v5 offset:swizzle(BROADCAST,32,15)
	ds_swizzle_b32 v6, v2 offset:swizzle(BROADCAST,32,15)
	v_and_b32_e32 v7, 16, v72
	s_mov_b32 s1, exec_lo
	s_delay_alu instid0(VALU_DEP_1)
	v_cmpx_ne_u32_e32 0, v7
	s_cbranch_execz .LBB606_75
; %bb.74:
	s_waitcnt lgkmcnt(0)
	v_add_co_u32 v5, vcc_lo, v3, v1
	v_add_co_ci_u32_e32 v2, vcc_lo, 0, v4, vcc_lo
	s_delay_alu instid0(VALU_DEP_2) | instskip(NEXT) | instid1(VALU_DEP_2)
	v_add_co_u32 v1, vcc_lo, 0, v5
	v_add_co_ci_u32_e32 v2, vcc_lo, v6, v2, vcc_lo
	s_delay_alu instid0(VALU_DEP_1)
	v_dual_mov_b32 v4, v2 :: v_dual_mov_b32 v3, v1
.LBB606_75:
	s_or_b32 exec_lo, exec_lo, s1
	s_waitcnt lgkmcnt(0)
	v_or_b32_e32 v6, 31, v0
	v_lshrrev_b32_e32 v1, 5, v0
	s_mov_b32 s1, exec_lo
	s_delay_alu instid0(VALU_DEP_2)
	v_cmpx_eq_u32_e64 v6, v0
	s_cbranch_execz .LBB606_77
; %bb.76:
	s_delay_alu instid0(VALU_DEP_2)
	v_lshlrev_b32_e32 v6, 3, v1
	ds_store_b64 v6, v[3:4]
.LBB606_77:
	s_or_b32 exec_lo, exec_lo, s1
	s_delay_alu instid0(SALU_CYCLE_1)
	s_mov_b32 s1, exec_lo
	s_waitcnt lgkmcnt(0)
	s_barrier
	buffer_gl0_inv
	v_cmpx_gt_u32_e32 4, v0
	s_cbranch_execz .LBB606_83
; %bb.78:
	v_lshlrev_b32_e32 v6, 3, v0
	s_mov_b32 s12, exec_lo
	ds_load_b64 v[3:4], v6
	s_waitcnt lgkmcnt(0)
	v_dual_mov_b32 v8, v3 :: v_dual_and_b32 v7, 3, v72
	v_mov_b32_dpp v10, v3 row_shr:1 row_mask:0xf bank_mask:0xf
	v_mov_b32_dpp v9, v4 row_shr:1 row_mask:0xf bank_mask:0xf
	s_delay_alu instid0(VALU_DEP_3)
	v_cmpx_ne_u32_e32 0, v7
; %bb.79:
	s_delay_alu instid0(VALU_DEP_3) | instskip(SKIP_1) | instid1(VALU_DEP_2)
	v_add_co_u32 v8, vcc_lo, v3, v10
	v_add_co_ci_u32_e32 v4, vcc_lo, 0, v4, vcc_lo
	v_add_co_u32 v3, vcc_lo, 0, v8
	s_delay_alu instid0(VALU_DEP_2)
	v_add_co_ci_u32_e32 v4, vcc_lo, v9, v4, vcc_lo
; %bb.80:
	s_or_b32 exec_lo, exec_lo, s12
	v_mov_b32_dpp v9, v8 row_shr:2 row_mask:0xf bank_mask:0xf
	s_delay_alu instid0(VALU_DEP_2)
	v_mov_b32_dpp v8, v4 row_shr:2 row_mask:0xf bank_mask:0xf
	s_mov_b32 s12, exec_lo
	v_cmpx_lt_u32_e32 1, v7
; %bb.81:
	s_delay_alu instid0(VALU_DEP_3) | instskip(SKIP_1) | instid1(VALU_DEP_2)
	v_add_co_u32 v3, vcc_lo, v3, v9
	v_add_co_ci_u32_e32 v4, vcc_lo, 0, v4, vcc_lo
	v_add_co_u32 v3, vcc_lo, v3, 0
	s_delay_alu instid0(VALU_DEP_2)
	v_add_co_ci_u32_e32 v4, vcc_lo, v4, v8, vcc_lo
; %bb.82:
	s_or_b32 exec_lo, exec_lo, s12
	ds_store_b64 v6, v[3:4]
.LBB606_83:
	s_or_b32 exec_lo, exec_lo, s1
	v_cmp_gt_u32_e32 vcc_lo, 32, v0
	s_mov_b32 s12, exec_lo
	s_waitcnt lgkmcnt(0)
	s_barrier
	buffer_gl0_inv
                                        ; implicit-def: $vgpr9_vgpr10
	v_cmpx_lt_u32_e32 31, v0
	s_cbranch_execz .LBB606_85
; %bb.84:
	v_lshl_add_u32 v1, v1, 3, -8
	ds_load_b64 v[9:10], v1
	s_waitcnt lgkmcnt(0)
	v_add_co_u32 v5, s1, v5, v9
	s_delay_alu instid0(VALU_DEP_1)
	v_add_co_ci_u32_e64 v2, s1, v2, v10, s1
.LBB606_85:
	s_or_b32 exec_lo, exec_lo, s12
	v_add_nc_u32_e32 v1, -1, v72
	s_delay_alu instid0(VALU_DEP_1) | instskip(NEXT) | instid1(VALU_DEP_1)
	v_cmp_gt_i32_e64 s1, 0, v1
	v_cndmask_b32_e64 v1, v1, v72, s1
	v_cmp_eq_u32_e64 s1, 0, v72
	s_delay_alu instid0(VALU_DEP_2)
	v_lshlrev_b32_e32 v1, 2, v1
	ds_bpermute_b32 v15, v1, v5
	ds_bpermute_b32 v16, v1, v2
	s_and_saveexec_b32 s12, vcc_lo
	s_cbranch_execz .LBB606_128
; %bb.86:
	v_mov_b32_e32 v4, 0
	ds_load_b64 v[1:2], v4 offset:24
	s_and_saveexec_b32 s13, s1
	s_cbranch_execz .LBB606_88
; %bb.87:
	s_add_i32 s16, s15, 32
	s_mov_b32 s17, 0
	s_delay_alu instid0(SALU_CYCLE_1) | instskip(NEXT) | instid1(SALU_CYCLE_1)
	s_lshl_b64 s[16:17], s[16:17], 4
	s_add_u32 s16, s8, s16
	s_addc_u32 s17, s9, s17
	v_mov_b32_e32 v5, s16
	v_dual_mov_b32 v3, 1 :: v_dual_mov_b32 v6, s17
	s_waitcnt lgkmcnt(0)
	;;#ASMSTART
	global_store_dwordx4 v[5:6], v[1:4] off	
s_waitcnt vmcnt(0)
	;;#ASMEND
.LBB606_88:
	s_or_b32 exec_lo, exec_lo, s13
	v_xad_u32 v11, v72, -1, s15
	s_mov_b32 s14, 0
	s_mov_b32 s13, exec_lo
	s_delay_alu instid0(VALU_DEP_1) | instskip(NEXT) | instid1(VALU_DEP_1)
	v_add_nc_u32_e32 v3, 32, v11
	v_lshlrev_b64 v[3:4], 4, v[3:4]
	s_delay_alu instid0(VALU_DEP_1) | instskip(NEXT) | instid1(VALU_DEP_2)
	v_add_co_u32 v3, vcc_lo, s8, v3
	v_add_co_ci_u32_e32 v4, vcc_lo, s9, v4, vcc_lo
	;;#ASMSTART
	global_load_dwordx4 v[5:8], v[3:4] off glc	
s_waitcnt vmcnt(0)
	;;#ASMEND
	v_and_b32_e32 v8, 0xff, v6
	v_and_b32_e32 v12, 0xff00, v6
	v_or3_b32 v5, v5, 0, 0
	v_and_b32_e32 v13, 0xff000000, v6
	v_and_b32_e32 v6, 0xff0000, v6
	s_delay_alu instid0(VALU_DEP_4) | instskip(SKIP_2) | instid1(VALU_DEP_3)
	v_or3_b32 v8, 0, v8, v12
	v_and_b32_e32 v12, 0xff, v7
	v_or3_b32 v5, v5, 0, 0
	v_or3_b32 v6, v8, v6, v13
	s_delay_alu instid0(VALU_DEP_3)
	v_cmpx_eq_u16_e32 0, v12
	s_cbranch_execz .LBB606_94
; %bb.89:
	s_mov_b32 s16, 1
	.p2align	6
.LBB606_90:                             ; =>This Loop Header: Depth=1
                                        ;     Child Loop BB606_91 Depth 2
	s_delay_alu instid0(SALU_CYCLE_1)
	s_max_u32 s17, s16, 1
.LBB606_91:                             ;   Parent Loop BB606_90 Depth=1
                                        ; =>  This Inner Loop Header: Depth=2
	s_delay_alu instid0(SALU_CYCLE_1)
	s_add_i32 s17, s17, -1
	s_sleep 1
	s_cmp_eq_u32 s17, 0
	s_cbranch_scc0 .LBB606_91
; %bb.92:                               ;   in Loop: Header=BB606_90 Depth=1
	;;#ASMSTART
	global_load_dwordx4 v[5:8], v[3:4] off glc	
s_waitcnt vmcnt(0)
	;;#ASMEND
	v_and_b32_e32 v8, 0xff, v7
	s_cmp_lt_u32 s16, 32
	s_cselect_b32 s17, -1, 0
	s_delay_alu instid0(SALU_CYCLE_1) | instskip(NEXT) | instid1(VALU_DEP_1)
	s_cmp_lg_u32 s17, 0
	v_cmp_ne_u16_e32 vcc_lo, 0, v8
	s_addc_u32 s16, s16, 0
	s_or_b32 s14, vcc_lo, s14
	s_delay_alu instid0(SALU_CYCLE_1)
	s_and_not1_b32 exec_lo, exec_lo, s14
	s_cbranch_execnz .LBB606_90
; %bb.93:
	s_or_b32 exec_lo, exec_lo, s14
.LBB606_94:
	s_delay_alu instid0(SALU_CYCLE_1)
	s_or_b32 exec_lo, exec_lo, s13
	v_cmp_ne_u32_e32 vcc_lo, 31, v72
	v_and_b32_e32 v4, 0xff, v7
	v_lshlrev_b32_e64 v18, v72, -1
	s_mov_b32 s13, exec_lo
	v_add_co_ci_u32_e32 v3, vcc_lo, 0, v72, vcc_lo
	s_delay_alu instid0(VALU_DEP_3) | instskip(NEXT) | instid1(VALU_DEP_2)
	v_cmp_eq_u16_e32 vcc_lo, 2, v4
	v_dual_mov_b32 v4, v5 :: v_dual_lshlrev_b32 v17, 2, v3
	v_and_or_b32 v3, vcc_lo, v18, 0x80000000
	ds_bpermute_b32 v12, v17, v5
	ds_bpermute_b32 v8, v17, v6
	v_ctz_i32_b32_e32 v3, v3
	s_delay_alu instid0(VALU_DEP_1)
	v_cmpx_lt_u32_e64 v72, v3
	s_cbranch_execz .LBB606_96
; %bb.95:
	s_waitcnt lgkmcnt(1)
	v_add_co_u32 v4, vcc_lo, v5, v12
	v_add_co_ci_u32_e32 v6, vcc_lo, 0, v6, vcc_lo
	s_delay_alu instid0(VALU_DEP_2) | instskip(SKIP_1) | instid1(VALU_DEP_2)
	v_add_co_u32 v5, vcc_lo, 0, v4
	s_waitcnt lgkmcnt(0)
	v_add_co_ci_u32_e32 v6, vcc_lo, v8, v6, vcc_lo
.LBB606_96:
	s_or_b32 exec_lo, exec_lo, s13
	v_cmp_gt_u32_e32 vcc_lo, 30, v72
	v_add_nc_u32_e32 v20, 2, v72
	s_mov_b32 s13, exec_lo
	s_waitcnt lgkmcnt(0)
	v_cndmask_b32_e64 v8, 0, 1, vcc_lo
	s_delay_alu instid0(VALU_DEP_1) | instskip(NEXT) | instid1(VALU_DEP_1)
	v_lshlrev_b32_e32 v8, 1, v8
	v_add_lshl_u32 v19, v8, v72, 2
	ds_bpermute_b32 v12, v19, v4
	ds_bpermute_b32 v8, v19, v6
	v_cmpx_le_u32_e64 v20, v3
	s_cbranch_execz .LBB606_98
; %bb.97:
	s_waitcnt lgkmcnt(1)
	v_add_co_u32 v4, vcc_lo, v5, v12
	v_add_co_ci_u32_e32 v6, vcc_lo, 0, v6, vcc_lo
	s_delay_alu instid0(VALU_DEP_2) | instskip(SKIP_1) | instid1(VALU_DEP_2)
	v_add_co_u32 v5, vcc_lo, 0, v4
	s_waitcnt lgkmcnt(0)
	v_add_co_ci_u32_e32 v6, vcc_lo, v8, v6, vcc_lo
.LBB606_98:
	s_or_b32 exec_lo, exec_lo, s13
	v_cmp_gt_u32_e32 vcc_lo, 28, v72
	v_add_nc_u32_e32 v22, 4, v72
	s_mov_b32 s13, exec_lo
	s_waitcnt lgkmcnt(0)
	v_cndmask_b32_e64 v8, 0, 1, vcc_lo
	s_delay_alu instid0(VALU_DEP_1) | instskip(NEXT) | instid1(VALU_DEP_1)
	v_lshlrev_b32_e32 v8, 2, v8
	v_add_lshl_u32 v21, v8, v72, 2
	ds_bpermute_b32 v12, v21, v4
	ds_bpermute_b32 v8, v21, v6
	v_cmpx_le_u32_e64 v22, v3
	;; [unrolled: 22-line block ×4, first 2 shown]
	s_cbranch_execz .LBB606_104
; %bb.103:
	s_waitcnt lgkmcnt(1)
	v_add_co_u32 v3, vcc_lo, v5, v8
	v_add_co_ci_u32_e32 v6, vcc_lo, 0, v6, vcc_lo
	s_delay_alu instid0(VALU_DEP_2) | instskip(SKIP_1) | instid1(VALU_DEP_2)
	v_add_co_u32 v5, vcc_lo, v3, 0
	s_waitcnt lgkmcnt(0)
	v_add_co_ci_u32_e32 v6, vcc_lo, v6, v4, vcc_lo
.LBB606_104:
	s_or_b32 exec_lo, exec_lo, s13
	v_mov_b32_e32 v12, 0
	s_branch .LBB606_106
.LBB606_105:                            ;   in Loop: Header=BB606_106 Depth=1
	s_or_b32 exec_lo, exec_lo, s13
	v_add_co_u32 v5, vcc_lo, v5, v3
	v_subrev_nc_u32_e32 v11, 32, v11
	v_add_co_ci_u32_e32 v6, vcc_lo, v6, v4, vcc_lo
.LBB606_106:                            ; =>This Loop Header: Depth=1
                                        ;     Child Loop BB606_109 Depth 2
                                        ;       Child Loop BB606_110 Depth 3
	v_and_b32_e32 v3, 0xff, v7
	s_delay_alu instid0(VALU_DEP_1) | instskip(SKIP_2) | instid1(VALU_DEP_1)
	v_cmp_ne_u16_e32 vcc_lo, 2, v3
	v_cndmask_b32_e64 v3, 0, 1, vcc_lo
	;;#ASMSTART
	;;#ASMEND
	v_cmp_ne_u32_e32 vcc_lo, 0, v3
	s_waitcnt lgkmcnt(0)
	v_dual_mov_b32 v3, v5 :: v_dual_mov_b32 v4, v6
	s_cmp_lg_u32 vcc_lo, exec_lo
	s_cbranch_scc1 .LBB606_123
; %bb.107:                              ;   in Loop: Header=BB606_106 Depth=1
	v_lshlrev_b64 v[5:6], 4, v[11:12]
	s_mov_b32 s13, exec_lo
	s_delay_alu instid0(VALU_DEP_1) | instskip(NEXT) | instid1(VALU_DEP_2)
	v_add_co_u32 v13, vcc_lo, s8, v5
	v_add_co_ci_u32_e32 v14, vcc_lo, s9, v6, vcc_lo
	;;#ASMSTART
	global_load_dwordx4 v[5:8], v[13:14] off glc	
s_waitcnt vmcnt(0)
	;;#ASMEND
	v_and_b32_e32 v8, 0xff, v6
	v_and_b32_e32 v27, 0xff00, v6
	v_or3_b32 v5, v5, 0, 0
	v_and_b32_e32 v28, 0xff000000, v6
	v_and_b32_e32 v6, 0xff0000, v6
	s_delay_alu instid0(VALU_DEP_4) | instskip(SKIP_2) | instid1(VALU_DEP_3)
	v_or3_b32 v8, 0, v8, v27
	v_and_b32_e32 v27, 0xff, v7
	v_or3_b32 v5, v5, 0, 0
	v_or3_b32 v6, v8, v6, v28
	s_delay_alu instid0(VALU_DEP_3)
	v_cmpx_eq_u16_e32 0, v27
	s_cbranch_execz .LBB606_113
; %bb.108:                              ;   in Loop: Header=BB606_106 Depth=1
	s_mov_b32 s16, 1
	s_mov_b32 s14, 0
	.p2align	6
.LBB606_109:                            ;   Parent Loop BB606_106 Depth=1
                                        ; =>  This Loop Header: Depth=2
                                        ;       Child Loop BB606_110 Depth 3
	s_max_u32 s17, s16, 1
.LBB606_110:                            ;   Parent Loop BB606_106 Depth=1
                                        ;     Parent Loop BB606_109 Depth=2
                                        ; =>    This Inner Loop Header: Depth=3
	s_delay_alu instid0(SALU_CYCLE_1)
	s_add_i32 s17, s17, -1
	s_sleep 1
	s_cmp_eq_u32 s17, 0
	s_cbranch_scc0 .LBB606_110
; %bb.111:                              ;   in Loop: Header=BB606_109 Depth=2
	;;#ASMSTART
	global_load_dwordx4 v[5:8], v[13:14] off glc	
s_waitcnt vmcnt(0)
	;;#ASMEND
	v_and_b32_e32 v8, 0xff, v7
	s_cmp_lt_u32 s16, 32
	s_cselect_b32 s17, -1, 0
	s_delay_alu instid0(SALU_CYCLE_1) | instskip(NEXT) | instid1(VALU_DEP_1)
	s_cmp_lg_u32 s17, 0
	v_cmp_ne_u16_e32 vcc_lo, 0, v8
	s_addc_u32 s16, s16, 0
	s_or_b32 s14, vcc_lo, s14
	s_delay_alu instid0(SALU_CYCLE_1)
	s_and_not1_b32 exec_lo, exec_lo, s14
	s_cbranch_execnz .LBB606_109
; %bb.112:                              ;   in Loop: Header=BB606_106 Depth=1
	s_or_b32 exec_lo, exec_lo, s14
.LBB606_113:                            ;   in Loop: Header=BB606_106 Depth=1
	s_delay_alu instid0(SALU_CYCLE_1)
	s_or_b32 exec_lo, exec_lo, s13
	v_dual_mov_b32 v13, v5 :: v_dual_and_b32 v8, 0xff, v7
	ds_bpermute_b32 v27, v17, v5
	ds_bpermute_b32 v14, v17, v6
	s_mov_b32 s13, exec_lo
	v_cmp_eq_u16_e32 vcc_lo, 2, v8
	v_and_or_b32 v8, vcc_lo, v18, 0x80000000
	s_delay_alu instid0(VALU_DEP_1) | instskip(NEXT) | instid1(VALU_DEP_1)
	v_ctz_i32_b32_e32 v8, v8
	v_cmpx_lt_u32_e64 v72, v8
	s_cbranch_execz .LBB606_115
; %bb.114:                              ;   in Loop: Header=BB606_106 Depth=1
	s_waitcnt lgkmcnt(1)
	v_add_co_u32 v13, vcc_lo, v5, v27
	v_add_co_ci_u32_e32 v6, vcc_lo, 0, v6, vcc_lo
	s_delay_alu instid0(VALU_DEP_2) | instskip(SKIP_1) | instid1(VALU_DEP_2)
	v_add_co_u32 v5, vcc_lo, 0, v13
	s_waitcnt lgkmcnt(0)
	v_add_co_ci_u32_e32 v6, vcc_lo, v14, v6, vcc_lo
.LBB606_115:                            ;   in Loop: Header=BB606_106 Depth=1
	s_or_b32 exec_lo, exec_lo, s13
	s_waitcnt lgkmcnt(1)
	ds_bpermute_b32 v27, v19, v13
	s_waitcnt lgkmcnt(1)
	ds_bpermute_b32 v14, v19, v6
	s_mov_b32 s13, exec_lo
	v_cmpx_le_u32_e64 v20, v8
	s_cbranch_execz .LBB606_117
; %bb.116:                              ;   in Loop: Header=BB606_106 Depth=1
	s_waitcnt lgkmcnt(1)
	v_add_co_u32 v13, vcc_lo, v5, v27
	v_add_co_ci_u32_e32 v6, vcc_lo, 0, v6, vcc_lo
	s_delay_alu instid0(VALU_DEP_2) | instskip(SKIP_1) | instid1(VALU_DEP_2)
	v_add_co_u32 v5, vcc_lo, 0, v13
	s_waitcnt lgkmcnt(0)
	v_add_co_ci_u32_e32 v6, vcc_lo, v14, v6, vcc_lo
.LBB606_117:                            ;   in Loop: Header=BB606_106 Depth=1
	s_or_b32 exec_lo, exec_lo, s13
	s_waitcnt lgkmcnt(1)
	ds_bpermute_b32 v27, v21, v13
	s_waitcnt lgkmcnt(1)
	ds_bpermute_b32 v14, v21, v6
	s_mov_b32 s13, exec_lo
	v_cmpx_le_u32_e64 v22, v8
	;; [unrolled: 17-line block ×3, first 2 shown]
	s_cbranch_execz .LBB606_121
; %bb.120:                              ;   in Loop: Header=BB606_106 Depth=1
	s_waitcnt lgkmcnt(1)
	v_add_co_u32 v13, vcc_lo, v5, v27
	v_add_co_ci_u32_e32 v6, vcc_lo, 0, v6, vcc_lo
	s_delay_alu instid0(VALU_DEP_2) | instskip(SKIP_1) | instid1(VALU_DEP_2)
	v_add_co_u32 v5, vcc_lo, 0, v13
	s_waitcnt lgkmcnt(0)
	v_add_co_ci_u32_e32 v6, vcc_lo, v14, v6, vcc_lo
.LBB606_121:                            ;   in Loop: Header=BB606_106 Depth=1
	s_or_b32 exec_lo, exec_lo, s13
	s_waitcnt lgkmcnt(0)
	ds_bpermute_b32 v14, v25, v13
	ds_bpermute_b32 v13, v25, v6
	s_mov_b32 s13, exec_lo
	v_cmpx_le_u32_e64 v26, v8
	s_cbranch_execz .LBB606_105
; %bb.122:                              ;   in Loop: Header=BB606_106 Depth=1
	s_waitcnt lgkmcnt(1)
	v_add_co_u32 v5, vcc_lo, v5, v14
	v_add_co_ci_u32_e32 v6, vcc_lo, 0, v6, vcc_lo
	s_delay_alu instid0(VALU_DEP_2) | instskip(SKIP_1) | instid1(VALU_DEP_2)
	v_add_co_u32 v5, vcc_lo, v5, 0
	s_waitcnt lgkmcnt(0)
	v_add_co_ci_u32_e32 v6, vcc_lo, v6, v13, vcc_lo
	s_branch .LBB606_105
.LBB606_123:                            ;   in Loop: Header=BB606_106 Depth=1
                                        ; implicit-def: $vgpr5_vgpr6
	s_cbranch_execz .LBB606_106
; %bb.124:
	s_and_saveexec_b32 s13, s1
	s_cbranch_execz .LBB606_126
; %bb.125:
	s_add_i32 s14, s15, 32
	s_mov_b32 s15, 0
	v_add_co_u32 v5, vcc_lo, v3, v1
	s_lshl_b64 s[14:15], s[14:15], 4
	v_dual_mov_b32 v7, 2 :: v_dual_mov_b32 v8, 0
	s_add_u32 s14, s8, s14
	s_addc_u32 s15, s9, s15
	v_add_co_ci_u32_e32 v6, vcc_lo, v4, v2, vcc_lo
	v_dual_mov_b32 v11, s14 :: v_dual_mov_b32 v12, s15
	;;#ASMSTART
	global_store_dwordx4 v[11:12], v[5:8] off	
s_waitcnt vmcnt(0)
	;;#ASMEND
	ds_store_b128 v8, v[1:4] offset:7168
.LBB606_126:
	s_or_b32 exec_lo, exec_lo, s13
	v_cmp_eq_u32_e32 vcc_lo, 0, v0
	s_and_b32 exec_lo, exec_lo, vcc_lo
	s_cbranch_execz .LBB606_128
; %bb.127:
	v_mov_b32_e32 v1, 0
	ds_store_b64 v1, v[3:4] offset:24
.LBB606_128:
	s_or_b32 exec_lo, exec_lo, s12
	s_waitcnt lgkmcnt(0)
	v_cndmask_b32_e64 v4, v16, v10, s1
	v_cmp_ne_u32_e32 vcc_lo, 0, v0
	v_mov_b32_e32 v21, 0
	s_barrier
	buffer_gl0_inv
	v_cndmask_b32_e32 v4, 0, v4, vcc_lo
	ds_load_b64 v[1:2], v21 offset:24
	v_cndmask_b32_e64 v3, v15, v9, s1
	s_waitcnt lgkmcnt(0)
	s_barrier
	buffer_gl0_inv
	ds_load_b128 v[45:48], v21 offset:7168
	v_cndmask_b32_e32 v3, 0, v3, vcc_lo
	s_delay_alu instid0(VALU_DEP_1) | instskip(SKIP_1) | instid1(VALU_DEP_2)
	v_add_co_u32 v1, vcc_lo, v1, v3
	v_add_co_ci_u32_e32 v2, vcc_lo, v2, v4, vcc_lo
	v_add_co_u32 v3, vcc_lo, v1, v63
	s_delay_alu instid0(VALU_DEP_2) | instskip(NEXT) | instid1(VALU_DEP_2)
	v_add_co_ci_u32_e32 v4, vcc_lo, 0, v2, vcc_lo
	v_add_co_u32 v5, vcc_lo, v3, v64
	s_delay_alu instid0(VALU_DEP_2) | instskip(NEXT) | instid1(VALU_DEP_2)
	v_add_co_ci_u32_e32 v6, vcc_lo, 0, v4, vcc_lo
	v_add_co_u32 v7, vcc_lo, v5, v65
	s_delay_alu instid0(VALU_DEP_2) | instskip(NEXT) | instid1(VALU_DEP_2)
	v_add_co_ci_u32_e32 v8, vcc_lo, 0, v6, vcc_lo
	v_add_co_u32 v9, vcc_lo, v7, v60
	s_delay_alu instid0(VALU_DEP_2) | instskip(NEXT) | instid1(VALU_DEP_2)
	v_add_co_ci_u32_e32 v10, vcc_lo, 0, v8, vcc_lo
	v_add_co_u32 v11, vcc_lo, v9, v66
	s_delay_alu instid0(VALU_DEP_2) | instskip(NEXT) | instid1(VALU_DEP_2)
	v_add_co_ci_u32_e32 v12, vcc_lo, 0, v10, vcc_lo
	v_add_co_u32 v13, vcc_lo, v11, v67
	s_delay_alu instid0(VALU_DEP_2) | instskip(NEXT) | instid1(VALU_DEP_2)
	v_add_co_ci_u32_e32 v14, vcc_lo, 0, v12, vcc_lo
	v_add_co_u32 v15, vcc_lo, v13, v68
	s_delay_alu instid0(VALU_DEP_2) | instskip(NEXT) | instid1(VALU_DEP_2)
	v_add_co_ci_u32_e32 v16, vcc_lo, 0, v14, vcc_lo
	v_add_co_u32 v17, vcc_lo, v15, v58
	s_delay_alu instid0(VALU_DEP_2) | instskip(NEXT) | instid1(VALU_DEP_2)
	v_add_co_ci_u32_e32 v18, vcc_lo, 0, v16, vcc_lo
	v_add_co_u32 v19, vcc_lo, v17, v69
	s_delay_alu instid0(VALU_DEP_2) | instskip(NEXT) | instid1(VALU_DEP_2)
	v_add_co_ci_u32_e32 v20, vcc_lo, 0, v18, vcc_lo
	v_add_co_u32 v21, vcc_lo, v19, v70
	s_delay_alu instid0(VALU_DEP_2) | instskip(NEXT) | instid1(VALU_DEP_2)
	v_add_co_ci_u32_e32 v22, vcc_lo, 0, v20, vcc_lo
	v_add_co_u32 v23, vcc_lo, v21, v71
	s_delay_alu instid0(VALU_DEP_2) | instskip(NEXT) | instid1(VALU_DEP_2)
	v_add_co_ci_u32_e32 v24, vcc_lo, 0, v22, vcc_lo
	v_add_co_u32 v25, vcc_lo, v23, v57
	s_delay_alu instid0(VALU_DEP_2) | instskip(NEXT) | instid1(VALU_DEP_2)
	v_add_co_ci_u32_e32 v26, vcc_lo, 0, v24, vcc_lo
	v_add_co_u32 v27, vcc_lo, v25, v62
	s_delay_alu instid0(VALU_DEP_2)
	v_add_co_ci_u32_e32 v28, vcc_lo, 0, v26, vcc_lo
	s_branch .LBB606_153
.LBB606_129:
                                        ; implicit-def: $vgpr47_vgpr48
                                        ; implicit-def: $vgpr1_vgpr2_vgpr3_vgpr4_vgpr5_vgpr6_vgpr7_vgpr8_vgpr9_vgpr10_vgpr11_vgpr12_vgpr13_vgpr14_vgpr15_vgpr16_vgpr17_vgpr18_vgpr19_vgpr20_vgpr21_vgpr22_vgpr23_vgpr24_vgpr25_vgpr26_vgpr27_vgpr28_vgpr29_vgpr30_vgpr31_vgpr32
	s_and_b32 vcc_lo, exec_lo, s1
	s_cbranch_vccz .LBB606_153
; %bb.130:
	v_dual_mov_b32 v2, 0 :: v_dual_mov_b32 v3, v51
	v_mov_b32_dpp v4, v51 row_shr:1 row_mask:0xf bank_mask:0xf
	s_delay_alu instid0(VALU_DEP_2)
	v_mov_b32_dpp v1, v2 row_shr:1 row_mask:0xf bank_mask:0xf
	s_and_saveexec_b32 s1, s0
; %bb.131:
	s_delay_alu instid0(VALU_DEP_2) | instskip(SKIP_1) | instid1(VALU_DEP_2)
	v_add_co_u32 v3, vcc_lo, v51, v4
	v_add_co_ci_u32_e32 v2, vcc_lo, 0, v52, vcc_lo
	v_add_co_u32 v51, vcc_lo, 0, v3
	s_delay_alu instid0(VALU_DEP_2) | instskip(NEXT) | instid1(VALU_DEP_1)
	v_add_co_ci_u32_e32 v52, vcc_lo, v1, v2, vcc_lo
	v_mov_b32_e32 v2, v52
; %bb.132:
	s_or_b32 exec_lo, exec_lo, s1
	v_mov_b32_dpp v1, v3 row_shr:2 row_mask:0xf bank_mask:0xf
	s_delay_alu instid0(VALU_DEP_2)
	v_mov_b32_dpp v4, v2 row_shr:2 row_mask:0xf bank_mask:0xf
	s_mov_b32 s0, exec_lo
	v_cmpx_lt_u32_e32 1, v73
; %bb.133:
	s_delay_alu instid0(VALU_DEP_3) | instskip(SKIP_1) | instid1(VALU_DEP_2)
	v_add_co_u32 v3, vcc_lo, v51, v1
	v_add_co_ci_u32_e32 v2, vcc_lo, 0, v52, vcc_lo
	v_add_co_u32 v1, vcc_lo, 0, v3
	s_delay_alu instid0(VALU_DEP_2) | instskip(NEXT) | instid1(VALU_DEP_1)
	v_add_co_ci_u32_e32 v2, vcc_lo, v4, v2, vcc_lo
	v_dual_mov_b32 v52, v2 :: v_dual_mov_b32 v51, v1
; %bb.134:
	s_or_b32 exec_lo, exec_lo, s0
	v_mov_b32_dpp v1, v3 row_shr:4 row_mask:0xf bank_mask:0xf
	v_mov_b32_dpp v4, v2 row_shr:4 row_mask:0xf bank_mask:0xf
	s_mov_b32 s0, exec_lo
	v_cmpx_lt_u32_e32 3, v73
; %bb.135:
	s_delay_alu instid0(VALU_DEP_3) | instskip(SKIP_1) | instid1(VALU_DEP_2)
	v_add_co_u32 v3, vcc_lo, v51, v1
	v_add_co_ci_u32_e32 v2, vcc_lo, 0, v52, vcc_lo
	v_add_co_u32 v1, vcc_lo, 0, v3
	s_delay_alu instid0(VALU_DEP_2) | instskip(NEXT) | instid1(VALU_DEP_1)
	v_add_co_ci_u32_e32 v2, vcc_lo, v4, v2, vcc_lo
	v_dual_mov_b32 v52, v2 :: v_dual_mov_b32 v51, v1
; %bb.136:
	s_or_b32 exec_lo, exec_lo, s0
	v_mov_b32_dpp v4, v3 row_shr:8 row_mask:0xf bank_mask:0xf
	v_mov_b32_dpp v1, v2 row_shr:8 row_mask:0xf bank_mask:0xf
	s_mov_b32 s0, exec_lo
	v_cmpx_lt_u32_e32 7, v73
; %bb.137:
	s_delay_alu instid0(VALU_DEP_3) | instskip(SKIP_1) | instid1(VALU_DEP_2)
	v_add_co_u32 v3, vcc_lo, v51, v4
	v_add_co_ci_u32_e32 v2, vcc_lo, 0, v52, vcc_lo
	v_add_co_u32 v51, vcc_lo, 0, v3
	s_delay_alu instid0(VALU_DEP_2) | instskip(NEXT) | instid1(VALU_DEP_1)
	v_add_co_ci_u32_e32 v52, vcc_lo, v1, v2, vcc_lo
	v_mov_b32_e32 v2, v52
; %bb.138:
	s_or_b32 exec_lo, exec_lo, s0
	ds_swizzle_b32 v3, v3 offset:swizzle(BROADCAST,32,15)
	ds_swizzle_b32 v1, v2 offset:swizzle(BROADCAST,32,15)
	v_and_b32_e32 v2, 16, v72
	s_mov_b32 s0, exec_lo
	s_delay_alu instid0(VALU_DEP_1)
	v_cmpx_ne_u32_e32 0, v2
	s_cbranch_execz .LBB606_140
; %bb.139:
	s_waitcnt lgkmcnt(0)
	v_add_co_u32 v2, vcc_lo, v51, v3
	v_add_co_ci_u32_e32 v3, vcc_lo, 0, v52, vcc_lo
	s_delay_alu instid0(VALU_DEP_2) | instskip(NEXT) | instid1(VALU_DEP_2)
	v_add_co_u32 v51, vcc_lo, v2, 0
	v_add_co_ci_u32_e32 v52, vcc_lo, v3, v1, vcc_lo
.LBB606_140:
	s_or_b32 exec_lo, exec_lo, s0
	s_waitcnt lgkmcnt(0)
	v_or_b32_e32 v1, 31, v0
	v_lshrrev_b32_e32 v3, 5, v0
	s_mov_b32 s0, exec_lo
	s_delay_alu instid0(VALU_DEP_2)
	v_cmpx_eq_u32_e64 v1, v0
	s_cbranch_execz .LBB606_142
; %bb.141:
	s_delay_alu instid0(VALU_DEP_2)
	v_lshlrev_b32_e32 v1, 3, v3
	ds_store_b64 v1, v[51:52]
.LBB606_142:
	s_or_b32 exec_lo, exec_lo, s0
	s_delay_alu instid0(SALU_CYCLE_1)
	s_mov_b32 s0, exec_lo
	s_waitcnt lgkmcnt(0)
	s_barrier
	buffer_gl0_inv
	v_cmpx_gt_u32_e32 4, v0
	s_cbranch_execz .LBB606_148
; %bb.143:
	v_mad_i32_i24 v1, 0xffffffd0, v0, v61
	s_mov_b32 s1, exec_lo
	ds_load_b64 v[1:2], v1
	s_waitcnt lgkmcnt(0)
	v_dual_mov_b32 v5, v1 :: v_dual_and_b32 v4, 3, v72
	v_mov_b32_dpp v7, v1 row_shr:1 row_mask:0xf bank_mask:0xf
	v_mov_b32_dpp v6, v2 row_shr:1 row_mask:0xf bank_mask:0xf
	s_delay_alu instid0(VALU_DEP_3)
	v_cmpx_ne_u32_e32 0, v4
; %bb.144:
	s_delay_alu instid0(VALU_DEP_3) | instskip(SKIP_1) | instid1(VALU_DEP_2)
	v_add_co_u32 v5, vcc_lo, v1, v7
	v_add_co_ci_u32_e32 v2, vcc_lo, 0, v2, vcc_lo
	v_add_co_u32 v1, vcc_lo, 0, v5
	s_delay_alu instid0(VALU_DEP_2)
	v_add_co_ci_u32_e32 v2, vcc_lo, v6, v2, vcc_lo
; %bb.145:
	s_or_b32 exec_lo, exec_lo, s1
	v_mul_i32_i24_e32 v6, 0xffffffd0, v0
	v_mov_b32_dpp v7, v5 row_shr:2 row_mask:0xf bank_mask:0xf
	s_delay_alu instid0(VALU_DEP_3)
	v_mov_b32_dpp v5, v2 row_shr:2 row_mask:0xf bank_mask:0xf
	s_mov_b32 s1, exec_lo
	v_cmpx_lt_u32_e32 1, v4
; %bb.146:
	s_delay_alu instid0(VALU_DEP_3) | instskip(SKIP_1) | instid1(VALU_DEP_2)
	v_add_co_u32 v1, vcc_lo, v1, v7
	v_add_co_ci_u32_e32 v2, vcc_lo, 0, v2, vcc_lo
	v_add_co_u32 v1, vcc_lo, v1, 0
	s_delay_alu instid0(VALU_DEP_2)
	v_add_co_ci_u32_e32 v2, vcc_lo, v2, v5, vcc_lo
; %bb.147:
	s_or_b32 exec_lo, exec_lo, s1
	v_add_nc_u32_e32 v4, v61, v6
	ds_store_b64 v4, v[1:2]
.LBB606_148:
	s_or_b32 exec_lo, exec_lo, s0
	v_mov_b32_e32 v1, 0
	v_mov_b32_e32 v2, 0
	s_mov_b32 s0, exec_lo
	s_waitcnt lgkmcnt(0)
	s_barrier
	buffer_gl0_inv
	v_cmpx_lt_u32_e32 31, v0
	s_cbranch_execz .LBB606_150
; %bb.149:
	v_lshl_add_u32 v1, v3, 3, -8
	ds_load_b64 v[1:2], v1
.LBB606_150:
	s_or_b32 exec_lo, exec_lo, s0
	v_dual_mov_b32 v48, 0 :: v_dual_add_nc_u32 v3, -1, v72
	s_delay_alu instid0(VALU_DEP_1) | instskip(SKIP_2) | instid1(VALU_DEP_1)
	v_cmp_gt_i32_e32 vcc_lo, 0, v3
	ds_load_b64 v[45:46], v48 offset:24
	v_cndmask_b32_e32 v3, v3, v72, vcc_lo
	v_lshlrev_b32_e32 v4, 2, v3
	s_waitcnt lgkmcnt(1)
	v_add_co_u32 v3, vcc_lo, v1, v51
	v_add_co_ci_u32_e32 v5, vcc_lo, v2, v52, vcc_lo
	v_cmp_eq_u32_e32 vcc_lo, 0, v0
	ds_bpermute_b32 v3, v4, v3
	ds_bpermute_b32 v4, v4, v5
	s_and_saveexec_b32 s0, vcc_lo
	s_cbranch_execz .LBB606_152
; %bb.151:
	s_add_u32 s8, s8, 0x200
	s_addc_u32 s9, s9, 0
	v_mov_b32_e32 v5, s8
	v_dual_mov_b32 v47, 2 :: v_dual_mov_b32 v6, s9
	s_waitcnt lgkmcnt(2)
	;;#ASMSTART
	global_store_dwordx4 v[5:6], v[45:48] off	
s_waitcnt vmcnt(0)
	;;#ASMEND
.LBB606_152:
	s_or_b32 exec_lo, exec_lo, s0
	v_cmp_eq_u32_e64 s0, 0, v72
	v_mov_b32_e32 v47, 0
	v_mov_b32_e32 v48, 0
	s_waitcnt lgkmcnt(0)
	s_barrier
	v_cndmask_b32_e64 v1, v3, v1, s0
	v_cndmask_b32_e64 v2, v4, v2, s0
	buffer_gl0_inv
	v_cndmask_b32_e64 v1, v1, 0, vcc_lo
	v_cndmask_b32_e64 v2, v2, 0, vcc_lo
	s_delay_alu instid0(VALU_DEP_2) | instskip(NEXT) | instid1(VALU_DEP_2)
	v_add_co_u32 v3, vcc_lo, v1, v63
	v_add_co_ci_u32_e32 v4, vcc_lo, 0, v2, vcc_lo
	s_delay_alu instid0(VALU_DEP_2) | instskip(NEXT) | instid1(VALU_DEP_2)
	v_add_co_u32 v5, vcc_lo, v3, v64
	v_add_co_ci_u32_e32 v6, vcc_lo, 0, v4, vcc_lo
	s_delay_alu instid0(VALU_DEP_2) | instskip(NEXT) | instid1(VALU_DEP_2)
	v_add_co_u32 v7, vcc_lo, v5, v65
	v_add_co_ci_u32_e32 v8, vcc_lo, 0, v6, vcc_lo
	s_delay_alu instid0(VALU_DEP_2) | instskip(NEXT) | instid1(VALU_DEP_2)
	v_add_co_u32 v9, vcc_lo, v7, v60
	v_add_co_ci_u32_e32 v10, vcc_lo, 0, v8, vcc_lo
	s_delay_alu instid0(VALU_DEP_2) | instskip(NEXT) | instid1(VALU_DEP_2)
	v_add_co_u32 v11, vcc_lo, v9, v66
	v_add_co_ci_u32_e32 v12, vcc_lo, 0, v10, vcc_lo
	s_delay_alu instid0(VALU_DEP_2) | instskip(NEXT) | instid1(VALU_DEP_2)
	v_add_co_u32 v13, vcc_lo, v11, v67
	v_add_co_ci_u32_e32 v14, vcc_lo, 0, v12, vcc_lo
	s_delay_alu instid0(VALU_DEP_2) | instskip(NEXT) | instid1(VALU_DEP_2)
	v_add_co_u32 v15, vcc_lo, v13, v68
	v_add_co_ci_u32_e32 v16, vcc_lo, 0, v14, vcc_lo
	s_delay_alu instid0(VALU_DEP_2) | instskip(NEXT) | instid1(VALU_DEP_2)
	v_add_co_u32 v17, vcc_lo, v15, v58
	v_add_co_ci_u32_e32 v18, vcc_lo, 0, v16, vcc_lo
	s_delay_alu instid0(VALU_DEP_2) | instskip(NEXT) | instid1(VALU_DEP_2)
	v_add_co_u32 v19, vcc_lo, v17, v69
	v_add_co_ci_u32_e32 v20, vcc_lo, 0, v18, vcc_lo
	s_delay_alu instid0(VALU_DEP_2) | instskip(NEXT) | instid1(VALU_DEP_2)
	v_add_co_u32 v21, vcc_lo, v19, v70
	v_add_co_ci_u32_e32 v22, vcc_lo, 0, v20, vcc_lo
	s_delay_alu instid0(VALU_DEP_2) | instskip(NEXT) | instid1(VALU_DEP_2)
	v_add_co_u32 v23, vcc_lo, v21, v71
	v_add_co_ci_u32_e32 v24, vcc_lo, 0, v22, vcc_lo
	s_delay_alu instid0(VALU_DEP_2) | instskip(NEXT) | instid1(VALU_DEP_2)
	v_add_co_u32 v25, vcc_lo, v23, v57
	v_add_co_ci_u32_e32 v26, vcc_lo, 0, v24, vcc_lo
	s_delay_alu instid0(VALU_DEP_2) | instskip(NEXT) | instid1(VALU_DEP_2)
	v_add_co_u32 v27, vcc_lo, v25, v62
	v_add_co_ci_u32_e32 v28, vcc_lo, 0, v26, vcc_lo
.LBB606_153:
	s_waitcnt lgkmcnt(0)
	v_cmp_gt_u64_e32 vcc_lo, 0x81, v[45:46]
	v_lshrrev_b32_e32 v51, 16, v56
	v_lshrrev_b32_e32 v52, 8, v56
	;; [unrolled: 1-line block ×6, first 2 shown]
	s_mov_b32 s0, -1
	s_cbranch_vccnz .LBB606_157
; %bb.154:
	s_and_b32 vcc_lo, exec_lo, s0
	s_cbranch_vccnz .LBB606_200
.LBB606_155:
	v_cmp_eq_u32_e32 vcc_lo, 0, v0
	s_and_b32 s0, vcc_lo, s10
	s_delay_alu instid0(SALU_CYCLE_1)
	s_and_saveexec_b32 s1, s0
	s_cbranch_execnz .LBB606_232
.LBB606_156:
	s_nop 0
	s_sendmsg sendmsg(MSG_DEALLOC_VGPRS)
	s_endpgm
.LBB606_157:
	v_add_co_u32 v29, vcc_lo, v47, v45
	v_add_co_ci_u32_e32 v30, vcc_lo, v48, v46, vcc_lo
	s_lshl_b64 s[0:1], s[2:3], 2
	s_delay_alu instid0(SALU_CYCLE_1) | instskip(NEXT) | instid1(VALU_DEP_1)
	s_add_u32 s0, s6, s0
	v_cmp_lt_u64_e32 vcc_lo, v[1:2], v[29:30]
	s_addc_u32 s1, s7, s1
	s_or_b32 s9, s11, vcc_lo
	s_delay_alu instid0(SALU_CYCLE_1)
	s_and_saveexec_b32 s8, s9
	s_cbranch_execz .LBB606_160
; %bb.158:
	v_and_b32_e32 v63, 1, v59
	s_delay_alu instid0(VALU_DEP_1)
	v_cmp_eq_u32_e32 vcc_lo, 1, v63
	s_and_b32 exec_lo, exec_lo, vcc_lo
	s_cbranch_execz .LBB606_160
; %bb.159:
	v_lshlrev_b64 v[63:64], 2, v[1:2]
	s_delay_alu instid0(VALU_DEP_1) | instskip(NEXT) | instid1(VALU_DEP_2)
	v_add_co_u32 v63, vcc_lo, s0, v63
	v_add_co_ci_u32_e32 v64, vcc_lo, s1, v64, vcc_lo
	global_store_b32 v[63:64], v41, off
.LBB606_160:
	s_or_b32 exec_lo, exec_lo, s8
	v_cmp_lt_u64_e32 vcc_lo, v[3:4], v[29:30]
	s_or_b32 s9, s11, vcc_lo
	s_delay_alu instid0(SALU_CYCLE_1)
	s_and_saveexec_b32 s8, s9
	s_cbranch_execz .LBB606_163
; %bb.161:
	v_and_b32_e32 v2, 1, v62
	s_delay_alu instid0(VALU_DEP_1)
	v_cmp_eq_u32_e32 vcc_lo, 1, v2
	s_and_b32 exec_lo, exec_lo, vcc_lo
	s_cbranch_execz .LBB606_163
; %bb.162:
	v_lshlrev_b64 v[63:64], 2, v[3:4]
	s_delay_alu instid0(VALU_DEP_1) | instskip(NEXT) | instid1(VALU_DEP_2)
	v_add_co_u32 v63, vcc_lo, s0, v63
	v_add_co_ci_u32_e32 v64, vcc_lo, s1, v64, vcc_lo
	global_store_b32 v[63:64], v42, off
.LBB606_163:
	s_or_b32 exec_lo, exec_lo, s8
	v_cmp_lt_u64_e32 vcc_lo, v[5:6], v[29:30]
	;; [unrolled: 19-line block ×13, first 2 shown]
	s_or_b32 s9, s11, vcc_lo
	s_delay_alu instid0(SALU_CYCLE_1)
	s_and_saveexec_b32 s8, s9
	s_cbranch_execz .LBB606_199
; %bb.197:
	v_and_b32_e32 v2, 1, v54
	s_delay_alu instid0(VALU_DEP_1)
	v_cmp_eq_u32_e32 vcc_lo, 1, v2
	s_and_b32 exec_lo, exec_lo, vcc_lo
	s_cbranch_execz .LBB606_199
; %bb.198:
	v_lshlrev_b64 v[28:29], 2, v[27:28]
	s_delay_alu instid0(VALU_DEP_1) | instskip(NEXT) | instid1(VALU_DEP_2)
	v_add_co_u32 v28, vcc_lo, s0, v28
	v_add_co_ci_u32_e32 v29, vcc_lo, s1, v29, vcc_lo
	global_store_b32 v[28:29], v50, off
.LBB606_199:
	s_or_b32 exec_lo, exec_lo, s8
	s_branch .LBB606_155
.LBB606_200:
	v_and_b32_e32 v2, 1, v59
	s_mov_b32 s0, exec_lo
	s_delay_alu instid0(VALU_DEP_1)
	v_cmpx_eq_u32_e32 1, v2
	s_cbranch_execz .LBB606_202
; %bb.201:
	v_sub_nc_u32_e32 v1, v1, v47
	s_delay_alu instid0(VALU_DEP_1)
	v_lshlrev_b32_e32 v1, 2, v1
	ds_store_b32 v1, v41
.LBB606_202:
	s_or_b32 exec_lo, exec_lo, s0
	v_and_b32_e32 v1, 1, v62
	s_mov_b32 s0, exec_lo
	s_delay_alu instid0(VALU_DEP_1)
	v_cmpx_eq_u32_e32 1, v1
	s_cbranch_execz .LBB606_204
; %bb.203:
	v_sub_nc_u32_e32 v1, v3, v47
	s_delay_alu instid0(VALU_DEP_1)
	v_lshlrev_b32_e32 v1, 2, v1
	ds_store_b32 v1, v42
.LBB606_204:
	s_or_b32 exec_lo, exec_lo, s0
	;; [unrolled: 12-line block ×14, first 2 shown]
	v_mov_b32_e32 v3, 0
	s_mov_b32 s1, exec_lo
	s_waitcnt lgkmcnt(0)
	s_waitcnt_vscnt null, 0x0
	s_barrier
	buffer_gl0_inv
	v_mov_b32_e32 v1, v3
	s_delay_alu instid0(VALU_DEP_1)
	v_cmpx_gt_u64_e64 v[45:46], v[0:1]
	s_cbranch_execz .LBB606_231
; %bb.229:
	v_lshlrev_b64 v[4:5], 2, v[47:48]
	s_lshl_b64 s[8:9], s[2:3], 2
	v_or_b32_e32 v2, 0x80, v0
	s_delay_alu instid0(VALU_DEP_2) | instskip(NEXT) | instid1(VALU_DEP_3)
	v_add_co_u32 v4, vcc_lo, s6, v4
	v_add_co_ci_u32_e32 v5, vcc_lo, s7, v5, vcc_lo
	s_mov_b32 s6, 0
	s_delay_alu instid0(VALU_DEP_2) | instskip(NEXT) | instid1(VALU_DEP_2)
	v_add_co_u32 v6, vcc_lo, v4, s8
	v_add_co_ci_u32_e32 v7, vcc_lo, s9, v5, vcc_lo
	v_dual_mov_b32 v5, v1 :: v_dual_mov_b32 v4, v0
	.p2align	6
.LBB606_230:                            ; =>This Inner Loop Header: Depth=1
	s_delay_alu instid0(VALU_DEP_1) | instskip(NEXT) | instid1(VALU_DEP_2)
	v_lshlrev_b32_e32 v1, 2, v4
	v_lshlrev_b64 v[8:9], 2, v[4:5]
	v_dual_mov_b32 v5, v3 :: v_dual_mov_b32 v4, v2
	v_cmp_le_u64_e32 vcc_lo, v[45:46], v[2:3]
	v_add_nc_u32_e32 v2, 0x80, v2
	ds_load_b32 v1, v1
	v_add_co_u32 v8, s0, v6, v8
	s_delay_alu instid0(VALU_DEP_1)
	v_add_co_ci_u32_e64 v9, s0, v7, v9, s0
	s_or_b32 s6, vcc_lo, s6
	s_waitcnt lgkmcnt(0)
	global_store_b32 v[8:9], v1, off
	s_and_not1_b32 exec_lo, exec_lo, s6
	s_cbranch_execnz .LBB606_230
.LBB606_231:
	s_or_b32 exec_lo, exec_lo, s1
	v_cmp_eq_u32_e32 vcc_lo, 0, v0
	s_and_b32 s0, vcc_lo, s10
	s_delay_alu instid0(SALU_CYCLE_1)
	s_and_saveexec_b32 s1, s0
	s_cbranch_execz .LBB606_156
.LBB606_232:
	v_add_co_u32 v0, vcc_lo, v47, v45
	v_add_co_ci_u32_e32 v1, vcc_lo, v48, v46, vcc_lo
	v_mov_b32_e32 v2, 0
	s_delay_alu instid0(VALU_DEP_3) | instskip(NEXT) | instid1(VALU_DEP_3)
	v_add_co_u32 v0, vcc_lo, v0, s2
	v_add_co_ci_u32_e32 v1, vcc_lo, s3, v1, vcc_lo
	global_store_b64 v2, v[0:1], s[4:5]
	s_nop 0
	s_sendmsg sendmsg(MSG_DEALLOC_VGPRS)
	s_endpgm
	.section	.rodata,"a",@progbits
	.p2align	6, 0x0
	.amdhsa_kernel _ZN7rocprim17ROCPRIM_400000_NS6detail17trampoline_kernelINS0_14default_configENS1_25partition_config_selectorILNS1_17partition_subalgoE6EiNS0_10empty_typeEbEEZZNS1_14partition_implILS5_6ELb0ES3_mN6thrust23THRUST_200600_302600_NS6detail15normal_iteratorINSA_10device_ptrIiEEEEPS6_SG_NS0_5tupleIJSF_S6_EEENSH_IJSG_SG_EEES6_PlJ5mod_3IiEEEE10hipError_tPvRmT3_T4_T5_T6_T7_T9_mT8_P12ihipStream_tbDpT10_ENKUlT_T0_E_clISt17integral_constantIbLb1EES15_IbLb0EEEEDaS11_S12_EUlS11_E_NS1_11comp_targetILNS1_3genE9ELNS1_11target_archE1100ELNS1_3gpuE3ELNS1_3repE0EEENS1_30default_config_static_selectorELNS0_4arch9wavefront6targetE0EEEvT1_
		.amdhsa_group_segment_fixed_size 7184
		.amdhsa_private_segment_fixed_size 0
		.amdhsa_kernarg_size 112
		.amdhsa_user_sgpr_count 15
		.amdhsa_user_sgpr_dispatch_ptr 0
		.amdhsa_user_sgpr_queue_ptr 0
		.amdhsa_user_sgpr_kernarg_segment_ptr 1
		.amdhsa_user_sgpr_dispatch_id 0
		.amdhsa_user_sgpr_private_segment_size 0
		.amdhsa_wavefront_size32 1
		.amdhsa_uses_dynamic_stack 0
		.amdhsa_enable_private_segment 0
		.amdhsa_system_sgpr_workgroup_id_x 1
		.amdhsa_system_sgpr_workgroup_id_y 0
		.amdhsa_system_sgpr_workgroup_id_z 0
		.amdhsa_system_sgpr_workgroup_info 0
		.amdhsa_system_vgpr_workitem_id 0
		.amdhsa_next_free_vgpr 74
		.amdhsa_next_free_sgpr 18
		.amdhsa_reserve_vcc 1
		.amdhsa_float_round_mode_32 0
		.amdhsa_float_round_mode_16_64 0
		.amdhsa_float_denorm_mode_32 3
		.amdhsa_float_denorm_mode_16_64 3
		.amdhsa_dx10_clamp 1
		.amdhsa_ieee_mode 1
		.amdhsa_fp16_overflow 0
		.amdhsa_workgroup_processor_mode 1
		.amdhsa_memory_ordered 1
		.amdhsa_forward_progress 0
		.amdhsa_shared_vgpr_count 0
		.amdhsa_exception_fp_ieee_invalid_op 0
		.amdhsa_exception_fp_denorm_src 0
		.amdhsa_exception_fp_ieee_div_zero 0
		.amdhsa_exception_fp_ieee_overflow 0
		.amdhsa_exception_fp_ieee_underflow 0
		.amdhsa_exception_fp_ieee_inexact 0
		.amdhsa_exception_int_div_zero 0
	.end_amdhsa_kernel
	.section	.text._ZN7rocprim17ROCPRIM_400000_NS6detail17trampoline_kernelINS0_14default_configENS1_25partition_config_selectorILNS1_17partition_subalgoE6EiNS0_10empty_typeEbEEZZNS1_14partition_implILS5_6ELb0ES3_mN6thrust23THRUST_200600_302600_NS6detail15normal_iteratorINSA_10device_ptrIiEEEEPS6_SG_NS0_5tupleIJSF_S6_EEENSH_IJSG_SG_EEES6_PlJ5mod_3IiEEEE10hipError_tPvRmT3_T4_T5_T6_T7_T9_mT8_P12ihipStream_tbDpT10_ENKUlT_T0_E_clISt17integral_constantIbLb1EES15_IbLb0EEEEDaS11_S12_EUlS11_E_NS1_11comp_targetILNS1_3genE9ELNS1_11target_archE1100ELNS1_3gpuE3ELNS1_3repE0EEENS1_30default_config_static_selectorELNS0_4arch9wavefront6targetE0EEEvT1_,"axG",@progbits,_ZN7rocprim17ROCPRIM_400000_NS6detail17trampoline_kernelINS0_14default_configENS1_25partition_config_selectorILNS1_17partition_subalgoE6EiNS0_10empty_typeEbEEZZNS1_14partition_implILS5_6ELb0ES3_mN6thrust23THRUST_200600_302600_NS6detail15normal_iteratorINSA_10device_ptrIiEEEEPS6_SG_NS0_5tupleIJSF_S6_EEENSH_IJSG_SG_EEES6_PlJ5mod_3IiEEEE10hipError_tPvRmT3_T4_T5_T6_T7_T9_mT8_P12ihipStream_tbDpT10_ENKUlT_T0_E_clISt17integral_constantIbLb1EES15_IbLb0EEEEDaS11_S12_EUlS11_E_NS1_11comp_targetILNS1_3genE9ELNS1_11target_archE1100ELNS1_3gpuE3ELNS1_3repE0EEENS1_30default_config_static_selectorELNS0_4arch9wavefront6targetE0EEEvT1_,comdat
.Lfunc_end606:
	.size	_ZN7rocprim17ROCPRIM_400000_NS6detail17trampoline_kernelINS0_14default_configENS1_25partition_config_selectorILNS1_17partition_subalgoE6EiNS0_10empty_typeEbEEZZNS1_14partition_implILS5_6ELb0ES3_mN6thrust23THRUST_200600_302600_NS6detail15normal_iteratorINSA_10device_ptrIiEEEEPS6_SG_NS0_5tupleIJSF_S6_EEENSH_IJSG_SG_EEES6_PlJ5mod_3IiEEEE10hipError_tPvRmT3_T4_T5_T6_T7_T9_mT8_P12ihipStream_tbDpT10_ENKUlT_T0_E_clISt17integral_constantIbLb1EES15_IbLb0EEEEDaS11_S12_EUlS11_E_NS1_11comp_targetILNS1_3genE9ELNS1_11target_archE1100ELNS1_3gpuE3ELNS1_3repE0EEENS1_30default_config_static_selectorELNS0_4arch9wavefront6targetE0EEEvT1_, .Lfunc_end606-_ZN7rocprim17ROCPRIM_400000_NS6detail17trampoline_kernelINS0_14default_configENS1_25partition_config_selectorILNS1_17partition_subalgoE6EiNS0_10empty_typeEbEEZZNS1_14partition_implILS5_6ELb0ES3_mN6thrust23THRUST_200600_302600_NS6detail15normal_iteratorINSA_10device_ptrIiEEEEPS6_SG_NS0_5tupleIJSF_S6_EEENSH_IJSG_SG_EEES6_PlJ5mod_3IiEEEE10hipError_tPvRmT3_T4_T5_T6_T7_T9_mT8_P12ihipStream_tbDpT10_ENKUlT_T0_E_clISt17integral_constantIbLb1EES15_IbLb0EEEEDaS11_S12_EUlS11_E_NS1_11comp_targetILNS1_3genE9ELNS1_11target_archE1100ELNS1_3gpuE3ELNS1_3repE0EEENS1_30default_config_static_selectorELNS0_4arch9wavefront6targetE0EEEvT1_
                                        ; -- End function
	.section	.AMDGPU.csdata,"",@progbits
; Kernel info:
; codeLenInByte = 9444
; NumSgprs: 20
; NumVgprs: 74
; ScratchSize: 0
; MemoryBound: 0
; FloatMode: 240
; IeeeMode: 1
; LDSByteSize: 7184 bytes/workgroup (compile time only)
; SGPRBlocks: 2
; VGPRBlocks: 9
; NumSGPRsForWavesPerEU: 20
; NumVGPRsForWavesPerEU: 74
; Occupancy: 16
; WaveLimiterHint : 1
; COMPUTE_PGM_RSRC2:SCRATCH_EN: 0
; COMPUTE_PGM_RSRC2:USER_SGPR: 15
; COMPUTE_PGM_RSRC2:TRAP_HANDLER: 0
; COMPUTE_PGM_RSRC2:TGID_X_EN: 1
; COMPUTE_PGM_RSRC2:TGID_Y_EN: 0
; COMPUTE_PGM_RSRC2:TGID_Z_EN: 0
; COMPUTE_PGM_RSRC2:TIDIG_COMP_CNT: 0
	.section	.text._ZN7rocprim17ROCPRIM_400000_NS6detail17trampoline_kernelINS0_14default_configENS1_25partition_config_selectorILNS1_17partition_subalgoE6EiNS0_10empty_typeEbEEZZNS1_14partition_implILS5_6ELb0ES3_mN6thrust23THRUST_200600_302600_NS6detail15normal_iteratorINSA_10device_ptrIiEEEEPS6_SG_NS0_5tupleIJSF_S6_EEENSH_IJSG_SG_EEES6_PlJ5mod_3IiEEEE10hipError_tPvRmT3_T4_T5_T6_T7_T9_mT8_P12ihipStream_tbDpT10_ENKUlT_T0_E_clISt17integral_constantIbLb1EES15_IbLb0EEEEDaS11_S12_EUlS11_E_NS1_11comp_targetILNS1_3genE8ELNS1_11target_archE1030ELNS1_3gpuE2ELNS1_3repE0EEENS1_30default_config_static_selectorELNS0_4arch9wavefront6targetE0EEEvT1_,"axG",@progbits,_ZN7rocprim17ROCPRIM_400000_NS6detail17trampoline_kernelINS0_14default_configENS1_25partition_config_selectorILNS1_17partition_subalgoE6EiNS0_10empty_typeEbEEZZNS1_14partition_implILS5_6ELb0ES3_mN6thrust23THRUST_200600_302600_NS6detail15normal_iteratorINSA_10device_ptrIiEEEEPS6_SG_NS0_5tupleIJSF_S6_EEENSH_IJSG_SG_EEES6_PlJ5mod_3IiEEEE10hipError_tPvRmT3_T4_T5_T6_T7_T9_mT8_P12ihipStream_tbDpT10_ENKUlT_T0_E_clISt17integral_constantIbLb1EES15_IbLb0EEEEDaS11_S12_EUlS11_E_NS1_11comp_targetILNS1_3genE8ELNS1_11target_archE1030ELNS1_3gpuE2ELNS1_3repE0EEENS1_30default_config_static_selectorELNS0_4arch9wavefront6targetE0EEEvT1_,comdat
	.protected	_ZN7rocprim17ROCPRIM_400000_NS6detail17trampoline_kernelINS0_14default_configENS1_25partition_config_selectorILNS1_17partition_subalgoE6EiNS0_10empty_typeEbEEZZNS1_14partition_implILS5_6ELb0ES3_mN6thrust23THRUST_200600_302600_NS6detail15normal_iteratorINSA_10device_ptrIiEEEEPS6_SG_NS0_5tupleIJSF_S6_EEENSH_IJSG_SG_EEES6_PlJ5mod_3IiEEEE10hipError_tPvRmT3_T4_T5_T6_T7_T9_mT8_P12ihipStream_tbDpT10_ENKUlT_T0_E_clISt17integral_constantIbLb1EES15_IbLb0EEEEDaS11_S12_EUlS11_E_NS1_11comp_targetILNS1_3genE8ELNS1_11target_archE1030ELNS1_3gpuE2ELNS1_3repE0EEENS1_30default_config_static_selectorELNS0_4arch9wavefront6targetE0EEEvT1_ ; -- Begin function _ZN7rocprim17ROCPRIM_400000_NS6detail17trampoline_kernelINS0_14default_configENS1_25partition_config_selectorILNS1_17partition_subalgoE6EiNS0_10empty_typeEbEEZZNS1_14partition_implILS5_6ELb0ES3_mN6thrust23THRUST_200600_302600_NS6detail15normal_iteratorINSA_10device_ptrIiEEEEPS6_SG_NS0_5tupleIJSF_S6_EEENSH_IJSG_SG_EEES6_PlJ5mod_3IiEEEE10hipError_tPvRmT3_T4_T5_T6_T7_T9_mT8_P12ihipStream_tbDpT10_ENKUlT_T0_E_clISt17integral_constantIbLb1EES15_IbLb0EEEEDaS11_S12_EUlS11_E_NS1_11comp_targetILNS1_3genE8ELNS1_11target_archE1030ELNS1_3gpuE2ELNS1_3repE0EEENS1_30default_config_static_selectorELNS0_4arch9wavefront6targetE0EEEvT1_
	.globl	_ZN7rocprim17ROCPRIM_400000_NS6detail17trampoline_kernelINS0_14default_configENS1_25partition_config_selectorILNS1_17partition_subalgoE6EiNS0_10empty_typeEbEEZZNS1_14partition_implILS5_6ELb0ES3_mN6thrust23THRUST_200600_302600_NS6detail15normal_iteratorINSA_10device_ptrIiEEEEPS6_SG_NS0_5tupleIJSF_S6_EEENSH_IJSG_SG_EEES6_PlJ5mod_3IiEEEE10hipError_tPvRmT3_T4_T5_T6_T7_T9_mT8_P12ihipStream_tbDpT10_ENKUlT_T0_E_clISt17integral_constantIbLb1EES15_IbLb0EEEEDaS11_S12_EUlS11_E_NS1_11comp_targetILNS1_3genE8ELNS1_11target_archE1030ELNS1_3gpuE2ELNS1_3repE0EEENS1_30default_config_static_selectorELNS0_4arch9wavefront6targetE0EEEvT1_
	.p2align	8
	.type	_ZN7rocprim17ROCPRIM_400000_NS6detail17trampoline_kernelINS0_14default_configENS1_25partition_config_selectorILNS1_17partition_subalgoE6EiNS0_10empty_typeEbEEZZNS1_14partition_implILS5_6ELb0ES3_mN6thrust23THRUST_200600_302600_NS6detail15normal_iteratorINSA_10device_ptrIiEEEEPS6_SG_NS0_5tupleIJSF_S6_EEENSH_IJSG_SG_EEES6_PlJ5mod_3IiEEEE10hipError_tPvRmT3_T4_T5_T6_T7_T9_mT8_P12ihipStream_tbDpT10_ENKUlT_T0_E_clISt17integral_constantIbLb1EES15_IbLb0EEEEDaS11_S12_EUlS11_E_NS1_11comp_targetILNS1_3genE8ELNS1_11target_archE1030ELNS1_3gpuE2ELNS1_3repE0EEENS1_30default_config_static_selectorELNS0_4arch9wavefront6targetE0EEEvT1_,@function
_ZN7rocprim17ROCPRIM_400000_NS6detail17trampoline_kernelINS0_14default_configENS1_25partition_config_selectorILNS1_17partition_subalgoE6EiNS0_10empty_typeEbEEZZNS1_14partition_implILS5_6ELb0ES3_mN6thrust23THRUST_200600_302600_NS6detail15normal_iteratorINSA_10device_ptrIiEEEEPS6_SG_NS0_5tupleIJSF_S6_EEENSH_IJSG_SG_EEES6_PlJ5mod_3IiEEEE10hipError_tPvRmT3_T4_T5_T6_T7_T9_mT8_P12ihipStream_tbDpT10_ENKUlT_T0_E_clISt17integral_constantIbLb1EES15_IbLb0EEEEDaS11_S12_EUlS11_E_NS1_11comp_targetILNS1_3genE8ELNS1_11target_archE1030ELNS1_3gpuE2ELNS1_3repE0EEENS1_30default_config_static_selectorELNS0_4arch9wavefront6targetE0EEEvT1_: ; @_ZN7rocprim17ROCPRIM_400000_NS6detail17trampoline_kernelINS0_14default_configENS1_25partition_config_selectorILNS1_17partition_subalgoE6EiNS0_10empty_typeEbEEZZNS1_14partition_implILS5_6ELb0ES3_mN6thrust23THRUST_200600_302600_NS6detail15normal_iteratorINSA_10device_ptrIiEEEEPS6_SG_NS0_5tupleIJSF_S6_EEENSH_IJSG_SG_EEES6_PlJ5mod_3IiEEEE10hipError_tPvRmT3_T4_T5_T6_T7_T9_mT8_P12ihipStream_tbDpT10_ENKUlT_T0_E_clISt17integral_constantIbLb1EES15_IbLb0EEEEDaS11_S12_EUlS11_E_NS1_11comp_targetILNS1_3genE8ELNS1_11target_archE1030ELNS1_3gpuE2ELNS1_3repE0EEENS1_30default_config_static_selectorELNS0_4arch9wavefront6targetE0EEEvT1_
; %bb.0:
	.section	.rodata,"a",@progbits
	.p2align	6, 0x0
	.amdhsa_kernel _ZN7rocprim17ROCPRIM_400000_NS6detail17trampoline_kernelINS0_14default_configENS1_25partition_config_selectorILNS1_17partition_subalgoE6EiNS0_10empty_typeEbEEZZNS1_14partition_implILS5_6ELb0ES3_mN6thrust23THRUST_200600_302600_NS6detail15normal_iteratorINSA_10device_ptrIiEEEEPS6_SG_NS0_5tupleIJSF_S6_EEENSH_IJSG_SG_EEES6_PlJ5mod_3IiEEEE10hipError_tPvRmT3_T4_T5_T6_T7_T9_mT8_P12ihipStream_tbDpT10_ENKUlT_T0_E_clISt17integral_constantIbLb1EES15_IbLb0EEEEDaS11_S12_EUlS11_E_NS1_11comp_targetILNS1_3genE8ELNS1_11target_archE1030ELNS1_3gpuE2ELNS1_3repE0EEENS1_30default_config_static_selectorELNS0_4arch9wavefront6targetE0EEEvT1_
		.amdhsa_group_segment_fixed_size 0
		.amdhsa_private_segment_fixed_size 0
		.amdhsa_kernarg_size 112
		.amdhsa_user_sgpr_count 15
		.amdhsa_user_sgpr_dispatch_ptr 0
		.amdhsa_user_sgpr_queue_ptr 0
		.amdhsa_user_sgpr_kernarg_segment_ptr 1
		.amdhsa_user_sgpr_dispatch_id 0
		.amdhsa_user_sgpr_private_segment_size 0
		.amdhsa_wavefront_size32 1
		.amdhsa_uses_dynamic_stack 0
		.amdhsa_enable_private_segment 0
		.amdhsa_system_sgpr_workgroup_id_x 1
		.amdhsa_system_sgpr_workgroup_id_y 0
		.amdhsa_system_sgpr_workgroup_id_z 0
		.amdhsa_system_sgpr_workgroup_info 0
		.amdhsa_system_vgpr_workitem_id 0
		.amdhsa_next_free_vgpr 1
		.amdhsa_next_free_sgpr 1
		.amdhsa_reserve_vcc 0
		.amdhsa_float_round_mode_32 0
		.amdhsa_float_round_mode_16_64 0
		.amdhsa_float_denorm_mode_32 3
		.amdhsa_float_denorm_mode_16_64 3
		.amdhsa_dx10_clamp 1
		.amdhsa_ieee_mode 1
		.amdhsa_fp16_overflow 0
		.amdhsa_workgroup_processor_mode 1
		.amdhsa_memory_ordered 1
		.amdhsa_forward_progress 0
		.amdhsa_shared_vgpr_count 0
		.amdhsa_exception_fp_ieee_invalid_op 0
		.amdhsa_exception_fp_denorm_src 0
		.amdhsa_exception_fp_ieee_div_zero 0
		.amdhsa_exception_fp_ieee_overflow 0
		.amdhsa_exception_fp_ieee_underflow 0
		.amdhsa_exception_fp_ieee_inexact 0
		.amdhsa_exception_int_div_zero 0
	.end_amdhsa_kernel
	.section	.text._ZN7rocprim17ROCPRIM_400000_NS6detail17trampoline_kernelINS0_14default_configENS1_25partition_config_selectorILNS1_17partition_subalgoE6EiNS0_10empty_typeEbEEZZNS1_14partition_implILS5_6ELb0ES3_mN6thrust23THRUST_200600_302600_NS6detail15normal_iteratorINSA_10device_ptrIiEEEEPS6_SG_NS0_5tupleIJSF_S6_EEENSH_IJSG_SG_EEES6_PlJ5mod_3IiEEEE10hipError_tPvRmT3_T4_T5_T6_T7_T9_mT8_P12ihipStream_tbDpT10_ENKUlT_T0_E_clISt17integral_constantIbLb1EES15_IbLb0EEEEDaS11_S12_EUlS11_E_NS1_11comp_targetILNS1_3genE8ELNS1_11target_archE1030ELNS1_3gpuE2ELNS1_3repE0EEENS1_30default_config_static_selectorELNS0_4arch9wavefront6targetE0EEEvT1_,"axG",@progbits,_ZN7rocprim17ROCPRIM_400000_NS6detail17trampoline_kernelINS0_14default_configENS1_25partition_config_selectorILNS1_17partition_subalgoE6EiNS0_10empty_typeEbEEZZNS1_14partition_implILS5_6ELb0ES3_mN6thrust23THRUST_200600_302600_NS6detail15normal_iteratorINSA_10device_ptrIiEEEEPS6_SG_NS0_5tupleIJSF_S6_EEENSH_IJSG_SG_EEES6_PlJ5mod_3IiEEEE10hipError_tPvRmT3_T4_T5_T6_T7_T9_mT8_P12ihipStream_tbDpT10_ENKUlT_T0_E_clISt17integral_constantIbLb1EES15_IbLb0EEEEDaS11_S12_EUlS11_E_NS1_11comp_targetILNS1_3genE8ELNS1_11target_archE1030ELNS1_3gpuE2ELNS1_3repE0EEENS1_30default_config_static_selectorELNS0_4arch9wavefront6targetE0EEEvT1_,comdat
.Lfunc_end607:
	.size	_ZN7rocprim17ROCPRIM_400000_NS6detail17trampoline_kernelINS0_14default_configENS1_25partition_config_selectorILNS1_17partition_subalgoE6EiNS0_10empty_typeEbEEZZNS1_14partition_implILS5_6ELb0ES3_mN6thrust23THRUST_200600_302600_NS6detail15normal_iteratorINSA_10device_ptrIiEEEEPS6_SG_NS0_5tupleIJSF_S6_EEENSH_IJSG_SG_EEES6_PlJ5mod_3IiEEEE10hipError_tPvRmT3_T4_T5_T6_T7_T9_mT8_P12ihipStream_tbDpT10_ENKUlT_T0_E_clISt17integral_constantIbLb1EES15_IbLb0EEEEDaS11_S12_EUlS11_E_NS1_11comp_targetILNS1_3genE8ELNS1_11target_archE1030ELNS1_3gpuE2ELNS1_3repE0EEENS1_30default_config_static_selectorELNS0_4arch9wavefront6targetE0EEEvT1_, .Lfunc_end607-_ZN7rocprim17ROCPRIM_400000_NS6detail17trampoline_kernelINS0_14default_configENS1_25partition_config_selectorILNS1_17partition_subalgoE6EiNS0_10empty_typeEbEEZZNS1_14partition_implILS5_6ELb0ES3_mN6thrust23THRUST_200600_302600_NS6detail15normal_iteratorINSA_10device_ptrIiEEEEPS6_SG_NS0_5tupleIJSF_S6_EEENSH_IJSG_SG_EEES6_PlJ5mod_3IiEEEE10hipError_tPvRmT3_T4_T5_T6_T7_T9_mT8_P12ihipStream_tbDpT10_ENKUlT_T0_E_clISt17integral_constantIbLb1EES15_IbLb0EEEEDaS11_S12_EUlS11_E_NS1_11comp_targetILNS1_3genE8ELNS1_11target_archE1030ELNS1_3gpuE2ELNS1_3repE0EEENS1_30default_config_static_selectorELNS0_4arch9wavefront6targetE0EEEvT1_
                                        ; -- End function
	.section	.AMDGPU.csdata,"",@progbits
; Kernel info:
; codeLenInByte = 0
; NumSgprs: 0
; NumVgprs: 0
; ScratchSize: 0
; MemoryBound: 0
; FloatMode: 240
; IeeeMode: 1
; LDSByteSize: 0 bytes/workgroup (compile time only)
; SGPRBlocks: 0
; VGPRBlocks: 0
; NumSGPRsForWavesPerEU: 1
; NumVGPRsForWavesPerEU: 1
; Occupancy: 16
; WaveLimiterHint : 0
; COMPUTE_PGM_RSRC2:SCRATCH_EN: 0
; COMPUTE_PGM_RSRC2:USER_SGPR: 15
; COMPUTE_PGM_RSRC2:TRAP_HANDLER: 0
; COMPUTE_PGM_RSRC2:TGID_X_EN: 1
; COMPUTE_PGM_RSRC2:TGID_Y_EN: 0
; COMPUTE_PGM_RSRC2:TGID_Z_EN: 0
; COMPUTE_PGM_RSRC2:TIDIG_COMP_CNT: 0
	.section	.text._ZN7rocprim17ROCPRIM_400000_NS6detail17trampoline_kernelINS0_14default_configENS1_25partition_config_selectorILNS1_17partition_subalgoE6EiNS0_10empty_typeEbEEZZNS1_14partition_implILS5_6ELb0ES3_mN6thrust23THRUST_200600_302600_NS6detail15normal_iteratorINSA_10device_ptrIiEEEEPS6_SG_NS0_5tupleIJSF_S6_EEENSH_IJSG_SG_EEES6_PlJ5mod_3IiEEEE10hipError_tPvRmT3_T4_T5_T6_T7_T9_mT8_P12ihipStream_tbDpT10_ENKUlT_T0_E_clISt17integral_constantIbLb0EES15_IbLb1EEEEDaS11_S12_EUlS11_E_NS1_11comp_targetILNS1_3genE0ELNS1_11target_archE4294967295ELNS1_3gpuE0ELNS1_3repE0EEENS1_30default_config_static_selectorELNS0_4arch9wavefront6targetE0EEEvT1_,"axG",@progbits,_ZN7rocprim17ROCPRIM_400000_NS6detail17trampoline_kernelINS0_14default_configENS1_25partition_config_selectorILNS1_17partition_subalgoE6EiNS0_10empty_typeEbEEZZNS1_14partition_implILS5_6ELb0ES3_mN6thrust23THRUST_200600_302600_NS6detail15normal_iteratorINSA_10device_ptrIiEEEEPS6_SG_NS0_5tupleIJSF_S6_EEENSH_IJSG_SG_EEES6_PlJ5mod_3IiEEEE10hipError_tPvRmT3_T4_T5_T6_T7_T9_mT8_P12ihipStream_tbDpT10_ENKUlT_T0_E_clISt17integral_constantIbLb0EES15_IbLb1EEEEDaS11_S12_EUlS11_E_NS1_11comp_targetILNS1_3genE0ELNS1_11target_archE4294967295ELNS1_3gpuE0ELNS1_3repE0EEENS1_30default_config_static_selectorELNS0_4arch9wavefront6targetE0EEEvT1_,comdat
	.protected	_ZN7rocprim17ROCPRIM_400000_NS6detail17trampoline_kernelINS0_14default_configENS1_25partition_config_selectorILNS1_17partition_subalgoE6EiNS0_10empty_typeEbEEZZNS1_14partition_implILS5_6ELb0ES3_mN6thrust23THRUST_200600_302600_NS6detail15normal_iteratorINSA_10device_ptrIiEEEEPS6_SG_NS0_5tupleIJSF_S6_EEENSH_IJSG_SG_EEES6_PlJ5mod_3IiEEEE10hipError_tPvRmT3_T4_T5_T6_T7_T9_mT8_P12ihipStream_tbDpT10_ENKUlT_T0_E_clISt17integral_constantIbLb0EES15_IbLb1EEEEDaS11_S12_EUlS11_E_NS1_11comp_targetILNS1_3genE0ELNS1_11target_archE4294967295ELNS1_3gpuE0ELNS1_3repE0EEENS1_30default_config_static_selectorELNS0_4arch9wavefront6targetE0EEEvT1_ ; -- Begin function _ZN7rocprim17ROCPRIM_400000_NS6detail17trampoline_kernelINS0_14default_configENS1_25partition_config_selectorILNS1_17partition_subalgoE6EiNS0_10empty_typeEbEEZZNS1_14partition_implILS5_6ELb0ES3_mN6thrust23THRUST_200600_302600_NS6detail15normal_iteratorINSA_10device_ptrIiEEEEPS6_SG_NS0_5tupleIJSF_S6_EEENSH_IJSG_SG_EEES6_PlJ5mod_3IiEEEE10hipError_tPvRmT3_T4_T5_T6_T7_T9_mT8_P12ihipStream_tbDpT10_ENKUlT_T0_E_clISt17integral_constantIbLb0EES15_IbLb1EEEEDaS11_S12_EUlS11_E_NS1_11comp_targetILNS1_3genE0ELNS1_11target_archE4294967295ELNS1_3gpuE0ELNS1_3repE0EEENS1_30default_config_static_selectorELNS0_4arch9wavefront6targetE0EEEvT1_
	.globl	_ZN7rocprim17ROCPRIM_400000_NS6detail17trampoline_kernelINS0_14default_configENS1_25partition_config_selectorILNS1_17partition_subalgoE6EiNS0_10empty_typeEbEEZZNS1_14partition_implILS5_6ELb0ES3_mN6thrust23THRUST_200600_302600_NS6detail15normal_iteratorINSA_10device_ptrIiEEEEPS6_SG_NS0_5tupleIJSF_S6_EEENSH_IJSG_SG_EEES6_PlJ5mod_3IiEEEE10hipError_tPvRmT3_T4_T5_T6_T7_T9_mT8_P12ihipStream_tbDpT10_ENKUlT_T0_E_clISt17integral_constantIbLb0EES15_IbLb1EEEEDaS11_S12_EUlS11_E_NS1_11comp_targetILNS1_3genE0ELNS1_11target_archE4294967295ELNS1_3gpuE0ELNS1_3repE0EEENS1_30default_config_static_selectorELNS0_4arch9wavefront6targetE0EEEvT1_
	.p2align	8
	.type	_ZN7rocprim17ROCPRIM_400000_NS6detail17trampoline_kernelINS0_14default_configENS1_25partition_config_selectorILNS1_17partition_subalgoE6EiNS0_10empty_typeEbEEZZNS1_14partition_implILS5_6ELb0ES3_mN6thrust23THRUST_200600_302600_NS6detail15normal_iteratorINSA_10device_ptrIiEEEEPS6_SG_NS0_5tupleIJSF_S6_EEENSH_IJSG_SG_EEES6_PlJ5mod_3IiEEEE10hipError_tPvRmT3_T4_T5_T6_T7_T9_mT8_P12ihipStream_tbDpT10_ENKUlT_T0_E_clISt17integral_constantIbLb0EES15_IbLb1EEEEDaS11_S12_EUlS11_E_NS1_11comp_targetILNS1_3genE0ELNS1_11target_archE4294967295ELNS1_3gpuE0ELNS1_3repE0EEENS1_30default_config_static_selectorELNS0_4arch9wavefront6targetE0EEEvT1_,@function
_ZN7rocprim17ROCPRIM_400000_NS6detail17trampoline_kernelINS0_14default_configENS1_25partition_config_selectorILNS1_17partition_subalgoE6EiNS0_10empty_typeEbEEZZNS1_14partition_implILS5_6ELb0ES3_mN6thrust23THRUST_200600_302600_NS6detail15normal_iteratorINSA_10device_ptrIiEEEEPS6_SG_NS0_5tupleIJSF_S6_EEENSH_IJSG_SG_EEES6_PlJ5mod_3IiEEEE10hipError_tPvRmT3_T4_T5_T6_T7_T9_mT8_P12ihipStream_tbDpT10_ENKUlT_T0_E_clISt17integral_constantIbLb0EES15_IbLb1EEEEDaS11_S12_EUlS11_E_NS1_11comp_targetILNS1_3genE0ELNS1_11target_archE4294967295ELNS1_3gpuE0ELNS1_3repE0EEENS1_30default_config_static_selectorELNS0_4arch9wavefront6targetE0EEEvT1_: ; @_ZN7rocprim17ROCPRIM_400000_NS6detail17trampoline_kernelINS0_14default_configENS1_25partition_config_selectorILNS1_17partition_subalgoE6EiNS0_10empty_typeEbEEZZNS1_14partition_implILS5_6ELb0ES3_mN6thrust23THRUST_200600_302600_NS6detail15normal_iteratorINSA_10device_ptrIiEEEEPS6_SG_NS0_5tupleIJSF_S6_EEENSH_IJSG_SG_EEES6_PlJ5mod_3IiEEEE10hipError_tPvRmT3_T4_T5_T6_T7_T9_mT8_P12ihipStream_tbDpT10_ENKUlT_T0_E_clISt17integral_constantIbLb0EES15_IbLb1EEEEDaS11_S12_EUlS11_E_NS1_11comp_targetILNS1_3genE0ELNS1_11target_archE4294967295ELNS1_3gpuE0ELNS1_3repE0EEENS1_30default_config_static_selectorELNS0_4arch9wavefront6targetE0EEEvT1_
; %bb.0:
	.section	.rodata,"a",@progbits
	.p2align	6, 0x0
	.amdhsa_kernel _ZN7rocprim17ROCPRIM_400000_NS6detail17trampoline_kernelINS0_14default_configENS1_25partition_config_selectorILNS1_17partition_subalgoE6EiNS0_10empty_typeEbEEZZNS1_14partition_implILS5_6ELb0ES3_mN6thrust23THRUST_200600_302600_NS6detail15normal_iteratorINSA_10device_ptrIiEEEEPS6_SG_NS0_5tupleIJSF_S6_EEENSH_IJSG_SG_EEES6_PlJ5mod_3IiEEEE10hipError_tPvRmT3_T4_T5_T6_T7_T9_mT8_P12ihipStream_tbDpT10_ENKUlT_T0_E_clISt17integral_constantIbLb0EES15_IbLb1EEEEDaS11_S12_EUlS11_E_NS1_11comp_targetILNS1_3genE0ELNS1_11target_archE4294967295ELNS1_3gpuE0ELNS1_3repE0EEENS1_30default_config_static_selectorELNS0_4arch9wavefront6targetE0EEEvT1_
		.amdhsa_group_segment_fixed_size 0
		.amdhsa_private_segment_fixed_size 0
		.amdhsa_kernarg_size 128
		.amdhsa_user_sgpr_count 15
		.amdhsa_user_sgpr_dispatch_ptr 0
		.amdhsa_user_sgpr_queue_ptr 0
		.amdhsa_user_sgpr_kernarg_segment_ptr 1
		.amdhsa_user_sgpr_dispatch_id 0
		.amdhsa_user_sgpr_private_segment_size 0
		.amdhsa_wavefront_size32 1
		.amdhsa_uses_dynamic_stack 0
		.amdhsa_enable_private_segment 0
		.amdhsa_system_sgpr_workgroup_id_x 1
		.amdhsa_system_sgpr_workgroup_id_y 0
		.amdhsa_system_sgpr_workgroup_id_z 0
		.amdhsa_system_sgpr_workgroup_info 0
		.amdhsa_system_vgpr_workitem_id 0
		.amdhsa_next_free_vgpr 1
		.amdhsa_next_free_sgpr 1
		.amdhsa_reserve_vcc 0
		.amdhsa_float_round_mode_32 0
		.amdhsa_float_round_mode_16_64 0
		.amdhsa_float_denorm_mode_32 3
		.amdhsa_float_denorm_mode_16_64 3
		.amdhsa_dx10_clamp 1
		.amdhsa_ieee_mode 1
		.amdhsa_fp16_overflow 0
		.amdhsa_workgroup_processor_mode 1
		.amdhsa_memory_ordered 1
		.amdhsa_forward_progress 0
		.amdhsa_shared_vgpr_count 0
		.amdhsa_exception_fp_ieee_invalid_op 0
		.amdhsa_exception_fp_denorm_src 0
		.amdhsa_exception_fp_ieee_div_zero 0
		.amdhsa_exception_fp_ieee_overflow 0
		.amdhsa_exception_fp_ieee_underflow 0
		.amdhsa_exception_fp_ieee_inexact 0
		.amdhsa_exception_int_div_zero 0
	.end_amdhsa_kernel
	.section	.text._ZN7rocprim17ROCPRIM_400000_NS6detail17trampoline_kernelINS0_14default_configENS1_25partition_config_selectorILNS1_17partition_subalgoE6EiNS0_10empty_typeEbEEZZNS1_14partition_implILS5_6ELb0ES3_mN6thrust23THRUST_200600_302600_NS6detail15normal_iteratorINSA_10device_ptrIiEEEEPS6_SG_NS0_5tupleIJSF_S6_EEENSH_IJSG_SG_EEES6_PlJ5mod_3IiEEEE10hipError_tPvRmT3_T4_T5_T6_T7_T9_mT8_P12ihipStream_tbDpT10_ENKUlT_T0_E_clISt17integral_constantIbLb0EES15_IbLb1EEEEDaS11_S12_EUlS11_E_NS1_11comp_targetILNS1_3genE0ELNS1_11target_archE4294967295ELNS1_3gpuE0ELNS1_3repE0EEENS1_30default_config_static_selectorELNS0_4arch9wavefront6targetE0EEEvT1_,"axG",@progbits,_ZN7rocprim17ROCPRIM_400000_NS6detail17trampoline_kernelINS0_14default_configENS1_25partition_config_selectorILNS1_17partition_subalgoE6EiNS0_10empty_typeEbEEZZNS1_14partition_implILS5_6ELb0ES3_mN6thrust23THRUST_200600_302600_NS6detail15normal_iteratorINSA_10device_ptrIiEEEEPS6_SG_NS0_5tupleIJSF_S6_EEENSH_IJSG_SG_EEES6_PlJ5mod_3IiEEEE10hipError_tPvRmT3_T4_T5_T6_T7_T9_mT8_P12ihipStream_tbDpT10_ENKUlT_T0_E_clISt17integral_constantIbLb0EES15_IbLb1EEEEDaS11_S12_EUlS11_E_NS1_11comp_targetILNS1_3genE0ELNS1_11target_archE4294967295ELNS1_3gpuE0ELNS1_3repE0EEENS1_30default_config_static_selectorELNS0_4arch9wavefront6targetE0EEEvT1_,comdat
.Lfunc_end608:
	.size	_ZN7rocprim17ROCPRIM_400000_NS6detail17trampoline_kernelINS0_14default_configENS1_25partition_config_selectorILNS1_17partition_subalgoE6EiNS0_10empty_typeEbEEZZNS1_14partition_implILS5_6ELb0ES3_mN6thrust23THRUST_200600_302600_NS6detail15normal_iteratorINSA_10device_ptrIiEEEEPS6_SG_NS0_5tupleIJSF_S6_EEENSH_IJSG_SG_EEES6_PlJ5mod_3IiEEEE10hipError_tPvRmT3_T4_T5_T6_T7_T9_mT8_P12ihipStream_tbDpT10_ENKUlT_T0_E_clISt17integral_constantIbLb0EES15_IbLb1EEEEDaS11_S12_EUlS11_E_NS1_11comp_targetILNS1_3genE0ELNS1_11target_archE4294967295ELNS1_3gpuE0ELNS1_3repE0EEENS1_30default_config_static_selectorELNS0_4arch9wavefront6targetE0EEEvT1_, .Lfunc_end608-_ZN7rocprim17ROCPRIM_400000_NS6detail17trampoline_kernelINS0_14default_configENS1_25partition_config_selectorILNS1_17partition_subalgoE6EiNS0_10empty_typeEbEEZZNS1_14partition_implILS5_6ELb0ES3_mN6thrust23THRUST_200600_302600_NS6detail15normal_iteratorINSA_10device_ptrIiEEEEPS6_SG_NS0_5tupleIJSF_S6_EEENSH_IJSG_SG_EEES6_PlJ5mod_3IiEEEE10hipError_tPvRmT3_T4_T5_T6_T7_T9_mT8_P12ihipStream_tbDpT10_ENKUlT_T0_E_clISt17integral_constantIbLb0EES15_IbLb1EEEEDaS11_S12_EUlS11_E_NS1_11comp_targetILNS1_3genE0ELNS1_11target_archE4294967295ELNS1_3gpuE0ELNS1_3repE0EEENS1_30default_config_static_selectorELNS0_4arch9wavefront6targetE0EEEvT1_
                                        ; -- End function
	.section	.AMDGPU.csdata,"",@progbits
; Kernel info:
; codeLenInByte = 0
; NumSgprs: 0
; NumVgprs: 0
; ScratchSize: 0
; MemoryBound: 0
; FloatMode: 240
; IeeeMode: 1
; LDSByteSize: 0 bytes/workgroup (compile time only)
; SGPRBlocks: 0
; VGPRBlocks: 0
; NumSGPRsForWavesPerEU: 1
; NumVGPRsForWavesPerEU: 1
; Occupancy: 16
; WaveLimiterHint : 0
; COMPUTE_PGM_RSRC2:SCRATCH_EN: 0
; COMPUTE_PGM_RSRC2:USER_SGPR: 15
; COMPUTE_PGM_RSRC2:TRAP_HANDLER: 0
; COMPUTE_PGM_RSRC2:TGID_X_EN: 1
; COMPUTE_PGM_RSRC2:TGID_Y_EN: 0
; COMPUTE_PGM_RSRC2:TGID_Z_EN: 0
; COMPUTE_PGM_RSRC2:TIDIG_COMP_CNT: 0
	.section	.text._ZN7rocprim17ROCPRIM_400000_NS6detail17trampoline_kernelINS0_14default_configENS1_25partition_config_selectorILNS1_17partition_subalgoE6EiNS0_10empty_typeEbEEZZNS1_14partition_implILS5_6ELb0ES3_mN6thrust23THRUST_200600_302600_NS6detail15normal_iteratorINSA_10device_ptrIiEEEEPS6_SG_NS0_5tupleIJSF_S6_EEENSH_IJSG_SG_EEES6_PlJ5mod_3IiEEEE10hipError_tPvRmT3_T4_T5_T6_T7_T9_mT8_P12ihipStream_tbDpT10_ENKUlT_T0_E_clISt17integral_constantIbLb0EES15_IbLb1EEEEDaS11_S12_EUlS11_E_NS1_11comp_targetILNS1_3genE5ELNS1_11target_archE942ELNS1_3gpuE9ELNS1_3repE0EEENS1_30default_config_static_selectorELNS0_4arch9wavefront6targetE0EEEvT1_,"axG",@progbits,_ZN7rocprim17ROCPRIM_400000_NS6detail17trampoline_kernelINS0_14default_configENS1_25partition_config_selectorILNS1_17partition_subalgoE6EiNS0_10empty_typeEbEEZZNS1_14partition_implILS5_6ELb0ES3_mN6thrust23THRUST_200600_302600_NS6detail15normal_iteratorINSA_10device_ptrIiEEEEPS6_SG_NS0_5tupleIJSF_S6_EEENSH_IJSG_SG_EEES6_PlJ5mod_3IiEEEE10hipError_tPvRmT3_T4_T5_T6_T7_T9_mT8_P12ihipStream_tbDpT10_ENKUlT_T0_E_clISt17integral_constantIbLb0EES15_IbLb1EEEEDaS11_S12_EUlS11_E_NS1_11comp_targetILNS1_3genE5ELNS1_11target_archE942ELNS1_3gpuE9ELNS1_3repE0EEENS1_30default_config_static_selectorELNS0_4arch9wavefront6targetE0EEEvT1_,comdat
	.protected	_ZN7rocprim17ROCPRIM_400000_NS6detail17trampoline_kernelINS0_14default_configENS1_25partition_config_selectorILNS1_17partition_subalgoE6EiNS0_10empty_typeEbEEZZNS1_14partition_implILS5_6ELb0ES3_mN6thrust23THRUST_200600_302600_NS6detail15normal_iteratorINSA_10device_ptrIiEEEEPS6_SG_NS0_5tupleIJSF_S6_EEENSH_IJSG_SG_EEES6_PlJ5mod_3IiEEEE10hipError_tPvRmT3_T4_T5_T6_T7_T9_mT8_P12ihipStream_tbDpT10_ENKUlT_T0_E_clISt17integral_constantIbLb0EES15_IbLb1EEEEDaS11_S12_EUlS11_E_NS1_11comp_targetILNS1_3genE5ELNS1_11target_archE942ELNS1_3gpuE9ELNS1_3repE0EEENS1_30default_config_static_selectorELNS0_4arch9wavefront6targetE0EEEvT1_ ; -- Begin function _ZN7rocprim17ROCPRIM_400000_NS6detail17trampoline_kernelINS0_14default_configENS1_25partition_config_selectorILNS1_17partition_subalgoE6EiNS0_10empty_typeEbEEZZNS1_14partition_implILS5_6ELb0ES3_mN6thrust23THRUST_200600_302600_NS6detail15normal_iteratorINSA_10device_ptrIiEEEEPS6_SG_NS0_5tupleIJSF_S6_EEENSH_IJSG_SG_EEES6_PlJ5mod_3IiEEEE10hipError_tPvRmT3_T4_T5_T6_T7_T9_mT8_P12ihipStream_tbDpT10_ENKUlT_T0_E_clISt17integral_constantIbLb0EES15_IbLb1EEEEDaS11_S12_EUlS11_E_NS1_11comp_targetILNS1_3genE5ELNS1_11target_archE942ELNS1_3gpuE9ELNS1_3repE0EEENS1_30default_config_static_selectorELNS0_4arch9wavefront6targetE0EEEvT1_
	.globl	_ZN7rocprim17ROCPRIM_400000_NS6detail17trampoline_kernelINS0_14default_configENS1_25partition_config_selectorILNS1_17partition_subalgoE6EiNS0_10empty_typeEbEEZZNS1_14partition_implILS5_6ELb0ES3_mN6thrust23THRUST_200600_302600_NS6detail15normal_iteratorINSA_10device_ptrIiEEEEPS6_SG_NS0_5tupleIJSF_S6_EEENSH_IJSG_SG_EEES6_PlJ5mod_3IiEEEE10hipError_tPvRmT3_T4_T5_T6_T7_T9_mT8_P12ihipStream_tbDpT10_ENKUlT_T0_E_clISt17integral_constantIbLb0EES15_IbLb1EEEEDaS11_S12_EUlS11_E_NS1_11comp_targetILNS1_3genE5ELNS1_11target_archE942ELNS1_3gpuE9ELNS1_3repE0EEENS1_30default_config_static_selectorELNS0_4arch9wavefront6targetE0EEEvT1_
	.p2align	8
	.type	_ZN7rocprim17ROCPRIM_400000_NS6detail17trampoline_kernelINS0_14default_configENS1_25partition_config_selectorILNS1_17partition_subalgoE6EiNS0_10empty_typeEbEEZZNS1_14partition_implILS5_6ELb0ES3_mN6thrust23THRUST_200600_302600_NS6detail15normal_iteratorINSA_10device_ptrIiEEEEPS6_SG_NS0_5tupleIJSF_S6_EEENSH_IJSG_SG_EEES6_PlJ5mod_3IiEEEE10hipError_tPvRmT3_T4_T5_T6_T7_T9_mT8_P12ihipStream_tbDpT10_ENKUlT_T0_E_clISt17integral_constantIbLb0EES15_IbLb1EEEEDaS11_S12_EUlS11_E_NS1_11comp_targetILNS1_3genE5ELNS1_11target_archE942ELNS1_3gpuE9ELNS1_3repE0EEENS1_30default_config_static_selectorELNS0_4arch9wavefront6targetE0EEEvT1_,@function
_ZN7rocprim17ROCPRIM_400000_NS6detail17trampoline_kernelINS0_14default_configENS1_25partition_config_selectorILNS1_17partition_subalgoE6EiNS0_10empty_typeEbEEZZNS1_14partition_implILS5_6ELb0ES3_mN6thrust23THRUST_200600_302600_NS6detail15normal_iteratorINSA_10device_ptrIiEEEEPS6_SG_NS0_5tupleIJSF_S6_EEENSH_IJSG_SG_EEES6_PlJ5mod_3IiEEEE10hipError_tPvRmT3_T4_T5_T6_T7_T9_mT8_P12ihipStream_tbDpT10_ENKUlT_T0_E_clISt17integral_constantIbLb0EES15_IbLb1EEEEDaS11_S12_EUlS11_E_NS1_11comp_targetILNS1_3genE5ELNS1_11target_archE942ELNS1_3gpuE9ELNS1_3repE0EEENS1_30default_config_static_selectorELNS0_4arch9wavefront6targetE0EEEvT1_: ; @_ZN7rocprim17ROCPRIM_400000_NS6detail17trampoline_kernelINS0_14default_configENS1_25partition_config_selectorILNS1_17partition_subalgoE6EiNS0_10empty_typeEbEEZZNS1_14partition_implILS5_6ELb0ES3_mN6thrust23THRUST_200600_302600_NS6detail15normal_iteratorINSA_10device_ptrIiEEEEPS6_SG_NS0_5tupleIJSF_S6_EEENSH_IJSG_SG_EEES6_PlJ5mod_3IiEEEE10hipError_tPvRmT3_T4_T5_T6_T7_T9_mT8_P12ihipStream_tbDpT10_ENKUlT_T0_E_clISt17integral_constantIbLb0EES15_IbLb1EEEEDaS11_S12_EUlS11_E_NS1_11comp_targetILNS1_3genE5ELNS1_11target_archE942ELNS1_3gpuE9ELNS1_3repE0EEENS1_30default_config_static_selectorELNS0_4arch9wavefront6targetE0EEEvT1_
; %bb.0:
	.section	.rodata,"a",@progbits
	.p2align	6, 0x0
	.amdhsa_kernel _ZN7rocprim17ROCPRIM_400000_NS6detail17trampoline_kernelINS0_14default_configENS1_25partition_config_selectorILNS1_17partition_subalgoE6EiNS0_10empty_typeEbEEZZNS1_14partition_implILS5_6ELb0ES3_mN6thrust23THRUST_200600_302600_NS6detail15normal_iteratorINSA_10device_ptrIiEEEEPS6_SG_NS0_5tupleIJSF_S6_EEENSH_IJSG_SG_EEES6_PlJ5mod_3IiEEEE10hipError_tPvRmT3_T4_T5_T6_T7_T9_mT8_P12ihipStream_tbDpT10_ENKUlT_T0_E_clISt17integral_constantIbLb0EES15_IbLb1EEEEDaS11_S12_EUlS11_E_NS1_11comp_targetILNS1_3genE5ELNS1_11target_archE942ELNS1_3gpuE9ELNS1_3repE0EEENS1_30default_config_static_selectorELNS0_4arch9wavefront6targetE0EEEvT1_
		.amdhsa_group_segment_fixed_size 0
		.amdhsa_private_segment_fixed_size 0
		.amdhsa_kernarg_size 128
		.amdhsa_user_sgpr_count 15
		.amdhsa_user_sgpr_dispatch_ptr 0
		.amdhsa_user_sgpr_queue_ptr 0
		.amdhsa_user_sgpr_kernarg_segment_ptr 1
		.amdhsa_user_sgpr_dispatch_id 0
		.amdhsa_user_sgpr_private_segment_size 0
		.amdhsa_wavefront_size32 1
		.amdhsa_uses_dynamic_stack 0
		.amdhsa_enable_private_segment 0
		.amdhsa_system_sgpr_workgroup_id_x 1
		.amdhsa_system_sgpr_workgroup_id_y 0
		.amdhsa_system_sgpr_workgroup_id_z 0
		.amdhsa_system_sgpr_workgroup_info 0
		.amdhsa_system_vgpr_workitem_id 0
		.amdhsa_next_free_vgpr 1
		.amdhsa_next_free_sgpr 1
		.amdhsa_reserve_vcc 0
		.amdhsa_float_round_mode_32 0
		.amdhsa_float_round_mode_16_64 0
		.amdhsa_float_denorm_mode_32 3
		.amdhsa_float_denorm_mode_16_64 3
		.amdhsa_dx10_clamp 1
		.amdhsa_ieee_mode 1
		.amdhsa_fp16_overflow 0
		.amdhsa_workgroup_processor_mode 1
		.amdhsa_memory_ordered 1
		.amdhsa_forward_progress 0
		.amdhsa_shared_vgpr_count 0
		.amdhsa_exception_fp_ieee_invalid_op 0
		.amdhsa_exception_fp_denorm_src 0
		.amdhsa_exception_fp_ieee_div_zero 0
		.amdhsa_exception_fp_ieee_overflow 0
		.amdhsa_exception_fp_ieee_underflow 0
		.amdhsa_exception_fp_ieee_inexact 0
		.amdhsa_exception_int_div_zero 0
	.end_amdhsa_kernel
	.section	.text._ZN7rocprim17ROCPRIM_400000_NS6detail17trampoline_kernelINS0_14default_configENS1_25partition_config_selectorILNS1_17partition_subalgoE6EiNS0_10empty_typeEbEEZZNS1_14partition_implILS5_6ELb0ES3_mN6thrust23THRUST_200600_302600_NS6detail15normal_iteratorINSA_10device_ptrIiEEEEPS6_SG_NS0_5tupleIJSF_S6_EEENSH_IJSG_SG_EEES6_PlJ5mod_3IiEEEE10hipError_tPvRmT3_T4_T5_T6_T7_T9_mT8_P12ihipStream_tbDpT10_ENKUlT_T0_E_clISt17integral_constantIbLb0EES15_IbLb1EEEEDaS11_S12_EUlS11_E_NS1_11comp_targetILNS1_3genE5ELNS1_11target_archE942ELNS1_3gpuE9ELNS1_3repE0EEENS1_30default_config_static_selectorELNS0_4arch9wavefront6targetE0EEEvT1_,"axG",@progbits,_ZN7rocprim17ROCPRIM_400000_NS6detail17trampoline_kernelINS0_14default_configENS1_25partition_config_selectorILNS1_17partition_subalgoE6EiNS0_10empty_typeEbEEZZNS1_14partition_implILS5_6ELb0ES3_mN6thrust23THRUST_200600_302600_NS6detail15normal_iteratorINSA_10device_ptrIiEEEEPS6_SG_NS0_5tupleIJSF_S6_EEENSH_IJSG_SG_EEES6_PlJ5mod_3IiEEEE10hipError_tPvRmT3_T4_T5_T6_T7_T9_mT8_P12ihipStream_tbDpT10_ENKUlT_T0_E_clISt17integral_constantIbLb0EES15_IbLb1EEEEDaS11_S12_EUlS11_E_NS1_11comp_targetILNS1_3genE5ELNS1_11target_archE942ELNS1_3gpuE9ELNS1_3repE0EEENS1_30default_config_static_selectorELNS0_4arch9wavefront6targetE0EEEvT1_,comdat
.Lfunc_end609:
	.size	_ZN7rocprim17ROCPRIM_400000_NS6detail17trampoline_kernelINS0_14default_configENS1_25partition_config_selectorILNS1_17partition_subalgoE6EiNS0_10empty_typeEbEEZZNS1_14partition_implILS5_6ELb0ES3_mN6thrust23THRUST_200600_302600_NS6detail15normal_iteratorINSA_10device_ptrIiEEEEPS6_SG_NS0_5tupleIJSF_S6_EEENSH_IJSG_SG_EEES6_PlJ5mod_3IiEEEE10hipError_tPvRmT3_T4_T5_T6_T7_T9_mT8_P12ihipStream_tbDpT10_ENKUlT_T0_E_clISt17integral_constantIbLb0EES15_IbLb1EEEEDaS11_S12_EUlS11_E_NS1_11comp_targetILNS1_3genE5ELNS1_11target_archE942ELNS1_3gpuE9ELNS1_3repE0EEENS1_30default_config_static_selectorELNS0_4arch9wavefront6targetE0EEEvT1_, .Lfunc_end609-_ZN7rocprim17ROCPRIM_400000_NS6detail17trampoline_kernelINS0_14default_configENS1_25partition_config_selectorILNS1_17partition_subalgoE6EiNS0_10empty_typeEbEEZZNS1_14partition_implILS5_6ELb0ES3_mN6thrust23THRUST_200600_302600_NS6detail15normal_iteratorINSA_10device_ptrIiEEEEPS6_SG_NS0_5tupleIJSF_S6_EEENSH_IJSG_SG_EEES6_PlJ5mod_3IiEEEE10hipError_tPvRmT3_T4_T5_T6_T7_T9_mT8_P12ihipStream_tbDpT10_ENKUlT_T0_E_clISt17integral_constantIbLb0EES15_IbLb1EEEEDaS11_S12_EUlS11_E_NS1_11comp_targetILNS1_3genE5ELNS1_11target_archE942ELNS1_3gpuE9ELNS1_3repE0EEENS1_30default_config_static_selectorELNS0_4arch9wavefront6targetE0EEEvT1_
                                        ; -- End function
	.section	.AMDGPU.csdata,"",@progbits
; Kernel info:
; codeLenInByte = 0
; NumSgprs: 0
; NumVgprs: 0
; ScratchSize: 0
; MemoryBound: 0
; FloatMode: 240
; IeeeMode: 1
; LDSByteSize: 0 bytes/workgroup (compile time only)
; SGPRBlocks: 0
; VGPRBlocks: 0
; NumSGPRsForWavesPerEU: 1
; NumVGPRsForWavesPerEU: 1
; Occupancy: 16
; WaveLimiterHint : 0
; COMPUTE_PGM_RSRC2:SCRATCH_EN: 0
; COMPUTE_PGM_RSRC2:USER_SGPR: 15
; COMPUTE_PGM_RSRC2:TRAP_HANDLER: 0
; COMPUTE_PGM_RSRC2:TGID_X_EN: 1
; COMPUTE_PGM_RSRC2:TGID_Y_EN: 0
; COMPUTE_PGM_RSRC2:TGID_Z_EN: 0
; COMPUTE_PGM_RSRC2:TIDIG_COMP_CNT: 0
	.section	.text._ZN7rocprim17ROCPRIM_400000_NS6detail17trampoline_kernelINS0_14default_configENS1_25partition_config_selectorILNS1_17partition_subalgoE6EiNS0_10empty_typeEbEEZZNS1_14partition_implILS5_6ELb0ES3_mN6thrust23THRUST_200600_302600_NS6detail15normal_iteratorINSA_10device_ptrIiEEEEPS6_SG_NS0_5tupleIJSF_S6_EEENSH_IJSG_SG_EEES6_PlJ5mod_3IiEEEE10hipError_tPvRmT3_T4_T5_T6_T7_T9_mT8_P12ihipStream_tbDpT10_ENKUlT_T0_E_clISt17integral_constantIbLb0EES15_IbLb1EEEEDaS11_S12_EUlS11_E_NS1_11comp_targetILNS1_3genE4ELNS1_11target_archE910ELNS1_3gpuE8ELNS1_3repE0EEENS1_30default_config_static_selectorELNS0_4arch9wavefront6targetE0EEEvT1_,"axG",@progbits,_ZN7rocprim17ROCPRIM_400000_NS6detail17trampoline_kernelINS0_14default_configENS1_25partition_config_selectorILNS1_17partition_subalgoE6EiNS0_10empty_typeEbEEZZNS1_14partition_implILS5_6ELb0ES3_mN6thrust23THRUST_200600_302600_NS6detail15normal_iteratorINSA_10device_ptrIiEEEEPS6_SG_NS0_5tupleIJSF_S6_EEENSH_IJSG_SG_EEES6_PlJ5mod_3IiEEEE10hipError_tPvRmT3_T4_T5_T6_T7_T9_mT8_P12ihipStream_tbDpT10_ENKUlT_T0_E_clISt17integral_constantIbLb0EES15_IbLb1EEEEDaS11_S12_EUlS11_E_NS1_11comp_targetILNS1_3genE4ELNS1_11target_archE910ELNS1_3gpuE8ELNS1_3repE0EEENS1_30default_config_static_selectorELNS0_4arch9wavefront6targetE0EEEvT1_,comdat
	.protected	_ZN7rocprim17ROCPRIM_400000_NS6detail17trampoline_kernelINS0_14default_configENS1_25partition_config_selectorILNS1_17partition_subalgoE6EiNS0_10empty_typeEbEEZZNS1_14partition_implILS5_6ELb0ES3_mN6thrust23THRUST_200600_302600_NS6detail15normal_iteratorINSA_10device_ptrIiEEEEPS6_SG_NS0_5tupleIJSF_S6_EEENSH_IJSG_SG_EEES6_PlJ5mod_3IiEEEE10hipError_tPvRmT3_T4_T5_T6_T7_T9_mT8_P12ihipStream_tbDpT10_ENKUlT_T0_E_clISt17integral_constantIbLb0EES15_IbLb1EEEEDaS11_S12_EUlS11_E_NS1_11comp_targetILNS1_3genE4ELNS1_11target_archE910ELNS1_3gpuE8ELNS1_3repE0EEENS1_30default_config_static_selectorELNS0_4arch9wavefront6targetE0EEEvT1_ ; -- Begin function _ZN7rocprim17ROCPRIM_400000_NS6detail17trampoline_kernelINS0_14default_configENS1_25partition_config_selectorILNS1_17partition_subalgoE6EiNS0_10empty_typeEbEEZZNS1_14partition_implILS5_6ELb0ES3_mN6thrust23THRUST_200600_302600_NS6detail15normal_iteratorINSA_10device_ptrIiEEEEPS6_SG_NS0_5tupleIJSF_S6_EEENSH_IJSG_SG_EEES6_PlJ5mod_3IiEEEE10hipError_tPvRmT3_T4_T5_T6_T7_T9_mT8_P12ihipStream_tbDpT10_ENKUlT_T0_E_clISt17integral_constantIbLb0EES15_IbLb1EEEEDaS11_S12_EUlS11_E_NS1_11comp_targetILNS1_3genE4ELNS1_11target_archE910ELNS1_3gpuE8ELNS1_3repE0EEENS1_30default_config_static_selectorELNS0_4arch9wavefront6targetE0EEEvT1_
	.globl	_ZN7rocprim17ROCPRIM_400000_NS6detail17trampoline_kernelINS0_14default_configENS1_25partition_config_selectorILNS1_17partition_subalgoE6EiNS0_10empty_typeEbEEZZNS1_14partition_implILS5_6ELb0ES3_mN6thrust23THRUST_200600_302600_NS6detail15normal_iteratorINSA_10device_ptrIiEEEEPS6_SG_NS0_5tupleIJSF_S6_EEENSH_IJSG_SG_EEES6_PlJ5mod_3IiEEEE10hipError_tPvRmT3_T4_T5_T6_T7_T9_mT8_P12ihipStream_tbDpT10_ENKUlT_T0_E_clISt17integral_constantIbLb0EES15_IbLb1EEEEDaS11_S12_EUlS11_E_NS1_11comp_targetILNS1_3genE4ELNS1_11target_archE910ELNS1_3gpuE8ELNS1_3repE0EEENS1_30default_config_static_selectorELNS0_4arch9wavefront6targetE0EEEvT1_
	.p2align	8
	.type	_ZN7rocprim17ROCPRIM_400000_NS6detail17trampoline_kernelINS0_14default_configENS1_25partition_config_selectorILNS1_17partition_subalgoE6EiNS0_10empty_typeEbEEZZNS1_14partition_implILS5_6ELb0ES3_mN6thrust23THRUST_200600_302600_NS6detail15normal_iteratorINSA_10device_ptrIiEEEEPS6_SG_NS0_5tupleIJSF_S6_EEENSH_IJSG_SG_EEES6_PlJ5mod_3IiEEEE10hipError_tPvRmT3_T4_T5_T6_T7_T9_mT8_P12ihipStream_tbDpT10_ENKUlT_T0_E_clISt17integral_constantIbLb0EES15_IbLb1EEEEDaS11_S12_EUlS11_E_NS1_11comp_targetILNS1_3genE4ELNS1_11target_archE910ELNS1_3gpuE8ELNS1_3repE0EEENS1_30default_config_static_selectorELNS0_4arch9wavefront6targetE0EEEvT1_,@function
_ZN7rocprim17ROCPRIM_400000_NS6detail17trampoline_kernelINS0_14default_configENS1_25partition_config_selectorILNS1_17partition_subalgoE6EiNS0_10empty_typeEbEEZZNS1_14partition_implILS5_6ELb0ES3_mN6thrust23THRUST_200600_302600_NS6detail15normal_iteratorINSA_10device_ptrIiEEEEPS6_SG_NS0_5tupleIJSF_S6_EEENSH_IJSG_SG_EEES6_PlJ5mod_3IiEEEE10hipError_tPvRmT3_T4_T5_T6_T7_T9_mT8_P12ihipStream_tbDpT10_ENKUlT_T0_E_clISt17integral_constantIbLb0EES15_IbLb1EEEEDaS11_S12_EUlS11_E_NS1_11comp_targetILNS1_3genE4ELNS1_11target_archE910ELNS1_3gpuE8ELNS1_3repE0EEENS1_30default_config_static_selectorELNS0_4arch9wavefront6targetE0EEEvT1_: ; @_ZN7rocprim17ROCPRIM_400000_NS6detail17trampoline_kernelINS0_14default_configENS1_25partition_config_selectorILNS1_17partition_subalgoE6EiNS0_10empty_typeEbEEZZNS1_14partition_implILS5_6ELb0ES3_mN6thrust23THRUST_200600_302600_NS6detail15normal_iteratorINSA_10device_ptrIiEEEEPS6_SG_NS0_5tupleIJSF_S6_EEENSH_IJSG_SG_EEES6_PlJ5mod_3IiEEEE10hipError_tPvRmT3_T4_T5_T6_T7_T9_mT8_P12ihipStream_tbDpT10_ENKUlT_T0_E_clISt17integral_constantIbLb0EES15_IbLb1EEEEDaS11_S12_EUlS11_E_NS1_11comp_targetILNS1_3genE4ELNS1_11target_archE910ELNS1_3gpuE8ELNS1_3repE0EEENS1_30default_config_static_selectorELNS0_4arch9wavefront6targetE0EEEvT1_
; %bb.0:
	.section	.rodata,"a",@progbits
	.p2align	6, 0x0
	.amdhsa_kernel _ZN7rocprim17ROCPRIM_400000_NS6detail17trampoline_kernelINS0_14default_configENS1_25partition_config_selectorILNS1_17partition_subalgoE6EiNS0_10empty_typeEbEEZZNS1_14partition_implILS5_6ELb0ES3_mN6thrust23THRUST_200600_302600_NS6detail15normal_iteratorINSA_10device_ptrIiEEEEPS6_SG_NS0_5tupleIJSF_S6_EEENSH_IJSG_SG_EEES6_PlJ5mod_3IiEEEE10hipError_tPvRmT3_T4_T5_T6_T7_T9_mT8_P12ihipStream_tbDpT10_ENKUlT_T0_E_clISt17integral_constantIbLb0EES15_IbLb1EEEEDaS11_S12_EUlS11_E_NS1_11comp_targetILNS1_3genE4ELNS1_11target_archE910ELNS1_3gpuE8ELNS1_3repE0EEENS1_30default_config_static_selectorELNS0_4arch9wavefront6targetE0EEEvT1_
		.amdhsa_group_segment_fixed_size 0
		.amdhsa_private_segment_fixed_size 0
		.amdhsa_kernarg_size 128
		.amdhsa_user_sgpr_count 15
		.amdhsa_user_sgpr_dispatch_ptr 0
		.amdhsa_user_sgpr_queue_ptr 0
		.amdhsa_user_sgpr_kernarg_segment_ptr 1
		.amdhsa_user_sgpr_dispatch_id 0
		.amdhsa_user_sgpr_private_segment_size 0
		.amdhsa_wavefront_size32 1
		.amdhsa_uses_dynamic_stack 0
		.amdhsa_enable_private_segment 0
		.amdhsa_system_sgpr_workgroup_id_x 1
		.amdhsa_system_sgpr_workgroup_id_y 0
		.amdhsa_system_sgpr_workgroup_id_z 0
		.amdhsa_system_sgpr_workgroup_info 0
		.amdhsa_system_vgpr_workitem_id 0
		.amdhsa_next_free_vgpr 1
		.amdhsa_next_free_sgpr 1
		.amdhsa_reserve_vcc 0
		.amdhsa_float_round_mode_32 0
		.amdhsa_float_round_mode_16_64 0
		.amdhsa_float_denorm_mode_32 3
		.amdhsa_float_denorm_mode_16_64 3
		.amdhsa_dx10_clamp 1
		.amdhsa_ieee_mode 1
		.amdhsa_fp16_overflow 0
		.amdhsa_workgroup_processor_mode 1
		.amdhsa_memory_ordered 1
		.amdhsa_forward_progress 0
		.amdhsa_shared_vgpr_count 0
		.amdhsa_exception_fp_ieee_invalid_op 0
		.amdhsa_exception_fp_denorm_src 0
		.amdhsa_exception_fp_ieee_div_zero 0
		.amdhsa_exception_fp_ieee_overflow 0
		.amdhsa_exception_fp_ieee_underflow 0
		.amdhsa_exception_fp_ieee_inexact 0
		.amdhsa_exception_int_div_zero 0
	.end_amdhsa_kernel
	.section	.text._ZN7rocprim17ROCPRIM_400000_NS6detail17trampoline_kernelINS0_14default_configENS1_25partition_config_selectorILNS1_17partition_subalgoE6EiNS0_10empty_typeEbEEZZNS1_14partition_implILS5_6ELb0ES3_mN6thrust23THRUST_200600_302600_NS6detail15normal_iteratorINSA_10device_ptrIiEEEEPS6_SG_NS0_5tupleIJSF_S6_EEENSH_IJSG_SG_EEES6_PlJ5mod_3IiEEEE10hipError_tPvRmT3_T4_T5_T6_T7_T9_mT8_P12ihipStream_tbDpT10_ENKUlT_T0_E_clISt17integral_constantIbLb0EES15_IbLb1EEEEDaS11_S12_EUlS11_E_NS1_11comp_targetILNS1_3genE4ELNS1_11target_archE910ELNS1_3gpuE8ELNS1_3repE0EEENS1_30default_config_static_selectorELNS0_4arch9wavefront6targetE0EEEvT1_,"axG",@progbits,_ZN7rocprim17ROCPRIM_400000_NS6detail17trampoline_kernelINS0_14default_configENS1_25partition_config_selectorILNS1_17partition_subalgoE6EiNS0_10empty_typeEbEEZZNS1_14partition_implILS5_6ELb0ES3_mN6thrust23THRUST_200600_302600_NS6detail15normal_iteratorINSA_10device_ptrIiEEEEPS6_SG_NS0_5tupleIJSF_S6_EEENSH_IJSG_SG_EEES6_PlJ5mod_3IiEEEE10hipError_tPvRmT3_T4_T5_T6_T7_T9_mT8_P12ihipStream_tbDpT10_ENKUlT_T0_E_clISt17integral_constantIbLb0EES15_IbLb1EEEEDaS11_S12_EUlS11_E_NS1_11comp_targetILNS1_3genE4ELNS1_11target_archE910ELNS1_3gpuE8ELNS1_3repE0EEENS1_30default_config_static_selectorELNS0_4arch9wavefront6targetE0EEEvT1_,comdat
.Lfunc_end610:
	.size	_ZN7rocprim17ROCPRIM_400000_NS6detail17trampoline_kernelINS0_14default_configENS1_25partition_config_selectorILNS1_17partition_subalgoE6EiNS0_10empty_typeEbEEZZNS1_14partition_implILS5_6ELb0ES3_mN6thrust23THRUST_200600_302600_NS6detail15normal_iteratorINSA_10device_ptrIiEEEEPS6_SG_NS0_5tupleIJSF_S6_EEENSH_IJSG_SG_EEES6_PlJ5mod_3IiEEEE10hipError_tPvRmT3_T4_T5_T6_T7_T9_mT8_P12ihipStream_tbDpT10_ENKUlT_T0_E_clISt17integral_constantIbLb0EES15_IbLb1EEEEDaS11_S12_EUlS11_E_NS1_11comp_targetILNS1_3genE4ELNS1_11target_archE910ELNS1_3gpuE8ELNS1_3repE0EEENS1_30default_config_static_selectorELNS0_4arch9wavefront6targetE0EEEvT1_, .Lfunc_end610-_ZN7rocprim17ROCPRIM_400000_NS6detail17trampoline_kernelINS0_14default_configENS1_25partition_config_selectorILNS1_17partition_subalgoE6EiNS0_10empty_typeEbEEZZNS1_14partition_implILS5_6ELb0ES3_mN6thrust23THRUST_200600_302600_NS6detail15normal_iteratorINSA_10device_ptrIiEEEEPS6_SG_NS0_5tupleIJSF_S6_EEENSH_IJSG_SG_EEES6_PlJ5mod_3IiEEEE10hipError_tPvRmT3_T4_T5_T6_T7_T9_mT8_P12ihipStream_tbDpT10_ENKUlT_T0_E_clISt17integral_constantIbLb0EES15_IbLb1EEEEDaS11_S12_EUlS11_E_NS1_11comp_targetILNS1_3genE4ELNS1_11target_archE910ELNS1_3gpuE8ELNS1_3repE0EEENS1_30default_config_static_selectorELNS0_4arch9wavefront6targetE0EEEvT1_
                                        ; -- End function
	.section	.AMDGPU.csdata,"",@progbits
; Kernel info:
; codeLenInByte = 0
; NumSgprs: 0
; NumVgprs: 0
; ScratchSize: 0
; MemoryBound: 0
; FloatMode: 240
; IeeeMode: 1
; LDSByteSize: 0 bytes/workgroup (compile time only)
; SGPRBlocks: 0
; VGPRBlocks: 0
; NumSGPRsForWavesPerEU: 1
; NumVGPRsForWavesPerEU: 1
; Occupancy: 16
; WaveLimiterHint : 0
; COMPUTE_PGM_RSRC2:SCRATCH_EN: 0
; COMPUTE_PGM_RSRC2:USER_SGPR: 15
; COMPUTE_PGM_RSRC2:TRAP_HANDLER: 0
; COMPUTE_PGM_RSRC2:TGID_X_EN: 1
; COMPUTE_PGM_RSRC2:TGID_Y_EN: 0
; COMPUTE_PGM_RSRC2:TGID_Z_EN: 0
; COMPUTE_PGM_RSRC2:TIDIG_COMP_CNT: 0
	.section	.text._ZN7rocprim17ROCPRIM_400000_NS6detail17trampoline_kernelINS0_14default_configENS1_25partition_config_selectorILNS1_17partition_subalgoE6EiNS0_10empty_typeEbEEZZNS1_14partition_implILS5_6ELb0ES3_mN6thrust23THRUST_200600_302600_NS6detail15normal_iteratorINSA_10device_ptrIiEEEEPS6_SG_NS0_5tupleIJSF_S6_EEENSH_IJSG_SG_EEES6_PlJ5mod_3IiEEEE10hipError_tPvRmT3_T4_T5_T6_T7_T9_mT8_P12ihipStream_tbDpT10_ENKUlT_T0_E_clISt17integral_constantIbLb0EES15_IbLb1EEEEDaS11_S12_EUlS11_E_NS1_11comp_targetILNS1_3genE3ELNS1_11target_archE908ELNS1_3gpuE7ELNS1_3repE0EEENS1_30default_config_static_selectorELNS0_4arch9wavefront6targetE0EEEvT1_,"axG",@progbits,_ZN7rocprim17ROCPRIM_400000_NS6detail17trampoline_kernelINS0_14default_configENS1_25partition_config_selectorILNS1_17partition_subalgoE6EiNS0_10empty_typeEbEEZZNS1_14partition_implILS5_6ELb0ES3_mN6thrust23THRUST_200600_302600_NS6detail15normal_iteratorINSA_10device_ptrIiEEEEPS6_SG_NS0_5tupleIJSF_S6_EEENSH_IJSG_SG_EEES6_PlJ5mod_3IiEEEE10hipError_tPvRmT3_T4_T5_T6_T7_T9_mT8_P12ihipStream_tbDpT10_ENKUlT_T0_E_clISt17integral_constantIbLb0EES15_IbLb1EEEEDaS11_S12_EUlS11_E_NS1_11comp_targetILNS1_3genE3ELNS1_11target_archE908ELNS1_3gpuE7ELNS1_3repE0EEENS1_30default_config_static_selectorELNS0_4arch9wavefront6targetE0EEEvT1_,comdat
	.protected	_ZN7rocprim17ROCPRIM_400000_NS6detail17trampoline_kernelINS0_14default_configENS1_25partition_config_selectorILNS1_17partition_subalgoE6EiNS0_10empty_typeEbEEZZNS1_14partition_implILS5_6ELb0ES3_mN6thrust23THRUST_200600_302600_NS6detail15normal_iteratorINSA_10device_ptrIiEEEEPS6_SG_NS0_5tupleIJSF_S6_EEENSH_IJSG_SG_EEES6_PlJ5mod_3IiEEEE10hipError_tPvRmT3_T4_T5_T6_T7_T9_mT8_P12ihipStream_tbDpT10_ENKUlT_T0_E_clISt17integral_constantIbLb0EES15_IbLb1EEEEDaS11_S12_EUlS11_E_NS1_11comp_targetILNS1_3genE3ELNS1_11target_archE908ELNS1_3gpuE7ELNS1_3repE0EEENS1_30default_config_static_selectorELNS0_4arch9wavefront6targetE0EEEvT1_ ; -- Begin function _ZN7rocprim17ROCPRIM_400000_NS6detail17trampoline_kernelINS0_14default_configENS1_25partition_config_selectorILNS1_17partition_subalgoE6EiNS0_10empty_typeEbEEZZNS1_14partition_implILS5_6ELb0ES3_mN6thrust23THRUST_200600_302600_NS6detail15normal_iteratorINSA_10device_ptrIiEEEEPS6_SG_NS0_5tupleIJSF_S6_EEENSH_IJSG_SG_EEES6_PlJ5mod_3IiEEEE10hipError_tPvRmT3_T4_T5_T6_T7_T9_mT8_P12ihipStream_tbDpT10_ENKUlT_T0_E_clISt17integral_constantIbLb0EES15_IbLb1EEEEDaS11_S12_EUlS11_E_NS1_11comp_targetILNS1_3genE3ELNS1_11target_archE908ELNS1_3gpuE7ELNS1_3repE0EEENS1_30default_config_static_selectorELNS0_4arch9wavefront6targetE0EEEvT1_
	.globl	_ZN7rocprim17ROCPRIM_400000_NS6detail17trampoline_kernelINS0_14default_configENS1_25partition_config_selectorILNS1_17partition_subalgoE6EiNS0_10empty_typeEbEEZZNS1_14partition_implILS5_6ELb0ES3_mN6thrust23THRUST_200600_302600_NS6detail15normal_iteratorINSA_10device_ptrIiEEEEPS6_SG_NS0_5tupleIJSF_S6_EEENSH_IJSG_SG_EEES6_PlJ5mod_3IiEEEE10hipError_tPvRmT3_T4_T5_T6_T7_T9_mT8_P12ihipStream_tbDpT10_ENKUlT_T0_E_clISt17integral_constantIbLb0EES15_IbLb1EEEEDaS11_S12_EUlS11_E_NS1_11comp_targetILNS1_3genE3ELNS1_11target_archE908ELNS1_3gpuE7ELNS1_3repE0EEENS1_30default_config_static_selectorELNS0_4arch9wavefront6targetE0EEEvT1_
	.p2align	8
	.type	_ZN7rocprim17ROCPRIM_400000_NS6detail17trampoline_kernelINS0_14default_configENS1_25partition_config_selectorILNS1_17partition_subalgoE6EiNS0_10empty_typeEbEEZZNS1_14partition_implILS5_6ELb0ES3_mN6thrust23THRUST_200600_302600_NS6detail15normal_iteratorINSA_10device_ptrIiEEEEPS6_SG_NS0_5tupleIJSF_S6_EEENSH_IJSG_SG_EEES6_PlJ5mod_3IiEEEE10hipError_tPvRmT3_T4_T5_T6_T7_T9_mT8_P12ihipStream_tbDpT10_ENKUlT_T0_E_clISt17integral_constantIbLb0EES15_IbLb1EEEEDaS11_S12_EUlS11_E_NS1_11comp_targetILNS1_3genE3ELNS1_11target_archE908ELNS1_3gpuE7ELNS1_3repE0EEENS1_30default_config_static_selectorELNS0_4arch9wavefront6targetE0EEEvT1_,@function
_ZN7rocprim17ROCPRIM_400000_NS6detail17trampoline_kernelINS0_14default_configENS1_25partition_config_selectorILNS1_17partition_subalgoE6EiNS0_10empty_typeEbEEZZNS1_14partition_implILS5_6ELb0ES3_mN6thrust23THRUST_200600_302600_NS6detail15normal_iteratorINSA_10device_ptrIiEEEEPS6_SG_NS0_5tupleIJSF_S6_EEENSH_IJSG_SG_EEES6_PlJ5mod_3IiEEEE10hipError_tPvRmT3_T4_T5_T6_T7_T9_mT8_P12ihipStream_tbDpT10_ENKUlT_T0_E_clISt17integral_constantIbLb0EES15_IbLb1EEEEDaS11_S12_EUlS11_E_NS1_11comp_targetILNS1_3genE3ELNS1_11target_archE908ELNS1_3gpuE7ELNS1_3repE0EEENS1_30default_config_static_selectorELNS0_4arch9wavefront6targetE0EEEvT1_: ; @_ZN7rocprim17ROCPRIM_400000_NS6detail17trampoline_kernelINS0_14default_configENS1_25partition_config_selectorILNS1_17partition_subalgoE6EiNS0_10empty_typeEbEEZZNS1_14partition_implILS5_6ELb0ES3_mN6thrust23THRUST_200600_302600_NS6detail15normal_iteratorINSA_10device_ptrIiEEEEPS6_SG_NS0_5tupleIJSF_S6_EEENSH_IJSG_SG_EEES6_PlJ5mod_3IiEEEE10hipError_tPvRmT3_T4_T5_T6_T7_T9_mT8_P12ihipStream_tbDpT10_ENKUlT_T0_E_clISt17integral_constantIbLb0EES15_IbLb1EEEEDaS11_S12_EUlS11_E_NS1_11comp_targetILNS1_3genE3ELNS1_11target_archE908ELNS1_3gpuE7ELNS1_3repE0EEENS1_30default_config_static_selectorELNS0_4arch9wavefront6targetE0EEEvT1_
; %bb.0:
	.section	.rodata,"a",@progbits
	.p2align	6, 0x0
	.amdhsa_kernel _ZN7rocprim17ROCPRIM_400000_NS6detail17trampoline_kernelINS0_14default_configENS1_25partition_config_selectorILNS1_17partition_subalgoE6EiNS0_10empty_typeEbEEZZNS1_14partition_implILS5_6ELb0ES3_mN6thrust23THRUST_200600_302600_NS6detail15normal_iteratorINSA_10device_ptrIiEEEEPS6_SG_NS0_5tupleIJSF_S6_EEENSH_IJSG_SG_EEES6_PlJ5mod_3IiEEEE10hipError_tPvRmT3_T4_T5_T6_T7_T9_mT8_P12ihipStream_tbDpT10_ENKUlT_T0_E_clISt17integral_constantIbLb0EES15_IbLb1EEEEDaS11_S12_EUlS11_E_NS1_11comp_targetILNS1_3genE3ELNS1_11target_archE908ELNS1_3gpuE7ELNS1_3repE0EEENS1_30default_config_static_selectorELNS0_4arch9wavefront6targetE0EEEvT1_
		.amdhsa_group_segment_fixed_size 0
		.amdhsa_private_segment_fixed_size 0
		.amdhsa_kernarg_size 128
		.amdhsa_user_sgpr_count 15
		.amdhsa_user_sgpr_dispatch_ptr 0
		.amdhsa_user_sgpr_queue_ptr 0
		.amdhsa_user_sgpr_kernarg_segment_ptr 1
		.amdhsa_user_sgpr_dispatch_id 0
		.amdhsa_user_sgpr_private_segment_size 0
		.amdhsa_wavefront_size32 1
		.amdhsa_uses_dynamic_stack 0
		.amdhsa_enable_private_segment 0
		.amdhsa_system_sgpr_workgroup_id_x 1
		.amdhsa_system_sgpr_workgroup_id_y 0
		.amdhsa_system_sgpr_workgroup_id_z 0
		.amdhsa_system_sgpr_workgroup_info 0
		.amdhsa_system_vgpr_workitem_id 0
		.amdhsa_next_free_vgpr 1
		.amdhsa_next_free_sgpr 1
		.amdhsa_reserve_vcc 0
		.amdhsa_float_round_mode_32 0
		.amdhsa_float_round_mode_16_64 0
		.amdhsa_float_denorm_mode_32 3
		.amdhsa_float_denorm_mode_16_64 3
		.amdhsa_dx10_clamp 1
		.amdhsa_ieee_mode 1
		.amdhsa_fp16_overflow 0
		.amdhsa_workgroup_processor_mode 1
		.amdhsa_memory_ordered 1
		.amdhsa_forward_progress 0
		.amdhsa_shared_vgpr_count 0
		.amdhsa_exception_fp_ieee_invalid_op 0
		.amdhsa_exception_fp_denorm_src 0
		.amdhsa_exception_fp_ieee_div_zero 0
		.amdhsa_exception_fp_ieee_overflow 0
		.amdhsa_exception_fp_ieee_underflow 0
		.amdhsa_exception_fp_ieee_inexact 0
		.amdhsa_exception_int_div_zero 0
	.end_amdhsa_kernel
	.section	.text._ZN7rocprim17ROCPRIM_400000_NS6detail17trampoline_kernelINS0_14default_configENS1_25partition_config_selectorILNS1_17partition_subalgoE6EiNS0_10empty_typeEbEEZZNS1_14partition_implILS5_6ELb0ES3_mN6thrust23THRUST_200600_302600_NS6detail15normal_iteratorINSA_10device_ptrIiEEEEPS6_SG_NS0_5tupleIJSF_S6_EEENSH_IJSG_SG_EEES6_PlJ5mod_3IiEEEE10hipError_tPvRmT3_T4_T5_T6_T7_T9_mT8_P12ihipStream_tbDpT10_ENKUlT_T0_E_clISt17integral_constantIbLb0EES15_IbLb1EEEEDaS11_S12_EUlS11_E_NS1_11comp_targetILNS1_3genE3ELNS1_11target_archE908ELNS1_3gpuE7ELNS1_3repE0EEENS1_30default_config_static_selectorELNS0_4arch9wavefront6targetE0EEEvT1_,"axG",@progbits,_ZN7rocprim17ROCPRIM_400000_NS6detail17trampoline_kernelINS0_14default_configENS1_25partition_config_selectorILNS1_17partition_subalgoE6EiNS0_10empty_typeEbEEZZNS1_14partition_implILS5_6ELb0ES3_mN6thrust23THRUST_200600_302600_NS6detail15normal_iteratorINSA_10device_ptrIiEEEEPS6_SG_NS0_5tupleIJSF_S6_EEENSH_IJSG_SG_EEES6_PlJ5mod_3IiEEEE10hipError_tPvRmT3_T4_T5_T6_T7_T9_mT8_P12ihipStream_tbDpT10_ENKUlT_T0_E_clISt17integral_constantIbLb0EES15_IbLb1EEEEDaS11_S12_EUlS11_E_NS1_11comp_targetILNS1_3genE3ELNS1_11target_archE908ELNS1_3gpuE7ELNS1_3repE0EEENS1_30default_config_static_selectorELNS0_4arch9wavefront6targetE0EEEvT1_,comdat
.Lfunc_end611:
	.size	_ZN7rocprim17ROCPRIM_400000_NS6detail17trampoline_kernelINS0_14default_configENS1_25partition_config_selectorILNS1_17partition_subalgoE6EiNS0_10empty_typeEbEEZZNS1_14partition_implILS5_6ELb0ES3_mN6thrust23THRUST_200600_302600_NS6detail15normal_iteratorINSA_10device_ptrIiEEEEPS6_SG_NS0_5tupleIJSF_S6_EEENSH_IJSG_SG_EEES6_PlJ5mod_3IiEEEE10hipError_tPvRmT3_T4_T5_T6_T7_T9_mT8_P12ihipStream_tbDpT10_ENKUlT_T0_E_clISt17integral_constantIbLb0EES15_IbLb1EEEEDaS11_S12_EUlS11_E_NS1_11comp_targetILNS1_3genE3ELNS1_11target_archE908ELNS1_3gpuE7ELNS1_3repE0EEENS1_30default_config_static_selectorELNS0_4arch9wavefront6targetE0EEEvT1_, .Lfunc_end611-_ZN7rocprim17ROCPRIM_400000_NS6detail17trampoline_kernelINS0_14default_configENS1_25partition_config_selectorILNS1_17partition_subalgoE6EiNS0_10empty_typeEbEEZZNS1_14partition_implILS5_6ELb0ES3_mN6thrust23THRUST_200600_302600_NS6detail15normal_iteratorINSA_10device_ptrIiEEEEPS6_SG_NS0_5tupleIJSF_S6_EEENSH_IJSG_SG_EEES6_PlJ5mod_3IiEEEE10hipError_tPvRmT3_T4_T5_T6_T7_T9_mT8_P12ihipStream_tbDpT10_ENKUlT_T0_E_clISt17integral_constantIbLb0EES15_IbLb1EEEEDaS11_S12_EUlS11_E_NS1_11comp_targetILNS1_3genE3ELNS1_11target_archE908ELNS1_3gpuE7ELNS1_3repE0EEENS1_30default_config_static_selectorELNS0_4arch9wavefront6targetE0EEEvT1_
                                        ; -- End function
	.section	.AMDGPU.csdata,"",@progbits
; Kernel info:
; codeLenInByte = 0
; NumSgprs: 0
; NumVgprs: 0
; ScratchSize: 0
; MemoryBound: 0
; FloatMode: 240
; IeeeMode: 1
; LDSByteSize: 0 bytes/workgroup (compile time only)
; SGPRBlocks: 0
; VGPRBlocks: 0
; NumSGPRsForWavesPerEU: 1
; NumVGPRsForWavesPerEU: 1
; Occupancy: 16
; WaveLimiterHint : 0
; COMPUTE_PGM_RSRC2:SCRATCH_EN: 0
; COMPUTE_PGM_RSRC2:USER_SGPR: 15
; COMPUTE_PGM_RSRC2:TRAP_HANDLER: 0
; COMPUTE_PGM_RSRC2:TGID_X_EN: 1
; COMPUTE_PGM_RSRC2:TGID_Y_EN: 0
; COMPUTE_PGM_RSRC2:TGID_Z_EN: 0
; COMPUTE_PGM_RSRC2:TIDIG_COMP_CNT: 0
	.section	.text._ZN7rocprim17ROCPRIM_400000_NS6detail17trampoline_kernelINS0_14default_configENS1_25partition_config_selectorILNS1_17partition_subalgoE6EiNS0_10empty_typeEbEEZZNS1_14partition_implILS5_6ELb0ES3_mN6thrust23THRUST_200600_302600_NS6detail15normal_iteratorINSA_10device_ptrIiEEEEPS6_SG_NS0_5tupleIJSF_S6_EEENSH_IJSG_SG_EEES6_PlJ5mod_3IiEEEE10hipError_tPvRmT3_T4_T5_T6_T7_T9_mT8_P12ihipStream_tbDpT10_ENKUlT_T0_E_clISt17integral_constantIbLb0EES15_IbLb1EEEEDaS11_S12_EUlS11_E_NS1_11comp_targetILNS1_3genE2ELNS1_11target_archE906ELNS1_3gpuE6ELNS1_3repE0EEENS1_30default_config_static_selectorELNS0_4arch9wavefront6targetE0EEEvT1_,"axG",@progbits,_ZN7rocprim17ROCPRIM_400000_NS6detail17trampoline_kernelINS0_14default_configENS1_25partition_config_selectorILNS1_17partition_subalgoE6EiNS0_10empty_typeEbEEZZNS1_14partition_implILS5_6ELb0ES3_mN6thrust23THRUST_200600_302600_NS6detail15normal_iteratorINSA_10device_ptrIiEEEEPS6_SG_NS0_5tupleIJSF_S6_EEENSH_IJSG_SG_EEES6_PlJ5mod_3IiEEEE10hipError_tPvRmT3_T4_T5_T6_T7_T9_mT8_P12ihipStream_tbDpT10_ENKUlT_T0_E_clISt17integral_constantIbLb0EES15_IbLb1EEEEDaS11_S12_EUlS11_E_NS1_11comp_targetILNS1_3genE2ELNS1_11target_archE906ELNS1_3gpuE6ELNS1_3repE0EEENS1_30default_config_static_selectorELNS0_4arch9wavefront6targetE0EEEvT1_,comdat
	.protected	_ZN7rocprim17ROCPRIM_400000_NS6detail17trampoline_kernelINS0_14default_configENS1_25partition_config_selectorILNS1_17partition_subalgoE6EiNS0_10empty_typeEbEEZZNS1_14partition_implILS5_6ELb0ES3_mN6thrust23THRUST_200600_302600_NS6detail15normal_iteratorINSA_10device_ptrIiEEEEPS6_SG_NS0_5tupleIJSF_S6_EEENSH_IJSG_SG_EEES6_PlJ5mod_3IiEEEE10hipError_tPvRmT3_T4_T5_T6_T7_T9_mT8_P12ihipStream_tbDpT10_ENKUlT_T0_E_clISt17integral_constantIbLb0EES15_IbLb1EEEEDaS11_S12_EUlS11_E_NS1_11comp_targetILNS1_3genE2ELNS1_11target_archE906ELNS1_3gpuE6ELNS1_3repE0EEENS1_30default_config_static_selectorELNS0_4arch9wavefront6targetE0EEEvT1_ ; -- Begin function _ZN7rocprim17ROCPRIM_400000_NS6detail17trampoline_kernelINS0_14default_configENS1_25partition_config_selectorILNS1_17partition_subalgoE6EiNS0_10empty_typeEbEEZZNS1_14partition_implILS5_6ELb0ES3_mN6thrust23THRUST_200600_302600_NS6detail15normal_iteratorINSA_10device_ptrIiEEEEPS6_SG_NS0_5tupleIJSF_S6_EEENSH_IJSG_SG_EEES6_PlJ5mod_3IiEEEE10hipError_tPvRmT3_T4_T5_T6_T7_T9_mT8_P12ihipStream_tbDpT10_ENKUlT_T0_E_clISt17integral_constantIbLb0EES15_IbLb1EEEEDaS11_S12_EUlS11_E_NS1_11comp_targetILNS1_3genE2ELNS1_11target_archE906ELNS1_3gpuE6ELNS1_3repE0EEENS1_30default_config_static_selectorELNS0_4arch9wavefront6targetE0EEEvT1_
	.globl	_ZN7rocprim17ROCPRIM_400000_NS6detail17trampoline_kernelINS0_14default_configENS1_25partition_config_selectorILNS1_17partition_subalgoE6EiNS0_10empty_typeEbEEZZNS1_14partition_implILS5_6ELb0ES3_mN6thrust23THRUST_200600_302600_NS6detail15normal_iteratorINSA_10device_ptrIiEEEEPS6_SG_NS0_5tupleIJSF_S6_EEENSH_IJSG_SG_EEES6_PlJ5mod_3IiEEEE10hipError_tPvRmT3_T4_T5_T6_T7_T9_mT8_P12ihipStream_tbDpT10_ENKUlT_T0_E_clISt17integral_constantIbLb0EES15_IbLb1EEEEDaS11_S12_EUlS11_E_NS1_11comp_targetILNS1_3genE2ELNS1_11target_archE906ELNS1_3gpuE6ELNS1_3repE0EEENS1_30default_config_static_selectorELNS0_4arch9wavefront6targetE0EEEvT1_
	.p2align	8
	.type	_ZN7rocprim17ROCPRIM_400000_NS6detail17trampoline_kernelINS0_14default_configENS1_25partition_config_selectorILNS1_17partition_subalgoE6EiNS0_10empty_typeEbEEZZNS1_14partition_implILS5_6ELb0ES3_mN6thrust23THRUST_200600_302600_NS6detail15normal_iteratorINSA_10device_ptrIiEEEEPS6_SG_NS0_5tupleIJSF_S6_EEENSH_IJSG_SG_EEES6_PlJ5mod_3IiEEEE10hipError_tPvRmT3_T4_T5_T6_T7_T9_mT8_P12ihipStream_tbDpT10_ENKUlT_T0_E_clISt17integral_constantIbLb0EES15_IbLb1EEEEDaS11_S12_EUlS11_E_NS1_11comp_targetILNS1_3genE2ELNS1_11target_archE906ELNS1_3gpuE6ELNS1_3repE0EEENS1_30default_config_static_selectorELNS0_4arch9wavefront6targetE0EEEvT1_,@function
_ZN7rocprim17ROCPRIM_400000_NS6detail17trampoline_kernelINS0_14default_configENS1_25partition_config_selectorILNS1_17partition_subalgoE6EiNS0_10empty_typeEbEEZZNS1_14partition_implILS5_6ELb0ES3_mN6thrust23THRUST_200600_302600_NS6detail15normal_iteratorINSA_10device_ptrIiEEEEPS6_SG_NS0_5tupleIJSF_S6_EEENSH_IJSG_SG_EEES6_PlJ5mod_3IiEEEE10hipError_tPvRmT3_T4_T5_T6_T7_T9_mT8_P12ihipStream_tbDpT10_ENKUlT_T0_E_clISt17integral_constantIbLb0EES15_IbLb1EEEEDaS11_S12_EUlS11_E_NS1_11comp_targetILNS1_3genE2ELNS1_11target_archE906ELNS1_3gpuE6ELNS1_3repE0EEENS1_30default_config_static_selectorELNS0_4arch9wavefront6targetE0EEEvT1_: ; @_ZN7rocprim17ROCPRIM_400000_NS6detail17trampoline_kernelINS0_14default_configENS1_25partition_config_selectorILNS1_17partition_subalgoE6EiNS0_10empty_typeEbEEZZNS1_14partition_implILS5_6ELb0ES3_mN6thrust23THRUST_200600_302600_NS6detail15normal_iteratorINSA_10device_ptrIiEEEEPS6_SG_NS0_5tupleIJSF_S6_EEENSH_IJSG_SG_EEES6_PlJ5mod_3IiEEEE10hipError_tPvRmT3_T4_T5_T6_T7_T9_mT8_P12ihipStream_tbDpT10_ENKUlT_T0_E_clISt17integral_constantIbLb0EES15_IbLb1EEEEDaS11_S12_EUlS11_E_NS1_11comp_targetILNS1_3genE2ELNS1_11target_archE906ELNS1_3gpuE6ELNS1_3repE0EEENS1_30default_config_static_selectorELNS0_4arch9wavefront6targetE0EEEvT1_
; %bb.0:
	.section	.rodata,"a",@progbits
	.p2align	6, 0x0
	.amdhsa_kernel _ZN7rocprim17ROCPRIM_400000_NS6detail17trampoline_kernelINS0_14default_configENS1_25partition_config_selectorILNS1_17partition_subalgoE6EiNS0_10empty_typeEbEEZZNS1_14partition_implILS5_6ELb0ES3_mN6thrust23THRUST_200600_302600_NS6detail15normal_iteratorINSA_10device_ptrIiEEEEPS6_SG_NS0_5tupleIJSF_S6_EEENSH_IJSG_SG_EEES6_PlJ5mod_3IiEEEE10hipError_tPvRmT3_T4_T5_T6_T7_T9_mT8_P12ihipStream_tbDpT10_ENKUlT_T0_E_clISt17integral_constantIbLb0EES15_IbLb1EEEEDaS11_S12_EUlS11_E_NS1_11comp_targetILNS1_3genE2ELNS1_11target_archE906ELNS1_3gpuE6ELNS1_3repE0EEENS1_30default_config_static_selectorELNS0_4arch9wavefront6targetE0EEEvT1_
		.amdhsa_group_segment_fixed_size 0
		.amdhsa_private_segment_fixed_size 0
		.amdhsa_kernarg_size 128
		.amdhsa_user_sgpr_count 15
		.amdhsa_user_sgpr_dispatch_ptr 0
		.amdhsa_user_sgpr_queue_ptr 0
		.amdhsa_user_sgpr_kernarg_segment_ptr 1
		.amdhsa_user_sgpr_dispatch_id 0
		.amdhsa_user_sgpr_private_segment_size 0
		.amdhsa_wavefront_size32 1
		.amdhsa_uses_dynamic_stack 0
		.amdhsa_enable_private_segment 0
		.amdhsa_system_sgpr_workgroup_id_x 1
		.amdhsa_system_sgpr_workgroup_id_y 0
		.amdhsa_system_sgpr_workgroup_id_z 0
		.amdhsa_system_sgpr_workgroup_info 0
		.amdhsa_system_vgpr_workitem_id 0
		.amdhsa_next_free_vgpr 1
		.amdhsa_next_free_sgpr 1
		.amdhsa_reserve_vcc 0
		.amdhsa_float_round_mode_32 0
		.amdhsa_float_round_mode_16_64 0
		.amdhsa_float_denorm_mode_32 3
		.amdhsa_float_denorm_mode_16_64 3
		.amdhsa_dx10_clamp 1
		.amdhsa_ieee_mode 1
		.amdhsa_fp16_overflow 0
		.amdhsa_workgroup_processor_mode 1
		.amdhsa_memory_ordered 1
		.amdhsa_forward_progress 0
		.amdhsa_shared_vgpr_count 0
		.amdhsa_exception_fp_ieee_invalid_op 0
		.amdhsa_exception_fp_denorm_src 0
		.amdhsa_exception_fp_ieee_div_zero 0
		.amdhsa_exception_fp_ieee_overflow 0
		.amdhsa_exception_fp_ieee_underflow 0
		.amdhsa_exception_fp_ieee_inexact 0
		.amdhsa_exception_int_div_zero 0
	.end_amdhsa_kernel
	.section	.text._ZN7rocprim17ROCPRIM_400000_NS6detail17trampoline_kernelINS0_14default_configENS1_25partition_config_selectorILNS1_17partition_subalgoE6EiNS0_10empty_typeEbEEZZNS1_14partition_implILS5_6ELb0ES3_mN6thrust23THRUST_200600_302600_NS6detail15normal_iteratorINSA_10device_ptrIiEEEEPS6_SG_NS0_5tupleIJSF_S6_EEENSH_IJSG_SG_EEES6_PlJ5mod_3IiEEEE10hipError_tPvRmT3_T4_T5_T6_T7_T9_mT8_P12ihipStream_tbDpT10_ENKUlT_T0_E_clISt17integral_constantIbLb0EES15_IbLb1EEEEDaS11_S12_EUlS11_E_NS1_11comp_targetILNS1_3genE2ELNS1_11target_archE906ELNS1_3gpuE6ELNS1_3repE0EEENS1_30default_config_static_selectorELNS0_4arch9wavefront6targetE0EEEvT1_,"axG",@progbits,_ZN7rocprim17ROCPRIM_400000_NS6detail17trampoline_kernelINS0_14default_configENS1_25partition_config_selectorILNS1_17partition_subalgoE6EiNS0_10empty_typeEbEEZZNS1_14partition_implILS5_6ELb0ES3_mN6thrust23THRUST_200600_302600_NS6detail15normal_iteratorINSA_10device_ptrIiEEEEPS6_SG_NS0_5tupleIJSF_S6_EEENSH_IJSG_SG_EEES6_PlJ5mod_3IiEEEE10hipError_tPvRmT3_T4_T5_T6_T7_T9_mT8_P12ihipStream_tbDpT10_ENKUlT_T0_E_clISt17integral_constantIbLb0EES15_IbLb1EEEEDaS11_S12_EUlS11_E_NS1_11comp_targetILNS1_3genE2ELNS1_11target_archE906ELNS1_3gpuE6ELNS1_3repE0EEENS1_30default_config_static_selectorELNS0_4arch9wavefront6targetE0EEEvT1_,comdat
.Lfunc_end612:
	.size	_ZN7rocprim17ROCPRIM_400000_NS6detail17trampoline_kernelINS0_14default_configENS1_25partition_config_selectorILNS1_17partition_subalgoE6EiNS0_10empty_typeEbEEZZNS1_14partition_implILS5_6ELb0ES3_mN6thrust23THRUST_200600_302600_NS6detail15normal_iteratorINSA_10device_ptrIiEEEEPS6_SG_NS0_5tupleIJSF_S6_EEENSH_IJSG_SG_EEES6_PlJ5mod_3IiEEEE10hipError_tPvRmT3_T4_T5_T6_T7_T9_mT8_P12ihipStream_tbDpT10_ENKUlT_T0_E_clISt17integral_constantIbLb0EES15_IbLb1EEEEDaS11_S12_EUlS11_E_NS1_11comp_targetILNS1_3genE2ELNS1_11target_archE906ELNS1_3gpuE6ELNS1_3repE0EEENS1_30default_config_static_selectorELNS0_4arch9wavefront6targetE0EEEvT1_, .Lfunc_end612-_ZN7rocprim17ROCPRIM_400000_NS6detail17trampoline_kernelINS0_14default_configENS1_25partition_config_selectorILNS1_17partition_subalgoE6EiNS0_10empty_typeEbEEZZNS1_14partition_implILS5_6ELb0ES3_mN6thrust23THRUST_200600_302600_NS6detail15normal_iteratorINSA_10device_ptrIiEEEEPS6_SG_NS0_5tupleIJSF_S6_EEENSH_IJSG_SG_EEES6_PlJ5mod_3IiEEEE10hipError_tPvRmT3_T4_T5_T6_T7_T9_mT8_P12ihipStream_tbDpT10_ENKUlT_T0_E_clISt17integral_constantIbLb0EES15_IbLb1EEEEDaS11_S12_EUlS11_E_NS1_11comp_targetILNS1_3genE2ELNS1_11target_archE906ELNS1_3gpuE6ELNS1_3repE0EEENS1_30default_config_static_selectorELNS0_4arch9wavefront6targetE0EEEvT1_
                                        ; -- End function
	.section	.AMDGPU.csdata,"",@progbits
; Kernel info:
; codeLenInByte = 0
; NumSgprs: 0
; NumVgprs: 0
; ScratchSize: 0
; MemoryBound: 0
; FloatMode: 240
; IeeeMode: 1
; LDSByteSize: 0 bytes/workgroup (compile time only)
; SGPRBlocks: 0
; VGPRBlocks: 0
; NumSGPRsForWavesPerEU: 1
; NumVGPRsForWavesPerEU: 1
; Occupancy: 15
; WaveLimiterHint : 0
; COMPUTE_PGM_RSRC2:SCRATCH_EN: 0
; COMPUTE_PGM_RSRC2:USER_SGPR: 15
; COMPUTE_PGM_RSRC2:TRAP_HANDLER: 0
; COMPUTE_PGM_RSRC2:TGID_X_EN: 1
; COMPUTE_PGM_RSRC2:TGID_Y_EN: 0
; COMPUTE_PGM_RSRC2:TGID_Z_EN: 0
; COMPUTE_PGM_RSRC2:TIDIG_COMP_CNT: 0
	.section	.text._ZN7rocprim17ROCPRIM_400000_NS6detail17trampoline_kernelINS0_14default_configENS1_25partition_config_selectorILNS1_17partition_subalgoE6EiNS0_10empty_typeEbEEZZNS1_14partition_implILS5_6ELb0ES3_mN6thrust23THRUST_200600_302600_NS6detail15normal_iteratorINSA_10device_ptrIiEEEEPS6_SG_NS0_5tupleIJSF_S6_EEENSH_IJSG_SG_EEES6_PlJ5mod_3IiEEEE10hipError_tPvRmT3_T4_T5_T6_T7_T9_mT8_P12ihipStream_tbDpT10_ENKUlT_T0_E_clISt17integral_constantIbLb0EES15_IbLb1EEEEDaS11_S12_EUlS11_E_NS1_11comp_targetILNS1_3genE10ELNS1_11target_archE1200ELNS1_3gpuE4ELNS1_3repE0EEENS1_30default_config_static_selectorELNS0_4arch9wavefront6targetE0EEEvT1_,"axG",@progbits,_ZN7rocprim17ROCPRIM_400000_NS6detail17trampoline_kernelINS0_14default_configENS1_25partition_config_selectorILNS1_17partition_subalgoE6EiNS0_10empty_typeEbEEZZNS1_14partition_implILS5_6ELb0ES3_mN6thrust23THRUST_200600_302600_NS6detail15normal_iteratorINSA_10device_ptrIiEEEEPS6_SG_NS0_5tupleIJSF_S6_EEENSH_IJSG_SG_EEES6_PlJ5mod_3IiEEEE10hipError_tPvRmT3_T4_T5_T6_T7_T9_mT8_P12ihipStream_tbDpT10_ENKUlT_T0_E_clISt17integral_constantIbLb0EES15_IbLb1EEEEDaS11_S12_EUlS11_E_NS1_11comp_targetILNS1_3genE10ELNS1_11target_archE1200ELNS1_3gpuE4ELNS1_3repE0EEENS1_30default_config_static_selectorELNS0_4arch9wavefront6targetE0EEEvT1_,comdat
	.protected	_ZN7rocprim17ROCPRIM_400000_NS6detail17trampoline_kernelINS0_14default_configENS1_25partition_config_selectorILNS1_17partition_subalgoE6EiNS0_10empty_typeEbEEZZNS1_14partition_implILS5_6ELb0ES3_mN6thrust23THRUST_200600_302600_NS6detail15normal_iteratorINSA_10device_ptrIiEEEEPS6_SG_NS0_5tupleIJSF_S6_EEENSH_IJSG_SG_EEES6_PlJ5mod_3IiEEEE10hipError_tPvRmT3_T4_T5_T6_T7_T9_mT8_P12ihipStream_tbDpT10_ENKUlT_T0_E_clISt17integral_constantIbLb0EES15_IbLb1EEEEDaS11_S12_EUlS11_E_NS1_11comp_targetILNS1_3genE10ELNS1_11target_archE1200ELNS1_3gpuE4ELNS1_3repE0EEENS1_30default_config_static_selectorELNS0_4arch9wavefront6targetE0EEEvT1_ ; -- Begin function _ZN7rocprim17ROCPRIM_400000_NS6detail17trampoline_kernelINS0_14default_configENS1_25partition_config_selectorILNS1_17partition_subalgoE6EiNS0_10empty_typeEbEEZZNS1_14partition_implILS5_6ELb0ES3_mN6thrust23THRUST_200600_302600_NS6detail15normal_iteratorINSA_10device_ptrIiEEEEPS6_SG_NS0_5tupleIJSF_S6_EEENSH_IJSG_SG_EEES6_PlJ5mod_3IiEEEE10hipError_tPvRmT3_T4_T5_T6_T7_T9_mT8_P12ihipStream_tbDpT10_ENKUlT_T0_E_clISt17integral_constantIbLb0EES15_IbLb1EEEEDaS11_S12_EUlS11_E_NS1_11comp_targetILNS1_3genE10ELNS1_11target_archE1200ELNS1_3gpuE4ELNS1_3repE0EEENS1_30default_config_static_selectorELNS0_4arch9wavefront6targetE0EEEvT1_
	.globl	_ZN7rocprim17ROCPRIM_400000_NS6detail17trampoline_kernelINS0_14default_configENS1_25partition_config_selectorILNS1_17partition_subalgoE6EiNS0_10empty_typeEbEEZZNS1_14partition_implILS5_6ELb0ES3_mN6thrust23THRUST_200600_302600_NS6detail15normal_iteratorINSA_10device_ptrIiEEEEPS6_SG_NS0_5tupleIJSF_S6_EEENSH_IJSG_SG_EEES6_PlJ5mod_3IiEEEE10hipError_tPvRmT3_T4_T5_T6_T7_T9_mT8_P12ihipStream_tbDpT10_ENKUlT_T0_E_clISt17integral_constantIbLb0EES15_IbLb1EEEEDaS11_S12_EUlS11_E_NS1_11comp_targetILNS1_3genE10ELNS1_11target_archE1200ELNS1_3gpuE4ELNS1_3repE0EEENS1_30default_config_static_selectorELNS0_4arch9wavefront6targetE0EEEvT1_
	.p2align	8
	.type	_ZN7rocprim17ROCPRIM_400000_NS6detail17trampoline_kernelINS0_14default_configENS1_25partition_config_selectorILNS1_17partition_subalgoE6EiNS0_10empty_typeEbEEZZNS1_14partition_implILS5_6ELb0ES3_mN6thrust23THRUST_200600_302600_NS6detail15normal_iteratorINSA_10device_ptrIiEEEEPS6_SG_NS0_5tupleIJSF_S6_EEENSH_IJSG_SG_EEES6_PlJ5mod_3IiEEEE10hipError_tPvRmT3_T4_T5_T6_T7_T9_mT8_P12ihipStream_tbDpT10_ENKUlT_T0_E_clISt17integral_constantIbLb0EES15_IbLb1EEEEDaS11_S12_EUlS11_E_NS1_11comp_targetILNS1_3genE10ELNS1_11target_archE1200ELNS1_3gpuE4ELNS1_3repE0EEENS1_30default_config_static_selectorELNS0_4arch9wavefront6targetE0EEEvT1_,@function
_ZN7rocprim17ROCPRIM_400000_NS6detail17trampoline_kernelINS0_14default_configENS1_25partition_config_selectorILNS1_17partition_subalgoE6EiNS0_10empty_typeEbEEZZNS1_14partition_implILS5_6ELb0ES3_mN6thrust23THRUST_200600_302600_NS6detail15normal_iteratorINSA_10device_ptrIiEEEEPS6_SG_NS0_5tupleIJSF_S6_EEENSH_IJSG_SG_EEES6_PlJ5mod_3IiEEEE10hipError_tPvRmT3_T4_T5_T6_T7_T9_mT8_P12ihipStream_tbDpT10_ENKUlT_T0_E_clISt17integral_constantIbLb0EES15_IbLb1EEEEDaS11_S12_EUlS11_E_NS1_11comp_targetILNS1_3genE10ELNS1_11target_archE1200ELNS1_3gpuE4ELNS1_3repE0EEENS1_30default_config_static_selectorELNS0_4arch9wavefront6targetE0EEEvT1_: ; @_ZN7rocprim17ROCPRIM_400000_NS6detail17trampoline_kernelINS0_14default_configENS1_25partition_config_selectorILNS1_17partition_subalgoE6EiNS0_10empty_typeEbEEZZNS1_14partition_implILS5_6ELb0ES3_mN6thrust23THRUST_200600_302600_NS6detail15normal_iteratorINSA_10device_ptrIiEEEEPS6_SG_NS0_5tupleIJSF_S6_EEENSH_IJSG_SG_EEES6_PlJ5mod_3IiEEEE10hipError_tPvRmT3_T4_T5_T6_T7_T9_mT8_P12ihipStream_tbDpT10_ENKUlT_T0_E_clISt17integral_constantIbLb0EES15_IbLb1EEEEDaS11_S12_EUlS11_E_NS1_11comp_targetILNS1_3genE10ELNS1_11target_archE1200ELNS1_3gpuE4ELNS1_3repE0EEENS1_30default_config_static_selectorELNS0_4arch9wavefront6targetE0EEEvT1_
; %bb.0:
	.section	.rodata,"a",@progbits
	.p2align	6, 0x0
	.amdhsa_kernel _ZN7rocprim17ROCPRIM_400000_NS6detail17trampoline_kernelINS0_14default_configENS1_25partition_config_selectorILNS1_17partition_subalgoE6EiNS0_10empty_typeEbEEZZNS1_14partition_implILS5_6ELb0ES3_mN6thrust23THRUST_200600_302600_NS6detail15normal_iteratorINSA_10device_ptrIiEEEEPS6_SG_NS0_5tupleIJSF_S6_EEENSH_IJSG_SG_EEES6_PlJ5mod_3IiEEEE10hipError_tPvRmT3_T4_T5_T6_T7_T9_mT8_P12ihipStream_tbDpT10_ENKUlT_T0_E_clISt17integral_constantIbLb0EES15_IbLb1EEEEDaS11_S12_EUlS11_E_NS1_11comp_targetILNS1_3genE10ELNS1_11target_archE1200ELNS1_3gpuE4ELNS1_3repE0EEENS1_30default_config_static_selectorELNS0_4arch9wavefront6targetE0EEEvT1_
		.amdhsa_group_segment_fixed_size 0
		.amdhsa_private_segment_fixed_size 0
		.amdhsa_kernarg_size 128
		.amdhsa_user_sgpr_count 15
		.amdhsa_user_sgpr_dispatch_ptr 0
		.amdhsa_user_sgpr_queue_ptr 0
		.amdhsa_user_sgpr_kernarg_segment_ptr 1
		.amdhsa_user_sgpr_dispatch_id 0
		.amdhsa_user_sgpr_private_segment_size 0
		.amdhsa_wavefront_size32 1
		.amdhsa_uses_dynamic_stack 0
		.amdhsa_enable_private_segment 0
		.amdhsa_system_sgpr_workgroup_id_x 1
		.amdhsa_system_sgpr_workgroup_id_y 0
		.amdhsa_system_sgpr_workgroup_id_z 0
		.amdhsa_system_sgpr_workgroup_info 0
		.amdhsa_system_vgpr_workitem_id 0
		.amdhsa_next_free_vgpr 1
		.amdhsa_next_free_sgpr 1
		.amdhsa_reserve_vcc 0
		.amdhsa_float_round_mode_32 0
		.amdhsa_float_round_mode_16_64 0
		.amdhsa_float_denorm_mode_32 3
		.amdhsa_float_denorm_mode_16_64 3
		.amdhsa_dx10_clamp 1
		.amdhsa_ieee_mode 1
		.amdhsa_fp16_overflow 0
		.amdhsa_workgroup_processor_mode 1
		.amdhsa_memory_ordered 1
		.amdhsa_forward_progress 0
		.amdhsa_shared_vgpr_count 0
		.amdhsa_exception_fp_ieee_invalid_op 0
		.amdhsa_exception_fp_denorm_src 0
		.amdhsa_exception_fp_ieee_div_zero 0
		.amdhsa_exception_fp_ieee_overflow 0
		.amdhsa_exception_fp_ieee_underflow 0
		.amdhsa_exception_fp_ieee_inexact 0
		.amdhsa_exception_int_div_zero 0
	.end_amdhsa_kernel
	.section	.text._ZN7rocprim17ROCPRIM_400000_NS6detail17trampoline_kernelINS0_14default_configENS1_25partition_config_selectorILNS1_17partition_subalgoE6EiNS0_10empty_typeEbEEZZNS1_14partition_implILS5_6ELb0ES3_mN6thrust23THRUST_200600_302600_NS6detail15normal_iteratorINSA_10device_ptrIiEEEEPS6_SG_NS0_5tupleIJSF_S6_EEENSH_IJSG_SG_EEES6_PlJ5mod_3IiEEEE10hipError_tPvRmT3_T4_T5_T6_T7_T9_mT8_P12ihipStream_tbDpT10_ENKUlT_T0_E_clISt17integral_constantIbLb0EES15_IbLb1EEEEDaS11_S12_EUlS11_E_NS1_11comp_targetILNS1_3genE10ELNS1_11target_archE1200ELNS1_3gpuE4ELNS1_3repE0EEENS1_30default_config_static_selectorELNS0_4arch9wavefront6targetE0EEEvT1_,"axG",@progbits,_ZN7rocprim17ROCPRIM_400000_NS6detail17trampoline_kernelINS0_14default_configENS1_25partition_config_selectorILNS1_17partition_subalgoE6EiNS0_10empty_typeEbEEZZNS1_14partition_implILS5_6ELb0ES3_mN6thrust23THRUST_200600_302600_NS6detail15normal_iteratorINSA_10device_ptrIiEEEEPS6_SG_NS0_5tupleIJSF_S6_EEENSH_IJSG_SG_EEES6_PlJ5mod_3IiEEEE10hipError_tPvRmT3_T4_T5_T6_T7_T9_mT8_P12ihipStream_tbDpT10_ENKUlT_T0_E_clISt17integral_constantIbLb0EES15_IbLb1EEEEDaS11_S12_EUlS11_E_NS1_11comp_targetILNS1_3genE10ELNS1_11target_archE1200ELNS1_3gpuE4ELNS1_3repE0EEENS1_30default_config_static_selectorELNS0_4arch9wavefront6targetE0EEEvT1_,comdat
.Lfunc_end613:
	.size	_ZN7rocprim17ROCPRIM_400000_NS6detail17trampoline_kernelINS0_14default_configENS1_25partition_config_selectorILNS1_17partition_subalgoE6EiNS0_10empty_typeEbEEZZNS1_14partition_implILS5_6ELb0ES3_mN6thrust23THRUST_200600_302600_NS6detail15normal_iteratorINSA_10device_ptrIiEEEEPS6_SG_NS0_5tupleIJSF_S6_EEENSH_IJSG_SG_EEES6_PlJ5mod_3IiEEEE10hipError_tPvRmT3_T4_T5_T6_T7_T9_mT8_P12ihipStream_tbDpT10_ENKUlT_T0_E_clISt17integral_constantIbLb0EES15_IbLb1EEEEDaS11_S12_EUlS11_E_NS1_11comp_targetILNS1_3genE10ELNS1_11target_archE1200ELNS1_3gpuE4ELNS1_3repE0EEENS1_30default_config_static_selectorELNS0_4arch9wavefront6targetE0EEEvT1_, .Lfunc_end613-_ZN7rocprim17ROCPRIM_400000_NS6detail17trampoline_kernelINS0_14default_configENS1_25partition_config_selectorILNS1_17partition_subalgoE6EiNS0_10empty_typeEbEEZZNS1_14partition_implILS5_6ELb0ES3_mN6thrust23THRUST_200600_302600_NS6detail15normal_iteratorINSA_10device_ptrIiEEEEPS6_SG_NS0_5tupleIJSF_S6_EEENSH_IJSG_SG_EEES6_PlJ5mod_3IiEEEE10hipError_tPvRmT3_T4_T5_T6_T7_T9_mT8_P12ihipStream_tbDpT10_ENKUlT_T0_E_clISt17integral_constantIbLb0EES15_IbLb1EEEEDaS11_S12_EUlS11_E_NS1_11comp_targetILNS1_3genE10ELNS1_11target_archE1200ELNS1_3gpuE4ELNS1_3repE0EEENS1_30default_config_static_selectorELNS0_4arch9wavefront6targetE0EEEvT1_
                                        ; -- End function
	.section	.AMDGPU.csdata,"",@progbits
; Kernel info:
; codeLenInByte = 0
; NumSgprs: 0
; NumVgprs: 0
; ScratchSize: 0
; MemoryBound: 0
; FloatMode: 240
; IeeeMode: 1
; LDSByteSize: 0 bytes/workgroup (compile time only)
; SGPRBlocks: 0
; VGPRBlocks: 0
; NumSGPRsForWavesPerEU: 1
; NumVGPRsForWavesPerEU: 1
; Occupancy: 15
; WaveLimiterHint : 0
; COMPUTE_PGM_RSRC2:SCRATCH_EN: 0
; COMPUTE_PGM_RSRC2:USER_SGPR: 15
; COMPUTE_PGM_RSRC2:TRAP_HANDLER: 0
; COMPUTE_PGM_RSRC2:TGID_X_EN: 1
; COMPUTE_PGM_RSRC2:TGID_Y_EN: 0
; COMPUTE_PGM_RSRC2:TGID_Z_EN: 0
; COMPUTE_PGM_RSRC2:TIDIG_COMP_CNT: 0
	.section	.text._ZN7rocprim17ROCPRIM_400000_NS6detail17trampoline_kernelINS0_14default_configENS1_25partition_config_selectorILNS1_17partition_subalgoE6EiNS0_10empty_typeEbEEZZNS1_14partition_implILS5_6ELb0ES3_mN6thrust23THRUST_200600_302600_NS6detail15normal_iteratorINSA_10device_ptrIiEEEEPS6_SG_NS0_5tupleIJSF_S6_EEENSH_IJSG_SG_EEES6_PlJ5mod_3IiEEEE10hipError_tPvRmT3_T4_T5_T6_T7_T9_mT8_P12ihipStream_tbDpT10_ENKUlT_T0_E_clISt17integral_constantIbLb0EES15_IbLb1EEEEDaS11_S12_EUlS11_E_NS1_11comp_targetILNS1_3genE9ELNS1_11target_archE1100ELNS1_3gpuE3ELNS1_3repE0EEENS1_30default_config_static_selectorELNS0_4arch9wavefront6targetE0EEEvT1_,"axG",@progbits,_ZN7rocprim17ROCPRIM_400000_NS6detail17trampoline_kernelINS0_14default_configENS1_25partition_config_selectorILNS1_17partition_subalgoE6EiNS0_10empty_typeEbEEZZNS1_14partition_implILS5_6ELb0ES3_mN6thrust23THRUST_200600_302600_NS6detail15normal_iteratorINSA_10device_ptrIiEEEEPS6_SG_NS0_5tupleIJSF_S6_EEENSH_IJSG_SG_EEES6_PlJ5mod_3IiEEEE10hipError_tPvRmT3_T4_T5_T6_T7_T9_mT8_P12ihipStream_tbDpT10_ENKUlT_T0_E_clISt17integral_constantIbLb0EES15_IbLb1EEEEDaS11_S12_EUlS11_E_NS1_11comp_targetILNS1_3genE9ELNS1_11target_archE1100ELNS1_3gpuE3ELNS1_3repE0EEENS1_30default_config_static_selectorELNS0_4arch9wavefront6targetE0EEEvT1_,comdat
	.protected	_ZN7rocprim17ROCPRIM_400000_NS6detail17trampoline_kernelINS0_14default_configENS1_25partition_config_selectorILNS1_17partition_subalgoE6EiNS0_10empty_typeEbEEZZNS1_14partition_implILS5_6ELb0ES3_mN6thrust23THRUST_200600_302600_NS6detail15normal_iteratorINSA_10device_ptrIiEEEEPS6_SG_NS0_5tupleIJSF_S6_EEENSH_IJSG_SG_EEES6_PlJ5mod_3IiEEEE10hipError_tPvRmT3_T4_T5_T6_T7_T9_mT8_P12ihipStream_tbDpT10_ENKUlT_T0_E_clISt17integral_constantIbLb0EES15_IbLb1EEEEDaS11_S12_EUlS11_E_NS1_11comp_targetILNS1_3genE9ELNS1_11target_archE1100ELNS1_3gpuE3ELNS1_3repE0EEENS1_30default_config_static_selectorELNS0_4arch9wavefront6targetE0EEEvT1_ ; -- Begin function _ZN7rocprim17ROCPRIM_400000_NS6detail17trampoline_kernelINS0_14default_configENS1_25partition_config_selectorILNS1_17partition_subalgoE6EiNS0_10empty_typeEbEEZZNS1_14partition_implILS5_6ELb0ES3_mN6thrust23THRUST_200600_302600_NS6detail15normal_iteratorINSA_10device_ptrIiEEEEPS6_SG_NS0_5tupleIJSF_S6_EEENSH_IJSG_SG_EEES6_PlJ5mod_3IiEEEE10hipError_tPvRmT3_T4_T5_T6_T7_T9_mT8_P12ihipStream_tbDpT10_ENKUlT_T0_E_clISt17integral_constantIbLb0EES15_IbLb1EEEEDaS11_S12_EUlS11_E_NS1_11comp_targetILNS1_3genE9ELNS1_11target_archE1100ELNS1_3gpuE3ELNS1_3repE0EEENS1_30default_config_static_selectorELNS0_4arch9wavefront6targetE0EEEvT1_
	.globl	_ZN7rocprim17ROCPRIM_400000_NS6detail17trampoline_kernelINS0_14default_configENS1_25partition_config_selectorILNS1_17partition_subalgoE6EiNS0_10empty_typeEbEEZZNS1_14partition_implILS5_6ELb0ES3_mN6thrust23THRUST_200600_302600_NS6detail15normal_iteratorINSA_10device_ptrIiEEEEPS6_SG_NS0_5tupleIJSF_S6_EEENSH_IJSG_SG_EEES6_PlJ5mod_3IiEEEE10hipError_tPvRmT3_T4_T5_T6_T7_T9_mT8_P12ihipStream_tbDpT10_ENKUlT_T0_E_clISt17integral_constantIbLb0EES15_IbLb1EEEEDaS11_S12_EUlS11_E_NS1_11comp_targetILNS1_3genE9ELNS1_11target_archE1100ELNS1_3gpuE3ELNS1_3repE0EEENS1_30default_config_static_selectorELNS0_4arch9wavefront6targetE0EEEvT1_
	.p2align	8
	.type	_ZN7rocprim17ROCPRIM_400000_NS6detail17trampoline_kernelINS0_14default_configENS1_25partition_config_selectorILNS1_17partition_subalgoE6EiNS0_10empty_typeEbEEZZNS1_14partition_implILS5_6ELb0ES3_mN6thrust23THRUST_200600_302600_NS6detail15normal_iteratorINSA_10device_ptrIiEEEEPS6_SG_NS0_5tupleIJSF_S6_EEENSH_IJSG_SG_EEES6_PlJ5mod_3IiEEEE10hipError_tPvRmT3_T4_T5_T6_T7_T9_mT8_P12ihipStream_tbDpT10_ENKUlT_T0_E_clISt17integral_constantIbLb0EES15_IbLb1EEEEDaS11_S12_EUlS11_E_NS1_11comp_targetILNS1_3genE9ELNS1_11target_archE1100ELNS1_3gpuE3ELNS1_3repE0EEENS1_30default_config_static_selectorELNS0_4arch9wavefront6targetE0EEEvT1_,@function
_ZN7rocprim17ROCPRIM_400000_NS6detail17trampoline_kernelINS0_14default_configENS1_25partition_config_selectorILNS1_17partition_subalgoE6EiNS0_10empty_typeEbEEZZNS1_14partition_implILS5_6ELb0ES3_mN6thrust23THRUST_200600_302600_NS6detail15normal_iteratorINSA_10device_ptrIiEEEEPS6_SG_NS0_5tupleIJSF_S6_EEENSH_IJSG_SG_EEES6_PlJ5mod_3IiEEEE10hipError_tPvRmT3_T4_T5_T6_T7_T9_mT8_P12ihipStream_tbDpT10_ENKUlT_T0_E_clISt17integral_constantIbLb0EES15_IbLb1EEEEDaS11_S12_EUlS11_E_NS1_11comp_targetILNS1_3genE9ELNS1_11target_archE1100ELNS1_3gpuE3ELNS1_3repE0EEENS1_30default_config_static_selectorELNS0_4arch9wavefront6targetE0EEEvT1_: ; @_ZN7rocprim17ROCPRIM_400000_NS6detail17trampoline_kernelINS0_14default_configENS1_25partition_config_selectorILNS1_17partition_subalgoE6EiNS0_10empty_typeEbEEZZNS1_14partition_implILS5_6ELb0ES3_mN6thrust23THRUST_200600_302600_NS6detail15normal_iteratorINSA_10device_ptrIiEEEEPS6_SG_NS0_5tupleIJSF_S6_EEENSH_IJSG_SG_EEES6_PlJ5mod_3IiEEEE10hipError_tPvRmT3_T4_T5_T6_T7_T9_mT8_P12ihipStream_tbDpT10_ENKUlT_T0_E_clISt17integral_constantIbLb0EES15_IbLb1EEEEDaS11_S12_EUlS11_E_NS1_11comp_targetILNS1_3genE9ELNS1_11target_archE1100ELNS1_3gpuE3ELNS1_3repE0EEENS1_30default_config_static_selectorELNS0_4arch9wavefront6targetE0EEEvT1_
; %bb.0:
	s_clause 0x3
	s_load_b64 s[12:13], s[0:1], 0x28
	s_load_b128 s[4:7], s[0:1], 0x40
	s_load_b64 s[16:17], s[0:1], 0x50
	s_load_b64 s[14:15], s[0:1], 0x60
	v_cmp_eq_u32_e64 s2, 0, v0
	s_delay_alu instid0(VALU_DEP_1)
	s_and_saveexec_b32 s3, s2
	s_cbranch_execz .LBB614_4
; %bb.1:
	s_mov_b32 s9, exec_lo
	s_mov_b32 s8, exec_lo
	v_mbcnt_lo_u32_b32 v1, s9, 0
                                        ; implicit-def: $vgpr2
	s_delay_alu instid0(VALU_DEP_1)
	v_cmpx_eq_u32_e32 0, v1
	s_cbranch_execz .LBB614_3
; %bb.2:
	s_load_b64 s[10:11], s[0:1], 0x70
	s_bcnt1_i32_b32 s9, s9
	s_delay_alu instid0(SALU_CYCLE_1)
	v_dual_mov_b32 v2, 0 :: v_dual_mov_b32 v3, s9
	s_waitcnt lgkmcnt(0)
	global_atomic_add_u32 v2, v2, v3, s[10:11] glc
.LBB614_3:
	s_or_b32 exec_lo, exec_lo, s8
	s_waitcnt vmcnt(0)
	v_readfirstlane_b32 s8, v2
	s_delay_alu instid0(VALU_DEP_1)
	v_dual_mov_b32 v2, 0 :: v_dual_add_nc_u32 v1, s8, v1
	ds_store_b32 v2, v1
.LBB614_4:
	s_or_b32 exec_lo, exec_lo, s3
	v_dual_mov_b32 v2, 0 :: v_dual_lshlrev_b32 v17, 2, v0
	s_clause 0x1
	s_load_b128 s[8:11], s[0:1], 0x8
	s_load_b32 s0, s[0:1], 0x68
	s_waitcnt lgkmcnt(0)
	s_barrier
	buffer_gl0_inv
	ds_load_b32 v1, v2
	s_waitcnt lgkmcnt(0)
	s_barrier
	buffer_gl0_inv
	global_load_b64 v[49:50], v2, s[6:7]
	s_lshl_b64 s[6:7], s[10:11], 2
	s_mul_i32 s3, s0, 0x700
	s_add_u32 s1, s8, s6
	s_addc_u32 s18, s9, s7
	s_add_i32 s6, s3, s10
	v_readfirstlane_b32 s7, v1
	v_mul_lo_u32 v1, 0x700, v1
	s_add_i32 s19, s0, -1
	s_sub_i32 s0, s16, s6
	s_add_u32 s8, s10, s3
	s_addc_u32 s9, s11, 0
	s_cmp_eq_u32 s7, s19
	v_cmp_ge_u64_e64 s6, s[8:9], s[16:17]
	s_cselect_b32 s3, -1, 0
	v_lshlrev_b64 v[1:2], 2, v[1:2]
	s_delay_alu instid0(VALU_DEP_2) | instskip(NEXT) | instid1(VALU_DEP_1)
	s_and_b32 s6, s6, s3
	v_add_co_u32 v18, vcc_lo, s1, v1
	s_delay_alu instid0(VALU_DEP_2)
	v_add_co_ci_u32_e32 v19, vcc_lo, s18, v2, vcc_lo
	s_xor_b32 s6, s6, -1
	s_mov_b32 s1, -1
	s_and_b32 vcc_lo, exec_lo, s6
	s_cbranch_vccz .LBB614_6
; %bb.5:
	v_add_co_u32 v1, vcc_lo, v18, v17
	v_add_co_ci_u32_e32 v2, vcc_lo, 0, v19, vcc_lo
	s_mov_b32 s1, 0
	s_delay_alu instid0(VALU_DEP_2) | instskip(NEXT) | instid1(VALU_DEP_2)
	v_add_co_u32 v3, vcc_lo, 0x1000, v1
	v_add_co_ci_u32_e32 v4, vcc_lo, 0, v2, vcc_lo
	s_clause 0xd
	flat_load_b32 v5, v[1:2]
	flat_load_b32 v6, v[1:2] offset:512
	flat_load_b32 v7, v[1:2] offset:1024
	;; [unrolled: 1-line block ×7, first 2 shown]
	flat_load_b32 v2, v[3:4]
	flat_load_b32 v12, v[3:4] offset:512
	flat_load_b32 v13, v[3:4] offset:1024
	;; [unrolled: 1-line block ×5, first 2 shown]
	s_waitcnt vmcnt(12) lgkmcnt(12)
	ds_store_2addr_stride64_b32 v17, v5, v6 offset1:2
	s_waitcnt vmcnt(10) lgkmcnt(11)
	ds_store_2addr_stride64_b32 v17, v7, v8 offset0:4 offset1:6
	s_waitcnt vmcnt(8) lgkmcnt(10)
	ds_store_2addr_stride64_b32 v17, v9, v10 offset0:8 offset1:10
	;; [unrolled: 2-line block ×6, first 2 shown]
	s_waitcnt lgkmcnt(0)
	s_barrier
.LBB614_6:
	s_and_not1_b32 vcc_lo, exec_lo, s1
	s_addk_i32 s0, 0x700
	s_cbranch_vccnz .LBB614_36
; %bb.7:
	s_mov_b32 s1, exec_lo
                                        ; implicit-def: $vgpr1_vgpr2_vgpr3_vgpr4_vgpr5_vgpr6_vgpr7_vgpr8_vgpr9_vgpr10_vgpr11_vgpr12_vgpr13_vgpr14_vgpr15_vgpr16
	v_cmpx_gt_u32_e64 s0, v0
	s_cbranch_execz .LBB614_9
; %bb.8:
	v_add_co_u32 v1, vcc_lo, v18, v17
	v_add_co_ci_u32_e32 v2, vcc_lo, 0, v19, vcc_lo
	flat_load_b32 v1, v[1:2]
.LBB614_9:
	s_or_b32 exec_lo, exec_lo, s1
	v_or_b32_e32 v15, 0x80, v0
	s_mov_b32 s1, exec_lo
	s_delay_alu instid0(VALU_DEP_1)
	v_cmpx_gt_u32_e64 s0, v15
	s_cbranch_execz .LBB614_11
; %bb.10:
	v_add_co_u32 v15, vcc_lo, v18, v17
	v_add_co_ci_u32_e32 v16, vcc_lo, 0, v19, vcc_lo
	flat_load_b32 v2, v[15:16] offset:512
.LBB614_11:
	s_or_b32 exec_lo, exec_lo, s1
	v_or_b32_e32 v15, 0x100, v0
	s_mov_b32 s1, exec_lo
	s_delay_alu instid0(VALU_DEP_1)
	v_cmpx_gt_u32_e64 s0, v15
	s_cbranch_execz .LBB614_13
; %bb.12:
	v_add_co_u32 v15, vcc_lo, v18, v17
	v_add_co_ci_u32_e32 v16, vcc_lo, 0, v19, vcc_lo
	flat_load_b32 v3, v[15:16] offset:1024
.LBB614_13:
	;; [unrolled: 11-line block ×7, first 2 shown]
	s_or_b32 exec_lo, exec_lo, s1
	v_or_b32_e32 v15, 0x400, v0
	s_mov_b32 s1, exec_lo
	s_delay_alu instid0(VALU_DEP_1)
	v_cmpx_gt_u32_e64 s0, v15
	s_cbranch_execz .LBB614_25
; %bb.24:
	v_lshlrev_b32_e32 v9, 2, v15
	s_delay_alu instid0(VALU_DEP_1)
	v_add_co_u32 v15, vcc_lo, v18, v9
	v_add_co_ci_u32_e32 v16, vcc_lo, 0, v19, vcc_lo
	flat_load_b32 v9, v[15:16]
.LBB614_25:
	s_or_b32 exec_lo, exec_lo, s1
	v_or_b32_e32 v15, 0x480, v0
	s_mov_b32 s1, exec_lo
	s_delay_alu instid0(VALU_DEP_1)
	v_cmpx_gt_u32_e64 s0, v15
	s_cbranch_execz .LBB614_27
; %bb.26:
	v_lshlrev_b32_e32 v10, 2, v15
	s_delay_alu instid0(VALU_DEP_1)
	v_add_co_u32 v15, vcc_lo, v18, v10
	v_add_co_ci_u32_e32 v16, vcc_lo, 0, v19, vcc_lo
	flat_load_b32 v10, v[15:16]
.LBB614_27:
	;; [unrolled: 13-line block ×6, first 2 shown]
	s_or_b32 exec_lo, exec_lo, s1
	s_waitcnt vmcnt(0) lgkmcnt(0)
	ds_store_2addr_stride64_b32 v17, v1, v2 offset1:2
	ds_store_2addr_stride64_b32 v17, v3, v4 offset0:4 offset1:6
	ds_store_2addr_stride64_b32 v17, v5, v6 offset0:8 offset1:10
	;; [unrolled: 1-line block ×6, first 2 shown]
	s_waitcnt lgkmcnt(0)
	s_barrier
.LBB614_36:
	v_mul_u32_u24_e32 v1, 14, v0
	s_waitcnt vmcnt(0)
	buffer_gl0_inv
	s_and_not1_b32 vcc_lo, exec_lo, s6
	v_lshlrev_b32_e32 v63, 2, v1
	ds_load_2addr_b64 v[41:44], v63 offset1:1
	ds_load_2addr_b64 v[37:40], v63 offset0:2 offset1:3
	ds_load_2addr_b64 v[33:36], v63 offset0:4 offset1:5
	ds_load_b64 v[51:52], v63 offset:48
	s_waitcnt lgkmcnt(0)
	s_barrier
	buffer_gl0_inv
	s_cbranch_vccnz .LBB614_38
; %bb.37:
	v_mul_lo_u32 v2, 0xaaaaaaab, v41
	v_mul_lo_u32 v3, 0xaaaaaaab, v42
	;; [unrolled: 1-line block ×8, first 2 shown]
	v_cmp_lt_u32_e32 vcc_lo, 0x55555555, v2
	v_mul_lo_u32 v10, 0xaaaaaaab, v33
	v_mul_lo_u32 v11, 0xaaaaaaab, v34
	v_mul_lo_u32 v12, 0xaaaaaaab, v35
	v_mul_lo_u32 v13, 0xaaaaaaab, v36
	v_cndmask_b32_e64 v2, 0, 1, vcc_lo
	v_cmp_lt_u32_e32 vcc_lo, 0x55555555, v3
	v_mul_lo_u32 v14, 0xaaaaaaab, v51
	v_cndmask_b32_e64 v3, 0, 1, vcc_lo
	v_cmp_lt_u32_e32 vcc_lo, 0x55555555, v4
	s_delay_alu instid0(VALU_DEP_2) | instskip(SKIP_2) | instid1(VALU_DEP_3)
	v_lshlrev_b16 v3, 8, v3
	v_cndmask_b32_e64 v4, 0, 1, vcc_lo
	v_cmp_lt_u32_e32 vcc_lo, 0x55555555, v5
	v_or_b32_e32 v2, v2, v3
	v_cndmask_b32_e64 v5, 0, 1, vcc_lo
	v_cmp_lt_u32_e32 vcc_lo, 0x55555555, v6
	s_delay_alu instid0(VALU_DEP_3) | instskip(NEXT) | instid1(VALU_DEP_3)
	v_and_b32_e32 v2, 0xffff, v2
	v_lshlrev_b16 v5, 8, v5
	v_cndmask_b32_e64 v6, 0, 1, vcc_lo
	v_cmp_lt_u32_e32 vcc_lo, 0x55555555, v7
	s_delay_alu instid0(VALU_DEP_3) | instskip(SKIP_2) | instid1(VALU_DEP_3)
	v_or_b32_e32 v4, v4, v5
	v_cndmask_b32_e64 v7, 0, 1, vcc_lo
	v_cmp_lt_u32_e32 vcc_lo, 0x55555555, v8
	v_lshlrev_b32_e32 v4, 16, v4
	s_delay_alu instid0(VALU_DEP_3) | instskip(SKIP_2) | instid1(VALU_DEP_4)
	v_lshlrev_b16 v7, 8, v7
	v_cndmask_b32_e64 v8, 0, 1, vcc_lo
	v_cmp_lt_u32_e32 vcc_lo, 0x55555555, v9
	v_or_b32_e32 v61, v2, v4
	s_delay_alu instid0(VALU_DEP_4) | instskip(SKIP_2) | instid1(VALU_DEP_3)
	v_or_b32_e32 v5, v6, v7
	v_cndmask_b32_e64 v9, 0, 1, vcc_lo
	v_cmp_lt_u32_e32 vcc_lo, 0x55555555, v10
	v_and_b32_e32 v5, 0xffff, v5
	s_delay_alu instid0(VALU_DEP_3) | instskip(SKIP_2) | instid1(VALU_DEP_3)
	v_lshlrev_b16 v9, 8, v9
	v_cndmask_b32_e64 v10, 0, 1, vcc_lo
	v_cmp_lt_u32_e32 vcc_lo, 0x55555555, v11
	v_or_b32_e32 v6, v8, v9
	v_cndmask_b32_e64 v11, 0, 1, vcc_lo
	v_cmp_lt_u32_e32 vcc_lo, 0x55555555, v12
	s_delay_alu instid0(VALU_DEP_3) | instskip(NEXT) | instid1(VALU_DEP_3)
	v_lshlrev_b32_e32 v6, 16, v6
	v_lshlrev_b16 v11, 8, v11
	v_cndmask_b32_e64 v12, 0, 1, vcc_lo
	v_cmp_lt_u32_e32 vcc_lo, 0x55555555, v13
	v_mul_lo_u32 v13, 0xaaaaaaab, v52
	v_or_b32_e32 v58, v5, v6
	v_or_b32_e32 v7, v10, v11
	v_cndmask_b32_e64 v3, 0, 1, vcc_lo
	v_cmp_lt_u32_e32 vcc_lo, 0x55555555, v14
	s_delay_alu instid0(VALU_DEP_3) | instskip(NEXT) | instid1(VALU_DEP_3)
	v_and_b32_e32 v7, 0xffff, v7
	v_lshlrev_b16 v3, 8, v3
	v_cndmask_b32_e64 v55, 0, 1, vcc_lo
	v_cmp_lt_u32_e32 vcc_lo, 0x55555555, v13
	s_delay_alu instid0(VALU_DEP_3) | instskip(SKIP_1) | instid1(VALU_DEP_2)
	v_or_b32_e32 v3, v12, v3
	v_cndmask_b32_e64 v56, 0, 1, vcc_lo
	v_lshlrev_b32_e32 v3, 16, v3
	s_delay_alu instid0(VALU_DEP_1)
	v_or_b32_e32 v57, v7, v3
	s_cbranch_execz .LBB614_39
	s_branch .LBB614_68
.LBB614_38:
                                        ; implicit-def: $vgpr56
                                        ; implicit-def: $vgpr55
                                        ; implicit-def: $vgpr57
                                        ; implicit-def: $vgpr58
                                        ; implicit-def: $vgpr61
.LBB614_39:
	v_dual_mov_b32 v3, 0 :: v_dual_mov_b32 v2, 0
	s_mov_b32 s1, exec_lo
	v_cmpx_gt_u32_e64 s0, v1
; %bb.40:
	v_mul_lo_u32 v2, 0xaaaaaaab, v41
	s_delay_alu instid0(VALU_DEP_1)
	v_cmp_lt_u32_e32 vcc_lo, 0x55555555, v2
	v_cndmask_b32_e64 v2, 0, 1, vcc_lo
; %bb.41:
	s_or_b32 exec_lo, exec_lo, s1
	v_or_b32_e32 v4, 1, v1
	s_mov_b32 s1, exec_lo
	s_delay_alu instid0(VALU_DEP_1)
	v_cmpx_gt_u32_e64 s0, v4
; %bb.42:
	v_mul_lo_u32 v3, 0xaaaaaaab, v42
	s_delay_alu instid0(VALU_DEP_1)
	v_cmp_lt_u32_e32 vcc_lo, 0x55555555, v3
	v_cndmask_b32_e64 v3, 0, 1, vcc_lo
; %bb.43:
	s_or_b32 exec_lo, exec_lo, s1
	v_dual_mov_b32 v5, 0 :: v_dual_add_nc_u32 v4, 2, v1
	s_delay_alu instid0(VALU_DEP_1)
	v_cmp_gt_u32_e32 vcc_lo, s0, v4
	v_mov_b32_e32 v4, 0
	s_and_saveexec_b32 s1, vcc_lo
; %bb.44:
	v_mul_lo_u32 v4, 0xaaaaaaab, v43
	s_delay_alu instid0(VALU_DEP_1)
	v_cmp_lt_u32_e32 vcc_lo, 0x55555555, v4
	v_cndmask_b32_e64 v4, 0, 1, vcc_lo
; %bb.45:
	s_or_b32 exec_lo, exec_lo, s1
	v_add_nc_u32_e32 v6, 3, v1
	s_mov_b32 s1, exec_lo
	s_delay_alu instid0(VALU_DEP_1)
	v_cmpx_gt_u32_e64 s0, v6
; %bb.46:
	v_mul_lo_u32 v5, 0xaaaaaaab, v44
	s_delay_alu instid0(VALU_DEP_1)
	v_cmp_lt_u32_e32 vcc_lo, 0x55555555, v5
	v_cndmask_b32_e64 v5, 0, 1, vcc_lo
; %bb.47:
	s_or_b32 exec_lo, exec_lo, s1
	v_dual_mov_b32 v7, 0 :: v_dual_add_nc_u32 v6, 4, v1
	s_delay_alu instid0(VALU_DEP_1)
	v_cmp_gt_u32_e32 vcc_lo, s0, v6
	v_mov_b32_e32 v6, 0
	s_and_saveexec_b32 s1, vcc_lo
; %bb.48:
	v_mul_lo_u32 v6, 0xaaaaaaab, v37
	s_delay_alu instid0(VALU_DEP_1)
	v_cmp_lt_u32_e32 vcc_lo, 0x55555555, v6
	v_cndmask_b32_e64 v6, 0, 1, vcc_lo
; %bb.49:
	s_or_b32 exec_lo, exec_lo, s1
	v_add_nc_u32_e32 v8, 5, v1
	;; [unrolled: 23-line block ×5, first 2 shown]
	s_mov_b32 s1, exec_lo
	s_delay_alu instid0(VALU_DEP_1)
	v_cmpx_gt_u32_e64 s0, v14
; %bb.62:
	v_mul_lo_u32 v13, 0xaaaaaaab, v36
	s_delay_alu instid0(VALU_DEP_1)
	v_cmp_lt_u32_e32 vcc_lo, 0x55555555, v13
	v_cndmask_b32_e64 v13, 0, 1, vcc_lo
; %bb.63:
	s_or_b32 exec_lo, exec_lo, s1
	v_dual_mov_b32 v55, 0 :: v_dual_add_nc_u32 v14, 12, v1
	v_mov_b32_e32 v56, 0
	s_mov_b32 s1, exec_lo
	s_delay_alu instid0(VALU_DEP_2)
	v_cmpx_gt_u32_e64 s0, v14
; %bb.64:
	v_mul_lo_u32 v14, 0xaaaaaaab, v51
	s_delay_alu instid0(VALU_DEP_1)
	v_cmp_lt_u32_e32 vcc_lo, 0x55555555, v14
	v_cndmask_b32_e64 v55, 0, 1, vcc_lo
; %bb.65:
	s_or_b32 exec_lo, exec_lo, s1
	v_add_nc_u32_e32 v1, 13, v1
	s_delay_alu instid0(VALU_DEP_1)
	v_cmp_gt_u32_e32 vcc_lo, s0, v1
	s_and_saveexec_b32 s0, vcc_lo
; %bb.66:
	v_mul_lo_u32 v1, 0xaaaaaaab, v52
	s_delay_alu instid0(VALU_DEP_1)
	v_cmp_lt_u32_e32 vcc_lo, 0x55555555, v1
	v_cndmask_b32_e64 v56, 0, 1, vcc_lo
; %bb.67:
	s_or_b32 exec_lo, exec_lo, s0
	v_lshlrev_b16 v1, 8, v3
	v_lshlrev_b16 v3, 8, v5
	;; [unrolled: 1-line block ×5, first 2 shown]
	v_or_b32_e32 v1, v2, v1
	v_lshlrev_b16 v2, 8, v13
	v_or_b32_e32 v3, v4, v3
	v_or_b32_e32 v4, v6, v5
	;; [unrolled: 1-line block ×5, first 2 shown]
	v_and_b32_e32 v1, 0xffff, v1
	v_lshlrev_b32_e32 v3, 16, v3
	v_and_b32_e32 v4, 0xffff, v4
	v_lshlrev_b32_e32 v5, 16, v5
	;; [unrolled: 2-line block ×3, first 2 shown]
	v_or_b32_e32 v61, v1, v3
	s_delay_alu instid0(VALU_DEP_4) | instskip(NEXT) | instid1(VALU_DEP_3)
	v_or_b32_e32 v58, v4, v5
	v_or_b32_e32 v57, v6, v2
.LBB614_68:
	s_delay_alu instid0(VALU_DEP_3)
	v_dual_mov_b32 v2, 0 :: v_dual_and_b32 v65, 0xff, v61
	v_bfe_u32 v66, v61, 8, 8
	v_bfe_u32 v67, v61, 16, 8
	v_lshrrev_b32_e32 v62, 24, v61
	v_and_b32_e32 v68, 0xff, v58
	v_bfe_u32 v69, v58, 8, 8
	v_add_co_u32 v1, s0, v66, v65
	s_delay_alu instid0(VALU_DEP_1) | instskip(SKIP_1) | instid1(VALU_DEP_3)
	v_add_co_ci_u32_e64 v3, null, 0, 0, s0
	v_bfe_u32 v70, v58, 16, 8
	v_add_co_u32 v1, vcc_lo, v1, v67
	s_delay_alu instid0(VALU_DEP_3) | instskip(SKIP_1) | instid1(VALU_DEP_3)
	v_add_co_ci_u32_e32 v3, vcc_lo, 0, v3, vcc_lo
	v_lshrrev_b32_e32 v60, 24, v58
	v_add_co_u32 v1, vcc_lo, v1, v62
	s_delay_alu instid0(VALU_DEP_3) | instskip(SKIP_1) | instid1(VALU_DEP_3)
	v_add_co_ci_u32_e32 v3, vcc_lo, 0, v3, vcc_lo
	v_and_b32_e32 v71, 0xff, v57
	v_add_co_u32 v1, vcc_lo, v1, v68
	s_delay_alu instid0(VALU_DEP_3) | instskip(SKIP_1) | instid1(VALU_DEP_3)
	v_add_co_ci_u32_e32 v3, vcc_lo, 0, v3, vcc_lo
	v_bfe_u32 v72, v57, 8, 8
	v_add_co_u32 v1, vcc_lo, v1, v69
	s_delay_alu instid0(VALU_DEP_3) | instskip(SKIP_1) | instid1(VALU_DEP_3)
	v_add_co_ci_u32_e32 v3, vcc_lo, 0, v3, vcc_lo
	v_bfe_u32 v73, v57, 16, 8
	v_add_co_u32 v1, vcc_lo, v1, v70
	s_delay_alu instid0(VALU_DEP_3) | instskip(SKIP_1) | instid1(VALU_DEP_3)
	v_add_co_ci_u32_e32 v3, vcc_lo, 0, v3, vcc_lo
	v_lshrrev_b32_e32 v59, 24, v57
	v_add_co_u32 v1, vcc_lo, v1, v60
	s_delay_alu instid0(VALU_DEP_3) | instskip(SKIP_1) | instid1(VALU_DEP_3)
	v_add_co_ci_u32_e32 v3, vcc_lo, 0, v3, vcc_lo
	v_and_b32_e32 v64, 0xff, v55
	v_add_co_u32 v1, vcc_lo, v1, v71
	s_delay_alu instid0(VALU_DEP_3) | instskip(SKIP_1) | instid1(VALU_DEP_3)
	v_add_co_ci_u32_e32 v3, vcc_lo, 0, v3, vcc_lo
	v_mbcnt_lo_u32_b32 v74, -1, 0
	v_add_co_u32 v1, vcc_lo, v1, v72
	s_delay_alu instid0(VALU_DEP_3) | instskip(SKIP_1) | instid1(VALU_DEP_3)
	v_add_co_ci_u32_e32 v3, vcc_lo, 0, v3, vcc_lo
	v_and_b32_e32 v4, 0xff, v56
	v_add_co_u32 v1, vcc_lo, v1, v73
	s_delay_alu instid0(VALU_DEP_3) | instskip(SKIP_1) | instid1(VALU_DEP_3)
	v_add_co_ci_u32_e32 v3, vcc_lo, 0, v3, vcc_lo
	v_and_b32_e32 v75, 15, v74
	v_add_co_u32 v1, vcc_lo, v1, v59
	s_delay_alu instid0(VALU_DEP_3) | instskip(NEXT) | instid1(VALU_DEP_3)
	v_add_co_ci_u32_e32 v3, vcc_lo, 0, v3, vcc_lo
	v_cmp_ne_u32_e64 s0, 0, v75
	s_delay_alu instid0(VALU_DEP_3) | instskip(NEXT) | instid1(VALU_DEP_3)
	v_add_co_u32 v1, vcc_lo, v1, v64
	v_add_co_ci_u32_e32 v3, vcc_lo, 0, v3, vcc_lo
	s_cmp_lg_u32 s7, 0
	s_delay_alu instid0(VALU_DEP_2) | instskip(NEXT) | instid1(VALU_DEP_2)
	v_add_co_u32 v53, vcc_lo, v1, v4
	v_add_co_ci_u32_e32 v54, vcc_lo, 0, v3, vcc_lo
	s_mov_b32 s1, -1
	s_cbranch_scc0 .LBB614_128
; %bb.69:
	s_delay_alu instid0(VALU_DEP_2)
	v_mov_b32_e32 v3, v53
	v_mov_b32_dpp v1, v53 row_shr:1 row_mask:0xf bank_mask:0xf
	v_mov_b32_dpp v6, v2 row_shr:1 row_mask:0xf bank_mask:0xf
	v_dual_mov_b32 v5, v53 :: v_dual_mov_b32 v4, v54
	s_and_saveexec_b32 s1, s0
; %bb.70:
	s_delay_alu instid0(VALU_DEP_3) | instskip(SKIP_1) | instid1(VALU_DEP_2)
	v_add_co_u32 v5, vcc_lo, v53, v1
	v_add_co_ci_u32_e32 v2, vcc_lo, 0, v54, vcc_lo
	v_add_co_u32 v1, vcc_lo, 0, v5
	s_delay_alu instid0(VALU_DEP_2) | instskip(NEXT) | instid1(VALU_DEP_1)
	v_add_co_ci_u32_e32 v2, vcc_lo, v6, v2, vcc_lo
	v_dual_mov_b32 v4, v2 :: v_dual_mov_b32 v3, v1
; %bb.71:
	s_or_b32 exec_lo, exec_lo, s1
	v_mov_b32_dpp v1, v5 row_shr:2 row_mask:0xf bank_mask:0xf
	v_mov_b32_dpp v6, v2 row_shr:2 row_mask:0xf bank_mask:0xf
	s_mov_b32 s1, exec_lo
	v_cmpx_lt_u32_e32 1, v75
; %bb.72:
	s_delay_alu instid0(VALU_DEP_3) | instskip(SKIP_1) | instid1(VALU_DEP_2)
	v_add_co_u32 v5, vcc_lo, v3, v1
	v_add_co_ci_u32_e32 v2, vcc_lo, 0, v4, vcc_lo
	v_add_co_u32 v1, vcc_lo, 0, v5
	s_delay_alu instid0(VALU_DEP_2) | instskip(NEXT) | instid1(VALU_DEP_1)
	v_add_co_ci_u32_e32 v2, vcc_lo, v6, v2, vcc_lo
	v_dual_mov_b32 v4, v2 :: v_dual_mov_b32 v3, v1
; %bb.73:
	s_or_b32 exec_lo, exec_lo, s1
	v_mov_b32_dpp v1, v5 row_shr:4 row_mask:0xf bank_mask:0xf
	v_mov_b32_dpp v6, v2 row_shr:4 row_mask:0xf bank_mask:0xf
	s_mov_b32 s1, exec_lo
	v_cmpx_lt_u32_e32 3, v75
	;; [unrolled: 14-line block ×3, first 2 shown]
; %bb.76:
	s_delay_alu instid0(VALU_DEP_3) | instskip(SKIP_1) | instid1(VALU_DEP_2)
	v_add_co_u32 v5, vcc_lo, v3, v6
	v_add_co_ci_u32_e32 v2, vcc_lo, 0, v4, vcc_lo
	v_add_co_u32 v3, vcc_lo, 0, v5
	s_delay_alu instid0(VALU_DEP_2) | instskip(NEXT) | instid1(VALU_DEP_1)
	v_add_co_ci_u32_e32 v4, vcc_lo, v1, v2, vcc_lo
	v_mov_b32_e32 v2, v4
; %bb.77:
	s_or_b32 exec_lo, exec_lo, s1
	ds_swizzle_b32 v1, v5 offset:swizzle(BROADCAST,32,15)
	ds_swizzle_b32 v6, v2 offset:swizzle(BROADCAST,32,15)
	v_and_b32_e32 v7, 16, v74
	s_mov_b32 s1, exec_lo
	s_delay_alu instid0(VALU_DEP_1)
	v_cmpx_ne_u32_e32 0, v7
	s_cbranch_execz .LBB614_79
; %bb.78:
	s_waitcnt lgkmcnt(1)
	v_add_co_u32 v5, vcc_lo, v3, v1
	v_add_co_ci_u32_e32 v2, vcc_lo, 0, v4, vcc_lo
	s_delay_alu instid0(VALU_DEP_2) | instskip(SKIP_1) | instid1(VALU_DEP_2)
	v_add_co_u32 v1, vcc_lo, 0, v5
	s_waitcnt lgkmcnt(0)
	v_add_co_ci_u32_e32 v2, vcc_lo, v6, v2, vcc_lo
	s_delay_alu instid0(VALU_DEP_1)
	v_dual_mov_b32 v4, v2 :: v_dual_mov_b32 v3, v1
.LBB614_79:
	s_or_b32 exec_lo, exec_lo, s1
	s_waitcnt lgkmcnt(0)
	v_or_b32_e32 v6, 31, v0
	v_lshrrev_b32_e32 v1, 5, v0
	s_mov_b32 s1, exec_lo
	s_delay_alu instid0(VALU_DEP_2)
	v_cmpx_eq_u32_e64 v6, v0
	s_cbranch_execz .LBB614_81
; %bb.80:
	s_delay_alu instid0(VALU_DEP_2)
	v_lshlrev_b32_e32 v6, 3, v1
	ds_store_b64 v6, v[3:4]
.LBB614_81:
	s_or_b32 exec_lo, exec_lo, s1
	s_delay_alu instid0(SALU_CYCLE_1)
	s_mov_b32 s1, exec_lo
	s_waitcnt lgkmcnt(0)
	s_barrier
	buffer_gl0_inv
	v_cmpx_gt_u32_e32 4, v0
	s_cbranch_execz .LBB614_87
; %bb.82:
	v_lshlrev_b32_e32 v6, 3, v0
	s_mov_b32 s8, exec_lo
	ds_load_b64 v[3:4], v6
	s_waitcnt lgkmcnt(0)
	v_dual_mov_b32 v8, v3 :: v_dual_and_b32 v7, 3, v74
	v_mov_b32_dpp v10, v3 row_shr:1 row_mask:0xf bank_mask:0xf
	v_mov_b32_dpp v9, v4 row_shr:1 row_mask:0xf bank_mask:0xf
	s_delay_alu instid0(VALU_DEP_3)
	v_cmpx_ne_u32_e32 0, v7
; %bb.83:
	s_delay_alu instid0(VALU_DEP_3) | instskip(SKIP_1) | instid1(VALU_DEP_2)
	v_add_co_u32 v8, vcc_lo, v3, v10
	v_add_co_ci_u32_e32 v4, vcc_lo, 0, v4, vcc_lo
	v_add_co_u32 v3, vcc_lo, 0, v8
	s_delay_alu instid0(VALU_DEP_2)
	v_add_co_ci_u32_e32 v4, vcc_lo, v9, v4, vcc_lo
; %bb.84:
	s_or_b32 exec_lo, exec_lo, s8
	v_mov_b32_dpp v9, v8 row_shr:2 row_mask:0xf bank_mask:0xf
	s_delay_alu instid0(VALU_DEP_2)
	v_mov_b32_dpp v8, v4 row_shr:2 row_mask:0xf bank_mask:0xf
	s_mov_b32 s8, exec_lo
	v_cmpx_lt_u32_e32 1, v7
; %bb.85:
	s_delay_alu instid0(VALU_DEP_3) | instskip(SKIP_1) | instid1(VALU_DEP_2)
	v_add_co_u32 v3, vcc_lo, v3, v9
	v_add_co_ci_u32_e32 v4, vcc_lo, 0, v4, vcc_lo
	v_add_co_u32 v3, vcc_lo, v3, 0
	s_delay_alu instid0(VALU_DEP_2)
	v_add_co_ci_u32_e32 v4, vcc_lo, v4, v8, vcc_lo
; %bb.86:
	s_or_b32 exec_lo, exec_lo, s8
	ds_store_b64 v6, v[3:4]
.LBB614_87:
	s_or_b32 exec_lo, exec_lo, s1
	v_cmp_gt_u32_e32 vcc_lo, 32, v0
	s_mov_b32 s8, exec_lo
	s_waitcnt lgkmcnt(0)
	s_barrier
	buffer_gl0_inv
                                        ; implicit-def: $vgpr9_vgpr10
	v_cmpx_lt_u32_e32 31, v0
	s_cbranch_execz .LBB614_89
; %bb.88:
	v_lshl_add_u32 v1, v1, 3, -8
	ds_load_b64 v[9:10], v1
	s_waitcnt lgkmcnt(0)
	v_add_co_u32 v5, s1, v5, v9
	s_delay_alu instid0(VALU_DEP_1)
	v_add_co_ci_u32_e64 v2, s1, v2, v10, s1
.LBB614_89:
	s_or_b32 exec_lo, exec_lo, s8
	v_add_nc_u32_e32 v1, -1, v74
	s_delay_alu instid0(VALU_DEP_1) | instskip(NEXT) | instid1(VALU_DEP_1)
	v_cmp_gt_i32_e64 s1, 0, v1
	v_cndmask_b32_e64 v1, v1, v74, s1
	v_cmp_eq_u32_e64 s1, 0, v74
	s_delay_alu instid0(VALU_DEP_2)
	v_lshlrev_b32_e32 v1, 2, v1
	ds_bpermute_b32 v15, v1, v5
	ds_bpermute_b32 v16, v1, v2
	s_and_saveexec_b32 s8, vcc_lo
	s_cbranch_execz .LBB614_127
; %bb.90:
	v_mov_b32_e32 v4, 0
	ds_load_b64 v[1:2], v4 offset:24
	s_and_saveexec_b32 s9, s1
	s_cbranch_execz .LBB614_92
; %bb.91:
	s_add_i32 s10, s7, 32
	s_mov_b32 s11, 0
	s_delay_alu instid0(SALU_CYCLE_1) | instskip(NEXT) | instid1(SALU_CYCLE_1)
	s_lshl_b64 s[10:11], s[10:11], 4
	s_add_u32 s10, s14, s10
	s_addc_u32 s11, s15, s11
	v_mov_b32_e32 v5, s10
	v_dual_mov_b32 v3, 1 :: v_dual_mov_b32 v6, s11
	s_waitcnt lgkmcnt(0)
	;;#ASMSTART
	global_store_dwordx4 v[5:6], v[1:4] off	
s_waitcnt vmcnt(0)
	;;#ASMEND
.LBB614_92:
	s_or_b32 exec_lo, exec_lo, s9
	v_xad_u32 v11, v74, -1, s7
	s_mov_b32 s10, 0
	s_mov_b32 s9, exec_lo
	s_delay_alu instid0(VALU_DEP_1) | instskip(NEXT) | instid1(VALU_DEP_1)
	v_add_nc_u32_e32 v3, 32, v11
	v_lshlrev_b64 v[3:4], 4, v[3:4]
	s_delay_alu instid0(VALU_DEP_1) | instskip(NEXT) | instid1(VALU_DEP_2)
	v_add_co_u32 v3, vcc_lo, s14, v3
	v_add_co_ci_u32_e32 v4, vcc_lo, s15, v4, vcc_lo
	;;#ASMSTART
	global_load_dwordx4 v[5:8], v[3:4] off glc	
s_waitcnt vmcnt(0)
	;;#ASMEND
	v_and_b32_e32 v8, 0xff, v6
	v_and_b32_e32 v12, 0xff00, v6
	v_or3_b32 v5, v5, 0, 0
	v_and_b32_e32 v13, 0xff000000, v6
	v_and_b32_e32 v6, 0xff0000, v6
	s_delay_alu instid0(VALU_DEP_4) | instskip(SKIP_2) | instid1(VALU_DEP_3)
	v_or3_b32 v8, 0, v8, v12
	v_and_b32_e32 v12, 0xff, v7
	v_or3_b32 v5, v5, 0, 0
	v_or3_b32 v6, v8, v6, v13
	s_delay_alu instid0(VALU_DEP_3)
	v_cmpx_eq_u16_e32 0, v12
	s_cbranch_execz .LBB614_95
.LBB614_93:                             ; =>This Inner Loop Header: Depth=1
	;;#ASMSTART
	global_load_dwordx4 v[5:8], v[3:4] off glc	
s_waitcnt vmcnt(0)
	;;#ASMEND
	v_and_b32_e32 v8, 0xff, v7
	s_delay_alu instid0(VALU_DEP_1) | instskip(SKIP_1) | instid1(SALU_CYCLE_1)
	v_cmp_ne_u16_e32 vcc_lo, 0, v8
	s_or_b32 s10, vcc_lo, s10
	s_and_not1_b32 exec_lo, exec_lo, s10
	s_cbranch_execnz .LBB614_93
; %bb.94:
	s_or_b32 exec_lo, exec_lo, s10
.LBB614_95:
	s_delay_alu instid0(SALU_CYCLE_1)
	s_or_b32 exec_lo, exec_lo, s9
	v_cmp_ne_u32_e32 vcc_lo, 31, v74
	v_and_b32_e32 v4, 0xff, v7
	v_lshlrev_b32_e64 v18, v74, -1
	s_mov_b32 s9, exec_lo
	v_add_co_ci_u32_e32 v3, vcc_lo, 0, v74, vcc_lo
	s_delay_alu instid0(VALU_DEP_3) | instskip(NEXT) | instid1(VALU_DEP_2)
	v_cmp_eq_u16_e32 vcc_lo, 2, v4
	v_dual_mov_b32 v4, v5 :: v_dual_lshlrev_b32 v17, 2, v3
	v_and_or_b32 v3, vcc_lo, v18, 0x80000000
	ds_bpermute_b32 v12, v17, v5
	ds_bpermute_b32 v8, v17, v6
	v_ctz_i32_b32_e32 v3, v3
	s_delay_alu instid0(VALU_DEP_1)
	v_cmpx_lt_u32_e64 v74, v3
	s_cbranch_execz .LBB614_97
; %bb.96:
	s_waitcnt lgkmcnt(1)
	v_add_co_u32 v4, vcc_lo, v5, v12
	v_add_co_ci_u32_e32 v6, vcc_lo, 0, v6, vcc_lo
	s_delay_alu instid0(VALU_DEP_2) | instskip(SKIP_1) | instid1(VALU_DEP_2)
	v_add_co_u32 v5, vcc_lo, 0, v4
	s_waitcnt lgkmcnt(0)
	v_add_co_ci_u32_e32 v6, vcc_lo, v8, v6, vcc_lo
.LBB614_97:
	s_or_b32 exec_lo, exec_lo, s9
	v_cmp_gt_u32_e32 vcc_lo, 30, v74
	v_add_nc_u32_e32 v20, 2, v74
	s_mov_b32 s9, exec_lo
	s_waitcnt lgkmcnt(0)
	v_cndmask_b32_e64 v8, 0, 1, vcc_lo
	s_delay_alu instid0(VALU_DEP_1) | instskip(NEXT) | instid1(VALU_DEP_1)
	v_lshlrev_b32_e32 v8, 1, v8
	v_add_lshl_u32 v19, v8, v74, 2
	ds_bpermute_b32 v12, v19, v4
	ds_bpermute_b32 v8, v19, v6
	v_cmpx_le_u32_e64 v20, v3
	s_cbranch_execz .LBB614_99
; %bb.98:
	s_waitcnt lgkmcnt(1)
	v_add_co_u32 v4, vcc_lo, v5, v12
	v_add_co_ci_u32_e32 v6, vcc_lo, 0, v6, vcc_lo
	s_delay_alu instid0(VALU_DEP_2) | instskip(SKIP_1) | instid1(VALU_DEP_2)
	v_add_co_u32 v5, vcc_lo, 0, v4
	s_waitcnt lgkmcnt(0)
	v_add_co_ci_u32_e32 v6, vcc_lo, v8, v6, vcc_lo
.LBB614_99:
	s_or_b32 exec_lo, exec_lo, s9
	v_cmp_gt_u32_e32 vcc_lo, 28, v74
	v_add_nc_u32_e32 v22, 4, v74
	s_mov_b32 s9, exec_lo
	s_waitcnt lgkmcnt(0)
	v_cndmask_b32_e64 v8, 0, 1, vcc_lo
	s_delay_alu instid0(VALU_DEP_1) | instskip(NEXT) | instid1(VALU_DEP_1)
	v_lshlrev_b32_e32 v8, 2, v8
	v_add_lshl_u32 v21, v8, v74, 2
	ds_bpermute_b32 v12, v21, v4
	ds_bpermute_b32 v8, v21, v6
	v_cmpx_le_u32_e64 v22, v3
	;; [unrolled: 22-line block ×4, first 2 shown]
	s_cbranch_execz .LBB614_105
; %bb.104:
	s_waitcnt lgkmcnt(1)
	v_add_co_u32 v3, vcc_lo, v5, v8
	v_add_co_ci_u32_e32 v6, vcc_lo, 0, v6, vcc_lo
	s_delay_alu instid0(VALU_DEP_2) | instskip(SKIP_1) | instid1(VALU_DEP_2)
	v_add_co_u32 v5, vcc_lo, v3, 0
	s_waitcnt lgkmcnt(0)
	v_add_co_ci_u32_e32 v6, vcc_lo, v6, v4, vcc_lo
.LBB614_105:
	s_or_b32 exec_lo, exec_lo, s9
	v_mov_b32_e32 v12, 0
	s_branch .LBB614_107
.LBB614_106:                            ;   in Loop: Header=BB614_107 Depth=1
	s_or_b32 exec_lo, exec_lo, s9
	v_add_co_u32 v5, vcc_lo, v5, v3
	v_subrev_nc_u32_e32 v11, 32, v11
	v_add_co_ci_u32_e32 v6, vcc_lo, v6, v4, vcc_lo
.LBB614_107:                            ; =>This Loop Header: Depth=1
                                        ;     Child Loop BB614_110 Depth 2
	v_and_b32_e32 v3, 0xff, v7
	s_delay_alu instid0(VALU_DEP_1) | instskip(SKIP_2) | instid1(VALU_DEP_1)
	v_cmp_ne_u16_e32 vcc_lo, 2, v3
	v_cndmask_b32_e64 v3, 0, 1, vcc_lo
	;;#ASMSTART
	;;#ASMEND
	v_cmp_ne_u32_e32 vcc_lo, 0, v3
	s_waitcnt lgkmcnt(0)
	v_dual_mov_b32 v3, v5 :: v_dual_mov_b32 v4, v6
	s_cmp_lg_u32 vcc_lo, exec_lo
	s_cbranch_scc1 .LBB614_122
; %bb.108:                              ;   in Loop: Header=BB614_107 Depth=1
	v_lshlrev_b64 v[5:6], 4, v[11:12]
	s_mov_b32 s9, exec_lo
	s_delay_alu instid0(VALU_DEP_1) | instskip(NEXT) | instid1(VALU_DEP_2)
	v_add_co_u32 v13, vcc_lo, s14, v5
	v_add_co_ci_u32_e32 v14, vcc_lo, s15, v6, vcc_lo
	;;#ASMSTART
	global_load_dwordx4 v[5:8], v[13:14] off glc	
s_waitcnt vmcnt(0)
	;;#ASMEND
	v_and_b32_e32 v8, 0xff, v6
	v_and_b32_e32 v27, 0xff00, v6
	v_or3_b32 v5, v5, 0, 0
	v_and_b32_e32 v28, 0xff000000, v6
	v_and_b32_e32 v6, 0xff0000, v6
	s_delay_alu instid0(VALU_DEP_4) | instskip(SKIP_2) | instid1(VALU_DEP_3)
	v_or3_b32 v8, 0, v8, v27
	v_and_b32_e32 v27, 0xff, v7
	v_or3_b32 v5, v5, 0, 0
	v_or3_b32 v6, v8, v6, v28
	s_delay_alu instid0(VALU_DEP_3)
	v_cmpx_eq_u16_e32 0, v27
	s_cbranch_execz .LBB614_112
; %bb.109:                              ;   in Loop: Header=BB614_107 Depth=1
	s_mov_b32 s10, 0
.LBB614_110:                            ;   Parent Loop BB614_107 Depth=1
                                        ; =>  This Inner Loop Header: Depth=2
	;;#ASMSTART
	global_load_dwordx4 v[5:8], v[13:14] off glc	
s_waitcnt vmcnt(0)
	;;#ASMEND
	v_and_b32_e32 v8, 0xff, v7
	s_delay_alu instid0(VALU_DEP_1) | instskip(SKIP_1) | instid1(SALU_CYCLE_1)
	v_cmp_ne_u16_e32 vcc_lo, 0, v8
	s_or_b32 s10, vcc_lo, s10
	s_and_not1_b32 exec_lo, exec_lo, s10
	s_cbranch_execnz .LBB614_110
; %bb.111:                              ;   in Loop: Header=BB614_107 Depth=1
	s_or_b32 exec_lo, exec_lo, s10
.LBB614_112:                            ;   in Loop: Header=BB614_107 Depth=1
	s_delay_alu instid0(SALU_CYCLE_1)
	s_or_b32 exec_lo, exec_lo, s9
	v_dual_mov_b32 v13, v5 :: v_dual_and_b32 v8, 0xff, v7
	ds_bpermute_b32 v27, v17, v5
	ds_bpermute_b32 v14, v17, v6
	s_mov_b32 s9, exec_lo
	v_cmp_eq_u16_e32 vcc_lo, 2, v8
	v_and_or_b32 v8, vcc_lo, v18, 0x80000000
	s_delay_alu instid0(VALU_DEP_1) | instskip(NEXT) | instid1(VALU_DEP_1)
	v_ctz_i32_b32_e32 v8, v8
	v_cmpx_lt_u32_e64 v74, v8
	s_cbranch_execz .LBB614_114
; %bb.113:                              ;   in Loop: Header=BB614_107 Depth=1
	s_waitcnt lgkmcnt(1)
	v_add_co_u32 v13, vcc_lo, v5, v27
	v_add_co_ci_u32_e32 v6, vcc_lo, 0, v6, vcc_lo
	s_delay_alu instid0(VALU_DEP_2) | instskip(SKIP_1) | instid1(VALU_DEP_2)
	v_add_co_u32 v5, vcc_lo, 0, v13
	s_waitcnt lgkmcnt(0)
	v_add_co_ci_u32_e32 v6, vcc_lo, v14, v6, vcc_lo
.LBB614_114:                            ;   in Loop: Header=BB614_107 Depth=1
	s_or_b32 exec_lo, exec_lo, s9
	s_waitcnt lgkmcnt(1)
	ds_bpermute_b32 v27, v19, v13
	s_waitcnt lgkmcnt(1)
	ds_bpermute_b32 v14, v19, v6
	s_mov_b32 s9, exec_lo
	v_cmpx_le_u32_e64 v20, v8
	s_cbranch_execz .LBB614_116
; %bb.115:                              ;   in Loop: Header=BB614_107 Depth=1
	s_waitcnt lgkmcnt(1)
	v_add_co_u32 v13, vcc_lo, v5, v27
	v_add_co_ci_u32_e32 v6, vcc_lo, 0, v6, vcc_lo
	s_delay_alu instid0(VALU_DEP_2) | instskip(SKIP_1) | instid1(VALU_DEP_2)
	v_add_co_u32 v5, vcc_lo, 0, v13
	s_waitcnt lgkmcnt(0)
	v_add_co_ci_u32_e32 v6, vcc_lo, v14, v6, vcc_lo
.LBB614_116:                            ;   in Loop: Header=BB614_107 Depth=1
	s_or_b32 exec_lo, exec_lo, s9
	s_waitcnt lgkmcnt(1)
	ds_bpermute_b32 v27, v21, v13
	s_waitcnt lgkmcnt(1)
	ds_bpermute_b32 v14, v21, v6
	s_mov_b32 s9, exec_lo
	v_cmpx_le_u32_e64 v22, v8
	;; [unrolled: 17-line block ×3, first 2 shown]
	s_cbranch_execz .LBB614_120
; %bb.119:                              ;   in Loop: Header=BB614_107 Depth=1
	s_waitcnt lgkmcnt(1)
	v_add_co_u32 v13, vcc_lo, v5, v27
	v_add_co_ci_u32_e32 v6, vcc_lo, 0, v6, vcc_lo
	s_delay_alu instid0(VALU_DEP_2) | instskip(SKIP_1) | instid1(VALU_DEP_2)
	v_add_co_u32 v5, vcc_lo, 0, v13
	s_waitcnt lgkmcnt(0)
	v_add_co_ci_u32_e32 v6, vcc_lo, v14, v6, vcc_lo
.LBB614_120:                            ;   in Loop: Header=BB614_107 Depth=1
	s_or_b32 exec_lo, exec_lo, s9
	s_waitcnt lgkmcnt(0)
	ds_bpermute_b32 v14, v25, v13
	ds_bpermute_b32 v13, v25, v6
	s_mov_b32 s9, exec_lo
	v_cmpx_le_u32_e64 v26, v8
	s_cbranch_execz .LBB614_106
; %bb.121:                              ;   in Loop: Header=BB614_107 Depth=1
	s_waitcnt lgkmcnt(1)
	v_add_co_u32 v5, vcc_lo, v5, v14
	v_add_co_ci_u32_e32 v6, vcc_lo, 0, v6, vcc_lo
	s_delay_alu instid0(VALU_DEP_2) | instskip(SKIP_1) | instid1(VALU_DEP_2)
	v_add_co_u32 v5, vcc_lo, v5, 0
	s_waitcnt lgkmcnt(0)
	v_add_co_ci_u32_e32 v6, vcc_lo, v6, v13, vcc_lo
	s_branch .LBB614_106
.LBB614_122:                            ;   in Loop: Header=BB614_107 Depth=1
                                        ; implicit-def: $vgpr5_vgpr6
	s_cbranch_execz .LBB614_107
; %bb.123:
	s_and_saveexec_b32 s9, s1
	s_cbranch_execz .LBB614_125
; %bb.124:
	s_add_i32 s10, s7, 32
	s_mov_b32 s11, 0
	v_add_co_u32 v5, vcc_lo, v3, v1
	s_lshl_b64 s[10:11], s[10:11], 4
	v_dual_mov_b32 v7, 2 :: v_dual_mov_b32 v8, 0
	s_add_u32 s10, s14, s10
	s_addc_u32 s11, s15, s11
	v_add_co_ci_u32_e32 v6, vcc_lo, v4, v2, vcc_lo
	v_dual_mov_b32 v12, s11 :: v_dual_mov_b32 v11, s10
	;;#ASMSTART
	global_store_dwordx4 v[11:12], v[5:8] off	
s_waitcnt vmcnt(0)
	;;#ASMEND
	ds_store_b128 v8, v[1:4] offset:7168
.LBB614_125:
	s_or_b32 exec_lo, exec_lo, s9
	s_delay_alu instid0(SALU_CYCLE_1)
	s_and_b32 exec_lo, exec_lo, s2
	s_cbranch_execz .LBB614_127
; %bb.126:
	v_mov_b32_e32 v1, 0
	ds_store_b64 v1, v[3:4] offset:24
.LBB614_127:
	s_or_b32 exec_lo, exec_lo, s8
	v_mov_b32_e32 v21, 0
	s_waitcnt lgkmcnt(0)
	s_barrier
	buffer_gl0_inv
	v_cndmask_b32_e64 v3, v15, v9, s1
	ds_load_b64 v[1:2], v21 offset:24
	v_cndmask_b32_e64 v4, v16, v10, s1
	s_waitcnt lgkmcnt(0)
	s_barrier
	v_cndmask_b32_e64 v3, v3, 0, s2
	buffer_gl0_inv
	v_cndmask_b32_e64 v4, v4, 0, s2
	ds_load_b128 v[45:48], v21 offset:7168
	v_add_co_u32 v1, vcc_lo, v1, v3
	v_add_co_ci_u32_e32 v2, vcc_lo, v2, v4, vcc_lo
	s_delay_alu instid0(VALU_DEP_2) | instskip(NEXT) | instid1(VALU_DEP_2)
	v_add_co_u32 v3, vcc_lo, v1, v65
	v_add_co_ci_u32_e32 v4, vcc_lo, 0, v2, vcc_lo
	s_delay_alu instid0(VALU_DEP_2) | instskip(NEXT) | instid1(VALU_DEP_2)
	;; [unrolled: 3-line block ×13, first 2 shown]
	v_add_co_u32 v27, vcc_lo, v25, v64
	v_add_co_ci_u32_e32 v28, vcc_lo, 0, v26, vcc_lo
	s_branch .LBB614_152
.LBB614_128:
                                        ; implicit-def: $vgpr47_vgpr48
                                        ; implicit-def: $vgpr1_vgpr2_vgpr3_vgpr4_vgpr5_vgpr6_vgpr7_vgpr8_vgpr9_vgpr10_vgpr11_vgpr12_vgpr13_vgpr14_vgpr15_vgpr16_vgpr17_vgpr18_vgpr19_vgpr20_vgpr21_vgpr22_vgpr23_vgpr24_vgpr25_vgpr26_vgpr27_vgpr28_vgpr29_vgpr30_vgpr31_vgpr32
	s_and_b32 vcc_lo, exec_lo, s1
	s_cbranch_vccz .LBB614_152
; %bb.129:
	v_dual_mov_b32 v2, 0 :: v_dual_mov_b32 v3, v53
	v_mov_b32_dpp v4, v53 row_shr:1 row_mask:0xf bank_mask:0xf
	s_delay_alu instid0(VALU_DEP_2)
	v_mov_b32_dpp v1, v2 row_shr:1 row_mask:0xf bank_mask:0xf
	s_and_saveexec_b32 s1, s0
; %bb.130:
	s_delay_alu instid0(VALU_DEP_2) | instskip(SKIP_1) | instid1(VALU_DEP_2)
	v_add_co_u32 v3, vcc_lo, v53, v4
	v_add_co_ci_u32_e32 v2, vcc_lo, 0, v54, vcc_lo
	v_add_co_u32 v53, vcc_lo, 0, v3
	s_delay_alu instid0(VALU_DEP_2) | instskip(NEXT) | instid1(VALU_DEP_1)
	v_add_co_ci_u32_e32 v54, vcc_lo, v1, v2, vcc_lo
	v_mov_b32_e32 v2, v54
; %bb.131:
	s_or_b32 exec_lo, exec_lo, s1
	v_mov_b32_dpp v1, v3 row_shr:2 row_mask:0xf bank_mask:0xf
	s_delay_alu instid0(VALU_DEP_2)
	v_mov_b32_dpp v4, v2 row_shr:2 row_mask:0xf bank_mask:0xf
	s_mov_b32 s0, exec_lo
	v_cmpx_lt_u32_e32 1, v75
; %bb.132:
	s_delay_alu instid0(VALU_DEP_3) | instskip(SKIP_1) | instid1(VALU_DEP_2)
	v_add_co_u32 v3, vcc_lo, v53, v1
	v_add_co_ci_u32_e32 v2, vcc_lo, 0, v54, vcc_lo
	v_add_co_u32 v1, vcc_lo, 0, v3
	s_delay_alu instid0(VALU_DEP_2) | instskip(NEXT) | instid1(VALU_DEP_1)
	v_add_co_ci_u32_e32 v2, vcc_lo, v4, v2, vcc_lo
	v_dual_mov_b32 v54, v2 :: v_dual_mov_b32 v53, v1
; %bb.133:
	s_or_b32 exec_lo, exec_lo, s0
	v_mov_b32_dpp v1, v3 row_shr:4 row_mask:0xf bank_mask:0xf
	v_mov_b32_dpp v4, v2 row_shr:4 row_mask:0xf bank_mask:0xf
	s_mov_b32 s0, exec_lo
	v_cmpx_lt_u32_e32 3, v75
; %bb.134:
	s_delay_alu instid0(VALU_DEP_3) | instskip(SKIP_1) | instid1(VALU_DEP_2)
	v_add_co_u32 v3, vcc_lo, v53, v1
	v_add_co_ci_u32_e32 v2, vcc_lo, 0, v54, vcc_lo
	v_add_co_u32 v1, vcc_lo, 0, v3
	s_delay_alu instid0(VALU_DEP_2) | instskip(NEXT) | instid1(VALU_DEP_1)
	v_add_co_ci_u32_e32 v2, vcc_lo, v4, v2, vcc_lo
	v_dual_mov_b32 v54, v2 :: v_dual_mov_b32 v53, v1
; %bb.135:
	s_or_b32 exec_lo, exec_lo, s0
	v_mov_b32_dpp v4, v3 row_shr:8 row_mask:0xf bank_mask:0xf
	v_mov_b32_dpp v1, v2 row_shr:8 row_mask:0xf bank_mask:0xf
	s_mov_b32 s0, exec_lo
	v_cmpx_lt_u32_e32 7, v75
; %bb.136:
	s_delay_alu instid0(VALU_DEP_3) | instskip(SKIP_1) | instid1(VALU_DEP_2)
	v_add_co_u32 v3, vcc_lo, v53, v4
	v_add_co_ci_u32_e32 v2, vcc_lo, 0, v54, vcc_lo
	v_add_co_u32 v53, vcc_lo, 0, v3
	s_delay_alu instid0(VALU_DEP_2) | instskip(NEXT) | instid1(VALU_DEP_1)
	v_add_co_ci_u32_e32 v54, vcc_lo, v1, v2, vcc_lo
	v_mov_b32_e32 v2, v54
; %bb.137:
	s_or_b32 exec_lo, exec_lo, s0
	ds_swizzle_b32 v3, v3 offset:swizzle(BROADCAST,32,15)
	ds_swizzle_b32 v1, v2 offset:swizzle(BROADCAST,32,15)
	v_and_b32_e32 v2, 16, v74
	s_mov_b32 s0, exec_lo
	s_delay_alu instid0(VALU_DEP_1)
	v_cmpx_ne_u32_e32 0, v2
	s_cbranch_execz .LBB614_139
; %bb.138:
	s_waitcnt lgkmcnt(1)
	v_add_co_u32 v2, vcc_lo, v53, v3
	v_add_co_ci_u32_e32 v3, vcc_lo, 0, v54, vcc_lo
	s_delay_alu instid0(VALU_DEP_2) | instskip(SKIP_1) | instid1(VALU_DEP_2)
	v_add_co_u32 v53, vcc_lo, v2, 0
	s_waitcnt lgkmcnt(0)
	v_add_co_ci_u32_e32 v54, vcc_lo, v3, v1, vcc_lo
.LBB614_139:
	s_or_b32 exec_lo, exec_lo, s0
	s_waitcnt lgkmcnt(0)
	v_or_b32_e32 v1, 31, v0
	v_lshrrev_b32_e32 v3, 5, v0
	s_mov_b32 s0, exec_lo
	s_delay_alu instid0(VALU_DEP_2)
	v_cmpx_eq_u32_e64 v1, v0
	s_cbranch_execz .LBB614_141
; %bb.140:
	s_delay_alu instid0(VALU_DEP_2)
	v_lshlrev_b32_e32 v1, 3, v3
	ds_store_b64 v1, v[53:54]
.LBB614_141:
	s_or_b32 exec_lo, exec_lo, s0
	s_delay_alu instid0(SALU_CYCLE_1)
	s_mov_b32 s0, exec_lo
	s_waitcnt lgkmcnt(0)
	s_barrier
	buffer_gl0_inv
	v_cmpx_gt_u32_e32 4, v0
	s_cbranch_execz .LBB614_147
; %bb.142:
	v_mad_i32_i24 v1, 0xffffffd0, v0, v63
	s_mov_b32 s1, exec_lo
	ds_load_b64 v[1:2], v1
	s_waitcnt lgkmcnt(0)
	v_dual_mov_b32 v5, v1 :: v_dual_and_b32 v4, 3, v74
	v_mov_b32_dpp v7, v1 row_shr:1 row_mask:0xf bank_mask:0xf
	v_mov_b32_dpp v6, v2 row_shr:1 row_mask:0xf bank_mask:0xf
	s_delay_alu instid0(VALU_DEP_3)
	v_cmpx_ne_u32_e32 0, v4
; %bb.143:
	s_delay_alu instid0(VALU_DEP_3) | instskip(SKIP_1) | instid1(VALU_DEP_2)
	v_add_co_u32 v5, vcc_lo, v1, v7
	v_add_co_ci_u32_e32 v2, vcc_lo, 0, v2, vcc_lo
	v_add_co_u32 v1, vcc_lo, 0, v5
	s_delay_alu instid0(VALU_DEP_2)
	v_add_co_ci_u32_e32 v2, vcc_lo, v6, v2, vcc_lo
; %bb.144:
	s_or_b32 exec_lo, exec_lo, s1
	v_mul_i32_i24_e32 v6, 0xffffffd0, v0
	v_mov_b32_dpp v7, v5 row_shr:2 row_mask:0xf bank_mask:0xf
	s_delay_alu instid0(VALU_DEP_3)
	v_mov_b32_dpp v5, v2 row_shr:2 row_mask:0xf bank_mask:0xf
	s_mov_b32 s1, exec_lo
	v_cmpx_lt_u32_e32 1, v4
; %bb.145:
	s_delay_alu instid0(VALU_DEP_3) | instskip(SKIP_1) | instid1(VALU_DEP_2)
	v_add_co_u32 v1, vcc_lo, v1, v7
	v_add_co_ci_u32_e32 v2, vcc_lo, 0, v2, vcc_lo
	v_add_co_u32 v1, vcc_lo, v1, 0
	s_delay_alu instid0(VALU_DEP_2)
	v_add_co_ci_u32_e32 v2, vcc_lo, v2, v5, vcc_lo
; %bb.146:
	s_or_b32 exec_lo, exec_lo, s1
	v_add_nc_u32_e32 v4, v63, v6
	ds_store_b64 v4, v[1:2]
.LBB614_147:
	s_or_b32 exec_lo, exec_lo, s0
	v_mov_b32_e32 v1, 0
	v_mov_b32_e32 v2, 0
	s_mov_b32 s0, exec_lo
	s_waitcnt lgkmcnt(0)
	s_barrier
	buffer_gl0_inv
	v_cmpx_lt_u32_e32 31, v0
	s_cbranch_execz .LBB614_149
; %bb.148:
	v_lshl_add_u32 v1, v3, 3, -8
	ds_load_b64 v[1:2], v1
.LBB614_149:
	s_or_b32 exec_lo, exec_lo, s0
	v_dual_mov_b32 v48, 0 :: v_dual_add_nc_u32 v3, -1, v74
	s_delay_alu instid0(VALU_DEP_1) | instskip(SKIP_2) | instid1(VALU_DEP_1)
	v_cmp_gt_i32_e32 vcc_lo, 0, v3
	ds_load_b64 v[45:46], v48 offset:24
	v_cndmask_b32_e32 v3, v3, v74, vcc_lo
	v_lshlrev_b32_e32 v4, 2, v3
	s_waitcnt lgkmcnt(1)
	v_add_co_u32 v3, vcc_lo, v1, v53
	v_add_co_ci_u32_e32 v5, vcc_lo, v2, v54, vcc_lo
	ds_bpermute_b32 v3, v4, v3
	ds_bpermute_b32 v4, v4, v5
	s_and_saveexec_b32 s0, s2
	s_cbranch_execz .LBB614_151
; %bb.150:
	s_add_u32 s8, s14, 0x200
	s_addc_u32 s9, s15, 0
	v_mov_b32_e32 v5, s8
	v_dual_mov_b32 v47, 2 :: v_dual_mov_b32 v6, s9
	s_waitcnt lgkmcnt(2)
	;;#ASMSTART
	global_store_dwordx4 v[5:6], v[45:48] off	
s_waitcnt vmcnt(0)
	;;#ASMEND
.LBB614_151:
	s_or_b32 exec_lo, exec_lo, s0
	v_cmp_eq_u32_e32 vcc_lo, 0, v74
	v_mov_b32_e32 v47, 0
	v_mov_b32_e32 v48, 0
	s_waitcnt lgkmcnt(0)
	s_barrier
	v_dual_cndmask_b32 v1, v3, v1 :: v_dual_cndmask_b32 v2, v4, v2
	buffer_gl0_inv
	v_cndmask_b32_e64 v1, v1, 0, s2
	v_cndmask_b32_e64 v2, v2, 0, s2
	s_delay_alu instid0(VALU_DEP_2) | instskip(NEXT) | instid1(VALU_DEP_2)
	v_add_co_u32 v3, vcc_lo, v1, v65
	v_add_co_ci_u32_e32 v4, vcc_lo, 0, v2, vcc_lo
	s_delay_alu instid0(VALU_DEP_2) | instskip(NEXT) | instid1(VALU_DEP_2)
	v_add_co_u32 v5, vcc_lo, v3, v66
	v_add_co_ci_u32_e32 v6, vcc_lo, 0, v4, vcc_lo
	;; [unrolled: 3-line block ×13, first 2 shown]
.LBB614_152:
	s_waitcnt lgkmcnt(0)
	v_cmp_gt_u64_e32 vcc_lo, 0x81, v[45:46]
	v_lshrrev_b32_e32 v53, 16, v58
	v_lshrrev_b32_e32 v54, 8, v58
	;; [unrolled: 1-line block ×6, first 2 shown]
	s_mov_b32 s0, -1
	s_cbranch_vccnz .LBB614_156
; %bb.153:
	s_and_b32 vcc_lo, exec_lo, s0
	s_cbranch_vccnz .LBB614_199
.LBB614_154:
	s_and_b32 s0, s2, s3
	s_delay_alu instid0(SALU_CYCLE_1)
	s_and_saveexec_b32 s1, s0
	s_cbranch_execnz .LBB614_231
.LBB614_155:
	s_nop 0
	s_sendmsg sendmsg(MSG_DEALLOC_VGPRS)
	s_endpgm
.LBB614_156:
	v_add_co_u32 v29, vcc_lo, v47, v45
	v_add_co_ci_u32_e32 v30, vcc_lo, v48, v46, vcc_lo
	v_lshlrev_b64 v[65:66], 2, v[49:50]
	s_delay_alu instid0(VALU_DEP_2) | instskip(NEXT) | instid1(VALU_DEP_2)
	v_cmp_lt_u64_e32 vcc_lo, v[1:2], v[29:30]
	v_add_co_u32 v65, s0, s12, v65
	s_delay_alu instid0(VALU_DEP_1) | instskip(SKIP_1) | instid1(SALU_CYCLE_1)
	v_add_co_ci_u32_e64 v66, s0, s13, v66, s0
	s_or_b32 s1, s6, vcc_lo
	s_and_saveexec_b32 s0, s1
	s_cbranch_execz .LBB614_159
; %bb.157:
	v_and_b32_e32 v67, 1, v61
	s_delay_alu instid0(VALU_DEP_1)
	v_cmp_eq_u32_e32 vcc_lo, 1, v67
	s_and_b32 exec_lo, exec_lo, vcc_lo
	s_cbranch_execz .LBB614_159
; %bb.158:
	v_lshlrev_b64 v[67:68], 2, v[1:2]
	s_delay_alu instid0(VALU_DEP_1) | instskip(NEXT) | instid1(VALU_DEP_2)
	v_add_co_u32 v67, vcc_lo, v65, v67
	v_add_co_ci_u32_e32 v68, vcc_lo, v66, v68, vcc_lo
	global_store_b32 v[67:68], v41, off
.LBB614_159:
	s_or_b32 exec_lo, exec_lo, s0
	v_cmp_lt_u64_e32 vcc_lo, v[3:4], v[29:30]
	s_or_b32 s1, s6, vcc_lo
	s_delay_alu instid0(SALU_CYCLE_1)
	s_and_saveexec_b32 s0, s1
	s_cbranch_execz .LBB614_162
; %bb.160:
	v_and_b32_e32 v2, 1, v64
	s_delay_alu instid0(VALU_DEP_1)
	v_cmp_eq_u32_e32 vcc_lo, 1, v2
	s_and_b32 exec_lo, exec_lo, vcc_lo
	s_cbranch_execz .LBB614_162
; %bb.161:
	v_lshlrev_b64 v[67:68], 2, v[3:4]
	s_delay_alu instid0(VALU_DEP_1) | instskip(NEXT) | instid1(VALU_DEP_2)
	v_add_co_u32 v67, vcc_lo, v65, v67
	v_add_co_ci_u32_e32 v68, vcc_lo, v66, v68, vcc_lo
	global_store_b32 v[67:68], v42, off
.LBB614_162:
	s_or_b32 exec_lo, exec_lo, s0
	v_cmp_lt_u64_e32 vcc_lo, v[5:6], v[29:30]
	s_or_b32 s1, s6, vcc_lo
	s_delay_alu instid0(SALU_CYCLE_1)
	s_and_saveexec_b32 s0, s1
	s_cbranch_execz .LBB614_165
; %bb.163:
	v_and_b32_e32 v2, 1, v63
	s_delay_alu instid0(VALU_DEP_1)
	v_cmp_eq_u32_e32 vcc_lo, 1, v2
	s_and_b32 exec_lo, exec_lo, vcc_lo
	s_cbranch_execz .LBB614_165
; %bb.164:
	v_lshlrev_b64 v[67:68], 2, v[5:6]
	s_delay_alu instid0(VALU_DEP_1) | instskip(NEXT) | instid1(VALU_DEP_2)
	v_add_co_u32 v67, vcc_lo, v65, v67
	v_add_co_ci_u32_e32 v68, vcc_lo, v66, v68, vcc_lo
	global_store_b32 v[67:68], v43, off
.LBB614_165:
	s_or_b32 exec_lo, exec_lo, s0
	v_cmp_lt_u64_e32 vcc_lo, v[7:8], v[29:30]
	s_or_b32 s1, s6, vcc_lo
	s_delay_alu instid0(SALU_CYCLE_1)
	s_and_saveexec_b32 s0, s1
	s_cbranch_execz .LBB614_168
; %bb.166:
	v_and_b32_e32 v2, 1, v62
	s_delay_alu instid0(VALU_DEP_1)
	v_cmp_eq_u32_e32 vcc_lo, 1, v2
	s_and_b32 exec_lo, exec_lo, vcc_lo
	s_cbranch_execz .LBB614_168
; %bb.167:
	v_lshlrev_b64 v[67:68], 2, v[7:8]
	s_delay_alu instid0(VALU_DEP_1) | instskip(NEXT) | instid1(VALU_DEP_2)
	v_add_co_u32 v67, vcc_lo, v65, v67
	v_add_co_ci_u32_e32 v68, vcc_lo, v66, v68, vcc_lo
	global_store_b32 v[67:68], v44, off
.LBB614_168:
	s_or_b32 exec_lo, exec_lo, s0
	v_cmp_lt_u64_e32 vcc_lo, v[9:10], v[29:30]
	s_or_b32 s1, s6, vcc_lo
	s_delay_alu instid0(SALU_CYCLE_1)
	s_and_saveexec_b32 s0, s1
	s_cbranch_execz .LBB614_171
; %bb.169:
	v_and_b32_e32 v2, 1, v58
	s_delay_alu instid0(VALU_DEP_1)
	v_cmp_eq_u32_e32 vcc_lo, 1, v2
	s_and_b32 exec_lo, exec_lo, vcc_lo
	s_cbranch_execz .LBB614_171
; %bb.170:
	v_lshlrev_b64 v[67:68], 2, v[9:10]
	s_delay_alu instid0(VALU_DEP_1) | instskip(NEXT) | instid1(VALU_DEP_2)
	v_add_co_u32 v67, vcc_lo, v65, v67
	v_add_co_ci_u32_e32 v68, vcc_lo, v66, v68, vcc_lo
	global_store_b32 v[67:68], v37, off
.LBB614_171:
	s_or_b32 exec_lo, exec_lo, s0
	v_cmp_lt_u64_e32 vcc_lo, v[11:12], v[29:30]
	s_or_b32 s1, s6, vcc_lo
	s_delay_alu instid0(SALU_CYCLE_1)
	s_and_saveexec_b32 s0, s1
	s_cbranch_execz .LBB614_174
; %bb.172:
	v_and_b32_e32 v2, 1, v54
	s_delay_alu instid0(VALU_DEP_1)
	v_cmp_eq_u32_e32 vcc_lo, 1, v2
	s_and_b32 exec_lo, exec_lo, vcc_lo
	s_cbranch_execz .LBB614_174
; %bb.173:
	v_lshlrev_b64 v[67:68], 2, v[11:12]
	s_delay_alu instid0(VALU_DEP_1) | instskip(NEXT) | instid1(VALU_DEP_2)
	v_add_co_u32 v67, vcc_lo, v65, v67
	v_add_co_ci_u32_e32 v68, vcc_lo, v66, v68, vcc_lo
	global_store_b32 v[67:68], v38, off
.LBB614_174:
	s_or_b32 exec_lo, exec_lo, s0
	v_cmp_lt_u64_e32 vcc_lo, v[13:14], v[29:30]
	s_or_b32 s1, s6, vcc_lo
	s_delay_alu instid0(SALU_CYCLE_1)
	s_and_saveexec_b32 s0, s1
	s_cbranch_execz .LBB614_177
; %bb.175:
	v_and_b32_e32 v2, 1, v53
	s_delay_alu instid0(VALU_DEP_1)
	v_cmp_eq_u32_e32 vcc_lo, 1, v2
	s_and_b32 exec_lo, exec_lo, vcc_lo
	s_cbranch_execz .LBB614_177
; %bb.176:
	v_lshlrev_b64 v[67:68], 2, v[13:14]
	s_delay_alu instid0(VALU_DEP_1) | instskip(NEXT) | instid1(VALU_DEP_2)
	v_add_co_u32 v67, vcc_lo, v65, v67
	v_add_co_ci_u32_e32 v68, vcc_lo, v66, v68, vcc_lo
	global_store_b32 v[67:68], v39, off
.LBB614_177:
	s_or_b32 exec_lo, exec_lo, s0
	v_cmp_lt_u64_e32 vcc_lo, v[15:16], v[29:30]
	s_or_b32 s1, s6, vcc_lo
	s_delay_alu instid0(SALU_CYCLE_1)
	s_and_saveexec_b32 s0, s1
	s_cbranch_execz .LBB614_180
; %bb.178:
	v_and_b32_e32 v2, 1, v60
	s_delay_alu instid0(VALU_DEP_1)
	v_cmp_eq_u32_e32 vcc_lo, 1, v2
	s_and_b32 exec_lo, exec_lo, vcc_lo
	s_cbranch_execz .LBB614_180
; %bb.179:
	v_lshlrev_b64 v[67:68], 2, v[15:16]
	s_delay_alu instid0(VALU_DEP_1) | instskip(NEXT) | instid1(VALU_DEP_2)
	v_add_co_u32 v67, vcc_lo, v65, v67
	v_add_co_ci_u32_e32 v68, vcc_lo, v66, v68, vcc_lo
	global_store_b32 v[67:68], v40, off
.LBB614_180:
	s_or_b32 exec_lo, exec_lo, s0
	v_cmp_lt_u64_e32 vcc_lo, v[17:18], v[29:30]
	s_or_b32 s1, s6, vcc_lo
	s_delay_alu instid0(SALU_CYCLE_1)
	s_and_saveexec_b32 s0, s1
	s_cbranch_execz .LBB614_183
; %bb.181:
	v_and_b32_e32 v2, 1, v57
	s_delay_alu instid0(VALU_DEP_1)
	v_cmp_eq_u32_e32 vcc_lo, 1, v2
	s_and_b32 exec_lo, exec_lo, vcc_lo
	s_cbranch_execz .LBB614_183
; %bb.182:
	v_lshlrev_b64 v[67:68], 2, v[17:18]
	s_delay_alu instid0(VALU_DEP_1) | instskip(NEXT) | instid1(VALU_DEP_2)
	v_add_co_u32 v67, vcc_lo, v65, v67
	v_add_co_ci_u32_e32 v68, vcc_lo, v66, v68, vcc_lo
	global_store_b32 v[67:68], v33, off
.LBB614_183:
	s_or_b32 exec_lo, exec_lo, s0
	v_cmp_lt_u64_e32 vcc_lo, v[19:20], v[29:30]
	s_or_b32 s1, s6, vcc_lo
	s_delay_alu instid0(SALU_CYCLE_1)
	s_and_saveexec_b32 s0, s1
	s_cbranch_execz .LBB614_186
; %bb.184:
	v_and_b32_e32 v2, 1, v32
	s_delay_alu instid0(VALU_DEP_1)
	v_cmp_eq_u32_e32 vcc_lo, 1, v2
	s_and_b32 exec_lo, exec_lo, vcc_lo
	s_cbranch_execz .LBB614_186
; %bb.185:
	v_lshlrev_b64 v[67:68], 2, v[19:20]
	s_delay_alu instid0(VALU_DEP_1) | instskip(NEXT) | instid1(VALU_DEP_2)
	v_add_co_u32 v67, vcc_lo, v65, v67
	v_add_co_ci_u32_e32 v68, vcc_lo, v66, v68, vcc_lo
	global_store_b32 v[67:68], v34, off
.LBB614_186:
	s_or_b32 exec_lo, exec_lo, s0
	v_cmp_lt_u64_e32 vcc_lo, v[21:22], v[29:30]
	s_or_b32 s1, s6, vcc_lo
	s_delay_alu instid0(SALU_CYCLE_1)
	s_and_saveexec_b32 s0, s1
	s_cbranch_execz .LBB614_189
; %bb.187:
	v_and_b32_e32 v2, 1, v31
	s_delay_alu instid0(VALU_DEP_1)
	v_cmp_eq_u32_e32 vcc_lo, 1, v2
	s_and_b32 exec_lo, exec_lo, vcc_lo
	s_cbranch_execz .LBB614_189
; %bb.188:
	v_lshlrev_b64 v[67:68], 2, v[21:22]
	s_delay_alu instid0(VALU_DEP_1) | instskip(NEXT) | instid1(VALU_DEP_2)
	v_add_co_u32 v67, vcc_lo, v65, v67
	v_add_co_ci_u32_e32 v68, vcc_lo, v66, v68, vcc_lo
	global_store_b32 v[67:68], v35, off
.LBB614_189:
	s_or_b32 exec_lo, exec_lo, s0
	v_cmp_lt_u64_e32 vcc_lo, v[23:24], v[29:30]
	s_or_b32 s1, s6, vcc_lo
	s_delay_alu instid0(SALU_CYCLE_1)
	s_and_saveexec_b32 s0, s1
	s_cbranch_execz .LBB614_192
; %bb.190:
	v_and_b32_e32 v2, 1, v59
	s_delay_alu instid0(VALU_DEP_1)
	v_cmp_eq_u32_e32 vcc_lo, 1, v2
	s_and_b32 exec_lo, exec_lo, vcc_lo
	s_cbranch_execz .LBB614_192
; %bb.191:
	v_lshlrev_b64 v[67:68], 2, v[23:24]
	s_delay_alu instid0(VALU_DEP_1) | instskip(NEXT) | instid1(VALU_DEP_2)
	v_add_co_u32 v67, vcc_lo, v65, v67
	v_add_co_ci_u32_e32 v68, vcc_lo, v66, v68, vcc_lo
	global_store_b32 v[67:68], v36, off
.LBB614_192:
	s_or_b32 exec_lo, exec_lo, s0
	v_cmp_lt_u64_e32 vcc_lo, v[25:26], v[29:30]
	s_or_b32 s1, s6, vcc_lo
	s_delay_alu instid0(SALU_CYCLE_1)
	s_and_saveexec_b32 s0, s1
	s_cbranch_execz .LBB614_195
; %bb.193:
	v_and_b32_e32 v2, 1, v55
	s_delay_alu instid0(VALU_DEP_1)
	v_cmp_eq_u32_e32 vcc_lo, 1, v2
	s_and_b32 exec_lo, exec_lo, vcc_lo
	s_cbranch_execz .LBB614_195
; %bb.194:
	v_lshlrev_b64 v[67:68], 2, v[25:26]
	s_delay_alu instid0(VALU_DEP_1) | instskip(NEXT) | instid1(VALU_DEP_2)
	v_add_co_u32 v67, vcc_lo, v65, v67
	v_add_co_ci_u32_e32 v68, vcc_lo, v66, v68, vcc_lo
	global_store_b32 v[67:68], v51, off
.LBB614_195:
	s_or_b32 exec_lo, exec_lo, s0
	v_cmp_lt_u64_e32 vcc_lo, v[27:28], v[29:30]
	s_or_b32 s1, s6, vcc_lo
	s_delay_alu instid0(SALU_CYCLE_1)
	s_and_saveexec_b32 s0, s1
	s_cbranch_execz .LBB614_198
; %bb.196:
	v_and_b32_e32 v2, 1, v56
	s_delay_alu instid0(VALU_DEP_1)
	v_cmp_eq_u32_e32 vcc_lo, 1, v2
	s_and_b32 exec_lo, exec_lo, vcc_lo
	s_cbranch_execz .LBB614_198
; %bb.197:
	v_lshlrev_b64 v[28:29], 2, v[27:28]
	s_delay_alu instid0(VALU_DEP_1) | instskip(NEXT) | instid1(VALU_DEP_2)
	v_add_co_u32 v28, vcc_lo, v65, v28
	v_add_co_ci_u32_e32 v29, vcc_lo, v66, v29, vcc_lo
	global_store_b32 v[28:29], v52, off
.LBB614_198:
	s_or_b32 exec_lo, exec_lo, s0
	s_branch .LBB614_154
.LBB614_199:
	v_and_b32_e32 v2, 1, v61
	s_mov_b32 s0, exec_lo
	s_delay_alu instid0(VALU_DEP_1)
	v_cmpx_eq_u32_e32 1, v2
	s_cbranch_execz .LBB614_201
; %bb.200:
	v_sub_nc_u32_e32 v1, v1, v47
	s_delay_alu instid0(VALU_DEP_1)
	v_lshlrev_b32_e32 v1, 2, v1
	ds_store_b32 v1, v41
.LBB614_201:
	s_or_b32 exec_lo, exec_lo, s0
	v_and_b32_e32 v1, 1, v64
	s_mov_b32 s0, exec_lo
	s_delay_alu instid0(VALU_DEP_1)
	v_cmpx_eq_u32_e32 1, v1
	s_cbranch_execz .LBB614_203
; %bb.202:
	v_sub_nc_u32_e32 v1, v3, v47
	s_delay_alu instid0(VALU_DEP_1)
	v_lshlrev_b32_e32 v1, 2, v1
	ds_store_b32 v1, v42
.LBB614_203:
	s_or_b32 exec_lo, exec_lo, s0
	;; [unrolled: 12-line block ×14, first 2 shown]
	v_mov_b32_e32 v1, 0
	s_mov_b32 s1, exec_lo
	s_waitcnt lgkmcnt(0)
	s_waitcnt_vscnt null, 0x0
	s_barrier
	buffer_gl0_inv
	v_cmpx_gt_u64_e64 v[45:46], v[0:1]
	s_cbranch_execz .LBB614_230
; %bb.228:
	v_lshlrev_b64 v[2:3], 2, v[47:48]
	v_lshlrev_b64 v[4:5], 2, v[49:50]
	s_mov_b32 s6, 0
	s_delay_alu instid0(VALU_DEP_2) | instskip(NEXT) | instid1(VALU_DEP_3)
	v_add_co_u32 v6, vcc_lo, s12, v2
	v_add_co_ci_u32_e32 v7, vcc_lo, s13, v3, vcc_lo
	v_dual_mov_b32 v3, v1 :: v_dual_mov_b32 v2, v0
	s_delay_alu instid0(VALU_DEP_3) | instskip(NEXT) | instid1(VALU_DEP_3)
	v_add_co_u32 v4, vcc_lo, v6, v4
	v_add_co_ci_u32_e32 v5, vcc_lo, v7, v5, vcc_lo
	v_or_b32_e32 v0, 0x80, v0
	.p2align	6
.LBB614_229:                            ; =>This Inner Loop Header: Depth=1
	s_delay_alu instid0(VALU_DEP_4) | instskip(NEXT) | instid1(VALU_DEP_2)
	v_lshlrev_b32_e32 v6, 2, v2
	v_cmp_le_u64_e32 vcc_lo, v[45:46], v[0:1]
	ds_load_b32 v8, v6
	v_lshlrev_b64 v[6:7], 2, v[2:3]
	v_dual_mov_b32 v3, v1 :: v_dual_mov_b32 v2, v0
	v_add_nc_u32_e32 v0, 0x80, v0
	s_or_b32 s6, vcc_lo, s6
	s_delay_alu instid0(VALU_DEP_3) | instskip(NEXT) | instid1(VALU_DEP_1)
	v_add_co_u32 v6, s0, v4, v6
	v_add_co_ci_u32_e64 v7, s0, v5, v7, s0
	s_waitcnt lgkmcnt(0)
	global_store_b32 v[6:7], v8, off
	s_and_not1_b32 exec_lo, exec_lo, s6
	s_cbranch_execnz .LBB614_229
.LBB614_230:
	s_or_b32 exec_lo, exec_lo, s1
	s_and_b32 s0, s2, s3
	s_delay_alu instid0(SALU_CYCLE_1)
	s_and_saveexec_b32 s1, s0
	s_cbranch_execz .LBB614_155
.LBB614_231:
	v_add_co_u32 v0, vcc_lo, v47, v45
	v_add_co_ci_u32_e32 v1, vcc_lo, v48, v46, vcc_lo
	v_mov_b32_e32 v2, 0
	s_delay_alu instid0(VALU_DEP_3) | instskip(NEXT) | instid1(VALU_DEP_3)
	v_add_co_u32 v0, vcc_lo, v0, v49
	v_add_co_ci_u32_e32 v1, vcc_lo, v1, v50, vcc_lo
	global_store_b64 v2, v[0:1], s[4:5]
	s_nop 0
	s_sendmsg sendmsg(MSG_DEALLOC_VGPRS)
	s_endpgm
	.section	.rodata,"a",@progbits
	.p2align	6, 0x0
	.amdhsa_kernel _ZN7rocprim17ROCPRIM_400000_NS6detail17trampoline_kernelINS0_14default_configENS1_25partition_config_selectorILNS1_17partition_subalgoE6EiNS0_10empty_typeEbEEZZNS1_14partition_implILS5_6ELb0ES3_mN6thrust23THRUST_200600_302600_NS6detail15normal_iteratorINSA_10device_ptrIiEEEEPS6_SG_NS0_5tupleIJSF_S6_EEENSH_IJSG_SG_EEES6_PlJ5mod_3IiEEEE10hipError_tPvRmT3_T4_T5_T6_T7_T9_mT8_P12ihipStream_tbDpT10_ENKUlT_T0_E_clISt17integral_constantIbLb0EES15_IbLb1EEEEDaS11_S12_EUlS11_E_NS1_11comp_targetILNS1_3genE9ELNS1_11target_archE1100ELNS1_3gpuE3ELNS1_3repE0EEENS1_30default_config_static_selectorELNS0_4arch9wavefront6targetE0EEEvT1_
		.amdhsa_group_segment_fixed_size 7184
		.amdhsa_private_segment_fixed_size 0
		.amdhsa_kernarg_size 128
		.amdhsa_user_sgpr_count 15
		.amdhsa_user_sgpr_dispatch_ptr 0
		.amdhsa_user_sgpr_queue_ptr 0
		.amdhsa_user_sgpr_kernarg_segment_ptr 1
		.amdhsa_user_sgpr_dispatch_id 0
		.amdhsa_user_sgpr_private_segment_size 0
		.amdhsa_wavefront_size32 1
		.amdhsa_uses_dynamic_stack 0
		.amdhsa_enable_private_segment 0
		.amdhsa_system_sgpr_workgroup_id_x 1
		.amdhsa_system_sgpr_workgroup_id_y 0
		.amdhsa_system_sgpr_workgroup_id_z 0
		.amdhsa_system_sgpr_workgroup_info 0
		.amdhsa_system_vgpr_workitem_id 0
		.amdhsa_next_free_vgpr 76
		.amdhsa_next_free_sgpr 20
		.amdhsa_reserve_vcc 1
		.amdhsa_float_round_mode_32 0
		.amdhsa_float_round_mode_16_64 0
		.amdhsa_float_denorm_mode_32 3
		.amdhsa_float_denorm_mode_16_64 3
		.amdhsa_dx10_clamp 1
		.amdhsa_ieee_mode 1
		.amdhsa_fp16_overflow 0
		.amdhsa_workgroup_processor_mode 1
		.amdhsa_memory_ordered 1
		.amdhsa_forward_progress 0
		.amdhsa_shared_vgpr_count 0
		.amdhsa_exception_fp_ieee_invalid_op 0
		.amdhsa_exception_fp_denorm_src 0
		.amdhsa_exception_fp_ieee_div_zero 0
		.amdhsa_exception_fp_ieee_overflow 0
		.amdhsa_exception_fp_ieee_underflow 0
		.amdhsa_exception_fp_ieee_inexact 0
		.amdhsa_exception_int_div_zero 0
	.end_amdhsa_kernel
	.section	.text._ZN7rocprim17ROCPRIM_400000_NS6detail17trampoline_kernelINS0_14default_configENS1_25partition_config_selectorILNS1_17partition_subalgoE6EiNS0_10empty_typeEbEEZZNS1_14partition_implILS5_6ELb0ES3_mN6thrust23THRUST_200600_302600_NS6detail15normal_iteratorINSA_10device_ptrIiEEEEPS6_SG_NS0_5tupleIJSF_S6_EEENSH_IJSG_SG_EEES6_PlJ5mod_3IiEEEE10hipError_tPvRmT3_T4_T5_T6_T7_T9_mT8_P12ihipStream_tbDpT10_ENKUlT_T0_E_clISt17integral_constantIbLb0EES15_IbLb1EEEEDaS11_S12_EUlS11_E_NS1_11comp_targetILNS1_3genE9ELNS1_11target_archE1100ELNS1_3gpuE3ELNS1_3repE0EEENS1_30default_config_static_selectorELNS0_4arch9wavefront6targetE0EEEvT1_,"axG",@progbits,_ZN7rocprim17ROCPRIM_400000_NS6detail17trampoline_kernelINS0_14default_configENS1_25partition_config_selectorILNS1_17partition_subalgoE6EiNS0_10empty_typeEbEEZZNS1_14partition_implILS5_6ELb0ES3_mN6thrust23THRUST_200600_302600_NS6detail15normal_iteratorINSA_10device_ptrIiEEEEPS6_SG_NS0_5tupleIJSF_S6_EEENSH_IJSG_SG_EEES6_PlJ5mod_3IiEEEE10hipError_tPvRmT3_T4_T5_T6_T7_T9_mT8_P12ihipStream_tbDpT10_ENKUlT_T0_E_clISt17integral_constantIbLb0EES15_IbLb1EEEEDaS11_S12_EUlS11_E_NS1_11comp_targetILNS1_3genE9ELNS1_11target_archE1100ELNS1_3gpuE3ELNS1_3repE0EEENS1_30default_config_static_selectorELNS0_4arch9wavefront6targetE0EEEvT1_,comdat
.Lfunc_end614:
	.size	_ZN7rocprim17ROCPRIM_400000_NS6detail17trampoline_kernelINS0_14default_configENS1_25partition_config_selectorILNS1_17partition_subalgoE6EiNS0_10empty_typeEbEEZZNS1_14partition_implILS5_6ELb0ES3_mN6thrust23THRUST_200600_302600_NS6detail15normal_iteratorINSA_10device_ptrIiEEEEPS6_SG_NS0_5tupleIJSF_S6_EEENSH_IJSG_SG_EEES6_PlJ5mod_3IiEEEE10hipError_tPvRmT3_T4_T5_T6_T7_T9_mT8_P12ihipStream_tbDpT10_ENKUlT_T0_E_clISt17integral_constantIbLb0EES15_IbLb1EEEEDaS11_S12_EUlS11_E_NS1_11comp_targetILNS1_3genE9ELNS1_11target_archE1100ELNS1_3gpuE3ELNS1_3repE0EEENS1_30default_config_static_selectorELNS0_4arch9wavefront6targetE0EEEvT1_, .Lfunc_end614-_ZN7rocprim17ROCPRIM_400000_NS6detail17trampoline_kernelINS0_14default_configENS1_25partition_config_selectorILNS1_17partition_subalgoE6EiNS0_10empty_typeEbEEZZNS1_14partition_implILS5_6ELb0ES3_mN6thrust23THRUST_200600_302600_NS6detail15normal_iteratorINSA_10device_ptrIiEEEEPS6_SG_NS0_5tupleIJSF_S6_EEENSH_IJSG_SG_EEES6_PlJ5mod_3IiEEEE10hipError_tPvRmT3_T4_T5_T6_T7_T9_mT8_P12ihipStream_tbDpT10_ENKUlT_T0_E_clISt17integral_constantIbLb0EES15_IbLb1EEEEDaS11_S12_EUlS11_E_NS1_11comp_targetILNS1_3genE9ELNS1_11target_archE1100ELNS1_3gpuE3ELNS1_3repE0EEENS1_30default_config_static_selectorELNS0_4arch9wavefront6targetE0EEEvT1_
                                        ; -- End function
	.section	.AMDGPU.csdata,"",@progbits
; Kernel info:
; codeLenInByte = 9388
; NumSgprs: 22
; NumVgprs: 76
; ScratchSize: 0
; MemoryBound: 0
; FloatMode: 240
; IeeeMode: 1
; LDSByteSize: 7184 bytes/workgroup (compile time only)
; SGPRBlocks: 2
; VGPRBlocks: 9
; NumSGPRsForWavesPerEU: 22
; NumVGPRsForWavesPerEU: 76
; Occupancy: 16
; WaveLimiterHint : 1
; COMPUTE_PGM_RSRC2:SCRATCH_EN: 0
; COMPUTE_PGM_RSRC2:USER_SGPR: 15
; COMPUTE_PGM_RSRC2:TRAP_HANDLER: 0
; COMPUTE_PGM_RSRC2:TGID_X_EN: 1
; COMPUTE_PGM_RSRC2:TGID_Y_EN: 0
; COMPUTE_PGM_RSRC2:TGID_Z_EN: 0
; COMPUTE_PGM_RSRC2:TIDIG_COMP_CNT: 0
	.section	.text._ZN7rocprim17ROCPRIM_400000_NS6detail17trampoline_kernelINS0_14default_configENS1_25partition_config_selectorILNS1_17partition_subalgoE6EiNS0_10empty_typeEbEEZZNS1_14partition_implILS5_6ELb0ES3_mN6thrust23THRUST_200600_302600_NS6detail15normal_iteratorINSA_10device_ptrIiEEEEPS6_SG_NS0_5tupleIJSF_S6_EEENSH_IJSG_SG_EEES6_PlJ5mod_3IiEEEE10hipError_tPvRmT3_T4_T5_T6_T7_T9_mT8_P12ihipStream_tbDpT10_ENKUlT_T0_E_clISt17integral_constantIbLb0EES15_IbLb1EEEEDaS11_S12_EUlS11_E_NS1_11comp_targetILNS1_3genE8ELNS1_11target_archE1030ELNS1_3gpuE2ELNS1_3repE0EEENS1_30default_config_static_selectorELNS0_4arch9wavefront6targetE0EEEvT1_,"axG",@progbits,_ZN7rocprim17ROCPRIM_400000_NS6detail17trampoline_kernelINS0_14default_configENS1_25partition_config_selectorILNS1_17partition_subalgoE6EiNS0_10empty_typeEbEEZZNS1_14partition_implILS5_6ELb0ES3_mN6thrust23THRUST_200600_302600_NS6detail15normal_iteratorINSA_10device_ptrIiEEEEPS6_SG_NS0_5tupleIJSF_S6_EEENSH_IJSG_SG_EEES6_PlJ5mod_3IiEEEE10hipError_tPvRmT3_T4_T5_T6_T7_T9_mT8_P12ihipStream_tbDpT10_ENKUlT_T0_E_clISt17integral_constantIbLb0EES15_IbLb1EEEEDaS11_S12_EUlS11_E_NS1_11comp_targetILNS1_3genE8ELNS1_11target_archE1030ELNS1_3gpuE2ELNS1_3repE0EEENS1_30default_config_static_selectorELNS0_4arch9wavefront6targetE0EEEvT1_,comdat
	.protected	_ZN7rocprim17ROCPRIM_400000_NS6detail17trampoline_kernelINS0_14default_configENS1_25partition_config_selectorILNS1_17partition_subalgoE6EiNS0_10empty_typeEbEEZZNS1_14partition_implILS5_6ELb0ES3_mN6thrust23THRUST_200600_302600_NS6detail15normal_iteratorINSA_10device_ptrIiEEEEPS6_SG_NS0_5tupleIJSF_S6_EEENSH_IJSG_SG_EEES6_PlJ5mod_3IiEEEE10hipError_tPvRmT3_T4_T5_T6_T7_T9_mT8_P12ihipStream_tbDpT10_ENKUlT_T0_E_clISt17integral_constantIbLb0EES15_IbLb1EEEEDaS11_S12_EUlS11_E_NS1_11comp_targetILNS1_3genE8ELNS1_11target_archE1030ELNS1_3gpuE2ELNS1_3repE0EEENS1_30default_config_static_selectorELNS0_4arch9wavefront6targetE0EEEvT1_ ; -- Begin function _ZN7rocprim17ROCPRIM_400000_NS6detail17trampoline_kernelINS0_14default_configENS1_25partition_config_selectorILNS1_17partition_subalgoE6EiNS0_10empty_typeEbEEZZNS1_14partition_implILS5_6ELb0ES3_mN6thrust23THRUST_200600_302600_NS6detail15normal_iteratorINSA_10device_ptrIiEEEEPS6_SG_NS0_5tupleIJSF_S6_EEENSH_IJSG_SG_EEES6_PlJ5mod_3IiEEEE10hipError_tPvRmT3_T4_T5_T6_T7_T9_mT8_P12ihipStream_tbDpT10_ENKUlT_T0_E_clISt17integral_constantIbLb0EES15_IbLb1EEEEDaS11_S12_EUlS11_E_NS1_11comp_targetILNS1_3genE8ELNS1_11target_archE1030ELNS1_3gpuE2ELNS1_3repE0EEENS1_30default_config_static_selectorELNS0_4arch9wavefront6targetE0EEEvT1_
	.globl	_ZN7rocprim17ROCPRIM_400000_NS6detail17trampoline_kernelINS0_14default_configENS1_25partition_config_selectorILNS1_17partition_subalgoE6EiNS0_10empty_typeEbEEZZNS1_14partition_implILS5_6ELb0ES3_mN6thrust23THRUST_200600_302600_NS6detail15normal_iteratorINSA_10device_ptrIiEEEEPS6_SG_NS0_5tupleIJSF_S6_EEENSH_IJSG_SG_EEES6_PlJ5mod_3IiEEEE10hipError_tPvRmT3_T4_T5_T6_T7_T9_mT8_P12ihipStream_tbDpT10_ENKUlT_T0_E_clISt17integral_constantIbLb0EES15_IbLb1EEEEDaS11_S12_EUlS11_E_NS1_11comp_targetILNS1_3genE8ELNS1_11target_archE1030ELNS1_3gpuE2ELNS1_3repE0EEENS1_30default_config_static_selectorELNS0_4arch9wavefront6targetE0EEEvT1_
	.p2align	8
	.type	_ZN7rocprim17ROCPRIM_400000_NS6detail17trampoline_kernelINS0_14default_configENS1_25partition_config_selectorILNS1_17partition_subalgoE6EiNS0_10empty_typeEbEEZZNS1_14partition_implILS5_6ELb0ES3_mN6thrust23THRUST_200600_302600_NS6detail15normal_iteratorINSA_10device_ptrIiEEEEPS6_SG_NS0_5tupleIJSF_S6_EEENSH_IJSG_SG_EEES6_PlJ5mod_3IiEEEE10hipError_tPvRmT3_T4_T5_T6_T7_T9_mT8_P12ihipStream_tbDpT10_ENKUlT_T0_E_clISt17integral_constantIbLb0EES15_IbLb1EEEEDaS11_S12_EUlS11_E_NS1_11comp_targetILNS1_3genE8ELNS1_11target_archE1030ELNS1_3gpuE2ELNS1_3repE0EEENS1_30default_config_static_selectorELNS0_4arch9wavefront6targetE0EEEvT1_,@function
_ZN7rocprim17ROCPRIM_400000_NS6detail17trampoline_kernelINS0_14default_configENS1_25partition_config_selectorILNS1_17partition_subalgoE6EiNS0_10empty_typeEbEEZZNS1_14partition_implILS5_6ELb0ES3_mN6thrust23THRUST_200600_302600_NS6detail15normal_iteratorINSA_10device_ptrIiEEEEPS6_SG_NS0_5tupleIJSF_S6_EEENSH_IJSG_SG_EEES6_PlJ5mod_3IiEEEE10hipError_tPvRmT3_T4_T5_T6_T7_T9_mT8_P12ihipStream_tbDpT10_ENKUlT_T0_E_clISt17integral_constantIbLb0EES15_IbLb1EEEEDaS11_S12_EUlS11_E_NS1_11comp_targetILNS1_3genE8ELNS1_11target_archE1030ELNS1_3gpuE2ELNS1_3repE0EEENS1_30default_config_static_selectorELNS0_4arch9wavefront6targetE0EEEvT1_: ; @_ZN7rocprim17ROCPRIM_400000_NS6detail17trampoline_kernelINS0_14default_configENS1_25partition_config_selectorILNS1_17partition_subalgoE6EiNS0_10empty_typeEbEEZZNS1_14partition_implILS5_6ELb0ES3_mN6thrust23THRUST_200600_302600_NS6detail15normal_iteratorINSA_10device_ptrIiEEEEPS6_SG_NS0_5tupleIJSF_S6_EEENSH_IJSG_SG_EEES6_PlJ5mod_3IiEEEE10hipError_tPvRmT3_T4_T5_T6_T7_T9_mT8_P12ihipStream_tbDpT10_ENKUlT_T0_E_clISt17integral_constantIbLb0EES15_IbLb1EEEEDaS11_S12_EUlS11_E_NS1_11comp_targetILNS1_3genE8ELNS1_11target_archE1030ELNS1_3gpuE2ELNS1_3repE0EEENS1_30default_config_static_selectorELNS0_4arch9wavefront6targetE0EEEvT1_
; %bb.0:
	.section	.rodata,"a",@progbits
	.p2align	6, 0x0
	.amdhsa_kernel _ZN7rocprim17ROCPRIM_400000_NS6detail17trampoline_kernelINS0_14default_configENS1_25partition_config_selectorILNS1_17partition_subalgoE6EiNS0_10empty_typeEbEEZZNS1_14partition_implILS5_6ELb0ES3_mN6thrust23THRUST_200600_302600_NS6detail15normal_iteratorINSA_10device_ptrIiEEEEPS6_SG_NS0_5tupleIJSF_S6_EEENSH_IJSG_SG_EEES6_PlJ5mod_3IiEEEE10hipError_tPvRmT3_T4_T5_T6_T7_T9_mT8_P12ihipStream_tbDpT10_ENKUlT_T0_E_clISt17integral_constantIbLb0EES15_IbLb1EEEEDaS11_S12_EUlS11_E_NS1_11comp_targetILNS1_3genE8ELNS1_11target_archE1030ELNS1_3gpuE2ELNS1_3repE0EEENS1_30default_config_static_selectorELNS0_4arch9wavefront6targetE0EEEvT1_
		.amdhsa_group_segment_fixed_size 0
		.amdhsa_private_segment_fixed_size 0
		.amdhsa_kernarg_size 128
		.amdhsa_user_sgpr_count 15
		.amdhsa_user_sgpr_dispatch_ptr 0
		.amdhsa_user_sgpr_queue_ptr 0
		.amdhsa_user_sgpr_kernarg_segment_ptr 1
		.amdhsa_user_sgpr_dispatch_id 0
		.amdhsa_user_sgpr_private_segment_size 0
		.amdhsa_wavefront_size32 1
		.amdhsa_uses_dynamic_stack 0
		.amdhsa_enable_private_segment 0
		.amdhsa_system_sgpr_workgroup_id_x 1
		.amdhsa_system_sgpr_workgroup_id_y 0
		.amdhsa_system_sgpr_workgroup_id_z 0
		.amdhsa_system_sgpr_workgroup_info 0
		.amdhsa_system_vgpr_workitem_id 0
		.amdhsa_next_free_vgpr 1
		.amdhsa_next_free_sgpr 1
		.amdhsa_reserve_vcc 0
		.amdhsa_float_round_mode_32 0
		.amdhsa_float_round_mode_16_64 0
		.amdhsa_float_denorm_mode_32 3
		.amdhsa_float_denorm_mode_16_64 3
		.amdhsa_dx10_clamp 1
		.amdhsa_ieee_mode 1
		.amdhsa_fp16_overflow 0
		.amdhsa_workgroup_processor_mode 1
		.amdhsa_memory_ordered 1
		.amdhsa_forward_progress 0
		.amdhsa_shared_vgpr_count 0
		.amdhsa_exception_fp_ieee_invalid_op 0
		.amdhsa_exception_fp_denorm_src 0
		.amdhsa_exception_fp_ieee_div_zero 0
		.amdhsa_exception_fp_ieee_overflow 0
		.amdhsa_exception_fp_ieee_underflow 0
		.amdhsa_exception_fp_ieee_inexact 0
		.amdhsa_exception_int_div_zero 0
	.end_amdhsa_kernel
	.section	.text._ZN7rocprim17ROCPRIM_400000_NS6detail17trampoline_kernelINS0_14default_configENS1_25partition_config_selectorILNS1_17partition_subalgoE6EiNS0_10empty_typeEbEEZZNS1_14partition_implILS5_6ELb0ES3_mN6thrust23THRUST_200600_302600_NS6detail15normal_iteratorINSA_10device_ptrIiEEEEPS6_SG_NS0_5tupleIJSF_S6_EEENSH_IJSG_SG_EEES6_PlJ5mod_3IiEEEE10hipError_tPvRmT3_T4_T5_T6_T7_T9_mT8_P12ihipStream_tbDpT10_ENKUlT_T0_E_clISt17integral_constantIbLb0EES15_IbLb1EEEEDaS11_S12_EUlS11_E_NS1_11comp_targetILNS1_3genE8ELNS1_11target_archE1030ELNS1_3gpuE2ELNS1_3repE0EEENS1_30default_config_static_selectorELNS0_4arch9wavefront6targetE0EEEvT1_,"axG",@progbits,_ZN7rocprim17ROCPRIM_400000_NS6detail17trampoline_kernelINS0_14default_configENS1_25partition_config_selectorILNS1_17partition_subalgoE6EiNS0_10empty_typeEbEEZZNS1_14partition_implILS5_6ELb0ES3_mN6thrust23THRUST_200600_302600_NS6detail15normal_iteratorINSA_10device_ptrIiEEEEPS6_SG_NS0_5tupleIJSF_S6_EEENSH_IJSG_SG_EEES6_PlJ5mod_3IiEEEE10hipError_tPvRmT3_T4_T5_T6_T7_T9_mT8_P12ihipStream_tbDpT10_ENKUlT_T0_E_clISt17integral_constantIbLb0EES15_IbLb1EEEEDaS11_S12_EUlS11_E_NS1_11comp_targetILNS1_3genE8ELNS1_11target_archE1030ELNS1_3gpuE2ELNS1_3repE0EEENS1_30default_config_static_selectorELNS0_4arch9wavefront6targetE0EEEvT1_,comdat
.Lfunc_end615:
	.size	_ZN7rocprim17ROCPRIM_400000_NS6detail17trampoline_kernelINS0_14default_configENS1_25partition_config_selectorILNS1_17partition_subalgoE6EiNS0_10empty_typeEbEEZZNS1_14partition_implILS5_6ELb0ES3_mN6thrust23THRUST_200600_302600_NS6detail15normal_iteratorINSA_10device_ptrIiEEEEPS6_SG_NS0_5tupleIJSF_S6_EEENSH_IJSG_SG_EEES6_PlJ5mod_3IiEEEE10hipError_tPvRmT3_T4_T5_T6_T7_T9_mT8_P12ihipStream_tbDpT10_ENKUlT_T0_E_clISt17integral_constantIbLb0EES15_IbLb1EEEEDaS11_S12_EUlS11_E_NS1_11comp_targetILNS1_3genE8ELNS1_11target_archE1030ELNS1_3gpuE2ELNS1_3repE0EEENS1_30default_config_static_selectorELNS0_4arch9wavefront6targetE0EEEvT1_, .Lfunc_end615-_ZN7rocprim17ROCPRIM_400000_NS6detail17trampoline_kernelINS0_14default_configENS1_25partition_config_selectorILNS1_17partition_subalgoE6EiNS0_10empty_typeEbEEZZNS1_14partition_implILS5_6ELb0ES3_mN6thrust23THRUST_200600_302600_NS6detail15normal_iteratorINSA_10device_ptrIiEEEEPS6_SG_NS0_5tupleIJSF_S6_EEENSH_IJSG_SG_EEES6_PlJ5mod_3IiEEEE10hipError_tPvRmT3_T4_T5_T6_T7_T9_mT8_P12ihipStream_tbDpT10_ENKUlT_T0_E_clISt17integral_constantIbLb0EES15_IbLb1EEEEDaS11_S12_EUlS11_E_NS1_11comp_targetILNS1_3genE8ELNS1_11target_archE1030ELNS1_3gpuE2ELNS1_3repE0EEENS1_30default_config_static_selectorELNS0_4arch9wavefront6targetE0EEEvT1_
                                        ; -- End function
	.section	.AMDGPU.csdata,"",@progbits
; Kernel info:
; codeLenInByte = 0
; NumSgprs: 0
; NumVgprs: 0
; ScratchSize: 0
; MemoryBound: 0
; FloatMode: 240
; IeeeMode: 1
; LDSByteSize: 0 bytes/workgroup (compile time only)
; SGPRBlocks: 0
; VGPRBlocks: 0
; NumSGPRsForWavesPerEU: 1
; NumVGPRsForWavesPerEU: 1
; Occupancy: 16
; WaveLimiterHint : 0
; COMPUTE_PGM_RSRC2:SCRATCH_EN: 0
; COMPUTE_PGM_RSRC2:USER_SGPR: 15
; COMPUTE_PGM_RSRC2:TRAP_HANDLER: 0
; COMPUTE_PGM_RSRC2:TGID_X_EN: 1
; COMPUTE_PGM_RSRC2:TGID_Y_EN: 0
; COMPUTE_PGM_RSRC2:TGID_Z_EN: 0
; COMPUTE_PGM_RSRC2:TIDIG_COMP_CNT: 0
	.section	.text._ZN7rocprim17ROCPRIM_400000_NS6detail17trampoline_kernelINS0_14default_configENS1_25partition_config_selectorILNS1_17partition_subalgoE6EsNS0_10empty_typeEbEEZZNS1_14partition_implILS5_6ELb0ES3_mN6thrust23THRUST_200600_302600_NS6detail15normal_iteratorINSA_10device_ptrIsEEEEPS6_SG_NS0_5tupleIJSF_S6_EEENSH_IJSG_SG_EEES6_PlJ5mod_3IsEEEE10hipError_tPvRmT3_T4_T5_T6_T7_T9_mT8_P12ihipStream_tbDpT10_ENKUlT_T0_E_clISt17integral_constantIbLb0EES16_EEDaS11_S12_EUlS11_E_NS1_11comp_targetILNS1_3genE0ELNS1_11target_archE4294967295ELNS1_3gpuE0ELNS1_3repE0EEENS1_30default_config_static_selectorELNS0_4arch9wavefront6targetE0EEEvT1_,"axG",@progbits,_ZN7rocprim17ROCPRIM_400000_NS6detail17trampoline_kernelINS0_14default_configENS1_25partition_config_selectorILNS1_17partition_subalgoE6EsNS0_10empty_typeEbEEZZNS1_14partition_implILS5_6ELb0ES3_mN6thrust23THRUST_200600_302600_NS6detail15normal_iteratorINSA_10device_ptrIsEEEEPS6_SG_NS0_5tupleIJSF_S6_EEENSH_IJSG_SG_EEES6_PlJ5mod_3IsEEEE10hipError_tPvRmT3_T4_T5_T6_T7_T9_mT8_P12ihipStream_tbDpT10_ENKUlT_T0_E_clISt17integral_constantIbLb0EES16_EEDaS11_S12_EUlS11_E_NS1_11comp_targetILNS1_3genE0ELNS1_11target_archE4294967295ELNS1_3gpuE0ELNS1_3repE0EEENS1_30default_config_static_selectorELNS0_4arch9wavefront6targetE0EEEvT1_,comdat
	.protected	_ZN7rocprim17ROCPRIM_400000_NS6detail17trampoline_kernelINS0_14default_configENS1_25partition_config_selectorILNS1_17partition_subalgoE6EsNS0_10empty_typeEbEEZZNS1_14partition_implILS5_6ELb0ES3_mN6thrust23THRUST_200600_302600_NS6detail15normal_iteratorINSA_10device_ptrIsEEEEPS6_SG_NS0_5tupleIJSF_S6_EEENSH_IJSG_SG_EEES6_PlJ5mod_3IsEEEE10hipError_tPvRmT3_T4_T5_T6_T7_T9_mT8_P12ihipStream_tbDpT10_ENKUlT_T0_E_clISt17integral_constantIbLb0EES16_EEDaS11_S12_EUlS11_E_NS1_11comp_targetILNS1_3genE0ELNS1_11target_archE4294967295ELNS1_3gpuE0ELNS1_3repE0EEENS1_30default_config_static_selectorELNS0_4arch9wavefront6targetE0EEEvT1_ ; -- Begin function _ZN7rocprim17ROCPRIM_400000_NS6detail17trampoline_kernelINS0_14default_configENS1_25partition_config_selectorILNS1_17partition_subalgoE6EsNS0_10empty_typeEbEEZZNS1_14partition_implILS5_6ELb0ES3_mN6thrust23THRUST_200600_302600_NS6detail15normal_iteratorINSA_10device_ptrIsEEEEPS6_SG_NS0_5tupleIJSF_S6_EEENSH_IJSG_SG_EEES6_PlJ5mod_3IsEEEE10hipError_tPvRmT3_T4_T5_T6_T7_T9_mT8_P12ihipStream_tbDpT10_ENKUlT_T0_E_clISt17integral_constantIbLb0EES16_EEDaS11_S12_EUlS11_E_NS1_11comp_targetILNS1_3genE0ELNS1_11target_archE4294967295ELNS1_3gpuE0ELNS1_3repE0EEENS1_30default_config_static_selectorELNS0_4arch9wavefront6targetE0EEEvT1_
	.globl	_ZN7rocprim17ROCPRIM_400000_NS6detail17trampoline_kernelINS0_14default_configENS1_25partition_config_selectorILNS1_17partition_subalgoE6EsNS0_10empty_typeEbEEZZNS1_14partition_implILS5_6ELb0ES3_mN6thrust23THRUST_200600_302600_NS6detail15normal_iteratorINSA_10device_ptrIsEEEEPS6_SG_NS0_5tupleIJSF_S6_EEENSH_IJSG_SG_EEES6_PlJ5mod_3IsEEEE10hipError_tPvRmT3_T4_T5_T6_T7_T9_mT8_P12ihipStream_tbDpT10_ENKUlT_T0_E_clISt17integral_constantIbLb0EES16_EEDaS11_S12_EUlS11_E_NS1_11comp_targetILNS1_3genE0ELNS1_11target_archE4294967295ELNS1_3gpuE0ELNS1_3repE0EEENS1_30default_config_static_selectorELNS0_4arch9wavefront6targetE0EEEvT1_
	.p2align	8
	.type	_ZN7rocprim17ROCPRIM_400000_NS6detail17trampoline_kernelINS0_14default_configENS1_25partition_config_selectorILNS1_17partition_subalgoE6EsNS0_10empty_typeEbEEZZNS1_14partition_implILS5_6ELb0ES3_mN6thrust23THRUST_200600_302600_NS6detail15normal_iteratorINSA_10device_ptrIsEEEEPS6_SG_NS0_5tupleIJSF_S6_EEENSH_IJSG_SG_EEES6_PlJ5mod_3IsEEEE10hipError_tPvRmT3_T4_T5_T6_T7_T9_mT8_P12ihipStream_tbDpT10_ENKUlT_T0_E_clISt17integral_constantIbLb0EES16_EEDaS11_S12_EUlS11_E_NS1_11comp_targetILNS1_3genE0ELNS1_11target_archE4294967295ELNS1_3gpuE0ELNS1_3repE0EEENS1_30default_config_static_selectorELNS0_4arch9wavefront6targetE0EEEvT1_,@function
_ZN7rocprim17ROCPRIM_400000_NS6detail17trampoline_kernelINS0_14default_configENS1_25partition_config_selectorILNS1_17partition_subalgoE6EsNS0_10empty_typeEbEEZZNS1_14partition_implILS5_6ELb0ES3_mN6thrust23THRUST_200600_302600_NS6detail15normal_iteratorINSA_10device_ptrIsEEEEPS6_SG_NS0_5tupleIJSF_S6_EEENSH_IJSG_SG_EEES6_PlJ5mod_3IsEEEE10hipError_tPvRmT3_T4_T5_T6_T7_T9_mT8_P12ihipStream_tbDpT10_ENKUlT_T0_E_clISt17integral_constantIbLb0EES16_EEDaS11_S12_EUlS11_E_NS1_11comp_targetILNS1_3genE0ELNS1_11target_archE4294967295ELNS1_3gpuE0ELNS1_3repE0EEENS1_30default_config_static_selectorELNS0_4arch9wavefront6targetE0EEEvT1_: ; @_ZN7rocprim17ROCPRIM_400000_NS6detail17trampoline_kernelINS0_14default_configENS1_25partition_config_selectorILNS1_17partition_subalgoE6EsNS0_10empty_typeEbEEZZNS1_14partition_implILS5_6ELb0ES3_mN6thrust23THRUST_200600_302600_NS6detail15normal_iteratorINSA_10device_ptrIsEEEEPS6_SG_NS0_5tupleIJSF_S6_EEENSH_IJSG_SG_EEES6_PlJ5mod_3IsEEEE10hipError_tPvRmT3_T4_T5_T6_T7_T9_mT8_P12ihipStream_tbDpT10_ENKUlT_T0_E_clISt17integral_constantIbLb0EES16_EEDaS11_S12_EUlS11_E_NS1_11comp_targetILNS1_3genE0ELNS1_11target_archE4294967295ELNS1_3gpuE0ELNS1_3repE0EEENS1_30default_config_static_selectorELNS0_4arch9wavefront6targetE0EEEvT1_
; %bb.0:
	.section	.rodata,"a",@progbits
	.p2align	6, 0x0
	.amdhsa_kernel _ZN7rocprim17ROCPRIM_400000_NS6detail17trampoline_kernelINS0_14default_configENS1_25partition_config_selectorILNS1_17partition_subalgoE6EsNS0_10empty_typeEbEEZZNS1_14partition_implILS5_6ELb0ES3_mN6thrust23THRUST_200600_302600_NS6detail15normal_iteratorINSA_10device_ptrIsEEEEPS6_SG_NS0_5tupleIJSF_S6_EEENSH_IJSG_SG_EEES6_PlJ5mod_3IsEEEE10hipError_tPvRmT3_T4_T5_T6_T7_T9_mT8_P12ihipStream_tbDpT10_ENKUlT_T0_E_clISt17integral_constantIbLb0EES16_EEDaS11_S12_EUlS11_E_NS1_11comp_targetILNS1_3genE0ELNS1_11target_archE4294967295ELNS1_3gpuE0ELNS1_3repE0EEENS1_30default_config_static_selectorELNS0_4arch9wavefront6targetE0EEEvT1_
		.amdhsa_group_segment_fixed_size 0
		.amdhsa_private_segment_fixed_size 0
		.amdhsa_kernarg_size 112
		.amdhsa_user_sgpr_count 15
		.amdhsa_user_sgpr_dispatch_ptr 0
		.amdhsa_user_sgpr_queue_ptr 0
		.amdhsa_user_sgpr_kernarg_segment_ptr 1
		.amdhsa_user_sgpr_dispatch_id 0
		.amdhsa_user_sgpr_private_segment_size 0
		.amdhsa_wavefront_size32 1
		.amdhsa_uses_dynamic_stack 0
		.amdhsa_enable_private_segment 0
		.amdhsa_system_sgpr_workgroup_id_x 1
		.amdhsa_system_sgpr_workgroup_id_y 0
		.amdhsa_system_sgpr_workgroup_id_z 0
		.amdhsa_system_sgpr_workgroup_info 0
		.amdhsa_system_vgpr_workitem_id 0
		.amdhsa_next_free_vgpr 1
		.amdhsa_next_free_sgpr 1
		.amdhsa_reserve_vcc 0
		.amdhsa_float_round_mode_32 0
		.amdhsa_float_round_mode_16_64 0
		.amdhsa_float_denorm_mode_32 3
		.amdhsa_float_denorm_mode_16_64 3
		.amdhsa_dx10_clamp 1
		.amdhsa_ieee_mode 1
		.amdhsa_fp16_overflow 0
		.amdhsa_workgroup_processor_mode 1
		.amdhsa_memory_ordered 1
		.amdhsa_forward_progress 0
		.amdhsa_shared_vgpr_count 0
		.amdhsa_exception_fp_ieee_invalid_op 0
		.amdhsa_exception_fp_denorm_src 0
		.amdhsa_exception_fp_ieee_div_zero 0
		.amdhsa_exception_fp_ieee_overflow 0
		.amdhsa_exception_fp_ieee_underflow 0
		.amdhsa_exception_fp_ieee_inexact 0
		.amdhsa_exception_int_div_zero 0
	.end_amdhsa_kernel
	.section	.text._ZN7rocprim17ROCPRIM_400000_NS6detail17trampoline_kernelINS0_14default_configENS1_25partition_config_selectorILNS1_17partition_subalgoE6EsNS0_10empty_typeEbEEZZNS1_14partition_implILS5_6ELb0ES3_mN6thrust23THRUST_200600_302600_NS6detail15normal_iteratorINSA_10device_ptrIsEEEEPS6_SG_NS0_5tupleIJSF_S6_EEENSH_IJSG_SG_EEES6_PlJ5mod_3IsEEEE10hipError_tPvRmT3_T4_T5_T6_T7_T9_mT8_P12ihipStream_tbDpT10_ENKUlT_T0_E_clISt17integral_constantIbLb0EES16_EEDaS11_S12_EUlS11_E_NS1_11comp_targetILNS1_3genE0ELNS1_11target_archE4294967295ELNS1_3gpuE0ELNS1_3repE0EEENS1_30default_config_static_selectorELNS0_4arch9wavefront6targetE0EEEvT1_,"axG",@progbits,_ZN7rocprim17ROCPRIM_400000_NS6detail17trampoline_kernelINS0_14default_configENS1_25partition_config_selectorILNS1_17partition_subalgoE6EsNS0_10empty_typeEbEEZZNS1_14partition_implILS5_6ELb0ES3_mN6thrust23THRUST_200600_302600_NS6detail15normal_iteratorINSA_10device_ptrIsEEEEPS6_SG_NS0_5tupleIJSF_S6_EEENSH_IJSG_SG_EEES6_PlJ5mod_3IsEEEE10hipError_tPvRmT3_T4_T5_T6_T7_T9_mT8_P12ihipStream_tbDpT10_ENKUlT_T0_E_clISt17integral_constantIbLb0EES16_EEDaS11_S12_EUlS11_E_NS1_11comp_targetILNS1_3genE0ELNS1_11target_archE4294967295ELNS1_3gpuE0ELNS1_3repE0EEENS1_30default_config_static_selectorELNS0_4arch9wavefront6targetE0EEEvT1_,comdat
.Lfunc_end616:
	.size	_ZN7rocprim17ROCPRIM_400000_NS6detail17trampoline_kernelINS0_14default_configENS1_25partition_config_selectorILNS1_17partition_subalgoE6EsNS0_10empty_typeEbEEZZNS1_14partition_implILS5_6ELb0ES3_mN6thrust23THRUST_200600_302600_NS6detail15normal_iteratorINSA_10device_ptrIsEEEEPS6_SG_NS0_5tupleIJSF_S6_EEENSH_IJSG_SG_EEES6_PlJ5mod_3IsEEEE10hipError_tPvRmT3_T4_T5_T6_T7_T9_mT8_P12ihipStream_tbDpT10_ENKUlT_T0_E_clISt17integral_constantIbLb0EES16_EEDaS11_S12_EUlS11_E_NS1_11comp_targetILNS1_3genE0ELNS1_11target_archE4294967295ELNS1_3gpuE0ELNS1_3repE0EEENS1_30default_config_static_selectorELNS0_4arch9wavefront6targetE0EEEvT1_, .Lfunc_end616-_ZN7rocprim17ROCPRIM_400000_NS6detail17trampoline_kernelINS0_14default_configENS1_25partition_config_selectorILNS1_17partition_subalgoE6EsNS0_10empty_typeEbEEZZNS1_14partition_implILS5_6ELb0ES3_mN6thrust23THRUST_200600_302600_NS6detail15normal_iteratorINSA_10device_ptrIsEEEEPS6_SG_NS0_5tupleIJSF_S6_EEENSH_IJSG_SG_EEES6_PlJ5mod_3IsEEEE10hipError_tPvRmT3_T4_T5_T6_T7_T9_mT8_P12ihipStream_tbDpT10_ENKUlT_T0_E_clISt17integral_constantIbLb0EES16_EEDaS11_S12_EUlS11_E_NS1_11comp_targetILNS1_3genE0ELNS1_11target_archE4294967295ELNS1_3gpuE0ELNS1_3repE0EEENS1_30default_config_static_selectorELNS0_4arch9wavefront6targetE0EEEvT1_
                                        ; -- End function
	.section	.AMDGPU.csdata,"",@progbits
; Kernel info:
; codeLenInByte = 0
; NumSgprs: 0
; NumVgprs: 0
; ScratchSize: 0
; MemoryBound: 0
; FloatMode: 240
; IeeeMode: 1
; LDSByteSize: 0 bytes/workgroup (compile time only)
; SGPRBlocks: 0
; VGPRBlocks: 0
; NumSGPRsForWavesPerEU: 1
; NumVGPRsForWavesPerEU: 1
; Occupancy: 16
; WaveLimiterHint : 0
; COMPUTE_PGM_RSRC2:SCRATCH_EN: 0
; COMPUTE_PGM_RSRC2:USER_SGPR: 15
; COMPUTE_PGM_RSRC2:TRAP_HANDLER: 0
; COMPUTE_PGM_RSRC2:TGID_X_EN: 1
; COMPUTE_PGM_RSRC2:TGID_Y_EN: 0
; COMPUTE_PGM_RSRC2:TGID_Z_EN: 0
; COMPUTE_PGM_RSRC2:TIDIG_COMP_CNT: 0
	.section	.text._ZN7rocprim17ROCPRIM_400000_NS6detail17trampoline_kernelINS0_14default_configENS1_25partition_config_selectorILNS1_17partition_subalgoE6EsNS0_10empty_typeEbEEZZNS1_14partition_implILS5_6ELb0ES3_mN6thrust23THRUST_200600_302600_NS6detail15normal_iteratorINSA_10device_ptrIsEEEEPS6_SG_NS0_5tupleIJSF_S6_EEENSH_IJSG_SG_EEES6_PlJ5mod_3IsEEEE10hipError_tPvRmT3_T4_T5_T6_T7_T9_mT8_P12ihipStream_tbDpT10_ENKUlT_T0_E_clISt17integral_constantIbLb0EES16_EEDaS11_S12_EUlS11_E_NS1_11comp_targetILNS1_3genE5ELNS1_11target_archE942ELNS1_3gpuE9ELNS1_3repE0EEENS1_30default_config_static_selectorELNS0_4arch9wavefront6targetE0EEEvT1_,"axG",@progbits,_ZN7rocprim17ROCPRIM_400000_NS6detail17trampoline_kernelINS0_14default_configENS1_25partition_config_selectorILNS1_17partition_subalgoE6EsNS0_10empty_typeEbEEZZNS1_14partition_implILS5_6ELb0ES3_mN6thrust23THRUST_200600_302600_NS6detail15normal_iteratorINSA_10device_ptrIsEEEEPS6_SG_NS0_5tupleIJSF_S6_EEENSH_IJSG_SG_EEES6_PlJ5mod_3IsEEEE10hipError_tPvRmT3_T4_T5_T6_T7_T9_mT8_P12ihipStream_tbDpT10_ENKUlT_T0_E_clISt17integral_constantIbLb0EES16_EEDaS11_S12_EUlS11_E_NS1_11comp_targetILNS1_3genE5ELNS1_11target_archE942ELNS1_3gpuE9ELNS1_3repE0EEENS1_30default_config_static_selectorELNS0_4arch9wavefront6targetE0EEEvT1_,comdat
	.protected	_ZN7rocprim17ROCPRIM_400000_NS6detail17trampoline_kernelINS0_14default_configENS1_25partition_config_selectorILNS1_17partition_subalgoE6EsNS0_10empty_typeEbEEZZNS1_14partition_implILS5_6ELb0ES3_mN6thrust23THRUST_200600_302600_NS6detail15normal_iteratorINSA_10device_ptrIsEEEEPS6_SG_NS0_5tupleIJSF_S6_EEENSH_IJSG_SG_EEES6_PlJ5mod_3IsEEEE10hipError_tPvRmT3_T4_T5_T6_T7_T9_mT8_P12ihipStream_tbDpT10_ENKUlT_T0_E_clISt17integral_constantIbLb0EES16_EEDaS11_S12_EUlS11_E_NS1_11comp_targetILNS1_3genE5ELNS1_11target_archE942ELNS1_3gpuE9ELNS1_3repE0EEENS1_30default_config_static_selectorELNS0_4arch9wavefront6targetE0EEEvT1_ ; -- Begin function _ZN7rocprim17ROCPRIM_400000_NS6detail17trampoline_kernelINS0_14default_configENS1_25partition_config_selectorILNS1_17partition_subalgoE6EsNS0_10empty_typeEbEEZZNS1_14partition_implILS5_6ELb0ES3_mN6thrust23THRUST_200600_302600_NS6detail15normal_iteratorINSA_10device_ptrIsEEEEPS6_SG_NS0_5tupleIJSF_S6_EEENSH_IJSG_SG_EEES6_PlJ5mod_3IsEEEE10hipError_tPvRmT3_T4_T5_T6_T7_T9_mT8_P12ihipStream_tbDpT10_ENKUlT_T0_E_clISt17integral_constantIbLb0EES16_EEDaS11_S12_EUlS11_E_NS1_11comp_targetILNS1_3genE5ELNS1_11target_archE942ELNS1_3gpuE9ELNS1_3repE0EEENS1_30default_config_static_selectorELNS0_4arch9wavefront6targetE0EEEvT1_
	.globl	_ZN7rocprim17ROCPRIM_400000_NS6detail17trampoline_kernelINS0_14default_configENS1_25partition_config_selectorILNS1_17partition_subalgoE6EsNS0_10empty_typeEbEEZZNS1_14partition_implILS5_6ELb0ES3_mN6thrust23THRUST_200600_302600_NS6detail15normal_iteratorINSA_10device_ptrIsEEEEPS6_SG_NS0_5tupleIJSF_S6_EEENSH_IJSG_SG_EEES6_PlJ5mod_3IsEEEE10hipError_tPvRmT3_T4_T5_T6_T7_T9_mT8_P12ihipStream_tbDpT10_ENKUlT_T0_E_clISt17integral_constantIbLb0EES16_EEDaS11_S12_EUlS11_E_NS1_11comp_targetILNS1_3genE5ELNS1_11target_archE942ELNS1_3gpuE9ELNS1_3repE0EEENS1_30default_config_static_selectorELNS0_4arch9wavefront6targetE0EEEvT1_
	.p2align	8
	.type	_ZN7rocprim17ROCPRIM_400000_NS6detail17trampoline_kernelINS0_14default_configENS1_25partition_config_selectorILNS1_17partition_subalgoE6EsNS0_10empty_typeEbEEZZNS1_14partition_implILS5_6ELb0ES3_mN6thrust23THRUST_200600_302600_NS6detail15normal_iteratorINSA_10device_ptrIsEEEEPS6_SG_NS0_5tupleIJSF_S6_EEENSH_IJSG_SG_EEES6_PlJ5mod_3IsEEEE10hipError_tPvRmT3_T4_T5_T6_T7_T9_mT8_P12ihipStream_tbDpT10_ENKUlT_T0_E_clISt17integral_constantIbLb0EES16_EEDaS11_S12_EUlS11_E_NS1_11comp_targetILNS1_3genE5ELNS1_11target_archE942ELNS1_3gpuE9ELNS1_3repE0EEENS1_30default_config_static_selectorELNS0_4arch9wavefront6targetE0EEEvT1_,@function
_ZN7rocprim17ROCPRIM_400000_NS6detail17trampoline_kernelINS0_14default_configENS1_25partition_config_selectorILNS1_17partition_subalgoE6EsNS0_10empty_typeEbEEZZNS1_14partition_implILS5_6ELb0ES3_mN6thrust23THRUST_200600_302600_NS6detail15normal_iteratorINSA_10device_ptrIsEEEEPS6_SG_NS0_5tupleIJSF_S6_EEENSH_IJSG_SG_EEES6_PlJ5mod_3IsEEEE10hipError_tPvRmT3_T4_T5_T6_T7_T9_mT8_P12ihipStream_tbDpT10_ENKUlT_T0_E_clISt17integral_constantIbLb0EES16_EEDaS11_S12_EUlS11_E_NS1_11comp_targetILNS1_3genE5ELNS1_11target_archE942ELNS1_3gpuE9ELNS1_3repE0EEENS1_30default_config_static_selectorELNS0_4arch9wavefront6targetE0EEEvT1_: ; @_ZN7rocprim17ROCPRIM_400000_NS6detail17trampoline_kernelINS0_14default_configENS1_25partition_config_selectorILNS1_17partition_subalgoE6EsNS0_10empty_typeEbEEZZNS1_14partition_implILS5_6ELb0ES3_mN6thrust23THRUST_200600_302600_NS6detail15normal_iteratorINSA_10device_ptrIsEEEEPS6_SG_NS0_5tupleIJSF_S6_EEENSH_IJSG_SG_EEES6_PlJ5mod_3IsEEEE10hipError_tPvRmT3_T4_T5_T6_T7_T9_mT8_P12ihipStream_tbDpT10_ENKUlT_T0_E_clISt17integral_constantIbLb0EES16_EEDaS11_S12_EUlS11_E_NS1_11comp_targetILNS1_3genE5ELNS1_11target_archE942ELNS1_3gpuE9ELNS1_3repE0EEENS1_30default_config_static_selectorELNS0_4arch9wavefront6targetE0EEEvT1_
; %bb.0:
	.section	.rodata,"a",@progbits
	.p2align	6, 0x0
	.amdhsa_kernel _ZN7rocprim17ROCPRIM_400000_NS6detail17trampoline_kernelINS0_14default_configENS1_25partition_config_selectorILNS1_17partition_subalgoE6EsNS0_10empty_typeEbEEZZNS1_14partition_implILS5_6ELb0ES3_mN6thrust23THRUST_200600_302600_NS6detail15normal_iteratorINSA_10device_ptrIsEEEEPS6_SG_NS0_5tupleIJSF_S6_EEENSH_IJSG_SG_EEES6_PlJ5mod_3IsEEEE10hipError_tPvRmT3_T4_T5_T6_T7_T9_mT8_P12ihipStream_tbDpT10_ENKUlT_T0_E_clISt17integral_constantIbLb0EES16_EEDaS11_S12_EUlS11_E_NS1_11comp_targetILNS1_3genE5ELNS1_11target_archE942ELNS1_3gpuE9ELNS1_3repE0EEENS1_30default_config_static_selectorELNS0_4arch9wavefront6targetE0EEEvT1_
		.amdhsa_group_segment_fixed_size 0
		.amdhsa_private_segment_fixed_size 0
		.amdhsa_kernarg_size 112
		.amdhsa_user_sgpr_count 15
		.amdhsa_user_sgpr_dispatch_ptr 0
		.amdhsa_user_sgpr_queue_ptr 0
		.amdhsa_user_sgpr_kernarg_segment_ptr 1
		.amdhsa_user_sgpr_dispatch_id 0
		.amdhsa_user_sgpr_private_segment_size 0
		.amdhsa_wavefront_size32 1
		.amdhsa_uses_dynamic_stack 0
		.amdhsa_enable_private_segment 0
		.amdhsa_system_sgpr_workgroup_id_x 1
		.amdhsa_system_sgpr_workgroup_id_y 0
		.amdhsa_system_sgpr_workgroup_id_z 0
		.amdhsa_system_sgpr_workgroup_info 0
		.amdhsa_system_vgpr_workitem_id 0
		.amdhsa_next_free_vgpr 1
		.amdhsa_next_free_sgpr 1
		.amdhsa_reserve_vcc 0
		.amdhsa_float_round_mode_32 0
		.amdhsa_float_round_mode_16_64 0
		.amdhsa_float_denorm_mode_32 3
		.amdhsa_float_denorm_mode_16_64 3
		.amdhsa_dx10_clamp 1
		.amdhsa_ieee_mode 1
		.amdhsa_fp16_overflow 0
		.amdhsa_workgroup_processor_mode 1
		.amdhsa_memory_ordered 1
		.amdhsa_forward_progress 0
		.amdhsa_shared_vgpr_count 0
		.amdhsa_exception_fp_ieee_invalid_op 0
		.amdhsa_exception_fp_denorm_src 0
		.amdhsa_exception_fp_ieee_div_zero 0
		.amdhsa_exception_fp_ieee_overflow 0
		.amdhsa_exception_fp_ieee_underflow 0
		.amdhsa_exception_fp_ieee_inexact 0
		.amdhsa_exception_int_div_zero 0
	.end_amdhsa_kernel
	.section	.text._ZN7rocprim17ROCPRIM_400000_NS6detail17trampoline_kernelINS0_14default_configENS1_25partition_config_selectorILNS1_17partition_subalgoE6EsNS0_10empty_typeEbEEZZNS1_14partition_implILS5_6ELb0ES3_mN6thrust23THRUST_200600_302600_NS6detail15normal_iteratorINSA_10device_ptrIsEEEEPS6_SG_NS0_5tupleIJSF_S6_EEENSH_IJSG_SG_EEES6_PlJ5mod_3IsEEEE10hipError_tPvRmT3_T4_T5_T6_T7_T9_mT8_P12ihipStream_tbDpT10_ENKUlT_T0_E_clISt17integral_constantIbLb0EES16_EEDaS11_S12_EUlS11_E_NS1_11comp_targetILNS1_3genE5ELNS1_11target_archE942ELNS1_3gpuE9ELNS1_3repE0EEENS1_30default_config_static_selectorELNS0_4arch9wavefront6targetE0EEEvT1_,"axG",@progbits,_ZN7rocprim17ROCPRIM_400000_NS6detail17trampoline_kernelINS0_14default_configENS1_25partition_config_selectorILNS1_17partition_subalgoE6EsNS0_10empty_typeEbEEZZNS1_14partition_implILS5_6ELb0ES3_mN6thrust23THRUST_200600_302600_NS6detail15normal_iteratorINSA_10device_ptrIsEEEEPS6_SG_NS0_5tupleIJSF_S6_EEENSH_IJSG_SG_EEES6_PlJ5mod_3IsEEEE10hipError_tPvRmT3_T4_T5_T6_T7_T9_mT8_P12ihipStream_tbDpT10_ENKUlT_T0_E_clISt17integral_constantIbLb0EES16_EEDaS11_S12_EUlS11_E_NS1_11comp_targetILNS1_3genE5ELNS1_11target_archE942ELNS1_3gpuE9ELNS1_3repE0EEENS1_30default_config_static_selectorELNS0_4arch9wavefront6targetE0EEEvT1_,comdat
.Lfunc_end617:
	.size	_ZN7rocprim17ROCPRIM_400000_NS6detail17trampoline_kernelINS0_14default_configENS1_25partition_config_selectorILNS1_17partition_subalgoE6EsNS0_10empty_typeEbEEZZNS1_14partition_implILS5_6ELb0ES3_mN6thrust23THRUST_200600_302600_NS6detail15normal_iteratorINSA_10device_ptrIsEEEEPS6_SG_NS0_5tupleIJSF_S6_EEENSH_IJSG_SG_EEES6_PlJ5mod_3IsEEEE10hipError_tPvRmT3_T4_T5_T6_T7_T9_mT8_P12ihipStream_tbDpT10_ENKUlT_T0_E_clISt17integral_constantIbLb0EES16_EEDaS11_S12_EUlS11_E_NS1_11comp_targetILNS1_3genE5ELNS1_11target_archE942ELNS1_3gpuE9ELNS1_3repE0EEENS1_30default_config_static_selectorELNS0_4arch9wavefront6targetE0EEEvT1_, .Lfunc_end617-_ZN7rocprim17ROCPRIM_400000_NS6detail17trampoline_kernelINS0_14default_configENS1_25partition_config_selectorILNS1_17partition_subalgoE6EsNS0_10empty_typeEbEEZZNS1_14partition_implILS5_6ELb0ES3_mN6thrust23THRUST_200600_302600_NS6detail15normal_iteratorINSA_10device_ptrIsEEEEPS6_SG_NS0_5tupleIJSF_S6_EEENSH_IJSG_SG_EEES6_PlJ5mod_3IsEEEE10hipError_tPvRmT3_T4_T5_T6_T7_T9_mT8_P12ihipStream_tbDpT10_ENKUlT_T0_E_clISt17integral_constantIbLb0EES16_EEDaS11_S12_EUlS11_E_NS1_11comp_targetILNS1_3genE5ELNS1_11target_archE942ELNS1_3gpuE9ELNS1_3repE0EEENS1_30default_config_static_selectorELNS0_4arch9wavefront6targetE0EEEvT1_
                                        ; -- End function
	.section	.AMDGPU.csdata,"",@progbits
; Kernel info:
; codeLenInByte = 0
; NumSgprs: 0
; NumVgprs: 0
; ScratchSize: 0
; MemoryBound: 0
; FloatMode: 240
; IeeeMode: 1
; LDSByteSize: 0 bytes/workgroup (compile time only)
; SGPRBlocks: 0
; VGPRBlocks: 0
; NumSGPRsForWavesPerEU: 1
; NumVGPRsForWavesPerEU: 1
; Occupancy: 16
; WaveLimiterHint : 0
; COMPUTE_PGM_RSRC2:SCRATCH_EN: 0
; COMPUTE_PGM_RSRC2:USER_SGPR: 15
; COMPUTE_PGM_RSRC2:TRAP_HANDLER: 0
; COMPUTE_PGM_RSRC2:TGID_X_EN: 1
; COMPUTE_PGM_RSRC2:TGID_Y_EN: 0
; COMPUTE_PGM_RSRC2:TGID_Z_EN: 0
; COMPUTE_PGM_RSRC2:TIDIG_COMP_CNT: 0
	.section	.text._ZN7rocprim17ROCPRIM_400000_NS6detail17trampoline_kernelINS0_14default_configENS1_25partition_config_selectorILNS1_17partition_subalgoE6EsNS0_10empty_typeEbEEZZNS1_14partition_implILS5_6ELb0ES3_mN6thrust23THRUST_200600_302600_NS6detail15normal_iteratorINSA_10device_ptrIsEEEEPS6_SG_NS0_5tupleIJSF_S6_EEENSH_IJSG_SG_EEES6_PlJ5mod_3IsEEEE10hipError_tPvRmT3_T4_T5_T6_T7_T9_mT8_P12ihipStream_tbDpT10_ENKUlT_T0_E_clISt17integral_constantIbLb0EES16_EEDaS11_S12_EUlS11_E_NS1_11comp_targetILNS1_3genE4ELNS1_11target_archE910ELNS1_3gpuE8ELNS1_3repE0EEENS1_30default_config_static_selectorELNS0_4arch9wavefront6targetE0EEEvT1_,"axG",@progbits,_ZN7rocprim17ROCPRIM_400000_NS6detail17trampoline_kernelINS0_14default_configENS1_25partition_config_selectorILNS1_17partition_subalgoE6EsNS0_10empty_typeEbEEZZNS1_14partition_implILS5_6ELb0ES3_mN6thrust23THRUST_200600_302600_NS6detail15normal_iteratorINSA_10device_ptrIsEEEEPS6_SG_NS0_5tupleIJSF_S6_EEENSH_IJSG_SG_EEES6_PlJ5mod_3IsEEEE10hipError_tPvRmT3_T4_T5_T6_T7_T9_mT8_P12ihipStream_tbDpT10_ENKUlT_T0_E_clISt17integral_constantIbLb0EES16_EEDaS11_S12_EUlS11_E_NS1_11comp_targetILNS1_3genE4ELNS1_11target_archE910ELNS1_3gpuE8ELNS1_3repE0EEENS1_30default_config_static_selectorELNS0_4arch9wavefront6targetE0EEEvT1_,comdat
	.protected	_ZN7rocprim17ROCPRIM_400000_NS6detail17trampoline_kernelINS0_14default_configENS1_25partition_config_selectorILNS1_17partition_subalgoE6EsNS0_10empty_typeEbEEZZNS1_14partition_implILS5_6ELb0ES3_mN6thrust23THRUST_200600_302600_NS6detail15normal_iteratorINSA_10device_ptrIsEEEEPS6_SG_NS0_5tupleIJSF_S6_EEENSH_IJSG_SG_EEES6_PlJ5mod_3IsEEEE10hipError_tPvRmT3_T4_T5_T6_T7_T9_mT8_P12ihipStream_tbDpT10_ENKUlT_T0_E_clISt17integral_constantIbLb0EES16_EEDaS11_S12_EUlS11_E_NS1_11comp_targetILNS1_3genE4ELNS1_11target_archE910ELNS1_3gpuE8ELNS1_3repE0EEENS1_30default_config_static_selectorELNS0_4arch9wavefront6targetE0EEEvT1_ ; -- Begin function _ZN7rocprim17ROCPRIM_400000_NS6detail17trampoline_kernelINS0_14default_configENS1_25partition_config_selectorILNS1_17partition_subalgoE6EsNS0_10empty_typeEbEEZZNS1_14partition_implILS5_6ELb0ES3_mN6thrust23THRUST_200600_302600_NS6detail15normal_iteratorINSA_10device_ptrIsEEEEPS6_SG_NS0_5tupleIJSF_S6_EEENSH_IJSG_SG_EEES6_PlJ5mod_3IsEEEE10hipError_tPvRmT3_T4_T5_T6_T7_T9_mT8_P12ihipStream_tbDpT10_ENKUlT_T0_E_clISt17integral_constantIbLb0EES16_EEDaS11_S12_EUlS11_E_NS1_11comp_targetILNS1_3genE4ELNS1_11target_archE910ELNS1_3gpuE8ELNS1_3repE0EEENS1_30default_config_static_selectorELNS0_4arch9wavefront6targetE0EEEvT1_
	.globl	_ZN7rocprim17ROCPRIM_400000_NS6detail17trampoline_kernelINS0_14default_configENS1_25partition_config_selectorILNS1_17partition_subalgoE6EsNS0_10empty_typeEbEEZZNS1_14partition_implILS5_6ELb0ES3_mN6thrust23THRUST_200600_302600_NS6detail15normal_iteratorINSA_10device_ptrIsEEEEPS6_SG_NS0_5tupleIJSF_S6_EEENSH_IJSG_SG_EEES6_PlJ5mod_3IsEEEE10hipError_tPvRmT3_T4_T5_T6_T7_T9_mT8_P12ihipStream_tbDpT10_ENKUlT_T0_E_clISt17integral_constantIbLb0EES16_EEDaS11_S12_EUlS11_E_NS1_11comp_targetILNS1_3genE4ELNS1_11target_archE910ELNS1_3gpuE8ELNS1_3repE0EEENS1_30default_config_static_selectorELNS0_4arch9wavefront6targetE0EEEvT1_
	.p2align	8
	.type	_ZN7rocprim17ROCPRIM_400000_NS6detail17trampoline_kernelINS0_14default_configENS1_25partition_config_selectorILNS1_17partition_subalgoE6EsNS0_10empty_typeEbEEZZNS1_14partition_implILS5_6ELb0ES3_mN6thrust23THRUST_200600_302600_NS6detail15normal_iteratorINSA_10device_ptrIsEEEEPS6_SG_NS0_5tupleIJSF_S6_EEENSH_IJSG_SG_EEES6_PlJ5mod_3IsEEEE10hipError_tPvRmT3_T4_T5_T6_T7_T9_mT8_P12ihipStream_tbDpT10_ENKUlT_T0_E_clISt17integral_constantIbLb0EES16_EEDaS11_S12_EUlS11_E_NS1_11comp_targetILNS1_3genE4ELNS1_11target_archE910ELNS1_3gpuE8ELNS1_3repE0EEENS1_30default_config_static_selectorELNS0_4arch9wavefront6targetE0EEEvT1_,@function
_ZN7rocprim17ROCPRIM_400000_NS6detail17trampoline_kernelINS0_14default_configENS1_25partition_config_selectorILNS1_17partition_subalgoE6EsNS0_10empty_typeEbEEZZNS1_14partition_implILS5_6ELb0ES3_mN6thrust23THRUST_200600_302600_NS6detail15normal_iteratorINSA_10device_ptrIsEEEEPS6_SG_NS0_5tupleIJSF_S6_EEENSH_IJSG_SG_EEES6_PlJ5mod_3IsEEEE10hipError_tPvRmT3_T4_T5_T6_T7_T9_mT8_P12ihipStream_tbDpT10_ENKUlT_T0_E_clISt17integral_constantIbLb0EES16_EEDaS11_S12_EUlS11_E_NS1_11comp_targetILNS1_3genE4ELNS1_11target_archE910ELNS1_3gpuE8ELNS1_3repE0EEENS1_30default_config_static_selectorELNS0_4arch9wavefront6targetE0EEEvT1_: ; @_ZN7rocprim17ROCPRIM_400000_NS6detail17trampoline_kernelINS0_14default_configENS1_25partition_config_selectorILNS1_17partition_subalgoE6EsNS0_10empty_typeEbEEZZNS1_14partition_implILS5_6ELb0ES3_mN6thrust23THRUST_200600_302600_NS6detail15normal_iteratorINSA_10device_ptrIsEEEEPS6_SG_NS0_5tupleIJSF_S6_EEENSH_IJSG_SG_EEES6_PlJ5mod_3IsEEEE10hipError_tPvRmT3_T4_T5_T6_T7_T9_mT8_P12ihipStream_tbDpT10_ENKUlT_T0_E_clISt17integral_constantIbLb0EES16_EEDaS11_S12_EUlS11_E_NS1_11comp_targetILNS1_3genE4ELNS1_11target_archE910ELNS1_3gpuE8ELNS1_3repE0EEENS1_30default_config_static_selectorELNS0_4arch9wavefront6targetE0EEEvT1_
; %bb.0:
	.section	.rodata,"a",@progbits
	.p2align	6, 0x0
	.amdhsa_kernel _ZN7rocprim17ROCPRIM_400000_NS6detail17trampoline_kernelINS0_14default_configENS1_25partition_config_selectorILNS1_17partition_subalgoE6EsNS0_10empty_typeEbEEZZNS1_14partition_implILS5_6ELb0ES3_mN6thrust23THRUST_200600_302600_NS6detail15normal_iteratorINSA_10device_ptrIsEEEEPS6_SG_NS0_5tupleIJSF_S6_EEENSH_IJSG_SG_EEES6_PlJ5mod_3IsEEEE10hipError_tPvRmT3_T4_T5_T6_T7_T9_mT8_P12ihipStream_tbDpT10_ENKUlT_T0_E_clISt17integral_constantIbLb0EES16_EEDaS11_S12_EUlS11_E_NS1_11comp_targetILNS1_3genE4ELNS1_11target_archE910ELNS1_3gpuE8ELNS1_3repE0EEENS1_30default_config_static_selectorELNS0_4arch9wavefront6targetE0EEEvT1_
		.amdhsa_group_segment_fixed_size 0
		.amdhsa_private_segment_fixed_size 0
		.amdhsa_kernarg_size 112
		.amdhsa_user_sgpr_count 15
		.amdhsa_user_sgpr_dispatch_ptr 0
		.amdhsa_user_sgpr_queue_ptr 0
		.amdhsa_user_sgpr_kernarg_segment_ptr 1
		.amdhsa_user_sgpr_dispatch_id 0
		.amdhsa_user_sgpr_private_segment_size 0
		.amdhsa_wavefront_size32 1
		.amdhsa_uses_dynamic_stack 0
		.amdhsa_enable_private_segment 0
		.amdhsa_system_sgpr_workgroup_id_x 1
		.amdhsa_system_sgpr_workgroup_id_y 0
		.amdhsa_system_sgpr_workgroup_id_z 0
		.amdhsa_system_sgpr_workgroup_info 0
		.amdhsa_system_vgpr_workitem_id 0
		.amdhsa_next_free_vgpr 1
		.amdhsa_next_free_sgpr 1
		.amdhsa_reserve_vcc 0
		.amdhsa_float_round_mode_32 0
		.amdhsa_float_round_mode_16_64 0
		.amdhsa_float_denorm_mode_32 3
		.amdhsa_float_denorm_mode_16_64 3
		.amdhsa_dx10_clamp 1
		.amdhsa_ieee_mode 1
		.amdhsa_fp16_overflow 0
		.amdhsa_workgroup_processor_mode 1
		.amdhsa_memory_ordered 1
		.amdhsa_forward_progress 0
		.amdhsa_shared_vgpr_count 0
		.amdhsa_exception_fp_ieee_invalid_op 0
		.amdhsa_exception_fp_denorm_src 0
		.amdhsa_exception_fp_ieee_div_zero 0
		.amdhsa_exception_fp_ieee_overflow 0
		.amdhsa_exception_fp_ieee_underflow 0
		.amdhsa_exception_fp_ieee_inexact 0
		.amdhsa_exception_int_div_zero 0
	.end_amdhsa_kernel
	.section	.text._ZN7rocprim17ROCPRIM_400000_NS6detail17trampoline_kernelINS0_14default_configENS1_25partition_config_selectorILNS1_17partition_subalgoE6EsNS0_10empty_typeEbEEZZNS1_14partition_implILS5_6ELb0ES3_mN6thrust23THRUST_200600_302600_NS6detail15normal_iteratorINSA_10device_ptrIsEEEEPS6_SG_NS0_5tupleIJSF_S6_EEENSH_IJSG_SG_EEES6_PlJ5mod_3IsEEEE10hipError_tPvRmT3_T4_T5_T6_T7_T9_mT8_P12ihipStream_tbDpT10_ENKUlT_T0_E_clISt17integral_constantIbLb0EES16_EEDaS11_S12_EUlS11_E_NS1_11comp_targetILNS1_3genE4ELNS1_11target_archE910ELNS1_3gpuE8ELNS1_3repE0EEENS1_30default_config_static_selectorELNS0_4arch9wavefront6targetE0EEEvT1_,"axG",@progbits,_ZN7rocprim17ROCPRIM_400000_NS6detail17trampoline_kernelINS0_14default_configENS1_25partition_config_selectorILNS1_17partition_subalgoE6EsNS0_10empty_typeEbEEZZNS1_14partition_implILS5_6ELb0ES3_mN6thrust23THRUST_200600_302600_NS6detail15normal_iteratorINSA_10device_ptrIsEEEEPS6_SG_NS0_5tupleIJSF_S6_EEENSH_IJSG_SG_EEES6_PlJ5mod_3IsEEEE10hipError_tPvRmT3_T4_T5_T6_T7_T9_mT8_P12ihipStream_tbDpT10_ENKUlT_T0_E_clISt17integral_constantIbLb0EES16_EEDaS11_S12_EUlS11_E_NS1_11comp_targetILNS1_3genE4ELNS1_11target_archE910ELNS1_3gpuE8ELNS1_3repE0EEENS1_30default_config_static_selectorELNS0_4arch9wavefront6targetE0EEEvT1_,comdat
.Lfunc_end618:
	.size	_ZN7rocprim17ROCPRIM_400000_NS6detail17trampoline_kernelINS0_14default_configENS1_25partition_config_selectorILNS1_17partition_subalgoE6EsNS0_10empty_typeEbEEZZNS1_14partition_implILS5_6ELb0ES3_mN6thrust23THRUST_200600_302600_NS6detail15normal_iteratorINSA_10device_ptrIsEEEEPS6_SG_NS0_5tupleIJSF_S6_EEENSH_IJSG_SG_EEES6_PlJ5mod_3IsEEEE10hipError_tPvRmT3_T4_T5_T6_T7_T9_mT8_P12ihipStream_tbDpT10_ENKUlT_T0_E_clISt17integral_constantIbLb0EES16_EEDaS11_S12_EUlS11_E_NS1_11comp_targetILNS1_3genE4ELNS1_11target_archE910ELNS1_3gpuE8ELNS1_3repE0EEENS1_30default_config_static_selectorELNS0_4arch9wavefront6targetE0EEEvT1_, .Lfunc_end618-_ZN7rocprim17ROCPRIM_400000_NS6detail17trampoline_kernelINS0_14default_configENS1_25partition_config_selectorILNS1_17partition_subalgoE6EsNS0_10empty_typeEbEEZZNS1_14partition_implILS5_6ELb0ES3_mN6thrust23THRUST_200600_302600_NS6detail15normal_iteratorINSA_10device_ptrIsEEEEPS6_SG_NS0_5tupleIJSF_S6_EEENSH_IJSG_SG_EEES6_PlJ5mod_3IsEEEE10hipError_tPvRmT3_T4_T5_T6_T7_T9_mT8_P12ihipStream_tbDpT10_ENKUlT_T0_E_clISt17integral_constantIbLb0EES16_EEDaS11_S12_EUlS11_E_NS1_11comp_targetILNS1_3genE4ELNS1_11target_archE910ELNS1_3gpuE8ELNS1_3repE0EEENS1_30default_config_static_selectorELNS0_4arch9wavefront6targetE0EEEvT1_
                                        ; -- End function
	.section	.AMDGPU.csdata,"",@progbits
; Kernel info:
; codeLenInByte = 0
; NumSgprs: 0
; NumVgprs: 0
; ScratchSize: 0
; MemoryBound: 0
; FloatMode: 240
; IeeeMode: 1
; LDSByteSize: 0 bytes/workgroup (compile time only)
; SGPRBlocks: 0
; VGPRBlocks: 0
; NumSGPRsForWavesPerEU: 1
; NumVGPRsForWavesPerEU: 1
; Occupancy: 16
; WaveLimiterHint : 0
; COMPUTE_PGM_RSRC2:SCRATCH_EN: 0
; COMPUTE_PGM_RSRC2:USER_SGPR: 15
; COMPUTE_PGM_RSRC2:TRAP_HANDLER: 0
; COMPUTE_PGM_RSRC2:TGID_X_EN: 1
; COMPUTE_PGM_RSRC2:TGID_Y_EN: 0
; COMPUTE_PGM_RSRC2:TGID_Z_EN: 0
; COMPUTE_PGM_RSRC2:TIDIG_COMP_CNT: 0
	.section	.text._ZN7rocprim17ROCPRIM_400000_NS6detail17trampoline_kernelINS0_14default_configENS1_25partition_config_selectorILNS1_17partition_subalgoE6EsNS0_10empty_typeEbEEZZNS1_14partition_implILS5_6ELb0ES3_mN6thrust23THRUST_200600_302600_NS6detail15normal_iteratorINSA_10device_ptrIsEEEEPS6_SG_NS0_5tupleIJSF_S6_EEENSH_IJSG_SG_EEES6_PlJ5mod_3IsEEEE10hipError_tPvRmT3_T4_T5_T6_T7_T9_mT8_P12ihipStream_tbDpT10_ENKUlT_T0_E_clISt17integral_constantIbLb0EES16_EEDaS11_S12_EUlS11_E_NS1_11comp_targetILNS1_3genE3ELNS1_11target_archE908ELNS1_3gpuE7ELNS1_3repE0EEENS1_30default_config_static_selectorELNS0_4arch9wavefront6targetE0EEEvT1_,"axG",@progbits,_ZN7rocprim17ROCPRIM_400000_NS6detail17trampoline_kernelINS0_14default_configENS1_25partition_config_selectorILNS1_17partition_subalgoE6EsNS0_10empty_typeEbEEZZNS1_14partition_implILS5_6ELb0ES3_mN6thrust23THRUST_200600_302600_NS6detail15normal_iteratorINSA_10device_ptrIsEEEEPS6_SG_NS0_5tupleIJSF_S6_EEENSH_IJSG_SG_EEES6_PlJ5mod_3IsEEEE10hipError_tPvRmT3_T4_T5_T6_T7_T9_mT8_P12ihipStream_tbDpT10_ENKUlT_T0_E_clISt17integral_constantIbLb0EES16_EEDaS11_S12_EUlS11_E_NS1_11comp_targetILNS1_3genE3ELNS1_11target_archE908ELNS1_3gpuE7ELNS1_3repE0EEENS1_30default_config_static_selectorELNS0_4arch9wavefront6targetE0EEEvT1_,comdat
	.protected	_ZN7rocprim17ROCPRIM_400000_NS6detail17trampoline_kernelINS0_14default_configENS1_25partition_config_selectorILNS1_17partition_subalgoE6EsNS0_10empty_typeEbEEZZNS1_14partition_implILS5_6ELb0ES3_mN6thrust23THRUST_200600_302600_NS6detail15normal_iteratorINSA_10device_ptrIsEEEEPS6_SG_NS0_5tupleIJSF_S6_EEENSH_IJSG_SG_EEES6_PlJ5mod_3IsEEEE10hipError_tPvRmT3_T4_T5_T6_T7_T9_mT8_P12ihipStream_tbDpT10_ENKUlT_T0_E_clISt17integral_constantIbLb0EES16_EEDaS11_S12_EUlS11_E_NS1_11comp_targetILNS1_3genE3ELNS1_11target_archE908ELNS1_3gpuE7ELNS1_3repE0EEENS1_30default_config_static_selectorELNS0_4arch9wavefront6targetE0EEEvT1_ ; -- Begin function _ZN7rocprim17ROCPRIM_400000_NS6detail17trampoline_kernelINS0_14default_configENS1_25partition_config_selectorILNS1_17partition_subalgoE6EsNS0_10empty_typeEbEEZZNS1_14partition_implILS5_6ELb0ES3_mN6thrust23THRUST_200600_302600_NS6detail15normal_iteratorINSA_10device_ptrIsEEEEPS6_SG_NS0_5tupleIJSF_S6_EEENSH_IJSG_SG_EEES6_PlJ5mod_3IsEEEE10hipError_tPvRmT3_T4_T5_T6_T7_T9_mT8_P12ihipStream_tbDpT10_ENKUlT_T0_E_clISt17integral_constantIbLb0EES16_EEDaS11_S12_EUlS11_E_NS1_11comp_targetILNS1_3genE3ELNS1_11target_archE908ELNS1_3gpuE7ELNS1_3repE0EEENS1_30default_config_static_selectorELNS0_4arch9wavefront6targetE0EEEvT1_
	.globl	_ZN7rocprim17ROCPRIM_400000_NS6detail17trampoline_kernelINS0_14default_configENS1_25partition_config_selectorILNS1_17partition_subalgoE6EsNS0_10empty_typeEbEEZZNS1_14partition_implILS5_6ELb0ES3_mN6thrust23THRUST_200600_302600_NS6detail15normal_iteratorINSA_10device_ptrIsEEEEPS6_SG_NS0_5tupleIJSF_S6_EEENSH_IJSG_SG_EEES6_PlJ5mod_3IsEEEE10hipError_tPvRmT3_T4_T5_T6_T7_T9_mT8_P12ihipStream_tbDpT10_ENKUlT_T0_E_clISt17integral_constantIbLb0EES16_EEDaS11_S12_EUlS11_E_NS1_11comp_targetILNS1_3genE3ELNS1_11target_archE908ELNS1_3gpuE7ELNS1_3repE0EEENS1_30default_config_static_selectorELNS0_4arch9wavefront6targetE0EEEvT1_
	.p2align	8
	.type	_ZN7rocprim17ROCPRIM_400000_NS6detail17trampoline_kernelINS0_14default_configENS1_25partition_config_selectorILNS1_17partition_subalgoE6EsNS0_10empty_typeEbEEZZNS1_14partition_implILS5_6ELb0ES3_mN6thrust23THRUST_200600_302600_NS6detail15normal_iteratorINSA_10device_ptrIsEEEEPS6_SG_NS0_5tupleIJSF_S6_EEENSH_IJSG_SG_EEES6_PlJ5mod_3IsEEEE10hipError_tPvRmT3_T4_T5_T6_T7_T9_mT8_P12ihipStream_tbDpT10_ENKUlT_T0_E_clISt17integral_constantIbLb0EES16_EEDaS11_S12_EUlS11_E_NS1_11comp_targetILNS1_3genE3ELNS1_11target_archE908ELNS1_3gpuE7ELNS1_3repE0EEENS1_30default_config_static_selectorELNS0_4arch9wavefront6targetE0EEEvT1_,@function
_ZN7rocprim17ROCPRIM_400000_NS6detail17trampoline_kernelINS0_14default_configENS1_25partition_config_selectorILNS1_17partition_subalgoE6EsNS0_10empty_typeEbEEZZNS1_14partition_implILS5_6ELb0ES3_mN6thrust23THRUST_200600_302600_NS6detail15normal_iteratorINSA_10device_ptrIsEEEEPS6_SG_NS0_5tupleIJSF_S6_EEENSH_IJSG_SG_EEES6_PlJ5mod_3IsEEEE10hipError_tPvRmT3_T4_T5_T6_T7_T9_mT8_P12ihipStream_tbDpT10_ENKUlT_T0_E_clISt17integral_constantIbLb0EES16_EEDaS11_S12_EUlS11_E_NS1_11comp_targetILNS1_3genE3ELNS1_11target_archE908ELNS1_3gpuE7ELNS1_3repE0EEENS1_30default_config_static_selectorELNS0_4arch9wavefront6targetE0EEEvT1_: ; @_ZN7rocprim17ROCPRIM_400000_NS6detail17trampoline_kernelINS0_14default_configENS1_25partition_config_selectorILNS1_17partition_subalgoE6EsNS0_10empty_typeEbEEZZNS1_14partition_implILS5_6ELb0ES3_mN6thrust23THRUST_200600_302600_NS6detail15normal_iteratorINSA_10device_ptrIsEEEEPS6_SG_NS0_5tupleIJSF_S6_EEENSH_IJSG_SG_EEES6_PlJ5mod_3IsEEEE10hipError_tPvRmT3_T4_T5_T6_T7_T9_mT8_P12ihipStream_tbDpT10_ENKUlT_T0_E_clISt17integral_constantIbLb0EES16_EEDaS11_S12_EUlS11_E_NS1_11comp_targetILNS1_3genE3ELNS1_11target_archE908ELNS1_3gpuE7ELNS1_3repE0EEENS1_30default_config_static_selectorELNS0_4arch9wavefront6targetE0EEEvT1_
; %bb.0:
	.section	.rodata,"a",@progbits
	.p2align	6, 0x0
	.amdhsa_kernel _ZN7rocprim17ROCPRIM_400000_NS6detail17trampoline_kernelINS0_14default_configENS1_25partition_config_selectorILNS1_17partition_subalgoE6EsNS0_10empty_typeEbEEZZNS1_14partition_implILS5_6ELb0ES3_mN6thrust23THRUST_200600_302600_NS6detail15normal_iteratorINSA_10device_ptrIsEEEEPS6_SG_NS0_5tupleIJSF_S6_EEENSH_IJSG_SG_EEES6_PlJ5mod_3IsEEEE10hipError_tPvRmT3_T4_T5_T6_T7_T9_mT8_P12ihipStream_tbDpT10_ENKUlT_T0_E_clISt17integral_constantIbLb0EES16_EEDaS11_S12_EUlS11_E_NS1_11comp_targetILNS1_3genE3ELNS1_11target_archE908ELNS1_3gpuE7ELNS1_3repE0EEENS1_30default_config_static_selectorELNS0_4arch9wavefront6targetE0EEEvT1_
		.amdhsa_group_segment_fixed_size 0
		.amdhsa_private_segment_fixed_size 0
		.amdhsa_kernarg_size 112
		.amdhsa_user_sgpr_count 15
		.amdhsa_user_sgpr_dispatch_ptr 0
		.amdhsa_user_sgpr_queue_ptr 0
		.amdhsa_user_sgpr_kernarg_segment_ptr 1
		.amdhsa_user_sgpr_dispatch_id 0
		.amdhsa_user_sgpr_private_segment_size 0
		.amdhsa_wavefront_size32 1
		.amdhsa_uses_dynamic_stack 0
		.amdhsa_enable_private_segment 0
		.amdhsa_system_sgpr_workgroup_id_x 1
		.amdhsa_system_sgpr_workgroup_id_y 0
		.amdhsa_system_sgpr_workgroup_id_z 0
		.amdhsa_system_sgpr_workgroup_info 0
		.amdhsa_system_vgpr_workitem_id 0
		.amdhsa_next_free_vgpr 1
		.amdhsa_next_free_sgpr 1
		.amdhsa_reserve_vcc 0
		.amdhsa_float_round_mode_32 0
		.amdhsa_float_round_mode_16_64 0
		.amdhsa_float_denorm_mode_32 3
		.amdhsa_float_denorm_mode_16_64 3
		.amdhsa_dx10_clamp 1
		.amdhsa_ieee_mode 1
		.amdhsa_fp16_overflow 0
		.amdhsa_workgroup_processor_mode 1
		.amdhsa_memory_ordered 1
		.amdhsa_forward_progress 0
		.amdhsa_shared_vgpr_count 0
		.amdhsa_exception_fp_ieee_invalid_op 0
		.amdhsa_exception_fp_denorm_src 0
		.amdhsa_exception_fp_ieee_div_zero 0
		.amdhsa_exception_fp_ieee_overflow 0
		.amdhsa_exception_fp_ieee_underflow 0
		.amdhsa_exception_fp_ieee_inexact 0
		.amdhsa_exception_int_div_zero 0
	.end_amdhsa_kernel
	.section	.text._ZN7rocprim17ROCPRIM_400000_NS6detail17trampoline_kernelINS0_14default_configENS1_25partition_config_selectorILNS1_17partition_subalgoE6EsNS0_10empty_typeEbEEZZNS1_14partition_implILS5_6ELb0ES3_mN6thrust23THRUST_200600_302600_NS6detail15normal_iteratorINSA_10device_ptrIsEEEEPS6_SG_NS0_5tupleIJSF_S6_EEENSH_IJSG_SG_EEES6_PlJ5mod_3IsEEEE10hipError_tPvRmT3_T4_T5_T6_T7_T9_mT8_P12ihipStream_tbDpT10_ENKUlT_T0_E_clISt17integral_constantIbLb0EES16_EEDaS11_S12_EUlS11_E_NS1_11comp_targetILNS1_3genE3ELNS1_11target_archE908ELNS1_3gpuE7ELNS1_3repE0EEENS1_30default_config_static_selectorELNS0_4arch9wavefront6targetE0EEEvT1_,"axG",@progbits,_ZN7rocprim17ROCPRIM_400000_NS6detail17trampoline_kernelINS0_14default_configENS1_25partition_config_selectorILNS1_17partition_subalgoE6EsNS0_10empty_typeEbEEZZNS1_14partition_implILS5_6ELb0ES3_mN6thrust23THRUST_200600_302600_NS6detail15normal_iteratorINSA_10device_ptrIsEEEEPS6_SG_NS0_5tupleIJSF_S6_EEENSH_IJSG_SG_EEES6_PlJ5mod_3IsEEEE10hipError_tPvRmT3_T4_T5_T6_T7_T9_mT8_P12ihipStream_tbDpT10_ENKUlT_T0_E_clISt17integral_constantIbLb0EES16_EEDaS11_S12_EUlS11_E_NS1_11comp_targetILNS1_3genE3ELNS1_11target_archE908ELNS1_3gpuE7ELNS1_3repE0EEENS1_30default_config_static_selectorELNS0_4arch9wavefront6targetE0EEEvT1_,comdat
.Lfunc_end619:
	.size	_ZN7rocprim17ROCPRIM_400000_NS6detail17trampoline_kernelINS0_14default_configENS1_25partition_config_selectorILNS1_17partition_subalgoE6EsNS0_10empty_typeEbEEZZNS1_14partition_implILS5_6ELb0ES3_mN6thrust23THRUST_200600_302600_NS6detail15normal_iteratorINSA_10device_ptrIsEEEEPS6_SG_NS0_5tupleIJSF_S6_EEENSH_IJSG_SG_EEES6_PlJ5mod_3IsEEEE10hipError_tPvRmT3_T4_T5_T6_T7_T9_mT8_P12ihipStream_tbDpT10_ENKUlT_T0_E_clISt17integral_constantIbLb0EES16_EEDaS11_S12_EUlS11_E_NS1_11comp_targetILNS1_3genE3ELNS1_11target_archE908ELNS1_3gpuE7ELNS1_3repE0EEENS1_30default_config_static_selectorELNS0_4arch9wavefront6targetE0EEEvT1_, .Lfunc_end619-_ZN7rocprim17ROCPRIM_400000_NS6detail17trampoline_kernelINS0_14default_configENS1_25partition_config_selectorILNS1_17partition_subalgoE6EsNS0_10empty_typeEbEEZZNS1_14partition_implILS5_6ELb0ES3_mN6thrust23THRUST_200600_302600_NS6detail15normal_iteratorINSA_10device_ptrIsEEEEPS6_SG_NS0_5tupleIJSF_S6_EEENSH_IJSG_SG_EEES6_PlJ5mod_3IsEEEE10hipError_tPvRmT3_T4_T5_T6_T7_T9_mT8_P12ihipStream_tbDpT10_ENKUlT_T0_E_clISt17integral_constantIbLb0EES16_EEDaS11_S12_EUlS11_E_NS1_11comp_targetILNS1_3genE3ELNS1_11target_archE908ELNS1_3gpuE7ELNS1_3repE0EEENS1_30default_config_static_selectorELNS0_4arch9wavefront6targetE0EEEvT1_
                                        ; -- End function
	.section	.AMDGPU.csdata,"",@progbits
; Kernel info:
; codeLenInByte = 0
; NumSgprs: 0
; NumVgprs: 0
; ScratchSize: 0
; MemoryBound: 0
; FloatMode: 240
; IeeeMode: 1
; LDSByteSize: 0 bytes/workgroup (compile time only)
; SGPRBlocks: 0
; VGPRBlocks: 0
; NumSGPRsForWavesPerEU: 1
; NumVGPRsForWavesPerEU: 1
; Occupancy: 16
; WaveLimiterHint : 0
; COMPUTE_PGM_RSRC2:SCRATCH_EN: 0
; COMPUTE_PGM_RSRC2:USER_SGPR: 15
; COMPUTE_PGM_RSRC2:TRAP_HANDLER: 0
; COMPUTE_PGM_RSRC2:TGID_X_EN: 1
; COMPUTE_PGM_RSRC2:TGID_Y_EN: 0
; COMPUTE_PGM_RSRC2:TGID_Z_EN: 0
; COMPUTE_PGM_RSRC2:TIDIG_COMP_CNT: 0
	.section	.text._ZN7rocprim17ROCPRIM_400000_NS6detail17trampoline_kernelINS0_14default_configENS1_25partition_config_selectorILNS1_17partition_subalgoE6EsNS0_10empty_typeEbEEZZNS1_14partition_implILS5_6ELb0ES3_mN6thrust23THRUST_200600_302600_NS6detail15normal_iteratorINSA_10device_ptrIsEEEEPS6_SG_NS0_5tupleIJSF_S6_EEENSH_IJSG_SG_EEES6_PlJ5mod_3IsEEEE10hipError_tPvRmT3_T4_T5_T6_T7_T9_mT8_P12ihipStream_tbDpT10_ENKUlT_T0_E_clISt17integral_constantIbLb0EES16_EEDaS11_S12_EUlS11_E_NS1_11comp_targetILNS1_3genE2ELNS1_11target_archE906ELNS1_3gpuE6ELNS1_3repE0EEENS1_30default_config_static_selectorELNS0_4arch9wavefront6targetE0EEEvT1_,"axG",@progbits,_ZN7rocprim17ROCPRIM_400000_NS6detail17trampoline_kernelINS0_14default_configENS1_25partition_config_selectorILNS1_17partition_subalgoE6EsNS0_10empty_typeEbEEZZNS1_14partition_implILS5_6ELb0ES3_mN6thrust23THRUST_200600_302600_NS6detail15normal_iteratorINSA_10device_ptrIsEEEEPS6_SG_NS0_5tupleIJSF_S6_EEENSH_IJSG_SG_EEES6_PlJ5mod_3IsEEEE10hipError_tPvRmT3_T4_T5_T6_T7_T9_mT8_P12ihipStream_tbDpT10_ENKUlT_T0_E_clISt17integral_constantIbLb0EES16_EEDaS11_S12_EUlS11_E_NS1_11comp_targetILNS1_3genE2ELNS1_11target_archE906ELNS1_3gpuE6ELNS1_3repE0EEENS1_30default_config_static_selectorELNS0_4arch9wavefront6targetE0EEEvT1_,comdat
	.protected	_ZN7rocprim17ROCPRIM_400000_NS6detail17trampoline_kernelINS0_14default_configENS1_25partition_config_selectorILNS1_17partition_subalgoE6EsNS0_10empty_typeEbEEZZNS1_14partition_implILS5_6ELb0ES3_mN6thrust23THRUST_200600_302600_NS6detail15normal_iteratorINSA_10device_ptrIsEEEEPS6_SG_NS0_5tupleIJSF_S6_EEENSH_IJSG_SG_EEES6_PlJ5mod_3IsEEEE10hipError_tPvRmT3_T4_T5_T6_T7_T9_mT8_P12ihipStream_tbDpT10_ENKUlT_T0_E_clISt17integral_constantIbLb0EES16_EEDaS11_S12_EUlS11_E_NS1_11comp_targetILNS1_3genE2ELNS1_11target_archE906ELNS1_3gpuE6ELNS1_3repE0EEENS1_30default_config_static_selectorELNS0_4arch9wavefront6targetE0EEEvT1_ ; -- Begin function _ZN7rocprim17ROCPRIM_400000_NS6detail17trampoline_kernelINS0_14default_configENS1_25partition_config_selectorILNS1_17partition_subalgoE6EsNS0_10empty_typeEbEEZZNS1_14partition_implILS5_6ELb0ES3_mN6thrust23THRUST_200600_302600_NS6detail15normal_iteratorINSA_10device_ptrIsEEEEPS6_SG_NS0_5tupleIJSF_S6_EEENSH_IJSG_SG_EEES6_PlJ5mod_3IsEEEE10hipError_tPvRmT3_T4_T5_T6_T7_T9_mT8_P12ihipStream_tbDpT10_ENKUlT_T0_E_clISt17integral_constantIbLb0EES16_EEDaS11_S12_EUlS11_E_NS1_11comp_targetILNS1_3genE2ELNS1_11target_archE906ELNS1_3gpuE6ELNS1_3repE0EEENS1_30default_config_static_selectorELNS0_4arch9wavefront6targetE0EEEvT1_
	.globl	_ZN7rocprim17ROCPRIM_400000_NS6detail17trampoline_kernelINS0_14default_configENS1_25partition_config_selectorILNS1_17partition_subalgoE6EsNS0_10empty_typeEbEEZZNS1_14partition_implILS5_6ELb0ES3_mN6thrust23THRUST_200600_302600_NS6detail15normal_iteratorINSA_10device_ptrIsEEEEPS6_SG_NS0_5tupleIJSF_S6_EEENSH_IJSG_SG_EEES6_PlJ5mod_3IsEEEE10hipError_tPvRmT3_T4_T5_T6_T7_T9_mT8_P12ihipStream_tbDpT10_ENKUlT_T0_E_clISt17integral_constantIbLb0EES16_EEDaS11_S12_EUlS11_E_NS1_11comp_targetILNS1_3genE2ELNS1_11target_archE906ELNS1_3gpuE6ELNS1_3repE0EEENS1_30default_config_static_selectorELNS0_4arch9wavefront6targetE0EEEvT1_
	.p2align	8
	.type	_ZN7rocprim17ROCPRIM_400000_NS6detail17trampoline_kernelINS0_14default_configENS1_25partition_config_selectorILNS1_17partition_subalgoE6EsNS0_10empty_typeEbEEZZNS1_14partition_implILS5_6ELb0ES3_mN6thrust23THRUST_200600_302600_NS6detail15normal_iteratorINSA_10device_ptrIsEEEEPS6_SG_NS0_5tupleIJSF_S6_EEENSH_IJSG_SG_EEES6_PlJ5mod_3IsEEEE10hipError_tPvRmT3_T4_T5_T6_T7_T9_mT8_P12ihipStream_tbDpT10_ENKUlT_T0_E_clISt17integral_constantIbLb0EES16_EEDaS11_S12_EUlS11_E_NS1_11comp_targetILNS1_3genE2ELNS1_11target_archE906ELNS1_3gpuE6ELNS1_3repE0EEENS1_30default_config_static_selectorELNS0_4arch9wavefront6targetE0EEEvT1_,@function
_ZN7rocprim17ROCPRIM_400000_NS6detail17trampoline_kernelINS0_14default_configENS1_25partition_config_selectorILNS1_17partition_subalgoE6EsNS0_10empty_typeEbEEZZNS1_14partition_implILS5_6ELb0ES3_mN6thrust23THRUST_200600_302600_NS6detail15normal_iteratorINSA_10device_ptrIsEEEEPS6_SG_NS0_5tupleIJSF_S6_EEENSH_IJSG_SG_EEES6_PlJ5mod_3IsEEEE10hipError_tPvRmT3_T4_T5_T6_T7_T9_mT8_P12ihipStream_tbDpT10_ENKUlT_T0_E_clISt17integral_constantIbLb0EES16_EEDaS11_S12_EUlS11_E_NS1_11comp_targetILNS1_3genE2ELNS1_11target_archE906ELNS1_3gpuE6ELNS1_3repE0EEENS1_30default_config_static_selectorELNS0_4arch9wavefront6targetE0EEEvT1_: ; @_ZN7rocprim17ROCPRIM_400000_NS6detail17trampoline_kernelINS0_14default_configENS1_25partition_config_selectorILNS1_17partition_subalgoE6EsNS0_10empty_typeEbEEZZNS1_14partition_implILS5_6ELb0ES3_mN6thrust23THRUST_200600_302600_NS6detail15normal_iteratorINSA_10device_ptrIsEEEEPS6_SG_NS0_5tupleIJSF_S6_EEENSH_IJSG_SG_EEES6_PlJ5mod_3IsEEEE10hipError_tPvRmT3_T4_T5_T6_T7_T9_mT8_P12ihipStream_tbDpT10_ENKUlT_T0_E_clISt17integral_constantIbLb0EES16_EEDaS11_S12_EUlS11_E_NS1_11comp_targetILNS1_3genE2ELNS1_11target_archE906ELNS1_3gpuE6ELNS1_3repE0EEENS1_30default_config_static_selectorELNS0_4arch9wavefront6targetE0EEEvT1_
; %bb.0:
	.section	.rodata,"a",@progbits
	.p2align	6, 0x0
	.amdhsa_kernel _ZN7rocprim17ROCPRIM_400000_NS6detail17trampoline_kernelINS0_14default_configENS1_25partition_config_selectorILNS1_17partition_subalgoE6EsNS0_10empty_typeEbEEZZNS1_14partition_implILS5_6ELb0ES3_mN6thrust23THRUST_200600_302600_NS6detail15normal_iteratorINSA_10device_ptrIsEEEEPS6_SG_NS0_5tupleIJSF_S6_EEENSH_IJSG_SG_EEES6_PlJ5mod_3IsEEEE10hipError_tPvRmT3_T4_T5_T6_T7_T9_mT8_P12ihipStream_tbDpT10_ENKUlT_T0_E_clISt17integral_constantIbLb0EES16_EEDaS11_S12_EUlS11_E_NS1_11comp_targetILNS1_3genE2ELNS1_11target_archE906ELNS1_3gpuE6ELNS1_3repE0EEENS1_30default_config_static_selectorELNS0_4arch9wavefront6targetE0EEEvT1_
		.amdhsa_group_segment_fixed_size 0
		.amdhsa_private_segment_fixed_size 0
		.amdhsa_kernarg_size 112
		.amdhsa_user_sgpr_count 15
		.amdhsa_user_sgpr_dispatch_ptr 0
		.amdhsa_user_sgpr_queue_ptr 0
		.amdhsa_user_sgpr_kernarg_segment_ptr 1
		.amdhsa_user_sgpr_dispatch_id 0
		.amdhsa_user_sgpr_private_segment_size 0
		.amdhsa_wavefront_size32 1
		.amdhsa_uses_dynamic_stack 0
		.amdhsa_enable_private_segment 0
		.amdhsa_system_sgpr_workgroup_id_x 1
		.amdhsa_system_sgpr_workgroup_id_y 0
		.amdhsa_system_sgpr_workgroup_id_z 0
		.amdhsa_system_sgpr_workgroup_info 0
		.amdhsa_system_vgpr_workitem_id 0
		.amdhsa_next_free_vgpr 1
		.amdhsa_next_free_sgpr 1
		.amdhsa_reserve_vcc 0
		.amdhsa_float_round_mode_32 0
		.amdhsa_float_round_mode_16_64 0
		.amdhsa_float_denorm_mode_32 3
		.amdhsa_float_denorm_mode_16_64 3
		.amdhsa_dx10_clamp 1
		.amdhsa_ieee_mode 1
		.amdhsa_fp16_overflow 0
		.amdhsa_workgroup_processor_mode 1
		.amdhsa_memory_ordered 1
		.amdhsa_forward_progress 0
		.amdhsa_shared_vgpr_count 0
		.amdhsa_exception_fp_ieee_invalid_op 0
		.amdhsa_exception_fp_denorm_src 0
		.amdhsa_exception_fp_ieee_div_zero 0
		.amdhsa_exception_fp_ieee_overflow 0
		.amdhsa_exception_fp_ieee_underflow 0
		.amdhsa_exception_fp_ieee_inexact 0
		.amdhsa_exception_int_div_zero 0
	.end_amdhsa_kernel
	.section	.text._ZN7rocprim17ROCPRIM_400000_NS6detail17trampoline_kernelINS0_14default_configENS1_25partition_config_selectorILNS1_17partition_subalgoE6EsNS0_10empty_typeEbEEZZNS1_14partition_implILS5_6ELb0ES3_mN6thrust23THRUST_200600_302600_NS6detail15normal_iteratorINSA_10device_ptrIsEEEEPS6_SG_NS0_5tupleIJSF_S6_EEENSH_IJSG_SG_EEES6_PlJ5mod_3IsEEEE10hipError_tPvRmT3_T4_T5_T6_T7_T9_mT8_P12ihipStream_tbDpT10_ENKUlT_T0_E_clISt17integral_constantIbLb0EES16_EEDaS11_S12_EUlS11_E_NS1_11comp_targetILNS1_3genE2ELNS1_11target_archE906ELNS1_3gpuE6ELNS1_3repE0EEENS1_30default_config_static_selectorELNS0_4arch9wavefront6targetE0EEEvT1_,"axG",@progbits,_ZN7rocprim17ROCPRIM_400000_NS6detail17trampoline_kernelINS0_14default_configENS1_25partition_config_selectorILNS1_17partition_subalgoE6EsNS0_10empty_typeEbEEZZNS1_14partition_implILS5_6ELb0ES3_mN6thrust23THRUST_200600_302600_NS6detail15normal_iteratorINSA_10device_ptrIsEEEEPS6_SG_NS0_5tupleIJSF_S6_EEENSH_IJSG_SG_EEES6_PlJ5mod_3IsEEEE10hipError_tPvRmT3_T4_T5_T6_T7_T9_mT8_P12ihipStream_tbDpT10_ENKUlT_T0_E_clISt17integral_constantIbLb0EES16_EEDaS11_S12_EUlS11_E_NS1_11comp_targetILNS1_3genE2ELNS1_11target_archE906ELNS1_3gpuE6ELNS1_3repE0EEENS1_30default_config_static_selectorELNS0_4arch9wavefront6targetE0EEEvT1_,comdat
.Lfunc_end620:
	.size	_ZN7rocprim17ROCPRIM_400000_NS6detail17trampoline_kernelINS0_14default_configENS1_25partition_config_selectorILNS1_17partition_subalgoE6EsNS0_10empty_typeEbEEZZNS1_14partition_implILS5_6ELb0ES3_mN6thrust23THRUST_200600_302600_NS6detail15normal_iteratorINSA_10device_ptrIsEEEEPS6_SG_NS0_5tupleIJSF_S6_EEENSH_IJSG_SG_EEES6_PlJ5mod_3IsEEEE10hipError_tPvRmT3_T4_T5_T6_T7_T9_mT8_P12ihipStream_tbDpT10_ENKUlT_T0_E_clISt17integral_constantIbLb0EES16_EEDaS11_S12_EUlS11_E_NS1_11comp_targetILNS1_3genE2ELNS1_11target_archE906ELNS1_3gpuE6ELNS1_3repE0EEENS1_30default_config_static_selectorELNS0_4arch9wavefront6targetE0EEEvT1_, .Lfunc_end620-_ZN7rocprim17ROCPRIM_400000_NS6detail17trampoline_kernelINS0_14default_configENS1_25partition_config_selectorILNS1_17partition_subalgoE6EsNS0_10empty_typeEbEEZZNS1_14partition_implILS5_6ELb0ES3_mN6thrust23THRUST_200600_302600_NS6detail15normal_iteratorINSA_10device_ptrIsEEEEPS6_SG_NS0_5tupleIJSF_S6_EEENSH_IJSG_SG_EEES6_PlJ5mod_3IsEEEE10hipError_tPvRmT3_T4_T5_T6_T7_T9_mT8_P12ihipStream_tbDpT10_ENKUlT_T0_E_clISt17integral_constantIbLb0EES16_EEDaS11_S12_EUlS11_E_NS1_11comp_targetILNS1_3genE2ELNS1_11target_archE906ELNS1_3gpuE6ELNS1_3repE0EEENS1_30default_config_static_selectorELNS0_4arch9wavefront6targetE0EEEvT1_
                                        ; -- End function
	.section	.AMDGPU.csdata,"",@progbits
; Kernel info:
; codeLenInByte = 0
; NumSgprs: 0
; NumVgprs: 0
; ScratchSize: 0
; MemoryBound: 0
; FloatMode: 240
; IeeeMode: 1
; LDSByteSize: 0 bytes/workgroup (compile time only)
; SGPRBlocks: 0
; VGPRBlocks: 0
; NumSGPRsForWavesPerEU: 1
; NumVGPRsForWavesPerEU: 1
; Occupancy: 16
; WaveLimiterHint : 0
; COMPUTE_PGM_RSRC2:SCRATCH_EN: 0
; COMPUTE_PGM_RSRC2:USER_SGPR: 15
; COMPUTE_PGM_RSRC2:TRAP_HANDLER: 0
; COMPUTE_PGM_RSRC2:TGID_X_EN: 1
; COMPUTE_PGM_RSRC2:TGID_Y_EN: 0
; COMPUTE_PGM_RSRC2:TGID_Z_EN: 0
; COMPUTE_PGM_RSRC2:TIDIG_COMP_CNT: 0
	.section	.text._ZN7rocprim17ROCPRIM_400000_NS6detail17trampoline_kernelINS0_14default_configENS1_25partition_config_selectorILNS1_17partition_subalgoE6EsNS0_10empty_typeEbEEZZNS1_14partition_implILS5_6ELb0ES3_mN6thrust23THRUST_200600_302600_NS6detail15normal_iteratorINSA_10device_ptrIsEEEEPS6_SG_NS0_5tupleIJSF_S6_EEENSH_IJSG_SG_EEES6_PlJ5mod_3IsEEEE10hipError_tPvRmT3_T4_T5_T6_T7_T9_mT8_P12ihipStream_tbDpT10_ENKUlT_T0_E_clISt17integral_constantIbLb0EES16_EEDaS11_S12_EUlS11_E_NS1_11comp_targetILNS1_3genE10ELNS1_11target_archE1200ELNS1_3gpuE4ELNS1_3repE0EEENS1_30default_config_static_selectorELNS0_4arch9wavefront6targetE0EEEvT1_,"axG",@progbits,_ZN7rocprim17ROCPRIM_400000_NS6detail17trampoline_kernelINS0_14default_configENS1_25partition_config_selectorILNS1_17partition_subalgoE6EsNS0_10empty_typeEbEEZZNS1_14partition_implILS5_6ELb0ES3_mN6thrust23THRUST_200600_302600_NS6detail15normal_iteratorINSA_10device_ptrIsEEEEPS6_SG_NS0_5tupleIJSF_S6_EEENSH_IJSG_SG_EEES6_PlJ5mod_3IsEEEE10hipError_tPvRmT3_T4_T5_T6_T7_T9_mT8_P12ihipStream_tbDpT10_ENKUlT_T0_E_clISt17integral_constantIbLb0EES16_EEDaS11_S12_EUlS11_E_NS1_11comp_targetILNS1_3genE10ELNS1_11target_archE1200ELNS1_3gpuE4ELNS1_3repE0EEENS1_30default_config_static_selectorELNS0_4arch9wavefront6targetE0EEEvT1_,comdat
	.protected	_ZN7rocprim17ROCPRIM_400000_NS6detail17trampoline_kernelINS0_14default_configENS1_25partition_config_selectorILNS1_17partition_subalgoE6EsNS0_10empty_typeEbEEZZNS1_14partition_implILS5_6ELb0ES3_mN6thrust23THRUST_200600_302600_NS6detail15normal_iteratorINSA_10device_ptrIsEEEEPS6_SG_NS0_5tupleIJSF_S6_EEENSH_IJSG_SG_EEES6_PlJ5mod_3IsEEEE10hipError_tPvRmT3_T4_T5_T6_T7_T9_mT8_P12ihipStream_tbDpT10_ENKUlT_T0_E_clISt17integral_constantIbLb0EES16_EEDaS11_S12_EUlS11_E_NS1_11comp_targetILNS1_3genE10ELNS1_11target_archE1200ELNS1_3gpuE4ELNS1_3repE0EEENS1_30default_config_static_selectorELNS0_4arch9wavefront6targetE0EEEvT1_ ; -- Begin function _ZN7rocprim17ROCPRIM_400000_NS6detail17trampoline_kernelINS0_14default_configENS1_25partition_config_selectorILNS1_17partition_subalgoE6EsNS0_10empty_typeEbEEZZNS1_14partition_implILS5_6ELb0ES3_mN6thrust23THRUST_200600_302600_NS6detail15normal_iteratorINSA_10device_ptrIsEEEEPS6_SG_NS0_5tupleIJSF_S6_EEENSH_IJSG_SG_EEES6_PlJ5mod_3IsEEEE10hipError_tPvRmT3_T4_T5_T6_T7_T9_mT8_P12ihipStream_tbDpT10_ENKUlT_T0_E_clISt17integral_constantIbLb0EES16_EEDaS11_S12_EUlS11_E_NS1_11comp_targetILNS1_3genE10ELNS1_11target_archE1200ELNS1_3gpuE4ELNS1_3repE0EEENS1_30default_config_static_selectorELNS0_4arch9wavefront6targetE0EEEvT1_
	.globl	_ZN7rocprim17ROCPRIM_400000_NS6detail17trampoline_kernelINS0_14default_configENS1_25partition_config_selectorILNS1_17partition_subalgoE6EsNS0_10empty_typeEbEEZZNS1_14partition_implILS5_6ELb0ES3_mN6thrust23THRUST_200600_302600_NS6detail15normal_iteratorINSA_10device_ptrIsEEEEPS6_SG_NS0_5tupleIJSF_S6_EEENSH_IJSG_SG_EEES6_PlJ5mod_3IsEEEE10hipError_tPvRmT3_T4_T5_T6_T7_T9_mT8_P12ihipStream_tbDpT10_ENKUlT_T0_E_clISt17integral_constantIbLb0EES16_EEDaS11_S12_EUlS11_E_NS1_11comp_targetILNS1_3genE10ELNS1_11target_archE1200ELNS1_3gpuE4ELNS1_3repE0EEENS1_30default_config_static_selectorELNS0_4arch9wavefront6targetE0EEEvT1_
	.p2align	8
	.type	_ZN7rocprim17ROCPRIM_400000_NS6detail17trampoline_kernelINS0_14default_configENS1_25partition_config_selectorILNS1_17partition_subalgoE6EsNS0_10empty_typeEbEEZZNS1_14partition_implILS5_6ELb0ES3_mN6thrust23THRUST_200600_302600_NS6detail15normal_iteratorINSA_10device_ptrIsEEEEPS6_SG_NS0_5tupleIJSF_S6_EEENSH_IJSG_SG_EEES6_PlJ5mod_3IsEEEE10hipError_tPvRmT3_T4_T5_T6_T7_T9_mT8_P12ihipStream_tbDpT10_ENKUlT_T0_E_clISt17integral_constantIbLb0EES16_EEDaS11_S12_EUlS11_E_NS1_11comp_targetILNS1_3genE10ELNS1_11target_archE1200ELNS1_3gpuE4ELNS1_3repE0EEENS1_30default_config_static_selectorELNS0_4arch9wavefront6targetE0EEEvT1_,@function
_ZN7rocprim17ROCPRIM_400000_NS6detail17trampoline_kernelINS0_14default_configENS1_25partition_config_selectorILNS1_17partition_subalgoE6EsNS0_10empty_typeEbEEZZNS1_14partition_implILS5_6ELb0ES3_mN6thrust23THRUST_200600_302600_NS6detail15normal_iteratorINSA_10device_ptrIsEEEEPS6_SG_NS0_5tupleIJSF_S6_EEENSH_IJSG_SG_EEES6_PlJ5mod_3IsEEEE10hipError_tPvRmT3_T4_T5_T6_T7_T9_mT8_P12ihipStream_tbDpT10_ENKUlT_T0_E_clISt17integral_constantIbLb0EES16_EEDaS11_S12_EUlS11_E_NS1_11comp_targetILNS1_3genE10ELNS1_11target_archE1200ELNS1_3gpuE4ELNS1_3repE0EEENS1_30default_config_static_selectorELNS0_4arch9wavefront6targetE0EEEvT1_: ; @_ZN7rocprim17ROCPRIM_400000_NS6detail17trampoline_kernelINS0_14default_configENS1_25partition_config_selectorILNS1_17partition_subalgoE6EsNS0_10empty_typeEbEEZZNS1_14partition_implILS5_6ELb0ES3_mN6thrust23THRUST_200600_302600_NS6detail15normal_iteratorINSA_10device_ptrIsEEEEPS6_SG_NS0_5tupleIJSF_S6_EEENSH_IJSG_SG_EEES6_PlJ5mod_3IsEEEE10hipError_tPvRmT3_T4_T5_T6_T7_T9_mT8_P12ihipStream_tbDpT10_ENKUlT_T0_E_clISt17integral_constantIbLb0EES16_EEDaS11_S12_EUlS11_E_NS1_11comp_targetILNS1_3genE10ELNS1_11target_archE1200ELNS1_3gpuE4ELNS1_3repE0EEENS1_30default_config_static_selectorELNS0_4arch9wavefront6targetE0EEEvT1_
; %bb.0:
	.section	.rodata,"a",@progbits
	.p2align	6, 0x0
	.amdhsa_kernel _ZN7rocprim17ROCPRIM_400000_NS6detail17trampoline_kernelINS0_14default_configENS1_25partition_config_selectorILNS1_17partition_subalgoE6EsNS0_10empty_typeEbEEZZNS1_14partition_implILS5_6ELb0ES3_mN6thrust23THRUST_200600_302600_NS6detail15normal_iteratorINSA_10device_ptrIsEEEEPS6_SG_NS0_5tupleIJSF_S6_EEENSH_IJSG_SG_EEES6_PlJ5mod_3IsEEEE10hipError_tPvRmT3_T4_T5_T6_T7_T9_mT8_P12ihipStream_tbDpT10_ENKUlT_T0_E_clISt17integral_constantIbLb0EES16_EEDaS11_S12_EUlS11_E_NS1_11comp_targetILNS1_3genE10ELNS1_11target_archE1200ELNS1_3gpuE4ELNS1_3repE0EEENS1_30default_config_static_selectorELNS0_4arch9wavefront6targetE0EEEvT1_
		.amdhsa_group_segment_fixed_size 0
		.amdhsa_private_segment_fixed_size 0
		.amdhsa_kernarg_size 112
		.amdhsa_user_sgpr_count 15
		.amdhsa_user_sgpr_dispatch_ptr 0
		.amdhsa_user_sgpr_queue_ptr 0
		.amdhsa_user_sgpr_kernarg_segment_ptr 1
		.amdhsa_user_sgpr_dispatch_id 0
		.amdhsa_user_sgpr_private_segment_size 0
		.amdhsa_wavefront_size32 1
		.amdhsa_uses_dynamic_stack 0
		.amdhsa_enable_private_segment 0
		.amdhsa_system_sgpr_workgroup_id_x 1
		.amdhsa_system_sgpr_workgroup_id_y 0
		.amdhsa_system_sgpr_workgroup_id_z 0
		.amdhsa_system_sgpr_workgroup_info 0
		.amdhsa_system_vgpr_workitem_id 0
		.amdhsa_next_free_vgpr 1
		.amdhsa_next_free_sgpr 1
		.amdhsa_reserve_vcc 0
		.amdhsa_float_round_mode_32 0
		.amdhsa_float_round_mode_16_64 0
		.amdhsa_float_denorm_mode_32 3
		.amdhsa_float_denorm_mode_16_64 3
		.amdhsa_dx10_clamp 1
		.amdhsa_ieee_mode 1
		.amdhsa_fp16_overflow 0
		.amdhsa_workgroup_processor_mode 1
		.amdhsa_memory_ordered 1
		.amdhsa_forward_progress 0
		.amdhsa_shared_vgpr_count 0
		.amdhsa_exception_fp_ieee_invalid_op 0
		.amdhsa_exception_fp_denorm_src 0
		.amdhsa_exception_fp_ieee_div_zero 0
		.amdhsa_exception_fp_ieee_overflow 0
		.amdhsa_exception_fp_ieee_underflow 0
		.amdhsa_exception_fp_ieee_inexact 0
		.amdhsa_exception_int_div_zero 0
	.end_amdhsa_kernel
	.section	.text._ZN7rocprim17ROCPRIM_400000_NS6detail17trampoline_kernelINS0_14default_configENS1_25partition_config_selectorILNS1_17partition_subalgoE6EsNS0_10empty_typeEbEEZZNS1_14partition_implILS5_6ELb0ES3_mN6thrust23THRUST_200600_302600_NS6detail15normal_iteratorINSA_10device_ptrIsEEEEPS6_SG_NS0_5tupleIJSF_S6_EEENSH_IJSG_SG_EEES6_PlJ5mod_3IsEEEE10hipError_tPvRmT3_T4_T5_T6_T7_T9_mT8_P12ihipStream_tbDpT10_ENKUlT_T0_E_clISt17integral_constantIbLb0EES16_EEDaS11_S12_EUlS11_E_NS1_11comp_targetILNS1_3genE10ELNS1_11target_archE1200ELNS1_3gpuE4ELNS1_3repE0EEENS1_30default_config_static_selectorELNS0_4arch9wavefront6targetE0EEEvT1_,"axG",@progbits,_ZN7rocprim17ROCPRIM_400000_NS6detail17trampoline_kernelINS0_14default_configENS1_25partition_config_selectorILNS1_17partition_subalgoE6EsNS0_10empty_typeEbEEZZNS1_14partition_implILS5_6ELb0ES3_mN6thrust23THRUST_200600_302600_NS6detail15normal_iteratorINSA_10device_ptrIsEEEEPS6_SG_NS0_5tupleIJSF_S6_EEENSH_IJSG_SG_EEES6_PlJ5mod_3IsEEEE10hipError_tPvRmT3_T4_T5_T6_T7_T9_mT8_P12ihipStream_tbDpT10_ENKUlT_T0_E_clISt17integral_constantIbLb0EES16_EEDaS11_S12_EUlS11_E_NS1_11comp_targetILNS1_3genE10ELNS1_11target_archE1200ELNS1_3gpuE4ELNS1_3repE0EEENS1_30default_config_static_selectorELNS0_4arch9wavefront6targetE0EEEvT1_,comdat
.Lfunc_end621:
	.size	_ZN7rocprim17ROCPRIM_400000_NS6detail17trampoline_kernelINS0_14default_configENS1_25partition_config_selectorILNS1_17partition_subalgoE6EsNS0_10empty_typeEbEEZZNS1_14partition_implILS5_6ELb0ES3_mN6thrust23THRUST_200600_302600_NS6detail15normal_iteratorINSA_10device_ptrIsEEEEPS6_SG_NS0_5tupleIJSF_S6_EEENSH_IJSG_SG_EEES6_PlJ5mod_3IsEEEE10hipError_tPvRmT3_T4_T5_T6_T7_T9_mT8_P12ihipStream_tbDpT10_ENKUlT_T0_E_clISt17integral_constantIbLb0EES16_EEDaS11_S12_EUlS11_E_NS1_11comp_targetILNS1_3genE10ELNS1_11target_archE1200ELNS1_3gpuE4ELNS1_3repE0EEENS1_30default_config_static_selectorELNS0_4arch9wavefront6targetE0EEEvT1_, .Lfunc_end621-_ZN7rocprim17ROCPRIM_400000_NS6detail17trampoline_kernelINS0_14default_configENS1_25partition_config_selectorILNS1_17partition_subalgoE6EsNS0_10empty_typeEbEEZZNS1_14partition_implILS5_6ELb0ES3_mN6thrust23THRUST_200600_302600_NS6detail15normal_iteratorINSA_10device_ptrIsEEEEPS6_SG_NS0_5tupleIJSF_S6_EEENSH_IJSG_SG_EEES6_PlJ5mod_3IsEEEE10hipError_tPvRmT3_T4_T5_T6_T7_T9_mT8_P12ihipStream_tbDpT10_ENKUlT_T0_E_clISt17integral_constantIbLb0EES16_EEDaS11_S12_EUlS11_E_NS1_11comp_targetILNS1_3genE10ELNS1_11target_archE1200ELNS1_3gpuE4ELNS1_3repE0EEENS1_30default_config_static_selectorELNS0_4arch9wavefront6targetE0EEEvT1_
                                        ; -- End function
	.section	.AMDGPU.csdata,"",@progbits
; Kernel info:
; codeLenInByte = 0
; NumSgprs: 0
; NumVgprs: 0
; ScratchSize: 0
; MemoryBound: 0
; FloatMode: 240
; IeeeMode: 1
; LDSByteSize: 0 bytes/workgroup (compile time only)
; SGPRBlocks: 0
; VGPRBlocks: 0
; NumSGPRsForWavesPerEU: 1
; NumVGPRsForWavesPerEU: 1
; Occupancy: 15
; WaveLimiterHint : 0
; COMPUTE_PGM_RSRC2:SCRATCH_EN: 0
; COMPUTE_PGM_RSRC2:USER_SGPR: 15
; COMPUTE_PGM_RSRC2:TRAP_HANDLER: 0
; COMPUTE_PGM_RSRC2:TGID_X_EN: 1
; COMPUTE_PGM_RSRC2:TGID_Y_EN: 0
; COMPUTE_PGM_RSRC2:TGID_Z_EN: 0
; COMPUTE_PGM_RSRC2:TIDIG_COMP_CNT: 0
	.section	.text._ZN7rocprim17ROCPRIM_400000_NS6detail17trampoline_kernelINS0_14default_configENS1_25partition_config_selectorILNS1_17partition_subalgoE6EsNS0_10empty_typeEbEEZZNS1_14partition_implILS5_6ELb0ES3_mN6thrust23THRUST_200600_302600_NS6detail15normal_iteratorINSA_10device_ptrIsEEEEPS6_SG_NS0_5tupleIJSF_S6_EEENSH_IJSG_SG_EEES6_PlJ5mod_3IsEEEE10hipError_tPvRmT3_T4_T5_T6_T7_T9_mT8_P12ihipStream_tbDpT10_ENKUlT_T0_E_clISt17integral_constantIbLb0EES16_EEDaS11_S12_EUlS11_E_NS1_11comp_targetILNS1_3genE9ELNS1_11target_archE1100ELNS1_3gpuE3ELNS1_3repE0EEENS1_30default_config_static_selectorELNS0_4arch9wavefront6targetE0EEEvT1_,"axG",@progbits,_ZN7rocprim17ROCPRIM_400000_NS6detail17trampoline_kernelINS0_14default_configENS1_25partition_config_selectorILNS1_17partition_subalgoE6EsNS0_10empty_typeEbEEZZNS1_14partition_implILS5_6ELb0ES3_mN6thrust23THRUST_200600_302600_NS6detail15normal_iteratorINSA_10device_ptrIsEEEEPS6_SG_NS0_5tupleIJSF_S6_EEENSH_IJSG_SG_EEES6_PlJ5mod_3IsEEEE10hipError_tPvRmT3_T4_T5_T6_T7_T9_mT8_P12ihipStream_tbDpT10_ENKUlT_T0_E_clISt17integral_constantIbLb0EES16_EEDaS11_S12_EUlS11_E_NS1_11comp_targetILNS1_3genE9ELNS1_11target_archE1100ELNS1_3gpuE3ELNS1_3repE0EEENS1_30default_config_static_selectorELNS0_4arch9wavefront6targetE0EEEvT1_,comdat
	.protected	_ZN7rocprim17ROCPRIM_400000_NS6detail17trampoline_kernelINS0_14default_configENS1_25partition_config_selectorILNS1_17partition_subalgoE6EsNS0_10empty_typeEbEEZZNS1_14partition_implILS5_6ELb0ES3_mN6thrust23THRUST_200600_302600_NS6detail15normal_iteratorINSA_10device_ptrIsEEEEPS6_SG_NS0_5tupleIJSF_S6_EEENSH_IJSG_SG_EEES6_PlJ5mod_3IsEEEE10hipError_tPvRmT3_T4_T5_T6_T7_T9_mT8_P12ihipStream_tbDpT10_ENKUlT_T0_E_clISt17integral_constantIbLb0EES16_EEDaS11_S12_EUlS11_E_NS1_11comp_targetILNS1_3genE9ELNS1_11target_archE1100ELNS1_3gpuE3ELNS1_3repE0EEENS1_30default_config_static_selectorELNS0_4arch9wavefront6targetE0EEEvT1_ ; -- Begin function _ZN7rocprim17ROCPRIM_400000_NS6detail17trampoline_kernelINS0_14default_configENS1_25partition_config_selectorILNS1_17partition_subalgoE6EsNS0_10empty_typeEbEEZZNS1_14partition_implILS5_6ELb0ES3_mN6thrust23THRUST_200600_302600_NS6detail15normal_iteratorINSA_10device_ptrIsEEEEPS6_SG_NS0_5tupleIJSF_S6_EEENSH_IJSG_SG_EEES6_PlJ5mod_3IsEEEE10hipError_tPvRmT3_T4_T5_T6_T7_T9_mT8_P12ihipStream_tbDpT10_ENKUlT_T0_E_clISt17integral_constantIbLb0EES16_EEDaS11_S12_EUlS11_E_NS1_11comp_targetILNS1_3genE9ELNS1_11target_archE1100ELNS1_3gpuE3ELNS1_3repE0EEENS1_30default_config_static_selectorELNS0_4arch9wavefront6targetE0EEEvT1_
	.globl	_ZN7rocprim17ROCPRIM_400000_NS6detail17trampoline_kernelINS0_14default_configENS1_25partition_config_selectorILNS1_17partition_subalgoE6EsNS0_10empty_typeEbEEZZNS1_14partition_implILS5_6ELb0ES3_mN6thrust23THRUST_200600_302600_NS6detail15normal_iteratorINSA_10device_ptrIsEEEEPS6_SG_NS0_5tupleIJSF_S6_EEENSH_IJSG_SG_EEES6_PlJ5mod_3IsEEEE10hipError_tPvRmT3_T4_T5_T6_T7_T9_mT8_P12ihipStream_tbDpT10_ENKUlT_T0_E_clISt17integral_constantIbLb0EES16_EEDaS11_S12_EUlS11_E_NS1_11comp_targetILNS1_3genE9ELNS1_11target_archE1100ELNS1_3gpuE3ELNS1_3repE0EEENS1_30default_config_static_selectorELNS0_4arch9wavefront6targetE0EEEvT1_
	.p2align	8
	.type	_ZN7rocprim17ROCPRIM_400000_NS6detail17trampoline_kernelINS0_14default_configENS1_25partition_config_selectorILNS1_17partition_subalgoE6EsNS0_10empty_typeEbEEZZNS1_14partition_implILS5_6ELb0ES3_mN6thrust23THRUST_200600_302600_NS6detail15normal_iteratorINSA_10device_ptrIsEEEEPS6_SG_NS0_5tupleIJSF_S6_EEENSH_IJSG_SG_EEES6_PlJ5mod_3IsEEEE10hipError_tPvRmT3_T4_T5_T6_T7_T9_mT8_P12ihipStream_tbDpT10_ENKUlT_T0_E_clISt17integral_constantIbLb0EES16_EEDaS11_S12_EUlS11_E_NS1_11comp_targetILNS1_3genE9ELNS1_11target_archE1100ELNS1_3gpuE3ELNS1_3repE0EEENS1_30default_config_static_selectorELNS0_4arch9wavefront6targetE0EEEvT1_,@function
_ZN7rocprim17ROCPRIM_400000_NS6detail17trampoline_kernelINS0_14default_configENS1_25partition_config_selectorILNS1_17partition_subalgoE6EsNS0_10empty_typeEbEEZZNS1_14partition_implILS5_6ELb0ES3_mN6thrust23THRUST_200600_302600_NS6detail15normal_iteratorINSA_10device_ptrIsEEEEPS6_SG_NS0_5tupleIJSF_S6_EEENSH_IJSG_SG_EEES6_PlJ5mod_3IsEEEE10hipError_tPvRmT3_T4_T5_T6_T7_T9_mT8_P12ihipStream_tbDpT10_ENKUlT_T0_E_clISt17integral_constantIbLb0EES16_EEDaS11_S12_EUlS11_E_NS1_11comp_targetILNS1_3genE9ELNS1_11target_archE1100ELNS1_3gpuE3ELNS1_3repE0EEENS1_30default_config_static_selectorELNS0_4arch9wavefront6targetE0EEEvT1_: ; @_ZN7rocprim17ROCPRIM_400000_NS6detail17trampoline_kernelINS0_14default_configENS1_25partition_config_selectorILNS1_17partition_subalgoE6EsNS0_10empty_typeEbEEZZNS1_14partition_implILS5_6ELb0ES3_mN6thrust23THRUST_200600_302600_NS6detail15normal_iteratorINSA_10device_ptrIsEEEEPS6_SG_NS0_5tupleIJSF_S6_EEENSH_IJSG_SG_EEES6_PlJ5mod_3IsEEEE10hipError_tPvRmT3_T4_T5_T6_T7_T9_mT8_P12ihipStream_tbDpT10_ENKUlT_T0_E_clISt17integral_constantIbLb0EES16_EEDaS11_S12_EUlS11_E_NS1_11comp_targetILNS1_3genE9ELNS1_11target_archE1100ELNS1_3gpuE3ELNS1_3repE0EEENS1_30default_config_static_selectorELNS0_4arch9wavefront6targetE0EEEvT1_
; %bb.0:
	s_clause 0x3
	s_load_b128 s[16:19], s[0:1], 0x8
	s_load_b128 s[4:7], s[0:1], 0x40
	s_load_b32 s10, s[0:1], 0x68
	s_load_b64 s[2:3], s[0:1], 0x50
	v_lshlrev_b32_e32 v1, 1, v0
	s_waitcnt lgkmcnt(0)
	s_lshl_b64 s[8:9], s[18:19], 1
	s_load_b64 s[6:7], s[6:7], 0x0
	s_mul_i32 s11, s10, 0xf00
	s_add_u32 s16, s16, s8
	s_addc_u32 s17, s17, s9
	s_add_i32 s8, s11, s18
	s_add_i32 s12, s10, -1
	s_sub_i32 s10, s2, s8
	s_add_u32 s8, s18, s11
	s_addc_u32 s9, s19, 0
	s_cmp_eq_u32 s15, s12
	v_cmp_ge_u64_e64 s8, s[8:9], s[2:3]
	s_cselect_b32 s14, -1, 0
	s_mov_b32 s3, 0
	s_mul_i32 s2, s15, 0xf00
	s_delay_alu instid0(SALU_CYCLE_1) | instskip(NEXT) | instid1(VALU_DEP_1)
	s_lshl_b64 s[2:3], s[2:3], 1
	s_and_b32 s12, s14, s8
	s_mov_b32 s8, -1
	s_xor_b32 s13, s12, -1
	s_add_u32 s2, s16, s2
	s_addc_u32 s3, s17, s3
	s_and_b32 vcc_lo, exec_lo, s13
	s_cbranch_vccz .LBB622_2
; %bb.1:
	v_add_co_u32 v2, s8, s2, v1
	s_delay_alu instid0(VALU_DEP_1) | instskip(SKIP_1) | instid1(VALU_DEP_2)
	v_add_co_ci_u32_e64 v3, null, s3, 0, s8
	s_mov_b32 s8, 0
	v_add_co_u32 v4, vcc_lo, 0x1000, v2
	s_clause 0x7
	flat_load_u16 v6, v[2:3]
	flat_load_u16 v7, v[2:3] offset:256
	flat_load_u16 v8, v[2:3] offset:512
	;; [unrolled: 1-line block ×7, first 2 shown]
	v_add_co_ci_u32_e32 v5, vcc_lo, 0, v3, vcc_lo
	s_clause 0x15
	flat_load_u16 v14, v[2:3] offset:2048
	flat_load_u16 v15, v[2:3] offset:2304
	;; [unrolled: 1-line block ×8, first 2 shown]
	flat_load_u16 v3, v[4:5]
	flat_load_u16 v21, v[4:5] offset:256
	flat_load_u16 v22, v[4:5] offset:512
	;; [unrolled: 1-line block ×13, first 2 shown]
	s_waitcnt vmcnt(29) lgkmcnt(0)
	ds_store_b16 v1, v6
	s_waitcnt vmcnt(28)
	ds_store_b16 v1, v7 offset:256
	s_waitcnt vmcnt(27)
	ds_store_b16 v1, v8 offset:512
	;; [unrolled: 2-line block ×29, first 2 shown]
	s_waitcnt lgkmcnt(0)
	s_barrier
.LBB622_2:
	s_and_not1_b32 vcc_lo, exec_lo, s8
	s_addk_i32 s10, 0xf00
	s_cbranch_vccnz .LBB622_64
; %bb.3:
	s_mov_b32 s8, exec_lo
                                        ; implicit-def: $vgpr2
	v_cmpx_gt_u32_e64 s10, v0
	s_cbranch_execz .LBB622_5
; %bb.4:
	v_add_co_u32 v2, s9, s2, v1
	s_delay_alu instid0(VALU_DEP_1)
	v_add_co_ci_u32_e64 v3, null, s3, 0, s9
	flat_load_u16 v2, v[2:3]
.LBB622_5:
	s_or_b32 exec_lo, exec_lo, s8
	v_or_b32_e32 v3, 0x80, v0
	s_delay_alu instid0(VALU_DEP_1)
	v_cmp_gt_u32_e32 vcc_lo, s10, v3
                                        ; implicit-def: $vgpr3
	s_and_saveexec_b32 s8, vcc_lo
	s_cbranch_execz .LBB622_7
; %bb.6:
	v_add_co_u32 v3, s9, s2, v1
	s_delay_alu instid0(VALU_DEP_1)
	v_add_co_ci_u32_e64 v4, null, s3, 0, s9
	flat_load_u16 v3, v[3:4] offset:256
.LBB622_7:
	s_or_b32 exec_lo, exec_lo, s8
	v_or_b32_e32 v4, 0x100, v0
	s_delay_alu instid0(VALU_DEP_1)
	v_cmp_gt_u32_e32 vcc_lo, s10, v4
                                        ; implicit-def: $vgpr4
	s_and_saveexec_b32 s8, vcc_lo
	s_cbranch_execz .LBB622_9
; %bb.8:
	v_add_co_u32 v4, s9, s2, v1
	s_delay_alu instid0(VALU_DEP_1)
	v_add_co_ci_u32_e64 v5, null, s3, 0, s9
	flat_load_u16 v4, v[4:5] offset:512
.LBB622_9:
	s_or_b32 exec_lo, exec_lo, s8
	v_or_b32_e32 v5, 0x180, v0
	s_delay_alu instid0(VALU_DEP_1)
	v_cmp_gt_u32_e32 vcc_lo, s10, v5
                                        ; implicit-def: $vgpr5
	s_and_saveexec_b32 s8, vcc_lo
	s_cbranch_execz .LBB622_11
; %bb.10:
	v_add_co_u32 v5, s9, s2, v1
	s_delay_alu instid0(VALU_DEP_1)
	v_add_co_ci_u32_e64 v6, null, s3, 0, s9
	flat_load_u16 v5, v[5:6] offset:768
.LBB622_11:
	s_or_b32 exec_lo, exec_lo, s8
	v_or_b32_e32 v6, 0x200, v0
	s_delay_alu instid0(VALU_DEP_1)
	v_cmp_gt_u32_e32 vcc_lo, s10, v6
                                        ; implicit-def: $vgpr6
	s_and_saveexec_b32 s8, vcc_lo
	s_cbranch_execz .LBB622_13
; %bb.12:
	v_add_co_u32 v6, s9, s2, v1
	s_delay_alu instid0(VALU_DEP_1)
	v_add_co_ci_u32_e64 v7, null, s3, 0, s9
	flat_load_u16 v6, v[6:7] offset:1024
.LBB622_13:
	s_or_b32 exec_lo, exec_lo, s8
	v_or_b32_e32 v7, 0x280, v0
	s_delay_alu instid0(VALU_DEP_1)
	v_cmp_gt_u32_e32 vcc_lo, s10, v7
                                        ; implicit-def: $vgpr7
	s_and_saveexec_b32 s8, vcc_lo
	s_cbranch_execz .LBB622_15
; %bb.14:
	v_add_co_u32 v7, s9, s2, v1
	s_delay_alu instid0(VALU_DEP_1)
	v_add_co_ci_u32_e64 v8, null, s3, 0, s9
	flat_load_u16 v7, v[7:8] offset:1280
.LBB622_15:
	s_or_b32 exec_lo, exec_lo, s8
	v_or_b32_e32 v8, 0x300, v0
	s_delay_alu instid0(VALU_DEP_1)
	v_cmp_gt_u32_e32 vcc_lo, s10, v8
                                        ; implicit-def: $vgpr8
	s_and_saveexec_b32 s8, vcc_lo
	s_cbranch_execz .LBB622_17
; %bb.16:
	v_add_co_u32 v8, s9, s2, v1
	s_delay_alu instid0(VALU_DEP_1)
	v_add_co_ci_u32_e64 v9, null, s3, 0, s9
	flat_load_u16 v8, v[8:9] offset:1536
.LBB622_17:
	s_or_b32 exec_lo, exec_lo, s8
	v_or_b32_e32 v9, 0x380, v0
	s_delay_alu instid0(VALU_DEP_1)
	v_cmp_gt_u32_e32 vcc_lo, s10, v9
                                        ; implicit-def: $vgpr9
	s_and_saveexec_b32 s8, vcc_lo
	s_cbranch_execz .LBB622_19
; %bb.18:
	v_add_co_u32 v9, s9, s2, v1
	s_delay_alu instid0(VALU_DEP_1)
	v_add_co_ci_u32_e64 v10, null, s3, 0, s9
	flat_load_u16 v9, v[9:10] offset:1792
.LBB622_19:
	s_or_b32 exec_lo, exec_lo, s8
	v_or_b32_e32 v10, 0x400, v0
	s_delay_alu instid0(VALU_DEP_1)
	v_cmp_gt_u32_e32 vcc_lo, s10, v10
                                        ; implicit-def: $vgpr10
	s_and_saveexec_b32 s8, vcc_lo
	s_cbranch_execz .LBB622_21
; %bb.20:
	v_add_co_u32 v10, s9, s2, v1
	s_delay_alu instid0(VALU_DEP_1)
	v_add_co_ci_u32_e64 v11, null, s3, 0, s9
	flat_load_u16 v10, v[10:11] offset:2048
.LBB622_21:
	s_or_b32 exec_lo, exec_lo, s8
	v_or_b32_e32 v11, 0x480, v0
	s_delay_alu instid0(VALU_DEP_1)
	v_cmp_gt_u32_e32 vcc_lo, s10, v11
                                        ; implicit-def: $vgpr11
	s_and_saveexec_b32 s8, vcc_lo
	s_cbranch_execz .LBB622_23
; %bb.22:
	v_add_co_u32 v11, s9, s2, v1
	s_delay_alu instid0(VALU_DEP_1)
	v_add_co_ci_u32_e64 v12, null, s3, 0, s9
	flat_load_u16 v11, v[11:12] offset:2304
.LBB622_23:
	s_or_b32 exec_lo, exec_lo, s8
	v_or_b32_e32 v12, 0x500, v0
	s_delay_alu instid0(VALU_DEP_1)
	v_cmp_gt_u32_e32 vcc_lo, s10, v12
                                        ; implicit-def: $vgpr12
	s_and_saveexec_b32 s8, vcc_lo
	s_cbranch_execz .LBB622_25
; %bb.24:
	v_add_co_u32 v12, s9, s2, v1
	s_delay_alu instid0(VALU_DEP_1)
	v_add_co_ci_u32_e64 v13, null, s3, 0, s9
	flat_load_u16 v12, v[12:13] offset:2560
.LBB622_25:
	s_or_b32 exec_lo, exec_lo, s8
	v_or_b32_e32 v13, 0x580, v0
	s_delay_alu instid0(VALU_DEP_1)
	v_cmp_gt_u32_e32 vcc_lo, s10, v13
                                        ; implicit-def: $vgpr13
	s_and_saveexec_b32 s8, vcc_lo
	s_cbranch_execz .LBB622_27
; %bb.26:
	v_add_co_u32 v13, s9, s2, v1
	s_delay_alu instid0(VALU_DEP_1)
	v_add_co_ci_u32_e64 v14, null, s3, 0, s9
	flat_load_u16 v13, v[13:14] offset:2816
.LBB622_27:
	s_or_b32 exec_lo, exec_lo, s8
	v_or_b32_e32 v14, 0x600, v0
	s_delay_alu instid0(VALU_DEP_1)
	v_cmp_gt_u32_e32 vcc_lo, s10, v14
                                        ; implicit-def: $vgpr14
	s_and_saveexec_b32 s8, vcc_lo
	s_cbranch_execz .LBB622_29
; %bb.28:
	v_add_co_u32 v14, s9, s2, v1
	s_delay_alu instid0(VALU_DEP_1)
	v_add_co_ci_u32_e64 v15, null, s3, 0, s9
	flat_load_u16 v14, v[14:15] offset:3072
.LBB622_29:
	s_or_b32 exec_lo, exec_lo, s8
	v_or_b32_e32 v15, 0x680, v0
	s_delay_alu instid0(VALU_DEP_1)
	v_cmp_gt_u32_e32 vcc_lo, s10, v15
                                        ; implicit-def: $vgpr15
	s_and_saveexec_b32 s8, vcc_lo
	s_cbranch_execz .LBB622_31
; %bb.30:
	v_add_co_u32 v15, s9, s2, v1
	s_delay_alu instid0(VALU_DEP_1)
	v_add_co_ci_u32_e64 v16, null, s3, 0, s9
	flat_load_u16 v15, v[15:16] offset:3328
.LBB622_31:
	s_or_b32 exec_lo, exec_lo, s8
	v_or_b32_e32 v16, 0x700, v0
	s_delay_alu instid0(VALU_DEP_1)
	v_cmp_gt_u32_e32 vcc_lo, s10, v16
                                        ; implicit-def: $vgpr16
	s_and_saveexec_b32 s8, vcc_lo
	s_cbranch_execz .LBB622_33
; %bb.32:
	v_add_co_u32 v16, s9, s2, v1
	s_delay_alu instid0(VALU_DEP_1)
	v_add_co_ci_u32_e64 v17, null, s3, 0, s9
	flat_load_u16 v16, v[16:17] offset:3584
.LBB622_33:
	s_or_b32 exec_lo, exec_lo, s8
	v_or_b32_e32 v17, 0x780, v0
	s_delay_alu instid0(VALU_DEP_1)
	v_cmp_gt_u32_e32 vcc_lo, s10, v17
                                        ; implicit-def: $vgpr17
	s_and_saveexec_b32 s8, vcc_lo
	s_cbranch_execz .LBB622_35
; %bb.34:
	v_add_co_u32 v17, s9, s2, v1
	s_delay_alu instid0(VALU_DEP_1)
	v_add_co_ci_u32_e64 v18, null, s3, 0, s9
	flat_load_u16 v17, v[17:18] offset:3840
.LBB622_35:
	s_or_b32 exec_lo, exec_lo, s8
	v_or_b32_e32 v19, 0x800, v0
	s_mov_b32 s8, exec_lo
                                        ; implicit-def: $vgpr18
	s_delay_alu instid0(VALU_DEP_1)
	v_cmpx_gt_u32_e64 s10, v19
	s_cbranch_execz .LBB622_37
; %bb.36:
	v_lshlrev_b32_e32 v18, 1, v19
	s_delay_alu instid0(VALU_DEP_1) | instskip(NEXT) | instid1(VALU_DEP_1)
	v_add_co_u32 v18, s9, s2, v18
	v_add_co_ci_u32_e64 v19, null, s3, 0, s9
	flat_load_u16 v18, v[18:19]
.LBB622_37:
	s_or_b32 exec_lo, exec_lo, s8
	v_or_b32_e32 v20, 0x880, v0
	s_mov_b32 s8, exec_lo
                                        ; implicit-def: $vgpr19
	s_delay_alu instid0(VALU_DEP_1)
	v_cmpx_gt_u32_e64 s10, v20
	s_cbranch_execz .LBB622_39
; %bb.38:
	v_lshlrev_b32_e32 v19, 1, v20
	s_delay_alu instid0(VALU_DEP_1) | instskip(NEXT) | instid1(VALU_DEP_1)
	v_add_co_u32 v19, s9, s2, v19
	v_add_co_ci_u32_e64 v20, null, s3, 0, s9
	flat_load_u16 v19, v[19:20]
.LBB622_39:
	s_or_b32 exec_lo, exec_lo, s8
	v_or_b32_e32 v21, 0x900, v0
	s_mov_b32 s8, exec_lo
                                        ; implicit-def: $vgpr20
	s_delay_alu instid0(VALU_DEP_1)
	v_cmpx_gt_u32_e64 s10, v21
	s_cbranch_execz .LBB622_41
; %bb.40:
	v_lshlrev_b32_e32 v20, 1, v21
	s_delay_alu instid0(VALU_DEP_1) | instskip(NEXT) | instid1(VALU_DEP_1)
	v_add_co_u32 v20, s9, s2, v20
	v_add_co_ci_u32_e64 v21, null, s3, 0, s9
	flat_load_u16 v20, v[20:21]
.LBB622_41:
	s_or_b32 exec_lo, exec_lo, s8
	v_or_b32_e32 v22, 0x980, v0
	s_mov_b32 s8, exec_lo
                                        ; implicit-def: $vgpr21
	s_delay_alu instid0(VALU_DEP_1)
	v_cmpx_gt_u32_e64 s10, v22
	s_cbranch_execz .LBB622_43
; %bb.42:
	v_lshlrev_b32_e32 v21, 1, v22
	s_delay_alu instid0(VALU_DEP_1) | instskip(NEXT) | instid1(VALU_DEP_1)
	v_add_co_u32 v21, s9, s2, v21
	v_add_co_ci_u32_e64 v22, null, s3, 0, s9
	flat_load_u16 v21, v[21:22]
.LBB622_43:
	s_or_b32 exec_lo, exec_lo, s8
	v_or_b32_e32 v23, 0xa00, v0
	s_mov_b32 s8, exec_lo
                                        ; implicit-def: $vgpr22
	s_delay_alu instid0(VALU_DEP_1)
	v_cmpx_gt_u32_e64 s10, v23
	s_cbranch_execz .LBB622_45
; %bb.44:
	v_lshlrev_b32_e32 v22, 1, v23
	s_delay_alu instid0(VALU_DEP_1) | instskip(NEXT) | instid1(VALU_DEP_1)
	v_add_co_u32 v22, s9, s2, v22
	v_add_co_ci_u32_e64 v23, null, s3, 0, s9
	flat_load_u16 v22, v[22:23]
.LBB622_45:
	s_or_b32 exec_lo, exec_lo, s8
	v_or_b32_e32 v24, 0xa80, v0
	s_mov_b32 s8, exec_lo
                                        ; implicit-def: $vgpr23
	s_delay_alu instid0(VALU_DEP_1)
	v_cmpx_gt_u32_e64 s10, v24
	s_cbranch_execz .LBB622_47
; %bb.46:
	v_lshlrev_b32_e32 v23, 1, v24
	s_delay_alu instid0(VALU_DEP_1) | instskip(NEXT) | instid1(VALU_DEP_1)
	v_add_co_u32 v23, s9, s2, v23
	v_add_co_ci_u32_e64 v24, null, s3, 0, s9
	flat_load_u16 v23, v[23:24]
.LBB622_47:
	s_or_b32 exec_lo, exec_lo, s8
	v_or_b32_e32 v25, 0xb00, v0
	s_mov_b32 s8, exec_lo
                                        ; implicit-def: $vgpr24
	s_delay_alu instid0(VALU_DEP_1)
	v_cmpx_gt_u32_e64 s10, v25
	s_cbranch_execz .LBB622_49
; %bb.48:
	v_lshlrev_b32_e32 v24, 1, v25
	s_delay_alu instid0(VALU_DEP_1) | instskip(NEXT) | instid1(VALU_DEP_1)
	v_add_co_u32 v24, s9, s2, v24
	v_add_co_ci_u32_e64 v25, null, s3, 0, s9
	flat_load_u16 v24, v[24:25]
.LBB622_49:
	s_or_b32 exec_lo, exec_lo, s8
	v_or_b32_e32 v26, 0xb80, v0
	s_mov_b32 s8, exec_lo
                                        ; implicit-def: $vgpr25
	s_delay_alu instid0(VALU_DEP_1)
	v_cmpx_gt_u32_e64 s10, v26
	s_cbranch_execz .LBB622_51
; %bb.50:
	v_lshlrev_b32_e32 v25, 1, v26
	s_delay_alu instid0(VALU_DEP_1) | instskip(NEXT) | instid1(VALU_DEP_1)
	v_add_co_u32 v25, s9, s2, v25
	v_add_co_ci_u32_e64 v26, null, s3, 0, s9
	flat_load_u16 v25, v[25:26]
.LBB622_51:
	s_or_b32 exec_lo, exec_lo, s8
	v_or_b32_e32 v27, 0xc00, v0
	s_mov_b32 s8, exec_lo
                                        ; implicit-def: $vgpr26
	s_delay_alu instid0(VALU_DEP_1)
	v_cmpx_gt_u32_e64 s10, v27
	s_cbranch_execz .LBB622_53
; %bb.52:
	v_lshlrev_b32_e32 v26, 1, v27
	s_delay_alu instid0(VALU_DEP_1) | instskip(NEXT) | instid1(VALU_DEP_1)
	v_add_co_u32 v26, s9, s2, v26
	v_add_co_ci_u32_e64 v27, null, s3, 0, s9
	flat_load_u16 v26, v[26:27]
.LBB622_53:
	s_or_b32 exec_lo, exec_lo, s8
	v_or_b32_e32 v28, 0xc80, v0
	s_mov_b32 s8, exec_lo
                                        ; implicit-def: $vgpr27
	s_delay_alu instid0(VALU_DEP_1)
	v_cmpx_gt_u32_e64 s10, v28
	s_cbranch_execz .LBB622_55
; %bb.54:
	v_lshlrev_b32_e32 v27, 1, v28
	s_delay_alu instid0(VALU_DEP_1) | instskip(NEXT) | instid1(VALU_DEP_1)
	v_add_co_u32 v27, s9, s2, v27
	v_add_co_ci_u32_e64 v28, null, s3, 0, s9
	flat_load_u16 v27, v[27:28]
.LBB622_55:
	s_or_b32 exec_lo, exec_lo, s8
	v_or_b32_e32 v29, 0xd00, v0
	s_mov_b32 s8, exec_lo
                                        ; implicit-def: $vgpr28
	s_delay_alu instid0(VALU_DEP_1)
	v_cmpx_gt_u32_e64 s10, v29
	s_cbranch_execz .LBB622_57
; %bb.56:
	v_lshlrev_b32_e32 v28, 1, v29
	s_delay_alu instid0(VALU_DEP_1) | instskip(NEXT) | instid1(VALU_DEP_1)
	v_add_co_u32 v28, s9, s2, v28
	v_add_co_ci_u32_e64 v29, null, s3, 0, s9
	flat_load_u16 v28, v[28:29]
.LBB622_57:
	s_or_b32 exec_lo, exec_lo, s8
	v_or_b32_e32 v30, 0xd80, v0
	s_mov_b32 s8, exec_lo
                                        ; implicit-def: $vgpr29
	s_delay_alu instid0(VALU_DEP_1)
	v_cmpx_gt_u32_e64 s10, v30
	s_cbranch_execz .LBB622_59
; %bb.58:
	v_lshlrev_b32_e32 v29, 1, v30
	s_delay_alu instid0(VALU_DEP_1) | instskip(NEXT) | instid1(VALU_DEP_1)
	v_add_co_u32 v29, s9, s2, v29
	v_add_co_ci_u32_e64 v30, null, s3, 0, s9
	flat_load_u16 v29, v[29:30]
.LBB622_59:
	s_or_b32 exec_lo, exec_lo, s8
	v_or_b32_e32 v31, 0xe00, v0
	s_mov_b32 s8, exec_lo
                                        ; implicit-def: $vgpr30
	s_delay_alu instid0(VALU_DEP_1)
	v_cmpx_gt_u32_e64 s10, v31
	s_cbranch_execz .LBB622_61
; %bb.60:
	v_lshlrev_b32_e32 v30, 1, v31
	s_delay_alu instid0(VALU_DEP_1) | instskip(NEXT) | instid1(VALU_DEP_1)
	v_add_co_u32 v30, s9, s2, v30
	v_add_co_ci_u32_e64 v31, null, s3, 0, s9
	flat_load_u16 v30, v[30:31]
.LBB622_61:
	s_or_b32 exec_lo, exec_lo, s8
	v_or_b32_e32 v32, 0xe80, v0
	s_mov_b32 s8, exec_lo
                                        ; implicit-def: $vgpr31
	s_delay_alu instid0(VALU_DEP_1)
	v_cmpx_gt_u32_e64 s10, v32
	s_cbranch_execz .LBB622_63
; %bb.62:
	v_lshlrev_b32_e32 v31, 1, v32
	s_delay_alu instid0(VALU_DEP_1) | instskip(NEXT) | instid1(VALU_DEP_1)
	v_add_co_u32 v31, s2, s2, v31
	v_add_co_ci_u32_e64 v32, null, s3, 0, s2
	flat_load_u16 v31, v[31:32]
.LBB622_63:
	s_or_b32 exec_lo, exec_lo, s8
	s_waitcnt vmcnt(0) lgkmcnt(0)
	ds_store_b16 v1, v2
	ds_store_b16 v1, v3 offset:256
	ds_store_b16 v1, v4 offset:512
	;; [unrolled: 1-line block ×29, first 2 shown]
	s_waitcnt lgkmcnt(0)
	s_barrier
.LBB622_64:
	v_mul_u32_u24_e32 v1, 30, v0
	s_waitcnt lgkmcnt(0)
	buffer_gl0_inv
	s_and_not1_b32 vcc_lo, exec_lo, s13
	v_lshlrev_b32_e32 v2, 1, v1
	ds_load_b32 v81, v2 offset:56
	ds_load_2addr_b32 v[9:10], v2 offset0:12 offset1:13
	ds_load_2addr_b32 v[11:12], v2 offset0:10 offset1:11
	ds_load_2addr_b32 v[21:22], v2 offset1:1
	ds_load_2addr_b32 v[19:20], v2 offset0:2 offset1:3
	ds_load_2addr_b32 v[17:18], v2 offset0:4 offset1:5
	;; [unrolled: 1-line block ×4, first 2 shown]
	s_waitcnt lgkmcnt(0)
	s_barrier
	buffer_gl0_inv
	v_lshrrev_b32_e32 v82, 16, v81
	v_lshrrev_b32_e32 v84, 16, v9
	v_lshrrev_b32_e32 v83, 16, v10
	v_lshrrev_b32_e32 v86, 16, v11
	v_lshrrev_b32_e32 v85, 16, v12
	v_lshrrev_b32_e32 v96, 16, v21
	v_lshrrev_b32_e32 v95, 16, v22
	v_lshrrev_b32_e32 v94, 16, v19
	v_lshrrev_b32_e32 v93, 16, v20
	v_lshrrev_b32_e32 v92, 16, v17
	v_lshrrev_b32_e32 v91, 16, v18
	v_lshrrev_b32_e32 v90, 16, v15
	v_lshrrev_b32_e32 v89, 16, v16
	v_lshrrev_b32_e32 v88, 16, v13
	v_lshrrev_b32_e32 v87, 16, v14
	s_cbranch_vccnz .LBB622_66
; %bb.65:
	v_bfe_i32 v25, v21, 0, 16
	v_bfe_i32 v26, v96, 0, 16
	;; [unrolled: 1-line block ×5, first 2 shown]
	v_mul_lo_u32 v25, 0xaaaaaaab, v25
	v_mul_lo_u32 v26, 0xaaaaaaab, v26
	;; [unrolled: 1-line block ×4, first 2 shown]
	v_bfe_i32 v30, v94, 0, 16
	v_bfe_i32 v31, v20, 0, 16
	;; [unrolled: 1-line block ×4, first 2 shown]
	v_cmp_lt_u32_e32 vcc_lo, 0x55555555, v25
	v_mul_lo_u32 v25, 0xaaaaaaab, v29
	v_bfe_i32 v34, v92, 0, 16
	v_bfe_i32 v35, v18, 0, 16
	v_bfe_i32 v36, v91, 0, 16
	v_cndmask_b32_e64 v98, 0, 1, vcc_lo
	v_cmp_lt_u32_e32 vcc_lo, 0x55555555, v26
	v_mul_lo_u32 v26, 0xaaaaaaab, v30
	v_bfe_i32 v37, v15, 0, 16
	v_bfe_i32 v38, v90, 0, 16
	v_bfe_i32 v39, v16, 0, 16
	v_cndmask_b32_e64 v97, 0, 1, vcc_lo
	;; [unrolled: 6-line block ×5, first 2 shown]
	v_cmp_lt_u32_e32 vcc_lo, 0x55555555, v26
	v_mul_lo_u32 v26, 0xaaaaaaab, v33
	v_mul_lo_u32 v24, 0xaaaaaaab, v24
	;; [unrolled: 1-line block ×3, first 2 shown]
	v_bfe_i32 v7, v9, 0, 16
	v_cndmask_b32_e64 v101, 0, 1, vcc_lo
	v_cmp_lt_u32_e32 vcc_lo, 0x55555555, v27
	v_mul_lo_u32 v27, 0xaaaaaaab, v35
	v_mul_lo_u32 v8, 0xaaaaaaab, v8
	v_bfe_i32 v6, v84, 0, 16
	v_mul_lo_u32 v7, 0xaaaaaaab, v7
	v_cndmask_b32_e64 v104, 0, 1, vcc_lo
	v_cmp_lt_u32_e32 vcc_lo, 0x55555555, v25
	v_mul_lo_u32 v25, 0xaaaaaaab, v36
	v_bfe_i32 v5, v10, 0, 16
	v_mul_lo_u32 v6, 0xaaaaaaab, v6
	v_bfe_i32 v4, v83, 0, 16
	v_cndmask_b32_e64 v103, 0, 1, vcc_lo
	v_cmp_lt_u32_e32 vcc_lo, 0x55555555, v26
	v_mul_lo_u32 v26, 0xaaaaaaab, v37
	v_mul_lo_u32 v5, 0xaaaaaaab, v5
	v_bfe_i32 v3, v81, 0, 16
	v_bfe_i32 v2, v82, 0, 16
	v_cndmask_b32_e64 v106, 0, 1, vcc_lo
	v_cmp_lt_u32_e32 vcc_lo, 0x55555555, v28
	v_mul_lo_u32 v28, 0xaaaaaaab, v40
	v_mul_lo_u32 v4, 0xaaaaaaab, v4
	;; [unrolled: 1-line block ×4, first 2 shown]
	v_cndmask_b32_e64 v105, 0, 1, vcc_lo
	v_cmp_lt_u32_e32 vcc_lo, 0x55555555, v27
	v_mul_lo_u32 v27, 0xaaaaaaab, v38
	v_cndmask_b32_e64 v108, 0, 1, vcc_lo
	v_cmp_lt_u32_e32 vcc_lo, 0x55555555, v25
	v_mul_lo_u32 v25, 0xaaaaaaab, v39
	v_cmp_lt_u32_e64 s2, 0x55555555, v3
	v_cndmask_b32_e64 v107, 0, 1, vcc_lo
	v_cmp_lt_u32_e32 vcc_lo, 0x55555555, v26
	v_mul_lo_u32 v26, 0xaaaaaaab, v41
	s_delay_alu instid0(VALU_DEP_4)
	v_cndmask_b32_e64 v125, 0, 1, s2
	v_cndmask_b32_e64 v110, 0, 1, vcc_lo
	v_cmp_lt_u32_e32 vcc_lo, 0x55555555, v27
	v_mul_lo_u32 v27, 0xaaaaaaab, v42
	v_cndmask_b32_e64 v109, 0, 1, vcc_lo
	v_cmp_lt_u32_e32 vcc_lo, 0x55555555, v25
	v_mul_lo_u32 v25, 0xaaaaaaab, v43
	v_cndmask_b32_e64 v112, 0, 1, vcc_lo
	v_cmp_lt_u32_e32 vcc_lo, 0x55555555, v28
	v_cndmask_b32_e64 v111, 0, 1, vcc_lo
	v_cmp_lt_u32_e32 vcc_lo, 0x55555555, v26
	v_mul_lo_u32 v26, 0xaaaaaaab, v44
	v_cndmask_b32_e64 v114, 0, 1, vcc_lo
	v_cmp_lt_u32_e32 vcc_lo, 0x55555555, v27
	v_mul_lo_u32 v27, 0xaaaaaaab, v45
	v_cndmask_b32_e64 v113, 0, 1, vcc_lo
	v_cmp_lt_u32_e32 vcc_lo, 0x55555555, v25
	v_cndmask_b32_e64 v116, 0, 1, vcc_lo
	v_cmp_lt_u32_e32 vcc_lo, 0x55555555, v26
	v_cndmask_b32_e64 v115, 0, 1, vcc_lo
	v_cmp_lt_u32_e32 vcc_lo, 0x55555555, v27
	v_cndmask_b32_e64 v118, 0, 1, vcc_lo
	v_cmp_lt_u32_e32 vcc_lo, 0x55555555, v24
	v_cndmask_b32_e64 v117, 0, 1, vcc_lo
	v_cmp_lt_u32_e32 vcc_lo, 0x55555555, v23
	v_cndmask_b32_e64 v120, 0, 1, vcc_lo
	v_cmp_lt_u32_e32 vcc_lo, 0x55555555, v8
	v_cndmask_b32_e64 v119, 0, 1, vcc_lo
	v_cmp_lt_u32_e32 vcc_lo, 0x55555555, v7
	v_cndmask_b32_e64 v122, 0, 1, vcc_lo
	v_cmp_lt_u32_e32 vcc_lo, 0x55555555, v6
	v_cndmask_b32_e64 v121, 0, 1, vcc_lo
	v_cmp_lt_u32_e32 vcc_lo, 0x55555555, v5
	v_cndmask_b32_e64 v124, 0, 1, vcc_lo
	v_cmp_lt_u32_e32 vcc_lo, 0x55555555, v4
	v_cndmask_b32_e64 v123, 0, 1, vcc_lo
	v_cmp_lt_u32_e32 vcc_lo, 0x55555555, v2
	s_and_b32 s16, vcc_lo, exec_lo
	s_clause 0x1
	s_load_b64 s[8:9], s[0:1], 0x28
	s_load_b64 s[2:3], s[0:1], 0x60
	s_cbranch_execz .LBB622_67
	s_branch .LBB622_128
.LBB622_66:
                                        ; implicit-def: $sgpr16
                                        ; implicit-def: $vgpr98
                                        ; implicit-def: $vgpr97
                                        ; implicit-def: $vgpr100
                                        ; implicit-def: $vgpr99
                                        ; implicit-def: $vgpr102
                                        ; implicit-def: $vgpr101
                                        ; implicit-def: $vgpr104
                                        ; implicit-def: $vgpr103
                                        ; implicit-def: $vgpr106
                                        ; implicit-def: $vgpr105
                                        ; implicit-def: $vgpr108
                                        ; implicit-def: $vgpr107
                                        ; implicit-def: $vgpr110
                                        ; implicit-def: $vgpr109
                                        ; implicit-def: $vgpr112
                                        ; implicit-def: $vgpr111
                                        ; implicit-def: $vgpr114
                                        ; implicit-def: $vgpr113
                                        ; implicit-def: $vgpr116
                                        ; implicit-def: $vgpr115
                                        ; implicit-def: $vgpr118
                                        ; implicit-def: $vgpr117
                                        ; implicit-def: $vgpr120
                                        ; implicit-def: $vgpr119
                                        ; implicit-def: $vgpr122
                                        ; implicit-def: $vgpr121
                                        ; implicit-def: $vgpr124
                                        ; implicit-def: $vgpr123
                                        ; implicit-def: $vgpr125
	s_clause 0x1
	s_load_b64 s[8:9], s[0:1], 0x28
	s_load_b64 s[2:3], s[0:1], 0x60
.LBB622_67:
	v_dual_mov_b32 v97, 0 :: v_dual_mov_b32 v98, 0
	s_mov_b32 s0, exec_lo
	v_cmpx_gt_u32_e64 s10, v1
; %bb.68:
	v_bfe_i32 v2, v21, 0, 16
	s_delay_alu instid0(VALU_DEP_1) | instskip(NEXT) | instid1(VALU_DEP_1)
	v_mul_lo_u32 v2, 0xaaaaaaab, v2
	v_cmp_lt_u32_e32 vcc_lo, 0x55555555, v2
	v_cndmask_b32_e64 v98, 0, 1, vcc_lo
; %bb.69:
	s_or_b32 exec_lo, exec_lo, s0
	v_or_b32_e32 v2, 1, v1
	s_mov_b32 s0, exec_lo
	s_delay_alu instid0(VALU_DEP_1)
	v_cmpx_gt_u32_e64 s10, v2
; %bb.70:
	v_bfe_i32 v2, v96, 0, 16
	s_delay_alu instid0(VALU_DEP_1) | instskip(NEXT) | instid1(VALU_DEP_1)
	v_mul_lo_u32 v2, 0xaaaaaaab, v2
	v_cmp_lt_u32_e32 vcc_lo, 0x55555555, v2
	v_cndmask_b32_e64 v97, 0, 1, vcc_lo
; %bb.71:
	s_or_b32 exec_lo, exec_lo, s0
	v_dual_mov_b32 v99, 0 :: v_dual_add_nc_u32 v2, 2, v1
	v_mov_b32_e32 v100, 0
	s_mov_b32 s0, exec_lo
	s_delay_alu instid0(VALU_DEP_2)
	v_cmpx_gt_u32_e64 s10, v2
; %bb.72:
	v_bfe_i32 v2, v22, 0, 16
	s_delay_alu instid0(VALU_DEP_1) | instskip(NEXT) | instid1(VALU_DEP_1)
	v_mul_lo_u32 v2, 0xaaaaaaab, v2
	v_cmp_lt_u32_e32 vcc_lo, 0x55555555, v2
	v_cndmask_b32_e64 v100, 0, 1, vcc_lo
; %bb.73:
	s_or_b32 exec_lo, exec_lo, s0
	v_add_nc_u32_e32 v2, 3, v1
	s_mov_b32 s0, exec_lo
	s_delay_alu instid0(VALU_DEP_1)
	v_cmpx_gt_u32_e64 s10, v2
; %bb.74:
	v_bfe_i32 v2, v95, 0, 16
	s_delay_alu instid0(VALU_DEP_1) | instskip(NEXT) | instid1(VALU_DEP_1)
	v_mul_lo_u32 v2, 0xaaaaaaab, v2
	v_cmp_lt_u32_e32 vcc_lo, 0x55555555, v2
	v_cndmask_b32_e64 v99, 0, 1, vcc_lo
; %bb.75:
	s_or_b32 exec_lo, exec_lo, s0
	v_dual_mov_b32 v101, 0 :: v_dual_add_nc_u32 v2, 4, v1
	v_mov_b32_e32 v102, 0
	s_mov_b32 s0, exec_lo
	s_delay_alu instid0(VALU_DEP_2)
	v_cmpx_gt_u32_e64 s10, v2
; %bb.76:
	v_bfe_i32 v2, v19, 0, 16
	s_delay_alu instid0(VALU_DEP_1) | instskip(NEXT) | instid1(VALU_DEP_1)
	v_mul_lo_u32 v2, 0xaaaaaaab, v2
	v_cmp_lt_u32_e32 vcc_lo, 0x55555555, v2
	v_cndmask_b32_e64 v102, 0, 1, vcc_lo
; %bb.77:
	s_or_b32 exec_lo, exec_lo, s0
	v_add_nc_u32_e32 v2, 5, v1
	;; [unrolled: 25-line block ×13, first 2 shown]
	s_mov_b32 s0, exec_lo
	s_delay_alu instid0(VALU_DEP_1)
	v_cmpx_gt_u32_e64 s10, v2
; %bb.122:
	v_bfe_i32 v2, v83, 0, 16
	s_delay_alu instid0(VALU_DEP_1) | instskip(NEXT) | instid1(VALU_DEP_1)
	v_mul_lo_u32 v2, 0xaaaaaaab, v2
	v_cmp_lt_u32_e32 vcc_lo, 0x55555555, v2
	v_cndmask_b32_e64 v123, 0, 1, vcc_lo
; %bb.123:
	s_or_b32 exec_lo, exec_lo, s0
	v_dual_mov_b32 v125, 0 :: v_dual_add_nc_u32 v2, 28, v1
	s_mov_b32 s0, exec_lo
	s_delay_alu instid0(VALU_DEP_1)
	v_cmpx_gt_u32_e64 s10, v2
; %bb.124:
	v_bfe_i32 v2, v81, 0, 16
	s_delay_alu instid0(VALU_DEP_1) | instskip(NEXT) | instid1(VALU_DEP_1)
	v_mul_lo_u32 v2, 0xaaaaaaab, v2
	v_cmp_lt_u32_e32 vcc_lo, 0x55555555, v2
	v_cndmask_b32_e64 v125, 0, 1, vcc_lo
; %bb.125:
	s_or_b32 exec_lo, exec_lo, s0
	v_add_nc_u32_e32 v1, 29, v1
	s_mov_b32 s16, 0
	s_mov_b32 s0, exec_lo
	s_delay_alu instid0(VALU_DEP_1)
	v_cmpx_gt_u32_e64 s10, v1
; %bb.126:
	v_bfe_i32 v1, v82, 0, 16
	s_delay_alu instid0(VALU_DEP_1) | instskip(NEXT) | instid1(VALU_DEP_1)
	v_mul_lo_u32 v1, 0xaaaaaaab, v1
	v_cmp_lt_u32_e32 vcc_lo, 0x55555555, v1
	s_and_b32 s16, vcc_lo, exec_lo
; %bb.127:
	s_or_b32 exec_lo, exec_lo, s0
.LBB622_128:
	v_dual_mov_b32 v2, 0 :: v_dual_and_b32 v79, 0xff, v125
	v_cndmask_b32_e64 v1, 0, 1, s16
	v_and_b32_e32 v80, 0xff, v123
	v_and_b32_e32 v126, 0xff, v124
	;; [unrolled: 1-line block ×4, first 2 shown]
	v_add_co_u32 v1, s0, v79, v1
	s_delay_alu instid0(VALU_DEP_1) | instskip(SKIP_1) | instid1(VALU_DEP_3)
	v_add_co_ci_u32_e64 v3, null, 0, 0, s0
	v_and_b32_e32 v129, 0xff, v119
	v_add_co_u32 v1, vcc_lo, v1, v80
	s_delay_alu instid0(VALU_DEP_3) | instskip(SKIP_1) | instid1(VALU_DEP_3)
	v_add_co_ci_u32_e32 v3, vcc_lo, 0, v3, vcc_lo
	v_and_b32_e32 v31, 0xff, v120
	v_add_co_u32 v1, vcc_lo, v1, v126
	s_delay_alu instid0(VALU_DEP_3) | instskip(SKIP_1) | instid1(VALU_DEP_3)
	v_add_co_ci_u32_e32 v3, vcc_lo, 0, v3, vcc_lo
	;; [unrolled: 4-line block ×23, first 2 shown]
	v_mbcnt_lo_u32_b32 v54, -1, 0
	v_add_co_u32 v1, vcc_lo, v1, v50
	s_delay_alu instid0(VALU_DEP_3) | instskip(SKIP_1) | instid1(VALU_DEP_3)
	v_add_co_ci_u32_e32 v3, vcc_lo, 0, v3, vcc_lo
	v_and_b32_e32 v42, 0xff, v98
	v_add_co_u32 v1, vcc_lo, v1, v51
	s_delay_alu instid0(VALU_DEP_3) | instskip(SKIP_1) | instid1(VALU_DEP_3)
	v_add_co_ci_u32_e32 v3, vcc_lo, 0, v3, vcc_lo
	v_and_b32_e32 v55, 15, v54
	v_add_co_u32 v1, vcc_lo, v1, v52
	s_delay_alu instid0(VALU_DEP_3) | instskip(NEXT) | instid1(VALU_DEP_3)
	v_add_co_ci_u32_e32 v3, vcc_lo, 0, v3, vcc_lo
	v_cmp_ne_u32_e64 s0, 0, v55
	s_delay_alu instid0(VALU_DEP_3) | instskip(NEXT) | instid1(VALU_DEP_3)
	v_add_co_u32 v1, vcc_lo, v1, v53
	v_add_co_ci_u32_e32 v3, vcc_lo, 0, v3, vcc_lo
	s_cmp_lg_u32 s15, 0
	s_delay_alu instid0(VALU_DEP_2) | instskip(NEXT) | instid1(VALU_DEP_2)
	v_add_co_u32 v23, vcc_lo, v1, v42
	v_add_co_ci_u32_e32 v24, vcc_lo, 0, v3, vcc_lo
	s_mov_b32 s1, -1
	s_cbranch_scc0 .LBB622_188
; %bb.129:
	s_delay_alu instid0(VALU_DEP_2)
	v_mov_b32_e32 v3, v23
	v_mov_b32_dpp v1, v23 row_shr:1 row_mask:0xf bank_mask:0xf
	v_mov_b32_dpp v6, v2 row_shr:1 row_mask:0xf bank_mask:0xf
	v_dual_mov_b32 v5, v23 :: v_dual_mov_b32 v4, v24
	s_and_saveexec_b32 s1, s0
; %bb.130:
	s_delay_alu instid0(VALU_DEP_3) | instskip(SKIP_1) | instid1(VALU_DEP_2)
	v_add_co_u32 v5, vcc_lo, v23, v1
	v_add_co_ci_u32_e32 v2, vcc_lo, 0, v24, vcc_lo
	v_add_co_u32 v1, vcc_lo, 0, v5
	s_delay_alu instid0(VALU_DEP_2) | instskip(NEXT) | instid1(VALU_DEP_1)
	v_add_co_ci_u32_e32 v2, vcc_lo, v6, v2, vcc_lo
	v_dual_mov_b32 v4, v2 :: v_dual_mov_b32 v3, v1
; %bb.131:
	s_or_b32 exec_lo, exec_lo, s1
	v_mov_b32_dpp v1, v5 row_shr:2 row_mask:0xf bank_mask:0xf
	v_mov_b32_dpp v6, v2 row_shr:2 row_mask:0xf bank_mask:0xf
	s_mov_b32 s1, exec_lo
	v_cmpx_lt_u32_e32 1, v55
; %bb.132:
	s_delay_alu instid0(VALU_DEP_3) | instskip(SKIP_1) | instid1(VALU_DEP_2)
	v_add_co_u32 v5, vcc_lo, v3, v1
	v_add_co_ci_u32_e32 v2, vcc_lo, 0, v4, vcc_lo
	v_add_co_u32 v1, vcc_lo, 0, v5
	s_delay_alu instid0(VALU_DEP_2) | instskip(NEXT) | instid1(VALU_DEP_1)
	v_add_co_ci_u32_e32 v2, vcc_lo, v6, v2, vcc_lo
	v_dual_mov_b32 v4, v2 :: v_dual_mov_b32 v3, v1
; %bb.133:
	s_or_b32 exec_lo, exec_lo, s1
	v_mov_b32_dpp v1, v5 row_shr:4 row_mask:0xf bank_mask:0xf
	v_mov_b32_dpp v6, v2 row_shr:4 row_mask:0xf bank_mask:0xf
	s_mov_b32 s1, exec_lo
	v_cmpx_lt_u32_e32 3, v55
	;; [unrolled: 14-line block ×3, first 2 shown]
; %bb.136:
	s_delay_alu instid0(VALU_DEP_3) | instskip(SKIP_1) | instid1(VALU_DEP_2)
	v_add_co_u32 v5, vcc_lo, v3, v6
	v_add_co_ci_u32_e32 v2, vcc_lo, 0, v4, vcc_lo
	v_add_co_u32 v3, vcc_lo, 0, v5
	s_delay_alu instid0(VALU_DEP_2) | instskip(NEXT) | instid1(VALU_DEP_1)
	v_add_co_ci_u32_e32 v4, vcc_lo, v1, v2, vcc_lo
	v_mov_b32_e32 v2, v4
; %bb.137:
	s_or_b32 exec_lo, exec_lo, s1
	ds_swizzle_b32 v1, v5 offset:swizzle(BROADCAST,32,15)
	ds_swizzle_b32 v6, v2 offset:swizzle(BROADCAST,32,15)
	v_and_b32_e32 v7, 16, v54
	s_mov_b32 s1, exec_lo
	s_delay_alu instid0(VALU_DEP_1)
	v_cmpx_ne_u32_e32 0, v7
	s_cbranch_execz .LBB622_139
; %bb.138:
	s_waitcnt lgkmcnt(0)
	v_add_co_u32 v5, vcc_lo, v3, v1
	v_add_co_ci_u32_e32 v2, vcc_lo, 0, v4, vcc_lo
	s_delay_alu instid0(VALU_DEP_2) | instskip(NEXT) | instid1(VALU_DEP_2)
	v_add_co_u32 v1, vcc_lo, 0, v5
	v_add_co_ci_u32_e32 v2, vcc_lo, v6, v2, vcc_lo
	s_delay_alu instid0(VALU_DEP_1)
	v_dual_mov_b32 v4, v2 :: v_dual_mov_b32 v3, v1
.LBB622_139:
	s_or_b32 exec_lo, exec_lo, s1
	s_waitcnt lgkmcnt(0)
	v_or_b32_e32 v6, 31, v0
	v_lshrrev_b32_e32 v1, 5, v0
	s_mov_b32 s1, exec_lo
	s_delay_alu instid0(VALU_DEP_2)
	v_cmpx_eq_u32_e64 v6, v0
	s_cbranch_execz .LBB622_141
; %bb.140:
	s_delay_alu instid0(VALU_DEP_2)
	v_lshlrev_b32_e32 v6, 3, v1
	ds_store_b64 v6, v[3:4]
.LBB622_141:
	s_or_b32 exec_lo, exec_lo, s1
	s_delay_alu instid0(SALU_CYCLE_1)
	s_mov_b32 s1, exec_lo
	s_waitcnt lgkmcnt(0)
	s_barrier
	buffer_gl0_inv
	v_cmpx_gt_u32_e32 4, v0
	s_cbranch_execz .LBB622_147
; %bb.142:
	v_lshlrev_b32_e32 v6, 3, v0
	s_mov_b32 s10, exec_lo
	ds_load_b64 v[3:4], v6
	s_waitcnt lgkmcnt(0)
	v_dual_mov_b32 v8, v3 :: v_dual_and_b32 v7, 3, v54
	v_mov_b32_dpp v26, v3 row_shr:1 row_mask:0xf bank_mask:0xf
	v_mov_b32_dpp v25, v4 row_shr:1 row_mask:0xf bank_mask:0xf
	s_delay_alu instid0(VALU_DEP_3)
	v_cmpx_ne_u32_e32 0, v7
; %bb.143:
	s_delay_alu instid0(VALU_DEP_3) | instskip(SKIP_1) | instid1(VALU_DEP_2)
	v_add_co_u32 v8, vcc_lo, v3, v26
	v_add_co_ci_u32_e32 v4, vcc_lo, 0, v4, vcc_lo
	v_add_co_u32 v3, vcc_lo, 0, v8
	s_delay_alu instid0(VALU_DEP_2)
	v_add_co_ci_u32_e32 v4, vcc_lo, v25, v4, vcc_lo
; %bb.144:
	s_or_b32 exec_lo, exec_lo, s10
	v_mov_b32_dpp v25, v8 row_shr:2 row_mask:0xf bank_mask:0xf
	s_delay_alu instid0(VALU_DEP_2)
	v_mov_b32_dpp v8, v4 row_shr:2 row_mask:0xf bank_mask:0xf
	s_mov_b32 s10, exec_lo
	v_cmpx_lt_u32_e32 1, v7
; %bb.145:
	s_delay_alu instid0(VALU_DEP_3) | instskip(SKIP_1) | instid1(VALU_DEP_2)
	v_add_co_u32 v3, vcc_lo, v3, v25
	v_add_co_ci_u32_e32 v4, vcc_lo, 0, v4, vcc_lo
	v_add_co_u32 v3, vcc_lo, v3, 0
	s_delay_alu instid0(VALU_DEP_2)
	v_add_co_ci_u32_e32 v4, vcc_lo, v4, v8, vcc_lo
; %bb.146:
	s_or_b32 exec_lo, exec_lo, s10
	ds_store_b64 v6, v[3:4]
.LBB622_147:
	s_or_b32 exec_lo, exec_lo, s1
	v_cmp_gt_u32_e32 vcc_lo, 32, v0
	s_mov_b32 s10, exec_lo
	s_waitcnt lgkmcnt(0)
	s_barrier
	buffer_gl0_inv
                                        ; implicit-def: $vgpr25_vgpr26
	v_cmpx_lt_u32_e32 31, v0
	s_cbranch_execz .LBB622_149
; %bb.148:
	v_lshl_add_u32 v1, v1, 3, -8
	ds_load_b64 v[25:26], v1
	s_waitcnt lgkmcnt(0)
	v_add_co_u32 v5, s1, v5, v25
	s_delay_alu instid0(VALU_DEP_1)
	v_add_co_ci_u32_e64 v2, s1, v2, v26, s1
.LBB622_149:
	s_or_b32 exec_lo, exec_lo, s10
	v_add_nc_u32_e32 v1, -1, v54
	s_delay_alu instid0(VALU_DEP_1) | instskip(NEXT) | instid1(VALU_DEP_1)
	v_cmp_gt_i32_e64 s1, 0, v1
	v_cndmask_b32_e64 v1, v1, v54, s1
	v_cmp_eq_u32_e64 s1, 0, v54
	s_delay_alu instid0(VALU_DEP_2)
	v_lshlrev_b32_e32 v1, 2, v1
	ds_bpermute_b32 v56, v1, v5
	ds_bpermute_b32 v57, v1, v2
	s_and_saveexec_b32 s10, vcc_lo
	s_cbranch_execz .LBB622_187
; %bb.150:
	v_mov_b32_e32 v4, 0
	ds_load_b64 v[1:2], v4 offset:24
	s_and_saveexec_b32 s11, s1
	s_cbranch_execz .LBB622_152
; %bb.151:
	s_add_i32 s18, s15, 32
	s_mov_b32 s19, 0
	s_delay_alu instid0(SALU_CYCLE_1) | instskip(NEXT) | instid1(SALU_CYCLE_1)
	s_lshl_b64 s[18:19], s[18:19], 4
	s_add_u32 s18, s2, s18
	s_addc_u32 s19, s3, s19
	v_mov_b32_e32 v5, s18
	v_dual_mov_b32 v3, 1 :: v_dual_mov_b32 v6, s19
	s_waitcnt lgkmcnt(0)
	;;#ASMSTART
	global_store_dwordx4 v[5:6], v[1:4] off	
s_waitcnt vmcnt(0)
	;;#ASMEND
.LBB622_152:
	s_or_b32 exec_lo, exec_lo, s11
	v_xad_u32 v27, v54, -1, s15
	s_mov_b32 s17, 0
	s_mov_b32 s11, exec_lo
	s_delay_alu instid0(VALU_DEP_1) | instskip(NEXT) | instid1(VALU_DEP_1)
	v_add_nc_u32_e32 v3, 32, v27
	v_lshlrev_b64 v[3:4], 4, v[3:4]
	s_delay_alu instid0(VALU_DEP_1) | instskip(NEXT) | instid1(VALU_DEP_2)
	v_add_co_u32 v3, vcc_lo, s2, v3
	v_add_co_ci_u32_e32 v4, vcc_lo, s3, v4, vcc_lo
	;;#ASMSTART
	global_load_dwordx4 v[5:8], v[3:4] off glc	
s_waitcnt vmcnt(0)
	;;#ASMEND
	v_and_b32_e32 v8, 0xff, v6
	v_and_b32_e32 v28, 0xff00, v6
	v_or3_b32 v5, v5, 0, 0
	v_and_b32_e32 v29, 0xff000000, v6
	v_and_b32_e32 v6, 0xff0000, v6
	s_delay_alu instid0(VALU_DEP_4) | instskip(SKIP_2) | instid1(VALU_DEP_3)
	v_or3_b32 v8, 0, v8, v28
	v_and_b32_e32 v28, 0xff, v7
	v_or3_b32 v5, v5, 0, 0
	v_or3_b32 v6, v8, v6, v29
	s_delay_alu instid0(VALU_DEP_3)
	v_cmpx_eq_u16_e32 0, v28
	s_cbranch_execz .LBB622_155
.LBB622_153:                            ; =>This Inner Loop Header: Depth=1
	;;#ASMSTART
	global_load_dwordx4 v[5:8], v[3:4] off glc	
s_waitcnt vmcnt(0)
	;;#ASMEND
	v_and_b32_e32 v8, 0xff, v7
	s_delay_alu instid0(VALU_DEP_1) | instskip(SKIP_1) | instid1(SALU_CYCLE_1)
	v_cmp_ne_u16_e32 vcc_lo, 0, v8
	s_or_b32 s17, vcc_lo, s17
	s_and_not1_b32 exec_lo, exec_lo, s17
	s_cbranch_execnz .LBB622_153
; %bb.154:
	s_or_b32 exec_lo, exec_lo, s17
.LBB622_155:
	s_delay_alu instid0(SALU_CYCLE_1)
	s_or_b32 exec_lo, exec_lo, s11
	v_cmp_ne_u32_e32 vcc_lo, 31, v54
	v_and_b32_e32 v4, 0xff, v7
	v_lshlrev_b32_e64 v59, v54, -1
	s_mov_b32 s11, exec_lo
	v_add_co_ci_u32_e32 v3, vcc_lo, 0, v54, vcc_lo
	s_delay_alu instid0(VALU_DEP_3) | instskip(SKIP_1) | instid1(VALU_DEP_3)
	v_cmp_eq_u16_e32 vcc_lo, 2, v4
	v_mov_b32_e32 v4, v5
	v_lshlrev_b32_e32 v58, 2, v3
	v_and_or_b32 v3, vcc_lo, v59, 0x80000000
	ds_bpermute_b32 v28, v58, v5
	ds_bpermute_b32 v8, v58, v6
	v_ctz_i32_b32_e32 v3, v3
	s_delay_alu instid0(VALU_DEP_1)
	v_cmpx_lt_u32_e64 v54, v3
	s_cbranch_execz .LBB622_157
; %bb.156:
	s_waitcnt lgkmcnt(1)
	v_add_co_u32 v4, vcc_lo, v5, v28
	v_add_co_ci_u32_e32 v6, vcc_lo, 0, v6, vcc_lo
	s_delay_alu instid0(VALU_DEP_2) | instskip(SKIP_1) | instid1(VALU_DEP_2)
	v_add_co_u32 v5, vcc_lo, 0, v4
	s_waitcnt lgkmcnt(0)
	v_add_co_ci_u32_e32 v6, vcc_lo, v8, v6, vcc_lo
.LBB622_157:
	s_or_b32 exec_lo, exec_lo, s11
	v_cmp_gt_u32_e32 vcc_lo, 30, v54
	v_add_nc_u32_e32 v61, 2, v54
	s_mov_b32 s11, exec_lo
	s_waitcnt lgkmcnt(0)
	v_cndmask_b32_e64 v8, 0, 1, vcc_lo
	s_delay_alu instid0(VALU_DEP_1) | instskip(NEXT) | instid1(VALU_DEP_1)
	v_lshlrev_b32_e32 v8, 1, v8
	v_add_lshl_u32 v60, v8, v54, 2
	ds_bpermute_b32 v28, v60, v4
	ds_bpermute_b32 v8, v60, v6
	v_cmpx_le_u32_e64 v61, v3
	s_cbranch_execz .LBB622_159
; %bb.158:
	s_waitcnt lgkmcnt(1)
	v_add_co_u32 v4, vcc_lo, v5, v28
	v_add_co_ci_u32_e32 v6, vcc_lo, 0, v6, vcc_lo
	s_delay_alu instid0(VALU_DEP_2) | instskip(SKIP_1) | instid1(VALU_DEP_2)
	v_add_co_u32 v5, vcc_lo, 0, v4
	s_waitcnt lgkmcnt(0)
	v_add_co_ci_u32_e32 v6, vcc_lo, v8, v6, vcc_lo
.LBB622_159:
	s_or_b32 exec_lo, exec_lo, s11
	v_cmp_gt_u32_e32 vcc_lo, 28, v54
	v_add_nc_u32_e32 v63, 4, v54
	s_mov_b32 s11, exec_lo
	s_waitcnt lgkmcnt(0)
	v_cndmask_b32_e64 v8, 0, 1, vcc_lo
	s_delay_alu instid0(VALU_DEP_1) | instskip(NEXT) | instid1(VALU_DEP_1)
	v_lshlrev_b32_e32 v8, 2, v8
	v_add_lshl_u32 v62, v8, v54, 2
	ds_bpermute_b32 v28, v62, v4
	ds_bpermute_b32 v8, v62, v6
	v_cmpx_le_u32_e64 v63, v3
	;; [unrolled: 22-line block ×4, first 2 shown]
	s_cbranch_execz .LBB622_165
; %bb.164:
	s_waitcnt lgkmcnt(1)
	v_add_co_u32 v3, vcc_lo, v5, v8
	v_add_co_ci_u32_e32 v6, vcc_lo, 0, v6, vcc_lo
	s_delay_alu instid0(VALU_DEP_2) | instskip(SKIP_1) | instid1(VALU_DEP_2)
	v_add_co_u32 v5, vcc_lo, v3, 0
	s_waitcnt lgkmcnt(0)
	v_add_co_ci_u32_e32 v6, vcc_lo, v6, v4, vcc_lo
.LBB622_165:
	s_or_b32 exec_lo, exec_lo, s11
	v_mov_b32_e32 v28, 0
	s_branch .LBB622_167
.LBB622_166:                            ;   in Loop: Header=BB622_167 Depth=1
	s_or_b32 exec_lo, exec_lo, s11
	v_add_co_u32 v5, vcc_lo, v5, v3
	v_subrev_nc_u32_e32 v27, 32, v27
	v_add_co_ci_u32_e32 v6, vcc_lo, v6, v4, vcc_lo
.LBB622_167:                            ; =>This Loop Header: Depth=1
                                        ;     Child Loop BB622_170 Depth 2
	v_and_b32_e32 v3, 0xff, v7
	s_delay_alu instid0(VALU_DEP_1) | instskip(SKIP_2) | instid1(VALU_DEP_1)
	v_cmp_ne_u16_e32 vcc_lo, 2, v3
	v_cndmask_b32_e64 v3, 0, 1, vcc_lo
	;;#ASMSTART
	;;#ASMEND
	v_cmp_ne_u32_e32 vcc_lo, 0, v3
	s_waitcnt lgkmcnt(0)
	v_dual_mov_b32 v3, v5 :: v_dual_mov_b32 v4, v6
	s_cmp_lg_u32 vcc_lo, exec_lo
	s_cbranch_scc1 .LBB622_182
; %bb.168:                              ;   in Loop: Header=BB622_167 Depth=1
	v_lshlrev_b64 v[5:6], 4, v[27:28]
	s_mov_b32 s11, exec_lo
	s_delay_alu instid0(VALU_DEP_1) | instskip(NEXT) | instid1(VALU_DEP_2)
	v_add_co_u32 v29, vcc_lo, s2, v5
	v_add_co_ci_u32_e32 v30, vcc_lo, s3, v6, vcc_lo
	;;#ASMSTART
	global_load_dwordx4 v[5:8], v[29:30] off glc	
s_waitcnt vmcnt(0)
	;;#ASMEND
	v_and_b32_e32 v8, 0xff, v6
	v_and_b32_e32 v68, 0xff00, v6
	v_or3_b32 v5, v5, 0, 0
	v_and_b32_e32 v69, 0xff000000, v6
	v_and_b32_e32 v6, 0xff0000, v6
	s_delay_alu instid0(VALU_DEP_4) | instskip(SKIP_2) | instid1(VALU_DEP_3)
	v_or3_b32 v8, 0, v8, v68
	v_and_b32_e32 v68, 0xff, v7
	v_or3_b32 v5, v5, 0, 0
	v_or3_b32 v6, v8, v6, v69
	s_delay_alu instid0(VALU_DEP_3)
	v_cmpx_eq_u16_e32 0, v68
	s_cbranch_execz .LBB622_172
; %bb.169:                              ;   in Loop: Header=BB622_167 Depth=1
	s_mov_b32 s17, 0
.LBB622_170:                            ;   Parent Loop BB622_167 Depth=1
                                        ; =>  This Inner Loop Header: Depth=2
	;;#ASMSTART
	global_load_dwordx4 v[5:8], v[29:30] off glc	
s_waitcnt vmcnt(0)
	;;#ASMEND
	v_and_b32_e32 v8, 0xff, v7
	s_delay_alu instid0(VALU_DEP_1) | instskip(SKIP_1) | instid1(SALU_CYCLE_1)
	v_cmp_ne_u16_e32 vcc_lo, 0, v8
	s_or_b32 s17, vcc_lo, s17
	s_and_not1_b32 exec_lo, exec_lo, s17
	s_cbranch_execnz .LBB622_170
; %bb.171:                              ;   in Loop: Header=BB622_167 Depth=1
	s_or_b32 exec_lo, exec_lo, s17
.LBB622_172:                            ;   in Loop: Header=BB622_167 Depth=1
	s_delay_alu instid0(SALU_CYCLE_1)
	s_or_b32 exec_lo, exec_lo, s11
	v_dual_mov_b32 v29, v5 :: v_dual_and_b32 v8, 0xff, v7
	ds_bpermute_b32 v68, v58, v5
	ds_bpermute_b32 v30, v58, v6
	s_mov_b32 s11, exec_lo
	v_cmp_eq_u16_e32 vcc_lo, 2, v8
	v_and_or_b32 v8, vcc_lo, v59, 0x80000000
	s_delay_alu instid0(VALU_DEP_1) | instskip(NEXT) | instid1(VALU_DEP_1)
	v_ctz_i32_b32_e32 v8, v8
	v_cmpx_lt_u32_e64 v54, v8
	s_cbranch_execz .LBB622_174
; %bb.173:                              ;   in Loop: Header=BB622_167 Depth=1
	s_waitcnt lgkmcnt(1)
	v_add_co_u32 v29, vcc_lo, v5, v68
	v_add_co_ci_u32_e32 v6, vcc_lo, 0, v6, vcc_lo
	s_delay_alu instid0(VALU_DEP_2) | instskip(SKIP_1) | instid1(VALU_DEP_2)
	v_add_co_u32 v5, vcc_lo, 0, v29
	s_waitcnt lgkmcnt(0)
	v_add_co_ci_u32_e32 v6, vcc_lo, v30, v6, vcc_lo
.LBB622_174:                            ;   in Loop: Header=BB622_167 Depth=1
	s_or_b32 exec_lo, exec_lo, s11
	s_waitcnt lgkmcnt(1)
	ds_bpermute_b32 v68, v60, v29
	s_waitcnt lgkmcnt(1)
	ds_bpermute_b32 v30, v60, v6
	s_mov_b32 s11, exec_lo
	v_cmpx_le_u32_e64 v61, v8
	s_cbranch_execz .LBB622_176
; %bb.175:                              ;   in Loop: Header=BB622_167 Depth=1
	s_waitcnt lgkmcnt(1)
	v_add_co_u32 v29, vcc_lo, v5, v68
	v_add_co_ci_u32_e32 v6, vcc_lo, 0, v6, vcc_lo
	s_delay_alu instid0(VALU_DEP_2) | instskip(SKIP_1) | instid1(VALU_DEP_2)
	v_add_co_u32 v5, vcc_lo, 0, v29
	s_waitcnt lgkmcnt(0)
	v_add_co_ci_u32_e32 v6, vcc_lo, v30, v6, vcc_lo
.LBB622_176:                            ;   in Loop: Header=BB622_167 Depth=1
	s_or_b32 exec_lo, exec_lo, s11
	s_waitcnt lgkmcnt(1)
	ds_bpermute_b32 v68, v62, v29
	s_waitcnt lgkmcnt(1)
	ds_bpermute_b32 v30, v62, v6
	s_mov_b32 s11, exec_lo
	v_cmpx_le_u32_e64 v63, v8
	;; [unrolled: 17-line block ×3, first 2 shown]
	s_cbranch_execz .LBB622_180
; %bb.179:                              ;   in Loop: Header=BB622_167 Depth=1
	s_waitcnt lgkmcnt(1)
	v_add_co_u32 v29, vcc_lo, v5, v68
	v_add_co_ci_u32_e32 v6, vcc_lo, 0, v6, vcc_lo
	s_delay_alu instid0(VALU_DEP_2) | instskip(SKIP_1) | instid1(VALU_DEP_2)
	v_add_co_u32 v5, vcc_lo, 0, v29
	s_waitcnt lgkmcnt(0)
	v_add_co_ci_u32_e32 v6, vcc_lo, v30, v6, vcc_lo
.LBB622_180:                            ;   in Loop: Header=BB622_167 Depth=1
	s_or_b32 exec_lo, exec_lo, s11
	s_waitcnt lgkmcnt(0)
	ds_bpermute_b32 v30, v66, v29
	ds_bpermute_b32 v29, v66, v6
	s_mov_b32 s11, exec_lo
	v_cmpx_le_u32_e64 v67, v8
	s_cbranch_execz .LBB622_166
; %bb.181:                              ;   in Loop: Header=BB622_167 Depth=1
	s_waitcnt lgkmcnt(1)
	v_add_co_u32 v5, vcc_lo, v5, v30
	v_add_co_ci_u32_e32 v6, vcc_lo, 0, v6, vcc_lo
	s_delay_alu instid0(VALU_DEP_2) | instskip(SKIP_1) | instid1(VALU_DEP_2)
	v_add_co_u32 v5, vcc_lo, v5, 0
	s_waitcnt lgkmcnt(0)
	v_add_co_ci_u32_e32 v6, vcc_lo, v6, v29, vcc_lo
	s_branch .LBB622_166
.LBB622_182:                            ;   in Loop: Header=BB622_167 Depth=1
                                        ; implicit-def: $vgpr5_vgpr6
	s_cbranch_execz .LBB622_167
; %bb.183:
	s_and_saveexec_b32 s11, s1
	s_cbranch_execz .LBB622_185
; %bb.184:
	s_add_i32 s18, s15, 32
	s_mov_b32 s19, 0
	v_add_co_u32 v5, vcc_lo, v3, v1
	s_lshl_b64 s[18:19], s[18:19], 4
	v_dual_mov_b32 v7, 2 :: v_dual_mov_b32 v8, 0
	s_add_u32 s18, s2, s18
	s_addc_u32 s19, s3, s19
	v_add_co_ci_u32_e32 v6, vcc_lo, v4, v2, vcc_lo
	v_dual_mov_b32 v28, s19 :: v_dual_mov_b32 v27, s18
	;;#ASMSTART
	global_store_dwordx4 v[27:28], v[5:8] off	
s_waitcnt vmcnt(0)
	;;#ASMEND
	ds_store_b128 v8, v[1:4] offset:7680
.LBB622_185:
	s_or_b32 exec_lo, exec_lo, s11
	v_cmp_eq_u32_e32 vcc_lo, 0, v0
	s_and_b32 exec_lo, exec_lo, vcc_lo
	s_cbranch_execz .LBB622_187
; %bb.186:
	v_mov_b32_e32 v1, 0
	ds_store_b64 v1, v[3:4] offset:24
.LBB622_187:
	s_or_b32 exec_lo, exec_lo, s10
	s_waitcnt lgkmcnt(0)
	v_cndmask_b32_e64 v8, v57, v26, s1
	v_cmp_ne_u32_e32 vcc_lo, 0, v0
	v_mov_b32_e32 v3, 0
	s_barrier
	buffer_gl0_inv
	v_cndmask_b32_e32 v8, 0, v8, vcc_lo
	ds_load_b64 v[1:2], v3 offset:24
	s_waitcnt lgkmcnt(0)
	s_barrier
	buffer_gl0_inv
	ds_load_b128 v[4:7], v3 offset:7680
	v_cndmask_b32_e64 v3, v56, v25, s1
	s_delay_alu instid0(VALU_DEP_1) | instskip(NEXT) | instid1(VALU_DEP_1)
	v_cndmask_b32_e32 v3, 0, v3, vcc_lo
	v_add_co_u32 v67, vcc_lo, v1, v3
	v_add_co_ci_u32_e32 v68, vcc_lo, v2, v8, vcc_lo
	s_waitcnt lgkmcnt(0)
	v_readfirstlane_b32 s11, v7
	v_readfirstlane_b32 s10, v6
	s_branch .LBB622_212
.LBB622_188:
                                        ; implicit-def: $sgpr10_sgpr11
                                        ; implicit-def: $vgpr4_vgpr5
                                        ; implicit-def: $vgpr67_vgpr68
	s_and_b32 vcc_lo, exec_lo, s1
	s_cbranch_vccz .LBB622_212
; %bb.189:
	v_dual_mov_b32 v2, 0 :: v_dual_mov_b32 v3, v23
	v_mov_b32_dpp v4, v23 row_shr:1 row_mask:0xf bank_mask:0xf
	s_delay_alu instid0(VALU_DEP_2)
	v_mov_b32_dpp v1, v2 row_shr:1 row_mask:0xf bank_mask:0xf
	s_and_saveexec_b32 s1, s0
; %bb.190:
	s_delay_alu instid0(VALU_DEP_2) | instskip(SKIP_1) | instid1(VALU_DEP_2)
	v_add_co_u32 v3, vcc_lo, v23, v4
	v_add_co_ci_u32_e32 v2, vcc_lo, 0, v24, vcc_lo
	v_add_co_u32 v23, vcc_lo, 0, v3
	s_delay_alu instid0(VALU_DEP_2) | instskip(NEXT) | instid1(VALU_DEP_1)
	v_add_co_ci_u32_e32 v24, vcc_lo, v1, v2, vcc_lo
	v_mov_b32_e32 v2, v24
; %bb.191:
	s_or_b32 exec_lo, exec_lo, s1
	v_mov_b32_dpp v1, v3 row_shr:2 row_mask:0xf bank_mask:0xf
	s_delay_alu instid0(VALU_DEP_2)
	v_mov_b32_dpp v4, v2 row_shr:2 row_mask:0xf bank_mask:0xf
	s_mov_b32 s0, exec_lo
	v_cmpx_lt_u32_e32 1, v55
; %bb.192:
	s_delay_alu instid0(VALU_DEP_3) | instskip(SKIP_1) | instid1(VALU_DEP_2)
	v_add_co_u32 v3, vcc_lo, v23, v1
	v_add_co_ci_u32_e32 v2, vcc_lo, 0, v24, vcc_lo
	v_add_co_u32 v1, vcc_lo, 0, v3
	s_delay_alu instid0(VALU_DEP_2) | instskip(NEXT) | instid1(VALU_DEP_1)
	v_add_co_ci_u32_e32 v2, vcc_lo, v4, v2, vcc_lo
	v_dual_mov_b32 v24, v2 :: v_dual_mov_b32 v23, v1
; %bb.193:
	s_or_b32 exec_lo, exec_lo, s0
	v_mov_b32_dpp v1, v3 row_shr:4 row_mask:0xf bank_mask:0xf
	v_mov_b32_dpp v4, v2 row_shr:4 row_mask:0xf bank_mask:0xf
	s_mov_b32 s0, exec_lo
	v_cmpx_lt_u32_e32 3, v55
; %bb.194:
	s_delay_alu instid0(VALU_DEP_3) | instskip(SKIP_1) | instid1(VALU_DEP_2)
	v_add_co_u32 v3, vcc_lo, v23, v1
	v_add_co_ci_u32_e32 v2, vcc_lo, 0, v24, vcc_lo
	v_add_co_u32 v1, vcc_lo, 0, v3
	s_delay_alu instid0(VALU_DEP_2) | instskip(NEXT) | instid1(VALU_DEP_1)
	v_add_co_ci_u32_e32 v2, vcc_lo, v4, v2, vcc_lo
	v_dual_mov_b32 v24, v2 :: v_dual_mov_b32 v23, v1
; %bb.195:
	s_or_b32 exec_lo, exec_lo, s0
	v_mov_b32_dpp v4, v3 row_shr:8 row_mask:0xf bank_mask:0xf
	v_mov_b32_dpp v1, v2 row_shr:8 row_mask:0xf bank_mask:0xf
	s_mov_b32 s0, exec_lo
	v_cmpx_lt_u32_e32 7, v55
; %bb.196:
	s_delay_alu instid0(VALU_DEP_3) | instskip(SKIP_1) | instid1(VALU_DEP_2)
	v_add_co_u32 v3, vcc_lo, v23, v4
	v_add_co_ci_u32_e32 v2, vcc_lo, 0, v24, vcc_lo
	v_add_co_u32 v23, vcc_lo, 0, v3
	s_delay_alu instid0(VALU_DEP_2) | instskip(NEXT) | instid1(VALU_DEP_1)
	v_add_co_ci_u32_e32 v24, vcc_lo, v1, v2, vcc_lo
	v_mov_b32_e32 v2, v24
; %bb.197:
	s_or_b32 exec_lo, exec_lo, s0
	ds_swizzle_b32 v3, v3 offset:swizzle(BROADCAST,32,15)
	ds_swizzle_b32 v1, v2 offset:swizzle(BROADCAST,32,15)
	v_and_b32_e32 v2, 16, v54
	s_mov_b32 s0, exec_lo
	s_delay_alu instid0(VALU_DEP_1)
	v_cmpx_ne_u32_e32 0, v2
	s_cbranch_execz .LBB622_199
; %bb.198:
	s_waitcnt lgkmcnt(0)
	v_add_co_u32 v2, vcc_lo, v23, v3
	v_add_co_ci_u32_e32 v3, vcc_lo, 0, v24, vcc_lo
	s_delay_alu instid0(VALU_DEP_2) | instskip(NEXT) | instid1(VALU_DEP_2)
	v_add_co_u32 v23, vcc_lo, v2, 0
	v_add_co_ci_u32_e32 v24, vcc_lo, v3, v1, vcc_lo
.LBB622_199:
	s_or_b32 exec_lo, exec_lo, s0
	s_waitcnt lgkmcnt(0)
	v_or_b32_e32 v1, 31, v0
	v_lshrrev_b32_e32 v3, 5, v0
	s_mov_b32 s0, exec_lo
	s_delay_alu instid0(VALU_DEP_2)
	v_cmpx_eq_u32_e64 v1, v0
	s_cbranch_execz .LBB622_201
; %bb.200:
	s_delay_alu instid0(VALU_DEP_2)
	v_lshlrev_b32_e32 v1, 3, v3
	ds_store_b64 v1, v[23:24]
.LBB622_201:
	s_or_b32 exec_lo, exec_lo, s0
	s_delay_alu instid0(SALU_CYCLE_1)
	s_mov_b32 s0, exec_lo
	s_waitcnt lgkmcnt(0)
	s_barrier
	buffer_gl0_inv
	v_cmpx_gt_u32_e32 4, v0
	s_cbranch_execz .LBB622_207
; %bb.202:
	v_lshlrev_b32_e32 v4, 3, v0
	s_mov_b32 s1, exec_lo
	ds_load_b64 v[1:2], v4
	s_waitcnt lgkmcnt(0)
	v_dual_mov_b32 v6, v1 :: v_dual_and_b32 v5, 3, v54
	v_mov_b32_dpp v8, v1 row_shr:1 row_mask:0xf bank_mask:0xf
	v_mov_b32_dpp v7, v2 row_shr:1 row_mask:0xf bank_mask:0xf
	s_delay_alu instid0(VALU_DEP_3)
	v_cmpx_ne_u32_e32 0, v5
; %bb.203:
	s_delay_alu instid0(VALU_DEP_3) | instskip(SKIP_1) | instid1(VALU_DEP_2)
	v_add_co_u32 v6, vcc_lo, v1, v8
	v_add_co_ci_u32_e32 v2, vcc_lo, 0, v2, vcc_lo
	v_add_co_u32 v1, vcc_lo, 0, v6
	s_delay_alu instid0(VALU_DEP_2)
	v_add_co_ci_u32_e32 v2, vcc_lo, v7, v2, vcc_lo
; %bb.204:
	s_or_b32 exec_lo, exec_lo, s1
	v_mov_b32_dpp v7, v6 row_shr:2 row_mask:0xf bank_mask:0xf
	s_delay_alu instid0(VALU_DEP_2)
	v_mov_b32_dpp v6, v2 row_shr:2 row_mask:0xf bank_mask:0xf
	s_mov_b32 s1, exec_lo
	v_cmpx_lt_u32_e32 1, v5
; %bb.205:
	s_delay_alu instid0(VALU_DEP_3) | instskip(SKIP_1) | instid1(VALU_DEP_2)
	v_add_co_u32 v1, vcc_lo, v1, v7
	v_add_co_ci_u32_e32 v2, vcc_lo, 0, v2, vcc_lo
	v_add_co_u32 v1, vcc_lo, v1, 0
	s_delay_alu instid0(VALU_DEP_2)
	v_add_co_ci_u32_e32 v2, vcc_lo, v2, v6, vcc_lo
; %bb.206:
	s_or_b32 exec_lo, exec_lo, s1
	ds_store_b64 v4, v[1:2]
.LBB622_207:
	s_or_b32 exec_lo, exec_lo, s0
	v_mov_b32_e32 v1, 0
	v_mov_b32_e32 v2, 0
	s_mov_b32 s0, exec_lo
	s_waitcnt lgkmcnt(0)
	s_barrier
	buffer_gl0_inv
	v_cmpx_lt_u32_e32 31, v0
	s_cbranch_execz .LBB622_209
; %bb.208:
	v_lshl_add_u32 v1, v3, 3, -8
	ds_load_b64 v[1:2], v1
.LBB622_209:
	s_or_b32 exec_lo, exec_lo, s0
	v_add_nc_u32_e32 v3, -1, v54
	v_mov_b32_e32 v7, 0
	s_delay_alu instid0(VALU_DEP_2) | instskip(SKIP_1) | instid1(VALU_DEP_1)
	v_cmp_gt_i32_e32 vcc_lo, 0, v3
	v_cndmask_b32_e32 v3, v3, v54, vcc_lo
	v_lshlrev_b32_e32 v4, 2, v3
	s_waitcnt lgkmcnt(0)
	v_add_co_u32 v3, vcc_lo, v1, v23
	v_add_co_ci_u32_e32 v5, vcc_lo, v2, v24, vcc_lo
	v_cmp_eq_u32_e32 vcc_lo, 0, v0
	ds_bpermute_b32 v3, v4, v3
	ds_bpermute_b32 v8, v4, v5
	ds_load_b64 v[4:5], v7 offset:24
	s_and_saveexec_b32 s0, vcc_lo
	s_cbranch_execz .LBB622_211
; %bb.210:
	s_add_u32 s2, s2, 0x200
	s_addc_u32 s3, s3, 0
	v_mov_b32_e32 v6, 2
	v_dual_mov_b32 v24, s3 :: v_dual_mov_b32 v23, s2
	s_waitcnt lgkmcnt(0)
	;;#ASMSTART
	global_store_dwordx4 v[23:24], v[4:7] off	
s_waitcnt vmcnt(0)
	;;#ASMEND
.LBB622_211:
	s_or_b32 exec_lo, exec_lo, s0
	v_cmp_eq_u32_e64 s0, 0, v54
	s_waitcnt lgkmcnt(0)
	s_barrier
	s_mov_b64 s[10:11], 0
	buffer_gl0_inv
	v_cndmask_b32_e64 v1, v3, v1, s0
	v_cndmask_b32_e64 v2, v8, v2, s0
	s_delay_alu instid0(VALU_DEP_2) | instskip(NEXT) | instid1(VALU_DEP_2)
	v_cndmask_b32_e64 v67, v1, 0, vcc_lo
	v_cndmask_b32_e64 v68, v2, 0, vcc_lo
.LBB622_212:
	s_delay_alu instid0(VALU_DEP_2) | instskip(NEXT) | instid1(VALU_DEP_2)
	v_add_co_u32 v77, vcc_lo, v67, v42
	v_add_co_ci_u32_e32 v78, vcc_lo, 0, v68, vcc_lo
	s_delay_alu instid0(VALU_DEP_2) | instskip(NEXT) | instid1(VALU_DEP_2)
	v_add_co_u32 v75, vcc_lo, v77, v53
	v_add_co_ci_u32_e32 v76, vcc_lo, 0, v78, vcc_lo
	;; [unrolled: 3-line block ×27, first 2 shown]
	v_cmp_gt_u64_e32 vcc_lo, 0x81, v[4:5]
	s_delay_alu instid0(VALU_DEP_3) | instskip(NEXT) | instid1(VALU_DEP_1)
	v_add_co_u32 v23, s0, v6, v80
	v_add_co_ci_u32_e64 v24, s0, 0, v7, s0
	s_delay_alu instid0(VALU_DEP_2) | instskip(NEXT) | instid1(VALU_DEP_1)
	v_add_co_u32 v1, s0, v23, v79
	v_add_co_ci_u32_e64 v2, s0, 0, v24, s0
	s_mov_b32 s0, -1
	s_cbranch_vccnz .LBB622_216
; %bb.213:
	s_and_b32 vcc_lo, exec_lo, s0
	s_cbranch_vccnz .LBB622_306
.LBB622_214:
	v_cmp_eq_u32_e32 vcc_lo, 0, v0
	s_and_b32 s0, vcc_lo, s14
	s_delay_alu instid0(SALU_CYCLE_1)
	s_and_saveexec_b32 s1, s0
	s_cbranch_execnz .LBB622_377
.LBB622_215:
	s_nop 0
	s_sendmsg sendmsg(MSG_DEALLOC_VGPRS)
	s_endpgm
.LBB622_216:
	v_add_co_u32 v79, vcc_lo, s10, v4
	v_add_co_ci_u32_e32 v80, vcc_lo, s11, v5, vcc_lo
	s_lshl_b64 s[0:1], s[6:7], 1
	s_waitcnt lgkmcnt(0)
	s_add_u32 s0, s8, s0
	s_delay_alu instid0(VALU_DEP_1) | instskip(SKIP_2) | instid1(SALU_CYCLE_1)
	v_cmp_lt_u64_e32 vcc_lo, v[67:68], v[79:80]
	s_addc_u32 s1, s9, s1
	s_or_b32 s3, s13, vcc_lo
	s_and_saveexec_b32 s2, s3
	s_cbranch_execz .LBB622_219
; %bb.217:
	v_and_b32_e32 v3, 1, v98
	s_delay_alu instid0(VALU_DEP_1)
	v_cmp_eq_u32_e32 vcc_lo, 1, v3
	s_and_b32 exec_lo, exec_lo, vcc_lo
	s_cbranch_execz .LBB622_219
; %bb.218:
	v_lshlrev_b64 v[126:127], 1, v[67:68]
	s_delay_alu instid0(VALU_DEP_1) | instskip(NEXT) | instid1(VALU_DEP_2)
	v_add_co_u32 v126, vcc_lo, s0, v126
	v_add_co_ci_u32_e32 v127, vcc_lo, s1, v127, vcc_lo
	global_store_b16 v[126:127], v21, off
.LBB622_219:
	s_or_b32 exec_lo, exec_lo, s2
	v_cmp_lt_u64_e32 vcc_lo, v[77:78], v[79:80]
	s_or_b32 s3, s13, vcc_lo
	s_delay_alu instid0(SALU_CYCLE_1)
	s_and_saveexec_b32 s2, s3
	s_cbranch_execz .LBB622_222
; %bb.220:
	v_and_b32_e32 v3, 1, v97
	s_delay_alu instid0(VALU_DEP_1)
	v_cmp_eq_u32_e32 vcc_lo, 1, v3
	s_and_b32 exec_lo, exec_lo, vcc_lo
	s_cbranch_execz .LBB622_222
; %bb.221:
	v_lshlrev_b64 v[126:127], 1, v[77:78]
	s_delay_alu instid0(VALU_DEP_1) | instskip(NEXT) | instid1(VALU_DEP_2)
	v_add_co_u32 v126, vcc_lo, s0, v126
	v_add_co_ci_u32_e32 v127, vcc_lo, s1, v127, vcc_lo
	global_store_b16 v[126:127], v96, off
.LBB622_222:
	s_or_b32 exec_lo, exec_lo, s2
	v_cmp_lt_u64_e32 vcc_lo, v[75:76], v[79:80]
	s_or_b32 s3, s13, vcc_lo
	s_delay_alu instid0(SALU_CYCLE_1)
	;; [unrolled: 19-line block ×28, first 2 shown]
	s_and_saveexec_b32 s2, s3
	s_cbranch_execz .LBB622_303
; %bb.301:
	v_and_b32_e32 v3, 1, v125
	s_delay_alu instid0(VALU_DEP_1)
	v_cmp_eq_u32_e32 vcc_lo, 1, v3
	s_and_b32 exec_lo, exec_lo, vcc_lo
	s_cbranch_execz .LBB622_303
; %bb.302:
	v_lshlrev_b64 v[7:8], 1, v[23:24]
	s_delay_alu instid0(VALU_DEP_1) | instskip(NEXT) | instid1(VALU_DEP_2)
	v_add_co_u32 v7, vcc_lo, s0, v7
	v_add_co_ci_u32_e32 v8, vcc_lo, s1, v8, vcc_lo
	global_store_b16 v[7:8], v81, off
.LBB622_303:
	s_or_b32 exec_lo, exec_lo, s2
	v_cmp_ge_u64_e32 vcc_lo, v[1:2], v[79:80]
	s_xor_b32 s3, s16, -1
	s_and_b32 s2, s12, vcc_lo
	s_delay_alu instid0(SALU_CYCLE_1) | instskip(NEXT) | instid1(SALU_CYCLE_1)
	s_or_b32 s2, s2, s3
	s_xor_b32 s3, s2, -1
	s_delay_alu instid0(SALU_CYCLE_1)
	s_and_saveexec_b32 s2, s3
	s_cbranch_execz .LBB622_305
; %bb.304:
	v_lshlrev_b64 v[2:3], 1, v[1:2]
	s_delay_alu instid0(VALU_DEP_1) | instskip(NEXT) | instid1(VALU_DEP_2)
	v_add_co_u32 v2, vcc_lo, s0, v2
	v_add_co_ci_u32_e32 v3, vcc_lo, s1, v3, vcc_lo
	global_store_b16 v[2:3], v82, off
.LBB622_305:
	s_or_b32 exec_lo, exec_lo, s2
	s_branch .LBB622_214
.LBB622_306:
	v_and_b32_e32 v2, 1, v98
	s_mov_b32 s0, exec_lo
	s_delay_alu instid0(VALU_DEP_1)
	v_cmpx_eq_u32_e32 1, v2
	s_cbranch_execz .LBB622_308
; %bb.307:
	v_subrev_nc_u32_e32 v2, s10, v67
	s_delay_alu instid0(VALU_DEP_1)
	v_lshlrev_b32_e32 v2, 1, v2
	ds_store_b16 v2, v21
.LBB622_308:
	s_or_b32 exec_lo, exec_lo, s0
	v_and_b32_e32 v2, 1, v97
	s_mov_b32 s0, exec_lo
	s_delay_alu instid0(VALU_DEP_1)
	v_cmpx_eq_u32_e32 1, v2
	s_cbranch_execz .LBB622_310
; %bb.309:
	v_subrev_nc_u32_e32 v2, s10, v77
	s_delay_alu instid0(VALU_DEP_1)
	v_lshlrev_b32_e32 v2, 1, v2
	ds_store_b16 v2, v96
.LBB622_310:
	s_or_b32 exec_lo, exec_lo, s0
	;; [unrolled: 12-line block ×29, first 2 shown]
	s_and_saveexec_b32 s0, s16
	s_cbranch_execz .LBB622_366
; %bb.365:
	v_subrev_nc_u32_e32 v1, s10, v1
	s_delay_alu instid0(VALU_DEP_1)
	v_lshlrev_b32_e32 v1, 1, v1
	ds_store_b16 v1, v82
.LBB622_366:
	s_or_b32 exec_lo, exec_lo, s0
	v_mov_b32_e32 v1, 0
	s_mov_b32 s15, exec_lo
	s_waitcnt lgkmcnt(0)
	s_waitcnt_vscnt null, 0x0
	s_barrier
	buffer_gl0_inv
	v_cmpx_gt_u64_e64 v[4:5], v[0:1]
	s_cbranch_execz .LBB622_376
; %bb.367:
	v_not_b32_e32 v2, v0
	v_not_b32_e32 v3, 0
	v_mov_b32_e32 v8, v0
	s_mov_b32 s16, exec_lo
	s_delay_alu instid0(VALU_DEP_3) | instskip(NEXT) | instid1(VALU_DEP_3)
	v_add_co_u32 v6, vcc_lo, v4, v2
	v_add_co_ci_u32_e32 v7, vcc_lo, v5, v3, vcc_lo
	v_dual_mov_b32 v3, v1 :: v_dual_mov_b32 v2, v0
	s_delay_alu instid0(VALU_DEP_2)
	v_cmp_gt_u64_e32 vcc_lo, 0x1a80, v[6:7]
	v_cmpx_lt_u64_e32 0x1a7f, v[6:7]
	s_cbranch_execz .LBB622_373
; %bb.368:
	v_alignbit_b32 v2, v7, v6, 7
	v_not_b32_e32 v3, v0
	v_xor_b32_e32 v8, 0xffffff7f, v0
	s_movk_i32 s13, 0x7f
	s_mov_b32 s12, -1
	v_lshlrev_b32_e32 v9, 7, v2
	v_cmp_lt_u64_e64 s0, s[12:13], v[6:7]
	v_cmp_lt_u32_e64 s1, 0x1ffffff, v2
	s_delay_alu instid0(VALU_DEP_3) | instskip(SKIP_2) | instid1(VALU_DEP_4)
	v_cmp_lt_u32_e64 s3, v8, v9
	v_mov_b32_e32 v8, v0
	v_cmp_gt_u32_e64 s2, v9, v3
	s_or_b32 s0, s1, s0
	v_dual_mov_b32 v3, v1 :: v_dual_mov_b32 v2, v0
	s_or_b32 s0, s0, s3
	s_delay_alu instid0(VALU_DEP_2) | instskip(NEXT) | instid1(SALU_CYCLE_1)
	s_or_b32 s1, s2, s1
	s_or_b32 s0, s1, s0
	s_delay_alu instid0(SALU_CYCLE_1) | instskip(NEXT) | instid1(SALU_CYCLE_1)
	s_xor_b32 s0, s0, -1
	s_and_saveexec_b32 s2, s0
	s_cbranch_execz .LBB622_372
; %bb.369:
	v_lshrrev_b64 v[6:7], 7, v[6:7]
	s_lshl_b64 s[12:13], s[10:11], 1
	v_or_b32_e32 v2, 0x80, v0
	s_mov_b32 s3, 0
	s_delay_alu instid0(VALU_DEP_2) | instskip(NEXT) | instid1(VALU_DEP_1)
	v_add_co_u32 v10, s0, v6, 1
	v_add_co_ci_u32_e64 v11, s0, 0, v7, s0
	s_lshl_b64 s[0:1], s[6:7], 1
	s_delay_alu instid0(VALU_DEP_2) | instskip(SKIP_1) | instid1(VALU_DEP_2)
	v_and_b32_e32 v12, -2, v10
	s_add_u32 s0, s12, s0
	v_mov_b32_e32 v13, v11
	v_lshlrev_b32_e32 v3, 1, v0
	s_addc_u32 s1, s13, s1
	s_add_u32 s0, s8, s0
	s_addc_u32 s1, s9, s1
	v_dual_mov_b32 v17, v13 :: v_dual_mov_b32 v16, v12
	v_add_co_u32 v6, s0, s0, v3
	s_delay_alu instid0(VALU_DEP_1) | instskip(SKIP_1) | instid1(VALU_DEP_3)
	v_add_co_ci_u32_e64 v7, null, s1, 0, s0
	v_mov_b32_e32 v3, v1
	v_add_co_u32 v14, s0, 0x100, v6
	s_delay_alu instid0(VALU_DEP_1) | instskip(NEXT) | instid1(VALU_DEP_3)
	v_add_co_ci_u32_e64 v15, s0, 0, v7, s0
	v_dual_mov_b32 v9, v3 :: v_dual_mov_b32 v6, v0
	v_dual_mov_b32 v8, v2 :: v_dual_mov_b32 v7, v1
	s_set_inst_prefetch_distance 0x1
	.p2align	6
.LBB622_370:                            ; =>This Inner Loop Header: Depth=1
	s_delay_alu instid0(VALU_DEP_2) | instskip(NEXT) | instid1(VALU_DEP_2)
	v_lshlrev_b32_e32 v1, 1, v6
	v_lshlrev_b32_e32 v2, 1, v8
	v_add_co_u32 v8, s0, 0x100, v8
	s_delay_alu instid0(VALU_DEP_1) | instskip(SKIP_3) | instid1(VALU_DEP_1)
	v_add_co_ci_u32_e64 v9, s0, 0, v9, s0
	ds_load_u16 v1, v1
	ds_load_u16 v2, v2
	v_add_co_u32 v16, s0, v16, -2
	v_add_co_ci_u32_e64 v17, s0, -1, v17, s0
	v_add_co_u32 v6, s0, 0x100, v6
	s_delay_alu instid0(VALU_DEP_1) | instskip(NEXT) | instid1(VALU_DEP_3)
	v_add_co_ci_u32_e64 v7, s0, 0, v7, s0
	v_cmp_eq_u64_e64 s0, 0, v[16:17]
	s_waitcnt lgkmcnt(1)
	global_store_b16 v[14:15], v1, off offset:-256
	s_waitcnt lgkmcnt(0)
	global_store_b16 v[14:15], v2, off
	v_add_co_u32 v14, s1, 0x200, v14
	s_delay_alu instid0(VALU_DEP_1) | instskip(SKIP_1) | instid1(SALU_CYCLE_1)
	v_add_co_ci_u32_e64 v15, s1, 0, v15, s1
	s_or_b32 s3, s0, s3
	s_and_not1_b32 exec_lo, exec_lo, s3
	s_cbranch_execnz .LBB622_370
; %bb.371:
	s_set_inst_prefetch_distance 0x2
	s_or_b32 exec_lo, exec_lo, s3
	v_lshlrev_b64 v[1:2], 7, v[12:13]
	v_cmp_ne_u64_e64 s0, v[10:11], v[12:13]
	v_lshl_or_b32 v8, v12, 7, v0
	s_delay_alu instid0(VALU_DEP_3) | instskip(NEXT) | instid1(VALU_DEP_4)
	v_or_b32_e32 v3, 0, v2
	v_or_b32_e32 v2, v1, v0
	s_delay_alu instid0(VALU_DEP_4)
	s_or_not1_b32 s12, s0, exec_lo
.LBB622_372:
	s_or_b32 exec_lo, exec_lo, s2
	s_delay_alu instid0(SALU_CYCLE_1) | instskip(SKIP_1) | instid1(SALU_CYCLE_1)
	s_and_not1_b32 s0, vcc_lo, exec_lo
	s_and_b32 s1, s12, exec_lo
	s_or_b32 vcc_lo, s0, s1
.LBB622_373:
	s_or_b32 exec_lo, exec_lo, s16
	s_delay_alu instid0(SALU_CYCLE_1)
	s_and_b32 exec_lo, exec_lo, vcc_lo
	s_cbranch_execz .LBB622_376
; %bb.374:
	s_lshl_b64 s[0:1], s[10:11], 1
	v_dual_mov_b32 v7, 0 :: v_dual_add_nc_u32 v6, 0x80, v8
	s_add_u32 s0, s8, s0
	s_addc_u32 s8, s9, s1
	s_lshl_b64 s[2:3], s[6:7], 1
	s_delay_alu instid0(SALU_CYCLE_1)
	s_add_u32 s1, s0, s2
	s_addc_u32 s2, s8, s3
	s_mov_b32 s3, 0
	.p2align	6
.LBB622_375:                            ; =>This Inner Loop Header: Depth=1
	v_lshlrev_b32_e32 v1, 1, v2
	v_lshlrev_b64 v[8:9], 1, v[2:3]
	v_mov_b32_e32 v2, v6
	v_cmp_le_u64_e32 vcc_lo, v[4:5], v[6:7]
	v_dual_mov_b32 v3, v7 :: v_dual_add_nc_u32 v6, 0x80, v6
	ds_load_u16 v1, v1
	v_add_co_u32 v8, s0, s1, v8
	s_delay_alu instid0(VALU_DEP_1)
	v_add_co_ci_u32_e64 v9, s0, s2, v9, s0
	s_or_b32 s3, vcc_lo, s3
	s_waitcnt lgkmcnt(0)
	global_store_b16 v[8:9], v1, off
	s_and_not1_b32 exec_lo, exec_lo, s3
	s_cbranch_execnz .LBB622_375
.LBB622_376:
	s_or_b32 exec_lo, exec_lo, s15
	v_cmp_eq_u32_e32 vcc_lo, 0, v0
	s_and_b32 s0, vcc_lo, s14
	s_delay_alu instid0(SALU_CYCLE_1)
	s_and_saveexec_b32 s1, s0
	s_cbranch_execz .LBB622_215
.LBB622_377:
	v_add_co_u32 v0, vcc_lo, s10, v4
	v_add_co_ci_u32_e32 v1, vcc_lo, s11, v5, vcc_lo
	v_mov_b32_e32 v2, 0
	s_delay_alu instid0(VALU_DEP_3) | instskip(NEXT) | instid1(VALU_DEP_3)
	v_add_co_u32 v0, vcc_lo, v0, s6
	v_add_co_ci_u32_e32 v1, vcc_lo, s7, v1, vcc_lo
	global_store_b64 v2, v[0:1], s[4:5]
	s_nop 0
	s_sendmsg sendmsg(MSG_DEALLOC_VGPRS)
	s_endpgm
	.section	.rodata,"a",@progbits
	.p2align	6, 0x0
	.amdhsa_kernel _ZN7rocprim17ROCPRIM_400000_NS6detail17trampoline_kernelINS0_14default_configENS1_25partition_config_selectorILNS1_17partition_subalgoE6EsNS0_10empty_typeEbEEZZNS1_14partition_implILS5_6ELb0ES3_mN6thrust23THRUST_200600_302600_NS6detail15normal_iteratorINSA_10device_ptrIsEEEEPS6_SG_NS0_5tupleIJSF_S6_EEENSH_IJSG_SG_EEES6_PlJ5mod_3IsEEEE10hipError_tPvRmT3_T4_T5_T6_T7_T9_mT8_P12ihipStream_tbDpT10_ENKUlT_T0_E_clISt17integral_constantIbLb0EES16_EEDaS11_S12_EUlS11_E_NS1_11comp_targetILNS1_3genE9ELNS1_11target_archE1100ELNS1_3gpuE3ELNS1_3repE0EEENS1_30default_config_static_selectorELNS0_4arch9wavefront6targetE0EEEvT1_
		.amdhsa_group_segment_fixed_size 7696
		.amdhsa_private_segment_fixed_size 0
		.amdhsa_kernarg_size 112
		.amdhsa_user_sgpr_count 15
		.amdhsa_user_sgpr_dispatch_ptr 0
		.amdhsa_user_sgpr_queue_ptr 0
		.amdhsa_user_sgpr_kernarg_segment_ptr 1
		.amdhsa_user_sgpr_dispatch_id 0
		.amdhsa_user_sgpr_private_segment_size 0
		.amdhsa_wavefront_size32 1
		.amdhsa_uses_dynamic_stack 0
		.amdhsa_enable_private_segment 0
		.amdhsa_system_sgpr_workgroup_id_x 1
		.amdhsa_system_sgpr_workgroup_id_y 0
		.amdhsa_system_sgpr_workgroup_id_z 0
		.amdhsa_system_sgpr_workgroup_info 0
		.amdhsa_system_vgpr_workitem_id 0
		.amdhsa_next_free_vgpr 130
		.amdhsa_next_free_sgpr 20
		.amdhsa_reserve_vcc 1
		.amdhsa_float_round_mode_32 0
		.amdhsa_float_round_mode_16_64 0
		.amdhsa_float_denorm_mode_32 3
		.amdhsa_float_denorm_mode_16_64 3
		.amdhsa_dx10_clamp 1
		.amdhsa_ieee_mode 1
		.amdhsa_fp16_overflow 0
		.amdhsa_workgroup_processor_mode 1
		.amdhsa_memory_ordered 1
		.amdhsa_forward_progress 0
		.amdhsa_shared_vgpr_count 0
		.amdhsa_exception_fp_ieee_invalid_op 0
		.amdhsa_exception_fp_denorm_src 0
		.amdhsa_exception_fp_ieee_div_zero 0
		.amdhsa_exception_fp_ieee_overflow 0
		.amdhsa_exception_fp_ieee_underflow 0
		.amdhsa_exception_fp_ieee_inexact 0
		.amdhsa_exception_int_div_zero 0
	.end_amdhsa_kernel
	.section	.text._ZN7rocprim17ROCPRIM_400000_NS6detail17trampoline_kernelINS0_14default_configENS1_25partition_config_selectorILNS1_17partition_subalgoE6EsNS0_10empty_typeEbEEZZNS1_14partition_implILS5_6ELb0ES3_mN6thrust23THRUST_200600_302600_NS6detail15normal_iteratorINSA_10device_ptrIsEEEEPS6_SG_NS0_5tupleIJSF_S6_EEENSH_IJSG_SG_EEES6_PlJ5mod_3IsEEEE10hipError_tPvRmT3_T4_T5_T6_T7_T9_mT8_P12ihipStream_tbDpT10_ENKUlT_T0_E_clISt17integral_constantIbLb0EES16_EEDaS11_S12_EUlS11_E_NS1_11comp_targetILNS1_3genE9ELNS1_11target_archE1100ELNS1_3gpuE3ELNS1_3repE0EEENS1_30default_config_static_selectorELNS0_4arch9wavefront6targetE0EEEvT1_,"axG",@progbits,_ZN7rocprim17ROCPRIM_400000_NS6detail17trampoline_kernelINS0_14default_configENS1_25partition_config_selectorILNS1_17partition_subalgoE6EsNS0_10empty_typeEbEEZZNS1_14partition_implILS5_6ELb0ES3_mN6thrust23THRUST_200600_302600_NS6detail15normal_iteratorINSA_10device_ptrIsEEEEPS6_SG_NS0_5tupleIJSF_S6_EEENSH_IJSG_SG_EEES6_PlJ5mod_3IsEEEE10hipError_tPvRmT3_T4_T5_T6_T7_T9_mT8_P12ihipStream_tbDpT10_ENKUlT_T0_E_clISt17integral_constantIbLb0EES16_EEDaS11_S12_EUlS11_E_NS1_11comp_targetILNS1_3genE9ELNS1_11target_archE1100ELNS1_3gpuE3ELNS1_3repE0EEENS1_30default_config_static_selectorELNS0_4arch9wavefront6targetE0EEEvT1_,comdat
.Lfunc_end622:
	.size	_ZN7rocprim17ROCPRIM_400000_NS6detail17trampoline_kernelINS0_14default_configENS1_25partition_config_selectorILNS1_17partition_subalgoE6EsNS0_10empty_typeEbEEZZNS1_14partition_implILS5_6ELb0ES3_mN6thrust23THRUST_200600_302600_NS6detail15normal_iteratorINSA_10device_ptrIsEEEEPS6_SG_NS0_5tupleIJSF_S6_EEENSH_IJSG_SG_EEES6_PlJ5mod_3IsEEEE10hipError_tPvRmT3_T4_T5_T6_T7_T9_mT8_P12ihipStream_tbDpT10_ENKUlT_T0_E_clISt17integral_constantIbLb0EES16_EEDaS11_S12_EUlS11_E_NS1_11comp_targetILNS1_3genE9ELNS1_11target_archE1100ELNS1_3gpuE3ELNS1_3repE0EEENS1_30default_config_static_selectorELNS0_4arch9wavefront6targetE0EEEvT1_, .Lfunc_end622-_ZN7rocprim17ROCPRIM_400000_NS6detail17trampoline_kernelINS0_14default_configENS1_25partition_config_selectorILNS1_17partition_subalgoE6EsNS0_10empty_typeEbEEZZNS1_14partition_implILS5_6ELb0ES3_mN6thrust23THRUST_200600_302600_NS6detail15normal_iteratorINSA_10device_ptrIsEEEEPS6_SG_NS0_5tupleIJSF_S6_EEENSH_IJSG_SG_EEES6_PlJ5mod_3IsEEEE10hipError_tPvRmT3_T4_T5_T6_T7_T9_mT8_P12ihipStream_tbDpT10_ENKUlT_T0_E_clISt17integral_constantIbLb0EES16_EEDaS11_S12_EUlS11_E_NS1_11comp_targetILNS1_3genE9ELNS1_11target_archE1100ELNS1_3gpuE3ELNS1_3repE0EEENS1_30default_config_static_selectorELNS0_4arch9wavefront6targetE0EEEvT1_
                                        ; -- End function
	.section	.AMDGPU.csdata,"",@progbits
; Kernel info:
; codeLenInByte = 15448
; NumSgprs: 22
; NumVgprs: 130
; ScratchSize: 0
; MemoryBound: 0
; FloatMode: 240
; IeeeMode: 1
; LDSByteSize: 7696 bytes/workgroup (compile time only)
; SGPRBlocks: 2
; VGPRBlocks: 16
; NumSGPRsForWavesPerEU: 22
; NumVGPRsForWavesPerEU: 130
; Occupancy: 10
; WaveLimiterHint : 1
; COMPUTE_PGM_RSRC2:SCRATCH_EN: 0
; COMPUTE_PGM_RSRC2:USER_SGPR: 15
; COMPUTE_PGM_RSRC2:TRAP_HANDLER: 0
; COMPUTE_PGM_RSRC2:TGID_X_EN: 1
; COMPUTE_PGM_RSRC2:TGID_Y_EN: 0
; COMPUTE_PGM_RSRC2:TGID_Z_EN: 0
; COMPUTE_PGM_RSRC2:TIDIG_COMP_CNT: 0
	.section	.text._ZN7rocprim17ROCPRIM_400000_NS6detail17trampoline_kernelINS0_14default_configENS1_25partition_config_selectorILNS1_17partition_subalgoE6EsNS0_10empty_typeEbEEZZNS1_14partition_implILS5_6ELb0ES3_mN6thrust23THRUST_200600_302600_NS6detail15normal_iteratorINSA_10device_ptrIsEEEEPS6_SG_NS0_5tupleIJSF_S6_EEENSH_IJSG_SG_EEES6_PlJ5mod_3IsEEEE10hipError_tPvRmT3_T4_T5_T6_T7_T9_mT8_P12ihipStream_tbDpT10_ENKUlT_T0_E_clISt17integral_constantIbLb0EES16_EEDaS11_S12_EUlS11_E_NS1_11comp_targetILNS1_3genE8ELNS1_11target_archE1030ELNS1_3gpuE2ELNS1_3repE0EEENS1_30default_config_static_selectorELNS0_4arch9wavefront6targetE0EEEvT1_,"axG",@progbits,_ZN7rocprim17ROCPRIM_400000_NS6detail17trampoline_kernelINS0_14default_configENS1_25partition_config_selectorILNS1_17partition_subalgoE6EsNS0_10empty_typeEbEEZZNS1_14partition_implILS5_6ELb0ES3_mN6thrust23THRUST_200600_302600_NS6detail15normal_iteratorINSA_10device_ptrIsEEEEPS6_SG_NS0_5tupleIJSF_S6_EEENSH_IJSG_SG_EEES6_PlJ5mod_3IsEEEE10hipError_tPvRmT3_T4_T5_T6_T7_T9_mT8_P12ihipStream_tbDpT10_ENKUlT_T0_E_clISt17integral_constantIbLb0EES16_EEDaS11_S12_EUlS11_E_NS1_11comp_targetILNS1_3genE8ELNS1_11target_archE1030ELNS1_3gpuE2ELNS1_3repE0EEENS1_30default_config_static_selectorELNS0_4arch9wavefront6targetE0EEEvT1_,comdat
	.protected	_ZN7rocprim17ROCPRIM_400000_NS6detail17trampoline_kernelINS0_14default_configENS1_25partition_config_selectorILNS1_17partition_subalgoE6EsNS0_10empty_typeEbEEZZNS1_14partition_implILS5_6ELb0ES3_mN6thrust23THRUST_200600_302600_NS6detail15normal_iteratorINSA_10device_ptrIsEEEEPS6_SG_NS0_5tupleIJSF_S6_EEENSH_IJSG_SG_EEES6_PlJ5mod_3IsEEEE10hipError_tPvRmT3_T4_T5_T6_T7_T9_mT8_P12ihipStream_tbDpT10_ENKUlT_T0_E_clISt17integral_constantIbLb0EES16_EEDaS11_S12_EUlS11_E_NS1_11comp_targetILNS1_3genE8ELNS1_11target_archE1030ELNS1_3gpuE2ELNS1_3repE0EEENS1_30default_config_static_selectorELNS0_4arch9wavefront6targetE0EEEvT1_ ; -- Begin function _ZN7rocprim17ROCPRIM_400000_NS6detail17trampoline_kernelINS0_14default_configENS1_25partition_config_selectorILNS1_17partition_subalgoE6EsNS0_10empty_typeEbEEZZNS1_14partition_implILS5_6ELb0ES3_mN6thrust23THRUST_200600_302600_NS6detail15normal_iteratorINSA_10device_ptrIsEEEEPS6_SG_NS0_5tupleIJSF_S6_EEENSH_IJSG_SG_EEES6_PlJ5mod_3IsEEEE10hipError_tPvRmT3_T4_T5_T6_T7_T9_mT8_P12ihipStream_tbDpT10_ENKUlT_T0_E_clISt17integral_constantIbLb0EES16_EEDaS11_S12_EUlS11_E_NS1_11comp_targetILNS1_3genE8ELNS1_11target_archE1030ELNS1_3gpuE2ELNS1_3repE0EEENS1_30default_config_static_selectorELNS0_4arch9wavefront6targetE0EEEvT1_
	.globl	_ZN7rocprim17ROCPRIM_400000_NS6detail17trampoline_kernelINS0_14default_configENS1_25partition_config_selectorILNS1_17partition_subalgoE6EsNS0_10empty_typeEbEEZZNS1_14partition_implILS5_6ELb0ES3_mN6thrust23THRUST_200600_302600_NS6detail15normal_iteratorINSA_10device_ptrIsEEEEPS6_SG_NS0_5tupleIJSF_S6_EEENSH_IJSG_SG_EEES6_PlJ5mod_3IsEEEE10hipError_tPvRmT3_T4_T5_T6_T7_T9_mT8_P12ihipStream_tbDpT10_ENKUlT_T0_E_clISt17integral_constantIbLb0EES16_EEDaS11_S12_EUlS11_E_NS1_11comp_targetILNS1_3genE8ELNS1_11target_archE1030ELNS1_3gpuE2ELNS1_3repE0EEENS1_30default_config_static_selectorELNS0_4arch9wavefront6targetE0EEEvT1_
	.p2align	8
	.type	_ZN7rocprim17ROCPRIM_400000_NS6detail17trampoline_kernelINS0_14default_configENS1_25partition_config_selectorILNS1_17partition_subalgoE6EsNS0_10empty_typeEbEEZZNS1_14partition_implILS5_6ELb0ES3_mN6thrust23THRUST_200600_302600_NS6detail15normal_iteratorINSA_10device_ptrIsEEEEPS6_SG_NS0_5tupleIJSF_S6_EEENSH_IJSG_SG_EEES6_PlJ5mod_3IsEEEE10hipError_tPvRmT3_T4_T5_T6_T7_T9_mT8_P12ihipStream_tbDpT10_ENKUlT_T0_E_clISt17integral_constantIbLb0EES16_EEDaS11_S12_EUlS11_E_NS1_11comp_targetILNS1_3genE8ELNS1_11target_archE1030ELNS1_3gpuE2ELNS1_3repE0EEENS1_30default_config_static_selectorELNS0_4arch9wavefront6targetE0EEEvT1_,@function
_ZN7rocprim17ROCPRIM_400000_NS6detail17trampoline_kernelINS0_14default_configENS1_25partition_config_selectorILNS1_17partition_subalgoE6EsNS0_10empty_typeEbEEZZNS1_14partition_implILS5_6ELb0ES3_mN6thrust23THRUST_200600_302600_NS6detail15normal_iteratorINSA_10device_ptrIsEEEEPS6_SG_NS0_5tupleIJSF_S6_EEENSH_IJSG_SG_EEES6_PlJ5mod_3IsEEEE10hipError_tPvRmT3_T4_T5_T6_T7_T9_mT8_P12ihipStream_tbDpT10_ENKUlT_T0_E_clISt17integral_constantIbLb0EES16_EEDaS11_S12_EUlS11_E_NS1_11comp_targetILNS1_3genE8ELNS1_11target_archE1030ELNS1_3gpuE2ELNS1_3repE0EEENS1_30default_config_static_selectorELNS0_4arch9wavefront6targetE0EEEvT1_: ; @_ZN7rocprim17ROCPRIM_400000_NS6detail17trampoline_kernelINS0_14default_configENS1_25partition_config_selectorILNS1_17partition_subalgoE6EsNS0_10empty_typeEbEEZZNS1_14partition_implILS5_6ELb0ES3_mN6thrust23THRUST_200600_302600_NS6detail15normal_iteratorINSA_10device_ptrIsEEEEPS6_SG_NS0_5tupleIJSF_S6_EEENSH_IJSG_SG_EEES6_PlJ5mod_3IsEEEE10hipError_tPvRmT3_T4_T5_T6_T7_T9_mT8_P12ihipStream_tbDpT10_ENKUlT_T0_E_clISt17integral_constantIbLb0EES16_EEDaS11_S12_EUlS11_E_NS1_11comp_targetILNS1_3genE8ELNS1_11target_archE1030ELNS1_3gpuE2ELNS1_3repE0EEENS1_30default_config_static_selectorELNS0_4arch9wavefront6targetE0EEEvT1_
; %bb.0:
	.section	.rodata,"a",@progbits
	.p2align	6, 0x0
	.amdhsa_kernel _ZN7rocprim17ROCPRIM_400000_NS6detail17trampoline_kernelINS0_14default_configENS1_25partition_config_selectorILNS1_17partition_subalgoE6EsNS0_10empty_typeEbEEZZNS1_14partition_implILS5_6ELb0ES3_mN6thrust23THRUST_200600_302600_NS6detail15normal_iteratorINSA_10device_ptrIsEEEEPS6_SG_NS0_5tupleIJSF_S6_EEENSH_IJSG_SG_EEES6_PlJ5mod_3IsEEEE10hipError_tPvRmT3_T4_T5_T6_T7_T9_mT8_P12ihipStream_tbDpT10_ENKUlT_T0_E_clISt17integral_constantIbLb0EES16_EEDaS11_S12_EUlS11_E_NS1_11comp_targetILNS1_3genE8ELNS1_11target_archE1030ELNS1_3gpuE2ELNS1_3repE0EEENS1_30default_config_static_selectorELNS0_4arch9wavefront6targetE0EEEvT1_
		.amdhsa_group_segment_fixed_size 0
		.amdhsa_private_segment_fixed_size 0
		.amdhsa_kernarg_size 112
		.amdhsa_user_sgpr_count 15
		.amdhsa_user_sgpr_dispatch_ptr 0
		.amdhsa_user_sgpr_queue_ptr 0
		.amdhsa_user_sgpr_kernarg_segment_ptr 1
		.amdhsa_user_sgpr_dispatch_id 0
		.amdhsa_user_sgpr_private_segment_size 0
		.amdhsa_wavefront_size32 1
		.amdhsa_uses_dynamic_stack 0
		.amdhsa_enable_private_segment 0
		.amdhsa_system_sgpr_workgroup_id_x 1
		.amdhsa_system_sgpr_workgroup_id_y 0
		.amdhsa_system_sgpr_workgroup_id_z 0
		.amdhsa_system_sgpr_workgroup_info 0
		.amdhsa_system_vgpr_workitem_id 0
		.amdhsa_next_free_vgpr 1
		.amdhsa_next_free_sgpr 1
		.amdhsa_reserve_vcc 0
		.amdhsa_float_round_mode_32 0
		.amdhsa_float_round_mode_16_64 0
		.amdhsa_float_denorm_mode_32 3
		.amdhsa_float_denorm_mode_16_64 3
		.amdhsa_dx10_clamp 1
		.amdhsa_ieee_mode 1
		.amdhsa_fp16_overflow 0
		.amdhsa_workgroup_processor_mode 1
		.amdhsa_memory_ordered 1
		.amdhsa_forward_progress 0
		.amdhsa_shared_vgpr_count 0
		.amdhsa_exception_fp_ieee_invalid_op 0
		.amdhsa_exception_fp_denorm_src 0
		.amdhsa_exception_fp_ieee_div_zero 0
		.amdhsa_exception_fp_ieee_overflow 0
		.amdhsa_exception_fp_ieee_underflow 0
		.amdhsa_exception_fp_ieee_inexact 0
		.amdhsa_exception_int_div_zero 0
	.end_amdhsa_kernel
	.section	.text._ZN7rocprim17ROCPRIM_400000_NS6detail17trampoline_kernelINS0_14default_configENS1_25partition_config_selectorILNS1_17partition_subalgoE6EsNS0_10empty_typeEbEEZZNS1_14partition_implILS5_6ELb0ES3_mN6thrust23THRUST_200600_302600_NS6detail15normal_iteratorINSA_10device_ptrIsEEEEPS6_SG_NS0_5tupleIJSF_S6_EEENSH_IJSG_SG_EEES6_PlJ5mod_3IsEEEE10hipError_tPvRmT3_T4_T5_T6_T7_T9_mT8_P12ihipStream_tbDpT10_ENKUlT_T0_E_clISt17integral_constantIbLb0EES16_EEDaS11_S12_EUlS11_E_NS1_11comp_targetILNS1_3genE8ELNS1_11target_archE1030ELNS1_3gpuE2ELNS1_3repE0EEENS1_30default_config_static_selectorELNS0_4arch9wavefront6targetE0EEEvT1_,"axG",@progbits,_ZN7rocprim17ROCPRIM_400000_NS6detail17trampoline_kernelINS0_14default_configENS1_25partition_config_selectorILNS1_17partition_subalgoE6EsNS0_10empty_typeEbEEZZNS1_14partition_implILS5_6ELb0ES3_mN6thrust23THRUST_200600_302600_NS6detail15normal_iteratorINSA_10device_ptrIsEEEEPS6_SG_NS0_5tupleIJSF_S6_EEENSH_IJSG_SG_EEES6_PlJ5mod_3IsEEEE10hipError_tPvRmT3_T4_T5_T6_T7_T9_mT8_P12ihipStream_tbDpT10_ENKUlT_T0_E_clISt17integral_constantIbLb0EES16_EEDaS11_S12_EUlS11_E_NS1_11comp_targetILNS1_3genE8ELNS1_11target_archE1030ELNS1_3gpuE2ELNS1_3repE0EEENS1_30default_config_static_selectorELNS0_4arch9wavefront6targetE0EEEvT1_,comdat
.Lfunc_end623:
	.size	_ZN7rocprim17ROCPRIM_400000_NS6detail17trampoline_kernelINS0_14default_configENS1_25partition_config_selectorILNS1_17partition_subalgoE6EsNS0_10empty_typeEbEEZZNS1_14partition_implILS5_6ELb0ES3_mN6thrust23THRUST_200600_302600_NS6detail15normal_iteratorINSA_10device_ptrIsEEEEPS6_SG_NS0_5tupleIJSF_S6_EEENSH_IJSG_SG_EEES6_PlJ5mod_3IsEEEE10hipError_tPvRmT3_T4_T5_T6_T7_T9_mT8_P12ihipStream_tbDpT10_ENKUlT_T0_E_clISt17integral_constantIbLb0EES16_EEDaS11_S12_EUlS11_E_NS1_11comp_targetILNS1_3genE8ELNS1_11target_archE1030ELNS1_3gpuE2ELNS1_3repE0EEENS1_30default_config_static_selectorELNS0_4arch9wavefront6targetE0EEEvT1_, .Lfunc_end623-_ZN7rocprim17ROCPRIM_400000_NS6detail17trampoline_kernelINS0_14default_configENS1_25partition_config_selectorILNS1_17partition_subalgoE6EsNS0_10empty_typeEbEEZZNS1_14partition_implILS5_6ELb0ES3_mN6thrust23THRUST_200600_302600_NS6detail15normal_iteratorINSA_10device_ptrIsEEEEPS6_SG_NS0_5tupleIJSF_S6_EEENSH_IJSG_SG_EEES6_PlJ5mod_3IsEEEE10hipError_tPvRmT3_T4_T5_T6_T7_T9_mT8_P12ihipStream_tbDpT10_ENKUlT_T0_E_clISt17integral_constantIbLb0EES16_EEDaS11_S12_EUlS11_E_NS1_11comp_targetILNS1_3genE8ELNS1_11target_archE1030ELNS1_3gpuE2ELNS1_3repE0EEENS1_30default_config_static_selectorELNS0_4arch9wavefront6targetE0EEEvT1_
                                        ; -- End function
	.section	.AMDGPU.csdata,"",@progbits
; Kernel info:
; codeLenInByte = 0
; NumSgprs: 0
; NumVgprs: 0
; ScratchSize: 0
; MemoryBound: 0
; FloatMode: 240
; IeeeMode: 1
; LDSByteSize: 0 bytes/workgroup (compile time only)
; SGPRBlocks: 0
; VGPRBlocks: 0
; NumSGPRsForWavesPerEU: 1
; NumVGPRsForWavesPerEU: 1
; Occupancy: 16
; WaveLimiterHint : 0
; COMPUTE_PGM_RSRC2:SCRATCH_EN: 0
; COMPUTE_PGM_RSRC2:USER_SGPR: 15
; COMPUTE_PGM_RSRC2:TRAP_HANDLER: 0
; COMPUTE_PGM_RSRC2:TGID_X_EN: 1
; COMPUTE_PGM_RSRC2:TGID_Y_EN: 0
; COMPUTE_PGM_RSRC2:TGID_Z_EN: 0
; COMPUTE_PGM_RSRC2:TIDIG_COMP_CNT: 0
	.section	.text._ZN7rocprim17ROCPRIM_400000_NS6detail17trampoline_kernelINS0_14default_configENS1_25partition_config_selectorILNS1_17partition_subalgoE6EsNS0_10empty_typeEbEEZZNS1_14partition_implILS5_6ELb0ES3_mN6thrust23THRUST_200600_302600_NS6detail15normal_iteratorINSA_10device_ptrIsEEEEPS6_SG_NS0_5tupleIJSF_S6_EEENSH_IJSG_SG_EEES6_PlJ5mod_3IsEEEE10hipError_tPvRmT3_T4_T5_T6_T7_T9_mT8_P12ihipStream_tbDpT10_ENKUlT_T0_E_clISt17integral_constantIbLb1EES16_EEDaS11_S12_EUlS11_E_NS1_11comp_targetILNS1_3genE0ELNS1_11target_archE4294967295ELNS1_3gpuE0ELNS1_3repE0EEENS1_30default_config_static_selectorELNS0_4arch9wavefront6targetE0EEEvT1_,"axG",@progbits,_ZN7rocprim17ROCPRIM_400000_NS6detail17trampoline_kernelINS0_14default_configENS1_25partition_config_selectorILNS1_17partition_subalgoE6EsNS0_10empty_typeEbEEZZNS1_14partition_implILS5_6ELb0ES3_mN6thrust23THRUST_200600_302600_NS6detail15normal_iteratorINSA_10device_ptrIsEEEEPS6_SG_NS0_5tupleIJSF_S6_EEENSH_IJSG_SG_EEES6_PlJ5mod_3IsEEEE10hipError_tPvRmT3_T4_T5_T6_T7_T9_mT8_P12ihipStream_tbDpT10_ENKUlT_T0_E_clISt17integral_constantIbLb1EES16_EEDaS11_S12_EUlS11_E_NS1_11comp_targetILNS1_3genE0ELNS1_11target_archE4294967295ELNS1_3gpuE0ELNS1_3repE0EEENS1_30default_config_static_selectorELNS0_4arch9wavefront6targetE0EEEvT1_,comdat
	.protected	_ZN7rocprim17ROCPRIM_400000_NS6detail17trampoline_kernelINS0_14default_configENS1_25partition_config_selectorILNS1_17partition_subalgoE6EsNS0_10empty_typeEbEEZZNS1_14partition_implILS5_6ELb0ES3_mN6thrust23THRUST_200600_302600_NS6detail15normal_iteratorINSA_10device_ptrIsEEEEPS6_SG_NS0_5tupleIJSF_S6_EEENSH_IJSG_SG_EEES6_PlJ5mod_3IsEEEE10hipError_tPvRmT3_T4_T5_T6_T7_T9_mT8_P12ihipStream_tbDpT10_ENKUlT_T0_E_clISt17integral_constantIbLb1EES16_EEDaS11_S12_EUlS11_E_NS1_11comp_targetILNS1_3genE0ELNS1_11target_archE4294967295ELNS1_3gpuE0ELNS1_3repE0EEENS1_30default_config_static_selectorELNS0_4arch9wavefront6targetE0EEEvT1_ ; -- Begin function _ZN7rocprim17ROCPRIM_400000_NS6detail17trampoline_kernelINS0_14default_configENS1_25partition_config_selectorILNS1_17partition_subalgoE6EsNS0_10empty_typeEbEEZZNS1_14partition_implILS5_6ELb0ES3_mN6thrust23THRUST_200600_302600_NS6detail15normal_iteratorINSA_10device_ptrIsEEEEPS6_SG_NS0_5tupleIJSF_S6_EEENSH_IJSG_SG_EEES6_PlJ5mod_3IsEEEE10hipError_tPvRmT3_T4_T5_T6_T7_T9_mT8_P12ihipStream_tbDpT10_ENKUlT_T0_E_clISt17integral_constantIbLb1EES16_EEDaS11_S12_EUlS11_E_NS1_11comp_targetILNS1_3genE0ELNS1_11target_archE4294967295ELNS1_3gpuE0ELNS1_3repE0EEENS1_30default_config_static_selectorELNS0_4arch9wavefront6targetE0EEEvT1_
	.globl	_ZN7rocprim17ROCPRIM_400000_NS6detail17trampoline_kernelINS0_14default_configENS1_25partition_config_selectorILNS1_17partition_subalgoE6EsNS0_10empty_typeEbEEZZNS1_14partition_implILS5_6ELb0ES3_mN6thrust23THRUST_200600_302600_NS6detail15normal_iteratorINSA_10device_ptrIsEEEEPS6_SG_NS0_5tupleIJSF_S6_EEENSH_IJSG_SG_EEES6_PlJ5mod_3IsEEEE10hipError_tPvRmT3_T4_T5_T6_T7_T9_mT8_P12ihipStream_tbDpT10_ENKUlT_T0_E_clISt17integral_constantIbLb1EES16_EEDaS11_S12_EUlS11_E_NS1_11comp_targetILNS1_3genE0ELNS1_11target_archE4294967295ELNS1_3gpuE0ELNS1_3repE0EEENS1_30default_config_static_selectorELNS0_4arch9wavefront6targetE0EEEvT1_
	.p2align	8
	.type	_ZN7rocprim17ROCPRIM_400000_NS6detail17trampoline_kernelINS0_14default_configENS1_25partition_config_selectorILNS1_17partition_subalgoE6EsNS0_10empty_typeEbEEZZNS1_14partition_implILS5_6ELb0ES3_mN6thrust23THRUST_200600_302600_NS6detail15normal_iteratorINSA_10device_ptrIsEEEEPS6_SG_NS0_5tupleIJSF_S6_EEENSH_IJSG_SG_EEES6_PlJ5mod_3IsEEEE10hipError_tPvRmT3_T4_T5_T6_T7_T9_mT8_P12ihipStream_tbDpT10_ENKUlT_T0_E_clISt17integral_constantIbLb1EES16_EEDaS11_S12_EUlS11_E_NS1_11comp_targetILNS1_3genE0ELNS1_11target_archE4294967295ELNS1_3gpuE0ELNS1_3repE0EEENS1_30default_config_static_selectorELNS0_4arch9wavefront6targetE0EEEvT1_,@function
_ZN7rocprim17ROCPRIM_400000_NS6detail17trampoline_kernelINS0_14default_configENS1_25partition_config_selectorILNS1_17partition_subalgoE6EsNS0_10empty_typeEbEEZZNS1_14partition_implILS5_6ELb0ES3_mN6thrust23THRUST_200600_302600_NS6detail15normal_iteratorINSA_10device_ptrIsEEEEPS6_SG_NS0_5tupleIJSF_S6_EEENSH_IJSG_SG_EEES6_PlJ5mod_3IsEEEE10hipError_tPvRmT3_T4_T5_T6_T7_T9_mT8_P12ihipStream_tbDpT10_ENKUlT_T0_E_clISt17integral_constantIbLb1EES16_EEDaS11_S12_EUlS11_E_NS1_11comp_targetILNS1_3genE0ELNS1_11target_archE4294967295ELNS1_3gpuE0ELNS1_3repE0EEENS1_30default_config_static_selectorELNS0_4arch9wavefront6targetE0EEEvT1_: ; @_ZN7rocprim17ROCPRIM_400000_NS6detail17trampoline_kernelINS0_14default_configENS1_25partition_config_selectorILNS1_17partition_subalgoE6EsNS0_10empty_typeEbEEZZNS1_14partition_implILS5_6ELb0ES3_mN6thrust23THRUST_200600_302600_NS6detail15normal_iteratorINSA_10device_ptrIsEEEEPS6_SG_NS0_5tupleIJSF_S6_EEENSH_IJSG_SG_EEES6_PlJ5mod_3IsEEEE10hipError_tPvRmT3_T4_T5_T6_T7_T9_mT8_P12ihipStream_tbDpT10_ENKUlT_T0_E_clISt17integral_constantIbLb1EES16_EEDaS11_S12_EUlS11_E_NS1_11comp_targetILNS1_3genE0ELNS1_11target_archE4294967295ELNS1_3gpuE0ELNS1_3repE0EEENS1_30default_config_static_selectorELNS0_4arch9wavefront6targetE0EEEvT1_
; %bb.0:
	.section	.rodata,"a",@progbits
	.p2align	6, 0x0
	.amdhsa_kernel _ZN7rocprim17ROCPRIM_400000_NS6detail17trampoline_kernelINS0_14default_configENS1_25partition_config_selectorILNS1_17partition_subalgoE6EsNS0_10empty_typeEbEEZZNS1_14partition_implILS5_6ELb0ES3_mN6thrust23THRUST_200600_302600_NS6detail15normal_iteratorINSA_10device_ptrIsEEEEPS6_SG_NS0_5tupleIJSF_S6_EEENSH_IJSG_SG_EEES6_PlJ5mod_3IsEEEE10hipError_tPvRmT3_T4_T5_T6_T7_T9_mT8_P12ihipStream_tbDpT10_ENKUlT_T0_E_clISt17integral_constantIbLb1EES16_EEDaS11_S12_EUlS11_E_NS1_11comp_targetILNS1_3genE0ELNS1_11target_archE4294967295ELNS1_3gpuE0ELNS1_3repE0EEENS1_30default_config_static_selectorELNS0_4arch9wavefront6targetE0EEEvT1_
		.amdhsa_group_segment_fixed_size 0
		.amdhsa_private_segment_fixed_size 0
		.amdhsa_kernarg_size 128
		.amdhsa_user_sgpr_count 15
		.amdhsa_user_sgpr_dispatch_ptr 0
		.amdhsa_user_sgpr_queue_ptr 0
		.amdhsa_user_sgpr_kernarg_segment_ptr 1
		.amdhsa_user_sgpr_dispatch_id 0
		.amdhsa_user_sgpr_private_segment_size 0
		.amdhsa_wavefront_size32 1
		.amdhsa_uses_dynamic_stack 0
		.amdhsa_enable_private_segment 0
		.amdhsa_system_sgpr_workgroup_id_x 1
		.amdhsa_system_sgpr_workgroup_id_y 0
		.amdhsa_system_sgpr_workgroup_id_z 0
		.amdhsa_system_sgpr_workgroup_info 0
		.amdhsa_system_vgpr_workitem_id 0
		.amdhsa_next_free_vgpr 1
		.amdhsa_next_free_sgpr 1
		.amdhsa_reserve_vcc 0
		.amdhsa_float_round_mode_32 0
		.amdhsa_float_round_mode_16_64 0
		.amdhsa_float_denorm_mode_32 3
		.amdhsa_float_denorm_mode_16_64 3
		.amdhsa_dx10_clamp 1
		.amdhsa_ieee_mode 1
		.amdhsa_fp16_overflow 0
		.amdhsa_workgroup_processor_mode 1
		.amdhsa_memory_ordered 1
		.amdhsa_forward_progress 0
		.amdhsa_shared_vgpr_count 0
		.amdhsa_exception_fp_ieee_invalid_op 0
		.amdhsa_exception_fp_denorm_src 0
		.amdhsa_exception_fp_ieee_div_zero 0
		.amdhsa_exception_fp_ieee_overflow 0
		.amdhsa_exception_fp_ieee_underflow 0
		.amdhsa_exception_fp_ieee_inexact 0
		.amdhsa_exception_int_div_zero 0
	.end_amdhsa_kernel
	.section	.text._ZN7rocprim17ROCPRIM_400000_NS6detail17trampoline_kernelINS0_14default_configENS1_25partition_config_selectorILNS1_17partition_subalgoE6EsNS0_10empty_typeEbEEZZNS1_14partition_implILS5_6ELb0ES3_mN6thrust23THRUST_200600_302600_NS6detail15normal_iteratorINSA_10device_ptrIsEEEEPS6_SG_NS0_5tupleIJSF_S6_EEENSH_IJSG_SG_EEES6_PlJ5mod_3IsEEEE10hipError_tPvRmT3_T4_T5_T6_T7_T9_mT8_P12ihipStream_tbDpT10_ENKUlT_T0_E_clISt17integral_constantIbLb1EES16_EEDaS11_S12_EUlS11_E_NS1_11comp_targetILNS1_3genE0ELNS1_11target_archE4294967295ELNS1_3gpuE0ELNS1_3repE0EEENS1_30default_config_static_selectorELNS0_4arch9wavefront6targetE0EEEvT1_,"axG",@progbits,_ZN7rocprim17ROCPRIM_400000_NS6detail17trampoline_kernelINS0_14default_configENS1_25partition_config_selectorILNS1_17partition_subalgoE6EsNS0_10empty_typeEbEEZZNS1_14partition_implILS5_6ELb0ES3_mN6thrust23THRUST_200600_302600_NS6detail15normal_iteratorINSA_10device_ptrIsEEEEPS6_SG_NS0_5tupleIJSF_S6_EEENSH_IJSG_SG_EEES6_PlJ5mod_3IsEEEE10hipError_tPvRmT3_T4_T5_T6_T7_T9_mT8_P12ihipStream_tbDpT10_ENKUlT_T0_E_clISt17integral_constantIbLb1EES16_EEDaS11_S12_EUlS11_E_NS1_11comp_targetILNS1_3genE0ELNS1_11target_archE4294967295ELNS1_3gpuE0ELNS1_3repE0EEENS1_30default_config_static_selectorELNS0_4arch9wavefront6targetE0EEEvT1_,comdat
.Lfunc_end624:
	.size	_ZN7rocprim17ROCPRIM_400000_NS6detail17trampoline_kernelINS0_14default_configENS1_25partition_config_selectorILNS1_17partition_subalgoE6EsNS0_10empty_typeEbEEZZNS1_14partition_implILS5_6ELb0ES3_mN6thrust23THRUST_200600_302600_NS6detail15normal_iteratorINSA_10device_ptrIsEEEEPS6_SG_NS0_5tupleIJSF_S6_EEENSH_IJSG_SG_EEES6_PlJ5mod_3IsEEEE10hipError_tPvRmT3_T4_T5_T6_T7_T9_mT8_P12ihipStream_tbDpT10_ENKUlT_T0_E_clISt17integral_constantIbLb1EES16_EEDaS11_S12_EUlS11_E_NS1_11comp_targetILNS1_3genE0ELNS1_11target_archE4294967295ELNS1_3gpuE0ELNS1_3repE0EEENS1_30default_config_static_selectorELNS0_4arch9wavefront6targetE0EEEvT1_, .Lfunc_end624-_ZN7rocprim17ROCPRIM_400000_NS6detail17trampoline_kernelINS0_14default_configENS1_25partition_config_selectorILNS1_17partition_subalgoE6EsNS0_10empty_typeEbEEZZNS1_14partition_implILS5_6ELb0ES3_mN6thrust23THRUST_200600_302600_NS6detail15normal_iteratorINSA_10device_ptrIsEEEEPS6_SG_NS0_5tupleIJSF_S6_EEENSH_IJSG_SG_EEES6_PlJ5mod_3IsEEEE10hipError_tPvRmT3_T4_T5_T6_T7_T9_mT8_P12ihipStream_tbDpT10_ENKUlT_T0_E_clISt17integral_constantIbLb1EES16_EEDaS11_S12_EUlS11_E_NS1_11comp_targetILNS1_3genE0ELNS1_11target_archE4294967295ELNS1_3gpuE0ELNS1_3repE0EEENS1_30default_config_static_selectorELNS0_4arch9wavefront6targetE0EEEvT1_
                                        ; -- End function
	.section	.AMDGPU.csdata,"",@progbits
; Kernel info:
; codeLenInByte = 0
; NumSgprs: 0
; NumVgprs: 0
; ScratchSize: 0
; MemoryBound: 0
; FloatMode: 240
; IeeeMode: 1
; LDSByteSize: 0 bytes/workgroup (compile time only)
; SGPRBlocks: 0
; VGPRBlocks: 0
; NumSGPRsForWavesPerEU: 1
; NumVGPRsForWavesPerEU: 1
; Occupancy: 16
; WaveLimiterHint : 0
; COMPUTE_PGM_RSRC2:SCRATCH_EN: 0
; COMPUTE_PGM_RSRC2:USER_SGPR: 15
; COMPUTE_PGM_RSRC2:TRAP_HANDLER: 0
; COMPUTE_PGM_RSRC2:TGID_X_EN: 1
; COMPUTE_PGM_RSRC2:TGID_Y_EN: 0
; COMPUTE_PGM_RSRC2:TGID_Z_EN: 0
; COMPUTE_PGM_RSRC2:TIDIG_COMP_CNT: 0
	.section	.text._ZN7rocprim17ROCPRIM_400000_NS6detail17trampoline_kernelINS0_14default_configENS1_25partition_config_selectorILNS1_17partition_subalgoE6EsNS0_10empty_typeEbEEZZNS1_14partition_implILS5_6ELb0ES3_mN6thrust23THRUST_200600_302600_NS6detail15normal_iteratorINSA_10device_ptrIsEEEEPS6_SG_NS0_5tupleIJSF_S6_EEENSH_IJSG_SG_EEES6_PlJ5mod_3IsEEEE10hipError_tPvRmT3_T4_T5_T6_T7_T9_mT8_P12ihipStream_tbDpT10_ENKUlT_T0_E_clISt17integral_constantIbLb1EES16_EEDaS11_S12_EUlS11_E_NS1_11comp_targetILNS1_3genE5ELNS1_11target_archE942ELNS1_3gpuE9ELNS1_3repE0EEENS1_30default_config_static_selectorELNS0_4arch9wavefront6targetE0EEEvT1_,"axG",@progbits,_ZN7rocprim17ROCPRIM_400000_NS6detail17trampoline_kernelINS0_14default_configENS1_25partition_config_selectorILNS1_17partition_subalgoE6EsNS0_10empty_typeEbEEZZNS1_14partition_implILS5_6ELb0ES3_mN6thrust23THRUST_200600_302600_NS6detail15normal_iteratorINSA_10device_ptrIsEEEEPS6_SG_NS0_5tupleIJSF_S6_EEENSH_IJSG_SG_EEES6_PlJ5mod_3IsEEEE10hipError_tPvRmT3_T4_T5_T6_T7_T9_mT8_P12ihipStream_tbDpT10_ENKUlT_T0_E_clISt17integral_constantIbLb1EES16_EEDaS11_S12_EUlS11_E_NS1_11comp_targetILNS1_3genE5ELNS1_11target_archE942ELNS1_3gpuE9ELNS1_3repE0EEENS1_30default_config_static_selectorELNS0_4arch9wavefront6targetE0EEEvT1_,comdat
	.protected	_ZN7rocprim17ROCPRIM_400000_NS6detail17trampoline_kernelINS0_14default_configENS1_25partition_config_selectorILNS1_17partition_subalgoE6EsNS0_10empty_typeEbEEZZNS1_14partition_implILS5_6ELb0ES3_mN6thrust23THRUST_200600_302600_NS6detail15normal_iteratorINSA_10device_ptrIsEEEEPS6_SG_NS0_5tupleIJSF_S6_EEENSH_IJSG_SG_EEES6_PlJ5mod_3IsEEEE10hipError_tPvRmT3_T4_T5_T6_T7_T9_mT8_P12ihipStream_tbDpT10_ENKUlT_T0_E_clISt17integral_constantIbLb1EES16_EEDaS11_S12_EUlS11_E_NS1_11comp_targetILNS1_3genE5ELNS1_11target_archE942ELNS1_3gpuE9ELNS1_3repE0EEENS1_30default_config_static_selectorELNS0_4arch9wavefront6targetE0EEEvT1_ ; -- Begin function _ZN7rocprim17ROCPRIM_400000_NS6detail17trampoline_kernelINS0_14default_configENS1_25partition_config_selectorILNS1_17partition_subalgoE6EsNS0_10empty_typeEbEEZZNS1_14partition_implILS5_6ELb0ES3_mN6thrust23THRUST_200600_302600_NS6detail15normal_iteratorINSA_10device_ptrIsEEEEPS6_SG_NS0_5tupleIJSF_S6_EEENSH_IJSG_SG_EEES6_PlJ5mod_3IsEEEE10hipError_tPvRmT3_T4_T5_T6_T7_T9_mT8_P12ihipStream_tbDpT10_ENKUlT_T0_E_clISt17integral_constantIbLb1EES16_EEDaS11_S12_EUlS11_E_NS1_11comp_targetILNS1_3genE5ELNS1_11target_archE942ELNS1_3gpuE9ELNS1_3repE0EEENS1_30default_config_static_selectorELNS0_4arch9wavefront6targetE0EEEvT1_
	.globl	_ZN7rocprim17ROCPRIM_400000_NS6detail17trampoline_kernelINS0_14default_configENS1_25partition_config_selectorILNS1_17partition_subalgoE6EsNS0_10empty_typeEbEEZZNS1_14partition_implILS5_6ELb0ES3_mN6thrust23THRUST_200600_302600_NS6detail15normal_iteratorINSA_10device_ptrIsEEEEPS6_SG_NS0_5tupleIJSF_S6_EEENSH_IJSG_SG_EEES6_PlJ5mod_3IsEEEE10hipError_tPvRmT3_T4_T5_T6_T7_T9_mT8_P12ihipStream_tbDpT10_ENKUlT_T0_E_clISt17integral_constantIbLb1EES16_EEDaS11_S12_EUlS11_E_NS1_11comp_targetILNS1_3genE5ELNS1_11target_archE942ELNS1_3gpuE9ELNS1_3repE0EEENS1_30default_config_static_selectorELNS0_4arch9wavefront6targetE0EEEvT1_
	.p2align	8
	.type	_ZN7rocprim17ROCPRIM_400000_NS6detail17trampoline_kernelINS0_14default_configENS1_25partition_config_selectorILNS1_17partition_subalgoE6EsNS0_10empty_typeEbEEZZNS1_14partition_implILS5_6ELb0ES3_mN6thrust23THRUST_200600_302600_NS6detail15normal_iteratorINSA_10device_ptrIsEEEEPS6_SG_NS0_5tupleIJSF_S6_EEENSH_IJSG_SG_EEES6_PlJ5mod_3IsEEEE10hipError_tPvRmT3_T4_T5_T6_T7_T9_mT8_P12ihipStream_tbDpT10_ENKUlT_T0_E_clISt17integral_constantIbLb1EES16_EEDaS11_S12_EUlS11_E_NS1_11comp_targetILNS1_3genE5ELNS1_11target_archE942ELNS1_3gpuE9ELNS1_3repE0EEENS1_30default_config_static_selectorELNS0_4arch9wavefront6targetE0EEEvT1_,@function
_ZN7rocprim17ROCPRIM_400000_NS6detail17trampoline_kernelINS0_14default_configENS1_25partition_config_selectorILNS1_17partition_subalgoE6EsNS0_10empty_typeEbEEZZNS1_14partition_implILS5_6ELb0ES3_mN6thrust23THRUST_200600_302600_NS6detail15normal_iteratorINSA_10device_ptrIsEEEEPS6_SG_NS0_5tupleIJSF_S6_EEENSH_IJSG_SG_EEES6_PlJ5mod_3IsEEEE10hipError_tPvRmT3_T4_T5_T6_T7_T9_mT8_P12ihipStream_tbDpT10_ENKUlT_T0_E_clISt17integral_constantIbLb1EES16_EEDaS11_S12_EUlS11_E_NS1_11comp_targetILNS1_3genE5ELNS1_11target_archE942ELNS1_3gpuE9ELNS1_3repE0EEENS1_30default_config_static_selectorELNS0_4arch9wavefront6targetE0EEEvT1_: ; @_ZN7rocprim17ROCPRIM_400000_NS6detail17trampoline_kernelINS0_14default_configENS1_25partition_config_selectorILNS1_17partition_subalgoE6EsNS0_10empty_typeEbEEZZNS1_14partition_implILS5_6ELb0ES3_mN6thrust23THRUST_200600_302600_NS6detail15normal_iteratorINSA_10device_ptrIsEEEEPS6_SG_NS0_5tupleIJSF_S6_EEENSH_IJSG_SG_EEES6_PlJ5mod_3IsEEEE10hipError_tPvRmT3_T4_T5_T6_T7_T9_mT8_P12ihipStream_tbDpT10_ENKUlT_T0_E_clISt17integral_constantIbLb1EES16_EEDaS11_S12_EUlS11_E_NS1_11comp_targetILNS1_3genE5ELNS1_11target_archE942ELNS1_3gpuE9ELNS1_3repE0EEENS1_30default_config_static_selectorELNS0_4arch9wavefront6targetE0EEEvT1_
; %bb.0:
	.section	.rodata,"a",@progbits
	.p2align	6, 0x0
	.amdhsa_kernel _ZN7rocprim17ROCPRIM_400000_NS6detail17trampoline_kernelINS0_14default_configENS1_25partition_config_selectorILNS1_17partition_subalgoE6EsNS0_10empty_typeEbEEZZNS1_14partition_implILS5_6ELb0ES3_mN6thrust23THRUST_200600_302600_NS6detail15normal_iteratorINSA_10device_ptrIsEEEEPS6_SG_NS0_5tupleIJSF_S6_EEENSH_IJSG_SG_EEES6_PlJ5mod_3IsEEEE10hipError_tPvRmT3_T4_T5_T6_T7_T9_mT8_P12ihipStream_tbDpT10_ENKUlT_T0_E_clISt17integral_constantIbLb1EES16_EEDaS11_S12_EUlS11_E_NS1_11comp_targetILNS1_3genE5ELNS1_11target_archE942ELNS1_3gpuE9ELNS1_3repE0EEENS1_30default_config_static_selectorELNS0_4arch9wavefront6targetE0EEEvT1_
		.amdhsa_group_segment_fixed_size 0
		.amdhsa_private_segment_fixed_size 0
		.amdhsa_kernarg_size 128
		.amdhsa_user_sgpr_count 15
		.amdhsa_user_sgpr_dispatch_ptr 0
		.amdhsa_user_sgpr_queue_ptr 0
		.amdhsa_user_sgpr_kernarg_segment_ptr 1
		.amdhsa_user_sgpr_dispatch_id 0
		.amdhsa_user_sgpr_private_segment_size 0
		.amdhsa_wavefront_size32 1
		.amdhsa_uses_dynamic_stack 0
		.amdhsa_enable_private_segment 0
		.amdhsa_system_sgpr_workgroup_id_x 1
		.amdhsa_system_sgpr_workgroup_id_y 0
		.amdhsa_system_sgpr_workgroup_id_z 0
		.amdhsa_system_sgpr_workgroup_info 0
		.amdhsa_system_vgpr_workitem_id 0
		.amdhsa_next_free_vgpr 1
		.amdhsa_next_free_sgpr 1
		.amdhsa_reserve_vcc 0
		.amdhsa_float_round_mode_32 0
		.amdhsa_float_round_mode_16_64 0
		.amdhsa_float_denorm_mode_32 3
		.amdhsa_float_denorm_mode_16_64 3
		.amdhsa_dx10_clamp 1
		.amdhsa_ieee_mode 1
		.amdhsa_fp16_overflow 0
		.amdhsa_workgroup_processor_mode 1
		.amdhsa_memory_ordered 1
		.amdhsa_forward_progress 0
		.amdhsa_shared_vgpr_count 0
		.amdhsa_exception_fp_ieee_invalid_op 0
		.amdhsa_exception_fp_denorm_src 0
		.amdhsa_exception_fp_ieee_div_zero 0
		.amdhsa_exception_fp_ieee_overflow 0
		.amdhsa_exception_fp_ieee_underflow 0
		.amdhsa_exception_fp_ieee_inexact 0
		.amdhsa_exception_int_div_zero 0
	.end_amdhsa_kernel
	.section	.text._ZN7rocprim17ROCPRIM_400000_NS6detail17trampoline_kernelINS0_14default_configENS1_25partition_config_selectorILNS1_17partition_subalgoE6EsNS0_10empty_typeEbEEZZNS1_14partition_implILS5_6ELb0ES3_mN6thrust23THRUST_200600_302600_NS6detail15normal_iteratorINSA_10device_ptrIsEEEEPS6_SG_NS0_5tupleIJSF_S6_EEENSH_IJSG_SG_EEES6_PlJ5mod_3IsEEEE10hipError_tPvRmT3_T4_T5_T6_T7_T9_mT8_P12ihipStream_tbDpT10_ENKUlT_T0_E_clISt17integral_constantIbLb1EES16_EEDaS11_S12_EUlS11_E_NS1_11comp_targetILNS1_3genE5ELNS1_11target_archE942ELNS1_3gpuE9ELNS1_3repE0EEENS1_30default_config_static_selectorELNS0_4arch9wavefront6targetE0EEEvT1_,"axG",@progbits,_ZN7rocprim17ROCPRIM_400000_NS6detail17trampoline_kernelINS0_14default_configENS1_25partition_config_selectorILNS1_17partition_subalgoE6EsNS0_10empty_typeEbEEZZNS1_14partition_implILS5_6ELb0ES3_mN6thrust23THRUST_200600_302600_NS6detail15normal_iteratorINSA_10device_ptrIsEEEEPS6_SG_NS0_5tupleIJSF_S6_EEENSH_IJSG_SG_EEES6_PlJ5mod_3IsEEEE10hipError_tPvRmT3_T4_T5_T6_T7_T9_mT8_P12ihipStream_tbDpT10_ENKUlT_T0_E_clISt17integral_constantIbLb1EES16_EEDaS11_S12_EUlS11_E_NS1_11comp_targetILNS1_3genE5ELNS1_11target_archE942ELNS1_3gpuE9ELNS1_3repE0EEENS1_30default_config_static_selectorELNS0_4arch9wavefront6targetE0EEEvT1_,comdat
.Lfunc_end625:
	.size	_ZN7rocprim17ROCPRIM_400000_NS6detail17trampoline_kernelINS0_14default_configENS1_25partition_config_selectorILNS1_17partition_subalgoE6EsNS0_10empty_typeEbEEZZNS1_14partition_implILS5_6ELb0ES3_mN6thrust23THRUST_200600_302600_NS6detail15normal_iteratorINSA_10device_ptrIsEEEEPS6_SG_NS0_5tupleIJSF_S6_EEENSH_IJSG_SG_EEES6_PlJ5mod_3IsEEEE10hipError_tPvRmT3_T4_T5_T6_T7_T9_mT8_P12ihipStream_tbDpT10_ENKUlT_T0_E_clISt17integral_constantIbLb1EES16_EEDaS11_S12_EUlS11_E_NS1_11comp_targetILNS1_3genE5ELNS1_11target_archE942ELNS1_3gpuE9ELNS1_3repE0EEENS1_30default_config_static_selectorELNS0_4arch9wavefront6targetE0EEEvT1_, .Lfunc_end625-_ZN7rocprim17ROCPRIM_400000_NS6detail17trampoline_kernelINS0_14default_configENS1_25partition_config_selectorILNS1_17partition_subalgoE6EsNS0_10empty_typeEbEEZZNS1_14partition_implILS5_6ELb0ES3_mN6thrust23THRUST_200600_302600_NS6detail15normal_iteratorINSA_10device_ptrIsEEEEPS6_SG_NS0_5tupleIJSF_S6_EEENSH_IJSG_SG_EEES6_PlJ5mod_3IsEEEE10hipError_tPvRmT3_T4_T5_T6_T7_T9_mT8_P12ihipStream_tbDpT10_ENKUlT_T0_E_clISt17integral_constantIbLb1EES16_EEDaS11_S12_EUlS11_E_NS1_11comp_targetILNS1_3genE5ELNS1_11target_archE942ELNS1_3gpuE9ELNS1_3repE0EEENS1_30default_config_static_selectorELNS0_4arch9wavefront6targetE0EEEvT1_
                                        ; -- End function
	.section	.AMDGPU.csdata,"",@progbits
; Kernel info:
; codeLenInByte = 0
; NumSgprs: 0
; NumVgprs: 0
; ScratchSize: 0
; MemoryBound: 0
; FloatMode: 240
; IeeeMode: 1
; LDSByteSize: 0 bytes/workgroup (compile time only)
; SGPRBlocks: 0
; VGPRBlocks: 0
; NumSGPRsForWavesPerEU: 1
; NumVGPRsForWavesPerEU: 1
; Occupancy: 16
; WaveLimiterHint : 0
; COMPUTE_PGM_RSRC2:SCRATCH_EN: 0
; COMPUTE_PGM_RSRC2:USER_SGPR: 15
; COMPUTE_PGM_RSRC2:TRAP_HANDLER: 0
; COMPUTE_PGM_RSRC2:TGID_X_EN: 1
; COMPUTE_PGM_RSRC2:TGID_Y_EN: 0
; COMPUTE_PGM_RSRC2:TGID_Z_EN: 0
; COMPUTE_PGM_RSRC2:TIDIG_COMP_CNT: 0
	.section	.text._ZN7rocprim17ROCPRIM_400000_NS6detail17trampoline_kernelINS0_14default_configENS1_25partition_config_selectorILNS1_17partition_subalgoE6EsNS0_10empty_typeEbEEZZNS1_14partition_implILS5_6ELb0ES3_mN6thrust23THRUST_200600_302600_NS6detail15normal_iteratorINSA_10device_ptrIsEEEEPS6_SG_NS0_5tupleIJSF_S6_EEENSH_IJSG_SG_EEES6_PlJ5mod_3IsEEEE10hipError_tPvRmT3_T4_T5_T6_T7_T9_mT8_P12ihipStream_tbDpT10_ENKUlT_T0_E_clISt17integral_constantIbLb1EES16_EEDaS11_S12_EUlS11_E_NS1_11comp_targetILNS1_3genE4ELNS1_11target_archE910ELNS1_3gpuE8ELNS1_3repE0EEENS1_30default_config_static_selectorELNS0_4arch9wavefront6targetE0EEEvT1_,"axG",@progbits,_ZN7rocprim17ROCPRIM_400000_NS6detail17trampoline_kernelINS0_14default_configENS1_25partition_config_selectorILNS1_17partition_subalgoE6EsNS0_10empty_typeEbEEZZNS1_14partition_implILS5_6ELb0ES3_mN6thrust23THRUST_200600_302600_NS6detail15normal_iteratorINSA_10device_ptrIsEEEEPS6_SG_NS0_5tupleIJSF_S6_EEENSH_IJSG_SG_EEES6_PlJ5mod_3IsEEEE10hipError_tPvRmT3_T4_T5_T6_T7_T9_mT8_P12ihipStream_tbDpT10_ENKUlT_T0_E_clISt17integral_constantIbLb1EES16_EEDaS11_S12_EUlS11_E_NS1_11comp_targetILNS1_3genE4ELNS1_11target_archE910ELNS1_3gpuE8ELNS1_3repE0EEENS1_30default_config_static_selectorELNS0_4arch9wavefront6targetE0EEEvT1_,comdat
	.protected	_ZN7rocprim17ROCPRIM_400000_NS6detail17trampoline_kernelINS0_14default_configENS1_25partition_config_selectorILNS1_17partition_subalgoE6EsNS0_10empty_typeEbEEZZNS1_14partition_implILS5_6ELb0ES3_mN6thrust23THRUST_200600_302600_NS6detail15normal_iteratorINSA_10device_ptrIsEEEEPS6_SG_NS0_5tupleIJSF_S6_EEENSH_IJSG_SG_EEES6_PlJ5mod_3IsEEEE10hipError_tPvRmT3_T4_T5_T6_T7_T9_mT8_P12ihipStream_tbDpT10_ENKUlT_T0_E_clISt17integral_constantIbLb1EES16_EEDaS11_S12_EUlS11_E_NS1_11comp_targetILNS1_3genE4ELNS1_11target_archE910ELNS1_3gpuE8ELNS1_3repE0EEENS1_30default_config_static_selectorELNS0_4arch9wavefront6targetE0EEEvT1_ ; -- Begin function _ZN7rocprim17ROCPRIM_400000_NS6detail17trampoline_kernelINS0_14default_configENS1_25partition_config_selectorILNS1_17partition_subalgoE6EsNS0_10empty_typeEbEEZZNS1_14partition_implILS5_6ELb0ES3_mN6thrust23THRUST_200600_302600_NS6detail15normal_iteratorINSA_10device_ptrIsEEEEPS6_SG_NS0_5tupleIJSF_S6_EEENSH_IJSG_SG_EEES6_PlJ5mod_3IsEEEE10hipError_tPvRmT3_T4_T5_T6_T7_T9_mT8_P12ihipStream_tbDpT10_ENKUlT_T0_E_clISt17integral_constantIbLb1EES16_EEDaS11_S12_EUlS11_E_NS1_11comp_targetILNS1_3genE4ELNS1_11target_archE910ELNS1_3gpuE8ELNS1_3repE0EEENS1_30default_config_static_selectorELNS0_4arch9wavefront6targetE0EEEvT1_
	.globl	_ZN7rocprim17ROCPRIM_400000_NS6detail17trampoline_kernelINS0_14default_configENS1_25partition_config_selectorILNS1_17partition_subalgoE6EsNS0_10empty_typeEbEEZZNS1_14partition_implILS5_6ELb0ES3_mN6thrust23THRUST_200600_302600_NS6detail15normal_iteratorINSA_10device_ptrIsEEEEPS6_SG_NS0_5tupleIJSF_S6_EEENSH_IJSG_SG_EEES6_PlJ5mod_3IsEEEE10hipError_tPvRmT3_T4_T5_T6_T7_T9_mT8_P12ihipStream_tbDpT10_ENKUlT_T0_E_clISt17integral_constantIbLb1EES16_EEDaS11_S12_EUlS11_E_NS1_11comp_targetILNS1_3genE4ELNS1_11target_archE910ELNS1_3gpuE8ELNS1_3repE0EEENS1_30default_config_static_selectorELNS0_4arch9wavefront6targetE0EEEvT1_
	.p2align	8
	.type	_ZN7rocprim17ROCPRIM_400000_NS6detail17trampoline_kernelINS0_14default_configENS1_25partition_config_selectorILNS1_17partition_subalgoE6EsNS0_10empty_typeEbEEZZNS1_14partition_implILS5_6ELb0ES3_mN6thrust23THRUST_200600_302600_NS6detail15normal_iteratorINSA_10device_ptrIsEEEEPS6_SG_NS0_5tupleIJSF_S6_EEENSH_IJSG_SG_EEES6_PlJ5mod_3IsEEEE10hipError_tPvRmT3_T4_T5_T6_T7_T9_mT8_P12ihipStream_tbDpT10_ENKUlT_T0_E_clISt17integral_constantIbLb1EES16_EEDaS11_S12_EUlS11_E_NS1_11comp_targetILNS1_3genE4ELNS1_11target_archE910ELNS1_3gpuE8ELNS1_3repE0EEENS1_30default_config_static_selectorELNS0_4arch9wavefront6targetE0EEEvT1_,@function
_ZN7rocprim17ROCPRIM_400000_NS6detail17trampoline_kernelINS0_14default_configENS1_25partition_config_selectorILNS1_17partition_subalgoE6EsNS0_10empty_typeEbEEZZNS1_14partition_implILS5_6ELb0ES3_mN6thrust23THRUST_200600_302600_NS6detail15normal_iteratorINSA_10device_ptrIsEEEEPS6_SG_NS0_5tupleIJSF_S6_EEENSH_IJSG_SG_EEES6_PlJ5mod_3IsEEEE10hipError_tPvRmT3_T4_T5_T6_T7_T9_mT8_P12ihipStream_tbDpT10_ENKUlT_T0_E_clISt17integral_constantIbLb1EES16_EEDaS11_S12_EUlS11_E_NS1_11comp_targetILNS1_3genE4ELNS1_11target_archE910ELNS1_3gpuE8ELNS1_3repE0EEENS1_30default_config_static_selectorELNS0_4arch9wavefront6targetE0EEEvT1_: ; @_ZN7rocprim17ROCPRIM_400000_NS6detail17trampoline_kernelINS0_14default_configENS1_25partition_config_selectorILNS1_17partition_subalgoE6EsNS0_10empty_typeEbEEZZNS1_14partition_implILS5_6ELb0ES3_mN6thrust23THRUST_200600_302600_NS6detail15normal_iteratorINSA_10device_ptrIsEEEEPS6_SG_NS0_5tupleIJSF_S6_EEENSH_IJSG_SG_EEES6_PlJ5mod_3IsEEEE10hipError_tPvRmT3_T4_T5_T6_T7_T9_mT8_P12ihipStream_tbDpT10_ENKUlT_T0_E_clISt17integral_constantIbLb1EES16_EEDaS11_S12_EUlS11_E_NS1_11comp_targetILNS1_3genE4ELNS1_11target_archE910ELNS1_3gpuE8ELNS1_3repE0EEENS1_30default_config_static_selectorELNS0_4arch9wavefront6targetE0EEEvT1_
; %bb.0:
	.section	.rodata,"a",@progbits
	.p2align	6, 0x0
	.amdhsa_kernel _ZN7rocprim17ROCPRIM_400000_NS6detail17trampoline_kernelINS0_14default_configENS1_25partition_config_selectorILNS1_17partition_subalgoE6EsNS0_10empty_typeEbEEZZNS1_14partition_implILS5_6ELb0ES3_mN6thrust23THRUST_200600_302600_NS6detail15normal_iteratorINSA_10device_ptrIsEEEEPS6_SG_NS0_5tupleIJSF_S6_EEENSH_IJSG_SG_EEES6_PlJ5mod_3IsEEEE10hipError_tPvRmT3_T4_T5_T6_T7_T9_mT8_P12ihipStream_tbDpT10_ENKUlT_T0_E_clISt17integral_constantIbLb1EES16_EEDaS11_S12_EUlS11_E_NS1_11comp_targetILNS1_3genE4ELNS1_11target_archE910ELNS1_3gpuE8ELNS1_3repE0EEENS1_30default_config_static_selectorELNS0_4arch9wavefront6targetE0EEEvT1_
		.amdhsa_group_segment_fixed_size 0
		.amdhsa_private_segment_fixed_size 0
		.amdhsa_kernarg_size 128
		.amdhsa_user_sgpr_count 15
		.amdhsa_user_sgpr_dispatch_ptr 0
		.amdhsa_user_sgpr_queue_ptr 0
		.amdhsa_user_sgpr_kernarg_segment_ptr 1
		.amdhsa_user_sgpr_dispatch_id 0
		.amdhsa_user_sgpr_private_segment_size 0
		.amdhsa_wavefront_size32 1
		.amdhsa_uses_dynamic_stack 0
		.amdhsa_enable_private_segment 0
		.amdhsa_system_sgpr_workgroup_id_x 1
		.amdhsa_system_sgpr_workgroup_id_y 0
		.amdhsa_system_sgpr_workgroup_id_z 0
		.amdhsa_system_sgpr_workgroup_info 0
		.amdhsa_system_vgpr_workitem_id 0
		.amdhsa_next_free_vgpr 1
		.amdhsa_next_free_sgpr 1
		.amdhsa_reserve_vcc 0
		.amdhsa_float_round_mode_32 0
		.amdhsa_float_round_mode_16_64 0
		.amdhsa_float_denorm_mode_32 3
		.amdhsa_float_denorm_mode_16_64 3
		.amdhsa_dx10_clamp 1
		.amdhsa_ieee_mode 1
		.amdhsa_fp16_overflow 0
		.amdhsa_workgroup_processor_mode 1
		.amdhsa_memory_ordered 1
		.amdhsa_forward_progress 0
		.amdhsa_shared_vgpr_count 0
		.amdhsa_exception_fp_ieee_invalid_op 0
		.amdhsa_exception_fp_denorm_src 0
		.amdhsa_exception_fp_ieee_div_zero 0
		.amdhsa_exception_fp_ieee_overflow 0
		.amdhsa_exception_fp_ieee_underflow 0
		.amdhsa_exception_fp_ieee_inexact 0
		.amdhsa_exception_int_div_zero 0
	.end_amdhsa_kernel
	.section	.text._ZN7rocprim17ROCPRIM_400000_NS6detail17trampoline_kernelINS0_14default_configENS1_25partition_config_selectorILNS1_17partition_subalgoE6EsNS0_10empty_typeEbEEZZNS1_14partition_implILS5_6ELb0ES3_mN6thrust23THRUST_200600_302600_NS6detail15normal_iteratorINSA_10device_ptrIsEEEEPS6_SG_NS0_5tupleIJSF_S6_EEENSH_IJSG_SG_EEES6_PlJ5mod_3IsEEEE10hipError_tPvRmT3_T4_T5_T6_T7_T9_mT8_P12ihipStream_tbDpT10_ENKUlT_T0_E_clISt17integral_constantIbLb1EES16_EEDaS11_S12_EUlS11_E_NS1_11comp_targetILNS1_3genE4ELNS1_11target_archE910ELNS1_3gpuE8ELNS1_3repE0EEENS1_30default_config_static_selectorELNS0_4arch9wavefront6targetE0EEEvT1_,"axG",@progbits,_ZN7rocprim17ROCPRIM_400000_NS6detail17trampoline_kernelINS0_14default_configENS1_25partition_config_selectorILNS1_17partition_subalgoE6EsNS0_10empty_typeEbEEZZNS1_14partition_implILS5_6ELb0ES3_mN6thrust23THRUST_200600_302600_NS6detail15normal_iteratorINSA_10device_ptrIsEEEEPS6_SG_NS0_5tupleIJSF_S6_EEENSH_IJSG_SG_EEES6_PlJ5mod_3IsEEEE10hipError_tPvRmT3_T4_T5_T6_T7_T9_mT8_P12ihipStream_tbDpT10_ENKUlT_T0_E_clISt17integral_constantIbLb1EES16_EEDaS11_S12_EUlS11_E_NS1_11comp_targetILNS1_3genE4ELNS1_11target_archE910ELNS1_3gpuE8ELNS1_3repE0EEENS1_30default_config_static_selectorELNS0_4arch9wavefront6targetE0EEEvT1_,comdat
.Lfunc_end626:
	.size	_ZN7rocprim17ROCPRIM_400000_NS6detail17trampoline_kernelINS0_14default_configENS1_25partition_config_selectorILNS1_17partition_subalgoE6EsNS0_10empty_typeEbEEZZNS1_14partition_implILS5_6ELb0ES3_mN6thrust23THRUST_200600_302600_NS6detail15normal_iteratorINSA_10device_ptrIsEEEEPS6_SG_NS0_5tupleIJSF_S6_EEENSH_IJSG_SG_EEES6_PlJ5mod_3IsEEEE10hipError_tPvRmT3_T4_T5_T6_T7_T9_mT8_P12ihipStream_tbDpT10_ENKUlT_T0_E_clISt17integral_constantIbLb1EES16_EEDaS11_S12_EUlS11_E_NS1_11comp_targetILNS1_3genE4ELNS1_11target_archE910ELNS1_3gpuE8ELNS1_3repE0EEENS1_30default_config_static_selectorELNS0_4arch9wavefront6targetE0EEEvT1_, .Lfunc_end626-_ZN7rocprim17ROCPRIM_400000_NS6detail17trampoline_kernelINS0_14default_configENS1_25partition_config_selectorILNS1_17partition_subalgoE6EsNS0_10empty_typeEbEEZZNS1_14partition_implILS5_6ELb0ES3_mN6thrust23THRUST_200600_302600_NS6detail15normal_iteratorINSA_10device_ptrIsEEEEPS6_SG_NS0_5tupleIJSF_S6_EEENSH_IJSG_SG_EEES6_PlJ5mod_3IsEEEE10hipError_tPvRmT3_T4_T5_T6_T7_T9_mT8_P12ihipStream_tbDpT10_ENKUlT_T0_E_clISt17integral_constantIbLb1EES16_EEDaS11_S12_EUlS11_E_NS1_11comp_targetILNS1_3genE4ELNS1_11target_archE910ELNS1_3gpuE8ELNS1_3repE0EEENS1_30default_config_static_selectorELNS0_4arch9wavefront6targetE0EEEvT1_
                                        ; -- End function
	.section	.AMDGPU.csdata,"",@progbits
; Kernel info:
; codeLenInByte = 0
; NumSgprs: 0
; NumVgprs: 0
; ScratchSize: 0
; MemoryBound: 0
; FloatMode: 240
; IeeeMode: 1
; LDSByteSize: 0 bytes/workgroup (compile time only)
; SGPRBlocks: 0
; VGPRBlocks: 0
; NumSGPRsForWavesPerEU: 1
; NumVGPRsForWavesPerEU: 1
; Occupancy: 16
; WaveLimiterHint : 0
; COMPUTE_PGM_RSRC2:SCRATCH_EN: 0
; COMPUTE_PGM_RSRC2:USER_SGPR: 15
; COMPUTE_PGM_RSRC2:TRAP_HANDLER: 0
; COMPUTE_PGM_RSRC2:TGID_X_EN: 1
; COMPUTE_PGM_RSRC2:TGID_Y_EN: 0
; COMPUTE_PGM_RSRC2:TGID_Z_EN: 0
; COMPUTE_PGM_RSRC2:TIDIG_COMP_CNT: 0
	.section	.text._ZN7rocprim17ROCPRIM_400000_NS6detail17trampoline_kernelINS0_14default_configENS1_25partition_config_selectorILNS1_17partition_subalgoE6EsNS0_10empty_typeEbEEZZNS1_14partition_implILS5_6ELb0ES3_mN6thrust23THRUST_200600_302600_NS6detail15normal_iteratorINSA_10device_ptrIsEEEEPS6_SG_NS0_5tupleIJSF_S6_EEENSH_IJSG_SG_EEES6_PlJ5mod_3IsEEEE10hipError_tPvRmT3_T4_T5_T6_T7_T9_mT8_P12ihipStream_tbDpT10_ENKUlT_T0_E_clISt17integral_constantIbLb1EES16_EEDaS11_S12_EUlS11_E_NS1_11comp_targetILNS1_3genE3ELNS1_11target_archE908ELNS1_3gpuE7ELNS1_3repE0EEENS1_30default_config_static_selectorELNS0_4arch9wavefront6targetE0EEEvT1_,"axG",@progbits,_ZN7rocprim17ROCPRIM_400000_NS6detail17trampoline_kernelINS0_14default_configENS1_25partition_config_selectorILNS1_17partition_subalgoE6EsNS0_10empty_typeEbEEZZNS1_14partition_implILS5_6ELb0ES3_mN6thrust23THRUST_200600_302600_NS6detail15normal_iteratorINSA_10device_ptrIsEEEEPS6_SG_NS0_5tupleIJSF_S6_EEENSH_IJSG_SG_EEES6_PlJ5mod_3IsEEEE10hipError_tPvRmT3_T4_T5_T6_T7_T9_mT8_P12ihipStream_tbDpT10_ENKUlT_T0_E_clISt17integral_constantIbLb1EES16_EEDaS11_S12_EUlS11_E_NS1_11comp_targetILNS1_3genE3ELNS1_11target_archE908ELNS1_3gpuE7ELNS1_3repE0EEENS1_30default_config_static_selectorELNS0_4arch9wavefront6targetE0EEEvT1_,comdat
	.protected	_ZN7rocprim17ROCPRIM_400000_NS6detail17trampoline_kernelINS0_14default_configENS1_25partition_config_selectorILNS1_17partition_subalgoE6EsNS0_10empty_typeEbEEZZNS1_14partition_implILS5_6ELb0ES3_mN6thrust23THRUST_200600_302600_NS6detail15normal_iteratorINSA_10device_ptrIsEEEEPS6_SG_NS0_5tupleIJSF_S6_EEENSH_IJSG_SG_EEES6_PlJ5mod_3IsEEEE10hipError_tPvRmT3_T4_T5_T6_T7_T9_mT8_P12ihipStream_tbDpT10_ENKUlT_T0_E_clISt17integral_constantIbLb1EES16_EEDaS11_S12_EUlS11_E_NS1_11comp_targetILNS1_3genE3ELNS1_11target_archE908ELNS1_3gpuE7ELNS1_3repE0EEENS1_30default_config_static_selectorELNS0_4arch9wavefront6targetE0EEEvT1_ ; -- Begin function _ZN7rocprim17ROCPRIM_400000_NS6detail17trampoline_kernelINS0_14default_configENS1_25partition_config_selectorILNS1_17partition_subalgoE6EsNS0_10empty_typeEbEEZZNS1_14partition_implILS5_6ELb0ES3_mN6thrust23THRUST_200600_302600_NS6detail15normal_iteratorINSA_10device_ptrIsEEEEPS6_SG_NS0_5tupleIJSF_S6_EEENSH_IJSG_SG_EEES6_PlJ5mod_3IsEEEE10hipError_tPvRmT3_T4_T5_T6_T7_T9_mT8_P12ihipStream_tbDpT10_ENKUlT_T0_E_clISt17integral_constantIbLb1EES16_EEDaS11_S12_EUlS11_E_NS1_11comp_targetILNS1_3genE3ELNS1_11target_archE908ELNS1_3gpuE7ELNS1_3repE0EEENS1_30default_config_static_selectorELNS0_4arch9wavefront6targetE0EEEvT1_
	.globl	_ZN7rocprim17ROCPRIM_400000_NS6detail17trampoline_kernelINS0_14default_configENS1_25partition_config_selectorILNS1_17partition_subalgoE6EsNS0_10empty_typeEbEEZZNS1_14partition_implILS5_6ELb0ES3_mN6thrust23THRUST_200600_302600_NS6detail15normal_iteratorINSA_10device_ptrIsEEEEPS6_SG_NS0_5tupleIJSF_S6_EEENSH_IJSG_SG_EEES6_PlJ5mod_3IsEEEE10hipError_tPvRmT3_T4_T5_T6_T7_T9_mT8_P12ihipStream_tbDpT10_ENKUlT_T0_E_clISt17integral_constantIbLb1EES16_EEDaS11_S12_EUlS11_E_NS1_11comp_targetILNS1_3genE3ELNS1_11target_archE908ELNS1_3gpuE7ELNS1_3repE0EEENS1_30default_config_static_selectorELNS0_4arch9wavefront6targetE0EEEvT1_
	.p2align	8
	.type	_ZN7rocprim17ROCPRIM_400000_NS6detail17trampoline_kernelINS0_14default_configENS1_25partition_config_selectorILNS1_17partition_subalgoE6EsNS0_10empty_typeEbEEZZNS1_14partition_implILS5_6ELb0ES3_mN6thrust23THRUST_200600_302600_NS6detail15normal_iteratorINSA_10device_ptrIsEEEEPS6_SG_NS0_5tupleIJSF_S6_EEENSH_IJSG_SG_EEES6_PlJ5mod_3IsEEEE10hipError_tPvRmT3_T4_T5_T6_T7_T9_mT8_P12ihipStream_tbDpT10_ENKUlT_T0_E_clISt17integral_constantIbLb1EES16_EEDaS11_S12_EUlS11_E_NS1_11comp_targetILNS1_3genE3ELNS1_11target_archE908ELNS1_3gpuE7ELNS1_3repE0EEENS1_30default_config_static_selectorELNS0_4arch9wavefront6targetE0EEEvT1_,@function
_ZN7rocprim17ROCPRIM_400000_NS6detail17trampoline_kernelINS0_14default_configENS1_25partition_config_selectorILNS1_17partition_subalgoE6EsNS0_10empty_typeEbEEZZNS1_14partition_implILS5_6ELb0ES3_mN6thrust23THRUST_200600_302600_NS6detail15normal_iteratorINSA_10device_ptrIsEEEEPS6_SG_NS0_5tupleIJSF_S6_EEENSH_IJSG_SG_EEES6_PlJ5mod_3IsEEEE10hipError_tPvRmT3_T4_T5_T6_T7_T9_mT8_P12ihipStream_tbDpT10_ENKUlT_T0_E_clISt17integral_constantIbLb1EES16_EEDaS11_S12_EUlS11_E_NS1_11comp_targetILNS1_3genE3ELNS1_11target_archE908ELNS1_3gpuE7ELNS1_3repE0EEENS1_30default_config_static_selectorELNS0_4arch9wavefront6targetE0EEEvT1_: ; @_ZN7rocprim17ROCPRIM_400000_NS6detail17trampoline_kernelINS0_14default_configENS1_25partition_config_selectorILNS1_17partition_subalgoE6EsNS0_10empty_typeEbEEZZNS1_14partition_implILS5_6ELb0ES3_mN6thrust23THRUST_200600_302600_NS6detail15normal_iteratorINSA_10device_ptrIsEEEEPS6_SG_NS0_5tupleIJSF_S6_EEENSH_IJSG_SG_EEES6_PlJ5mod_3IsEEEE10hipError_tPvRmT3_T4_T5_T6_T7_T9_mT8_P12ihipStream_tbDpT10_ENKUlT_T0_E_clISt17integral_constantIbLb1EES16_EEDaS11_S12_EUlS11_E_NS1_11comp_targetILNS1_3genE3ELNS1_11target_archE908ELNS1_3gpuE7ELNS1_3repE0EEENS1_30default_config_static_selectorELNS0_4arch9wavefront6targetE0EEEvT1_
; %bb.0:
	.section	.rodata,"a",@progbits
	.p2align	6, 0x0
	.amdhsa_kernel _ZN7rocprim17ROCPRIM_400000_NS6detail17trampoline_kernelINS0_14default_configENS1_25partition_config_selectorILNS1_17partition_subalgoE6EsNS0_10empty_typeEbEEZZNS1_14partition_implILS5_6ELb0ES3_mN6thrust23THRUST_200600_302600_NS6detail15normal_iteratorINSA_10device_ptrIsEEEEPS6_SG_NS0_5tupleIJSF_S6_EEENSH_IJSG_SG_EEES6_PlJ5mod_3IsEEEE10hipError_tPvRmT3_T4_T5_T6_T7_T9_mT8_P12ihipStream_tbDpT10_ENKUlT_T0_E_clISt17integral_constantIbLb1EES16_EEDaS11_S12_EUlS11_E_NS1_11comp_targetILNS1_3genE3ELNS1_11target_archE908ELNS1_3gpuE7ELNS1_3repE0EEENS1_30default_config_static_selectorELNS0_4arch9wavefront6targetE0EEEvT1_
		.amdhsa_group_segment_fixed_size 0
		.amdhsa_private_segment_fixed_size 0
		.amdhsa_kernarg_size 128
		.amdhsa_user_sgpr_count 15
		.amdhsa_user_sgpr_dispatch_ptr 0
		.amdhsa_user_sgpr_queue_ptr 0
		.amdhsa_user_sgpr_kernarg_segment_ptr 1
		.amdhsa_user_sgpr_dispatch_id 0
		.amdhsa_user_sgpr_private_segment_size 0
		.amdhsa_wavefront_size32 1
		.amdhsa_uses_dynamic_stack 0
		.amdhsa_enable_private_segment 0
		.amdhsa_system_sgpr_workgroup_id_x 1
		.amdhsa_system_sgpr_workgroup_id_y 0
		.amdhsa_system_sgpr_workgroup_id_z 0
		.amdhsa_system_sgpr_workgroup_info 0
		.amdhsa_system_vgpr_workitem_id 0
		.amdhsa_next_free_vgpr 1
		.amdhsa_next_free_sgpr 1
		.amdhsa_reserve_vcc 0
		.amdhsa_float_round_mode_32 0
		.amdhsa_float_round_mode_16_64 0
		.amdhsa_float_denorm_mode_32 3
		.amdhsa_float_denorm_mode_16_64 3
		.amdhsa_dx10_clamp 1
		.amdhsa_ieee_mode 1
		.amdhsa_fp16_overflow 0
		.amdhsa_workgroup_processor_mode 1
		.amdhsa_memory_ordered 1
		.amdhsa_forward_progress 0
		.amdhsa_shared_vgpr_count 0
		.amdhsa_exception_fp_ieee_invalid_op 0
		.amdhsa_exception_fp_denorm_src 0
		.amdhsa_exception_fp_ieee_div_zero 0
		.amdhsa_exception_fp_ieee_overflow 0
		.amdhsa_exception_fp_ieee_underflow 0
		.amdhsa_exception_fp_ieee_inexact 0
		.amdhsa_exception_int_div_zero 0
	.end_amdhsa_kernel
	.section	.text._ZN7rocprim17ROCPRIM_400000_NS6detail17trampoline_kernelINS0_14default_configENS1_25partition_config_selectorILNS1_17partition_subalgoE6EsNS0_10empty_typeEbEEZZNS1_14partition_implILS5_6ELb0ES3_mN6thrust23THRUST_200600_302600_NS6detail15normal_iteratorINSA_10device_ptrIsEEEEPS6_SG_NS0_5tupleIJSF_S6_EEENSH_IJSG_SG_EEES6_PlJ5mod_3IsEEEE10hipError_tPvRmT3_T4_T5_T6_T7_T9_mT8_P12ihipStream_tbDpT10_ENKUlT_T0_E_clISt17integral_constantIbLb1EES16_EEDaS11_S12_EUlS11_E_NS1_11comp_targetILNS1_3genE3ELNS1_11target_archE908ELNS1_3gpuE7ELNS1_3repE0EEENS1_30default_config_static_selectorELNS0_4arch9wavefront6targetE0EEEvT1_,"axG",@progbits,_ZN7rocprim17ROCPRIM_400000_NS6detail17trampoline_kernelINS0_14default_configENS1_25partition_config_selectorILNS1_17partition_subalgoE6EsNS0_10empty_typeEbEEZZNS1_14partition_implILS5_6ELb0ES3_mN6thrust23THRUST_200600_302600_NS6detail15normal_iteratorINSA_10device_ptrIsEEEEPS6_SG_NS0_5tupleIJSF_S6_EEENSH_IJSG_SG_EEES6_PlJ5mod_3IsEEEE10hipError_tPvRmT3_T4_T5_T6_T7_T9_mT8_P12ihipStream_tbDpT10_ENKUlT_T0_E_clISt17integral_constantIbLb1EES16_EEDaS11_S12_EUlS11_E_NS1_11comp_targetILNS1_3genE3ELNS1_11target_archE908ELNS1_3gpuE7ELNS1_3repE0EEENS1_30default_config_static_selectorELNS0_4arch9wavefront6targetE0EEEvT1_,comdat
.Lfunc_end627:
	.size	_ZN7rocprim17ROCPRIM_400000_NS6detail17trampoline_kernelINS0_14default_configENS1_25partition_config_selectorILNS1_17partition_subalgoE6EsNS0_10empty_typeEbEEZZNS1_14partition_implILS5_6ELb0ES3_mN6thrust23THRUST_200600_302600_NS6detail15normal_iteratorINSA_10device_ptrIsEEEEPS6_SG_NS0_5tupleIJSF_S6_EEENSH_IJSG_SG_EEES6_PlJ5mod_3IsEEEE10hipError_tPvRmT3_T4_T5_T6_T7_T9_mT8_P12ihipStream_tbDpT10_ENKUlT_T0_E_clISt17integral_constantIbLb1EES16_EEDaS11_S12_EUlS11_E_NS1_11comp_targetILNS1_3genE3ELNS1_11target_archE908ELNS1_3gpuE7ELNS1_3repE0EEENS1_30default_config_static_selectorELNS0_4arch9wavefront6targetE0EEEvT1_, .Lfunc_end627-_ZN7rocprim17ROCPRIM_400000_NS6detail17trampoline_kernelINS0_14default_configENS1_25partition_config_selectorILNS1_17partition_subalgoE6EsNS0_10empty_typeEbEEZZNS1_14partition_implILS5_6ELb0ES3_mN6thrust23THRUST_200600_302600_NS6detail15normal_iteratorINSA_10device_ptrIsEEEEPS6_SG_NS0_5tupleIJSF_S6_EEENSH_IJSG_SG_EEES6_PlJ5mod_3IsEEEE10hipError_tPvRmT3_T4_T5_T6_T7_T9_mT8_P12ihipStream_tbDpT10_ENKUlT_T0_E_clISt17integral_constantIbLb1EES16_EEDaS11_S12_EUlS11_E_NS1_11comp_targetILNS1_3genE3ELNS1_11target_archE908ELNS1_3gpuE7ELNS1_3repE0EEENS1_30default_config_static_selectorELNS0_4arch9wavefront6targetE0EEEvT1_
                                        ; -- End function
	.section	.AMDGPU.csdata,"",@progbits
; Kernel info:
; codeLenInByte = 0
; NumSgprs: 0
; NumVgprs: 0
; ScratchSize: 0
; MemoryBound: 0
; FloatMode: 240
; IeeeMode: 1
; LDSByteSize: 0 bytes/workgroup (compile time only)
; SGPRBlocks: 0
; VGPRBlocks: 0
; NumSGPRsForWavesPerEU: 1
; NumVGPRsForWavesPerEU: 1
; Occupancy: 16
; WaveLimiterHint : 0
; COMPUTE_PGM_RSRC2:SCRATCH_EN: 0
; COMPUTE_PGM_RSRC2:USER_SGPR: 15
; COMPUTE_PGM_RSRC2:TRAP_HANDLER: 0
; COMPUTE_PGM_RSRC2:TGID_X_EN: 1
; COMPUTE_PGM_RSRC2:TGID_Y_EN: 0
; COMPUTE_PGM_RSRC2:TGID_Z_EN: 0
; COMPUTE_PGM_RSRC2:TIDIG_COMP_CNT: 0
	.section	.text._ZN7rocprim17ROCPRIM_400000_NS6detail17trampoline_kernelINS0_14default_configENS1_25partition_config_selectorILNS1_17partition_subalgoE6EsNS0_10empty_typeEbEEZZNS1_14partition_implILS5_6ELb0ES3_mN6thrust23THRUST_200600_302600_NS6detail15normal_iteratorINSA_10device_ptrIsEEEEPS6_SG_NS0_5tupleIJSF_S6_EEENSH_IJSG_SG_EEES6_PlJ5mod_3IsEEEE10hipError_tPvRmT3_T4_T5_T6_T7_T9_mT8_P12ihipStream_tbDpT10_ENKUlT_T0_E_clISt17integral_constantIbLb1EES16_EEDaS11_S12_EUlS11_E_NS1_11comp_targetILNS1_3genE2ELNS1_11target_archE906ELNS1_3gpuE6ELNS1_3repE0EEENS1_30default_config_static_selectorELNS0_4arch9wavefront6targetE0EEEvT1_,"axG",@progbits,_ZN7rocprim17ROCPRIM_400000_NS6detail17trampoline_kernelINS0_14default_configENS1_25partition_config_selectorILNS1_17partition_subalgoE6EsNS0_10empty_typeEbEEZZNS1_14partition_implILS5_6ELb0ES3_mN6thrust23THRUST_200600_302600_NS6detail15normal_iteratorINSA_10device_ptrIsEEEEPS6_SG_NS0_5tupleIJSF_S6_EEENSH_IJSG_SG_EEES6_PlJ5mod_3IsEEEE10hipError_tPvRmT3_T4_T5_T6_T7_T9_mT8_P12ihipStream_tbDpT10_ENKUlT_T0_E_clISt17integral_constantIbLb1EES16_EEDaS11_S12_EUlS11_E_NS1_11comp_targetILNS1_3genE2ELNS1_11target_archE906ELNS1_3gpuE6ELNS1_3repE0EEENS1_30default_config_static_selectorELNS0_4arch9wavefront6targetE0EEEvT1_,comdat
	.protected	_ZN7rocprim17ROCPRIM_400000_NS6detail17trampoline_kernelINS0_14default_configENS1_25partition_config_selectorILNS1_17partition_subalgoE6EsNS0_10empty_typeEbEEZZNS1_14partition_implILS5_6ELb0ES3_mN6thrust23THRUST_200600_302600_NS6detail15normal_iteratorINSA_10device_ptrIsEEEEPS6_SG_NS0_5tupleIJSF_S6_EEENSH_IJSG_SG_EEES6_PlJ5mod_3IsEEEE10hipError_tPvRmT3_T4_T5_T6_T7_T9_mT8_P12ihipStream_tbDpT10_ENKUlT_T0_E_clISt17integral_constantIbLb1EES16_EEDaS11_S12_EUlS11_E_NS1_11comp_targetILNS1_3genE2ELNS1_11target_archE906ELNS1_3gpuE6ELNS1_3repE0EEENS1_30default_config_static_selectorELNS0_4arch9wavefront6targetE0EEEvT1_ ; -- Begin function _ZN7rocprim17ROCPRIM_400000_NS6detail17trampoline_kernelINS0_14default_configENS1_25partition_config_selectorILNS1_17partition_subalgoE6EsNS0_10empty_typeEbEEZZNS1_14partition_implILS5_6ELb0ES3_mN6thrust23THRUST_200600_302600_NS6detail15normal_iteratorINSA_10device_ptrIsEEEEPS6_SG_NS0_5tupleIJSF_S6_EEENSH_IJSG_SG_EEES6_PlJ5mod_3IsEEEE10hipError_tPvRmT3_T4_T5_T6_T7_T9_mT8_P12ihipStream_tbDpT10_ENKUlT_T0_E_clISt17integral_constantIbLb1EES16_EEDaS11_S12_EUlS11_E_NS1_11comp_targetILNS1_3genE2ELNS1_11target_archE906ELNS1_3gpuE6ELNS1_3repE0EEENS1_30default_config_static_selectorELNS0_4arch9wavefront6targetE0EEEvT1_
	.globl	_ZN7rocprim17ROCPRIM_400000_NS6detail17trampoline_kernelINS0_14default_configENS1_25partition_config_selectorILNS1_17partition_subalgoE6EsNS0_10empty_typeEbEEZZNS1_14partition_implILS5_6ELb0ES3_mN6thrust23THRUST_200600_302600_NS6detail15normal_iteratorINSA_10device_ptrIsEEEEPS6_SG_NS0_5tupleIJSF_S6_EEENSH_IJSG_SG_EEES6_PlJ5mod_3IsEEEE10hipError_tPvRmT3_T4_T5_T6_T7_T9_mT8_P12ihipStream_tbDpT10_ENKUlT_T0_E_clISt17integral_constantIbLb1EES16_EEDaS11_S12_EUlS11_E_NS1_11comp_targetILNS1_3genE2ELNS1_11target_archE906ELNS1_3gpuE6ELNS1_3repE0EEENS1_30default_config_static_selectorELNS0_4arch9wavefront6targetE0EEEvT1_
	.p2align	8
	.type	_ZN7rocprim17ROCPRIM_400000_NS6detail17trampoline_kernelINS0_14default_configENS1_25partition_config_selectorILNS1_17partition_subalgoE6EsNS0_10empty_typeEbEEZZNS1_14partition_implILS5_6ELb0ES3_mN6thrust23THRUST_200600_302600_NS6detail15normal_iteratorINSA_10device_ptrIsEEEEPS6_SG_NS0_5tupleIJSF_S6_EEENSH_IJSG_SG_EEES6_PlJ5mod_3IsEEEE10hipError_tPvRmT3_T4_T5_T6_T7_T9_mT8_P12ihipStream_tbDpT10_ENKUlT_T0_E_clISt17integral_constantIbLb1EES16_EEDaS11_S12_EUlS11_E_NS1_11comp_targetILNS1_3genE2ELNS1_11target_archE906ELNS1_3gpuE6ELNS1_3repE0EEENS1_30default_config_static_selectorELNS0_4arch9wavefront6targetE0EEEvT1_,@function
_ZN7rocprim17ROCPRIM_400000_NS6detail17trampoline_kernelINS0_14default_configENS1_25partition_config_selectorILNS1_17partition_subalgoE6EsNS0_10empty_typeEbEEZZNS1_14partition_implILS5_6ELb0ES3_mN6thrust23THRUST_200600_302600_NS6detail15normal_iteratorINSA_10device_ptrIsEEEEPS6_SG_NS0_5tupleIJSF_S6_EEENSH_IJSG_SG_EEES6_PlJ5mod_3IsEEEE10hipError_tPvRmT3_T4_T5_T6_T7_T9_mT8_P12ihipStream_tbDpT10_ENKUlT_T0_E_clISt17integral_constantIbLb1EES16_EEDaS11_S12_EUlS11_E_NS1_11comp_targetILNS1_3genE2ELNS1_11target_archE906ELNS1_3gpuE6ELNS1_3repE0EEENS1_30default_config_static_selectorELNS0_4arch9wavefront6targetE0EEEvT1_: ; @_ZN7rocprim17ROCPRIM_400000_NS6detail17trampoline_kernelINS0_14default_configENS1_25partition_config_selectorILNS1_17partition_subalgoE6EsNS0_10empty_typeEbEEZZNS1_14partition_implILS5_6ELb0ES3_mN6thrust23THRUST_200600_302600_NS6detail15normal_iteratorINSA_10device_ptrIsEEEEPS6_SG_NS0_5tupleIJSF_S6_EEENSH_IJSG_SG_EEES6_PlJ5mod_3IsEEEE10hipError_tPvRmT3_T4_T5_T6_T7_T9_mT8_P12ihipStream_tbDpT10_ENKUlT_T0_E_clISt17integral_constantIbLb1EES16_EEDaS11_S12_EUlS11_E_NS1_11comp_targetILNS1_3genE2ELNS1_11target_archE906ELNS1_3gpuE6ELNS1_3repE0EEENS1_30default_config_static_selectorELNS0_4arch9wavefront6targetE0EEEvT1_
; %bb.0:
	.section	.rodata,"a",@progbits
	.p2align	6, 0x0
	.amdhsa_kernel _ZN7rocprim17ROCPRIM_400000_NS6detail17trampoline_kernelINS0_14default_configENS1_25partition_config_selectorILNS1_17partition_subalgoE6EsNS0_10empty_typeEbEEZZNS1_14partition_implILS5_6ELb0ES3_mN6thrust23THRUST_200600_302600_NS6detail15normal_iteratorINSA_10device_ptrIsEEEEPS6_SG_NS0_5tupleIJSF_S6_EEENSH_IJSG_SG_EEES6_PlJ5mod_3IsEEEE10hipError_tPvRmT3_T4_T5_T6_T7_T9_mT8_P12ihipStream_tbDpT10_ENKUlT_T0_E_clISt17integral_constantIbLb1EES16_EEDaS11_S12_EUlS11_E_NS1_11comp_targetILNS1_3genE2ELNS1_11target_archE906ELNS1_3gpuE6ELNS1_3repE0EEENS1_30default_config_static_selectorELNS0_4arch9wavefront6targetE0EEEvT1_
		.amdhsa_group_segment_fixed_size 0
		.amdhsa_private_segment_fixed_size 0
		.amdhsa_kernarg_size 128
		.amdhsa_user_sgpr_count 15
		.amdhsa_user_sgpr_dispatch_ptr 0
		.amdhsa_user_sgpr_queue_ptr 0
		.amdhsa_user_sgpr_kernarg_segment_ptr 1
		.amdhsa_user_sgpr_dispatch_id 0
		.amdhsa_user_sgpr_private_segment_size 0
		.amdhsa_wavefront_size32 1
		.amdhsa_uses_dynamic_stack 0
		.amdhsa_enable_private_segment 0
		.amdhsa_system_sgpr_workgroup_id_x 1
		.amdhsa_system_sgpr_workgroup_id_y 0
		.amdhsa_system_sgpr_workgroup_id_z 0
		.amdhsa_system_sgpr_workgroup_info 0
		.amdhsa_system_vgpr_workitem_id 0
		.amdhsa_next_free_vgpr 1
		.amdhsa_next_free_sgpr 1
		.amdhsa_reserve_vcc 0
		.amdhsa_float_round_mode_32 0
		.amdhsa_float_round_mode_16_64 0
		.amdhsa_float_denorm_mode_32 3
		.amdhsa_float_denorm_mode_16_64 3
		.amdhsa_dx10_clamp 1
		.amdhsa_ieee_mode 1
		.amdhsa_fp16_overflow 0
		.amdhsa_workgroup_processor_mode 1
		.amdhsa_memory_ordered 1
		.amdhsa_forward_progress 0
		.amdhsa_shared_vgpr_count 0
		.amdhsa_exception_fp_ieee_invalid_op 0
		.amdhsa_exception_fp_denorm_src 0
		.amdhsa_exception_fp_ieee_div_zero 0
		.amdhsa_exception_fp_ieee_overflow 0
		.amdhsa_exception_fp_ieee_underflow 0
		.amdhsa_exception_fp_ieee_inexact 0
		.amdhsa_exception_int_div_zero 0
	.end_amdhsa_kernel
	.section	.text._ZN7rocprim17ROCPRIM_400000_NS6detail17trampoline_kernelINS0_14default_configENS1_25partition_config_selectorILNS1_17partition_subalgoE6EsNS0_10empty_typeEbEEZZNS1_14partition_implILS5_6ELb0ES3_mN6thrust23THRUST_200600_302600_NS6detail15normal_iteratorINSA_10device_ptrIsEEEEPS6_SG_NS0_5tupleIJSF_S6_EEENSH_IJSG_SG_EEES6_PlJ5mod_3IsEEEE10hipError_tPvRmT3_T4_T5_T6_T7_T9_mT8_P12ihipStream_tbDpT10_ENKUlT_T0_E_clISt17integral_constantIbLb1EES16_EEDaS11_S12_EUlS11_E_NS1_11comp_targetILNS1_3genE2ELNS1_11target_archE906ELNS1_3gpuE6ELNS1_3repE0EEENS1_30default_config_static_selectorELNS0_4arch9wavefront6targetE0EEEvT1_,"axG",@progbits,_ZN7rocprim17ROCPRIM_400000_NS6detail17trampoline_kernelINS0_14default_configENS1_25partition_config_selectorILNS1_17partition_subalgoE6EsNS0_10empty_typeEbEEZZNS1_14partition_implILS5_6ELb0ES3_mN6thrust23THRUST_200600_302600_NS6detail15normal_iteratorINSA_10device_ptrIsEEEEPS6_SG_NS0_5tupleIJSF_S6_EEENSH_IJSG_SG_EEES6_PlJ5mod_3IsEEEE10hipError_tPvRmT3_T4_T5_T6_T7_T9_mT8_P12ihipStream_tbDpT10_ENKUlT_T0_E_clISt17integral_constantIbLb1EES16_EEDaS11_S12_EUlS11_E_NS1_11comp_targetILNS1_3genE2ELNS1_11target_archE906ELNS1_3gpuE6ELNS1_3repE0EEENS1_30default_config_static_selectorELNS0_4arch9wavefront6targetE0EEEvT1_,comdat
.Lfunc_end628:
	.size	_ZN7rocprim17ROCPRIM_400000_NS6detail17trampoline_kernelINS0_14default_configENS1_25partition_config_selectorILNS1_17partition_subalgoE6EsNS0_10empty_typeEbEEZZNS1_14partition_implILS5_6ELb0ES3_mN6thrust23THRUST_200600_302600_NS6detail15normal_iteratorINSA_10device_ptrIsEEEEPS6_SG_NS0_5tupleIJSF_S6_EEENSH_IJSG_SG_EEES6_PlJ5mod_3IsEEEE10hipError_tPvRmT3_T4_T5_T6_T7_T9_mT8_P12ihipStream_tbDpT10_ENKUlT_T0_E_clISt17integral_constantIbLb1EES16_EEDaS11_S12_EUlS11_E_NS1_11comp_targetILNS1_3genE2ELNS1_11target_archE906ELNS1_3gpuE6ELNS1_3repE0EEENS1_30default_config_static_selectorELNS0_4arch9wavefront6targetE0EEEvT1_, .Lfunc_end628-_ZN7rocprim17ROCPRIM_400000_NS6detail17trampoline_kernelINS0_14default_configENS1_25partition_config_selectorILNS1_17partition_subalgoE6EsNS0_10empty_typeEbEEZZNS1_14partition_implILS5_6ELb0ES3_mN6thrust23THRUST_200600_302600_NS6detail15normal_iteratorINSA_10device_ptrIsEEEEPS6_SG_NS0_5tupleIJSF_S6_EEENSH_IJSG_SG_EEES6_PlJ5mod_3IsEEEE10hipError_tPvRmT3_T4_T5_T6_T7_T9_mT8_P12ihipStream_tbDpT10_ENKUlT_T0_E_clISt17integral_constantIbLb1EES16_EEDaS11_S12_EUlS11_E_NS1_11comp_targetILNS1_3genE2ELNS1_11target_archE906ELNS1_3gpuE6ELNS1_3repE0EEENS1_30default_config_static_selectorELNS0_4arch9wavefront6targetE0EEEvT1_
                                        ; -- End function
	.section	.AMDGPU.csdata,"",@progbits
; Kernel info:
; codeLenInByte = 0
; NumSgprs: 0
; NumVgprs: 0
; ScratchSize: 0
; MemoryBound: 0
; FloatMode: 240
; IeeeMode: 1
; LDSByteSize: 0 bytes/workgroup (compile time only)
; SGPRBlocks: 0
; VGPRBlocks: 0
; NumSGPRsForWavesPerEU: 1
; NumVGPRsForWavesPerEU: 1
; Occupancy: 16
; WaveLimiterHint : 0
; COMPUTE_PGM_RSRC2:SCRATCH_EN: 0
; COMPUTE_PGM_RSRC2:USER_SGPR: 15
; COMPUTE_PGM_RSRC2:TRAP_HANDLER: 0
; COMPUTE_PGM_RSRC2:TGID_X_EN: 1
; COMPUTE_PGM_RSRC2:TGID_Y_EN: 0
; COMPUTE_PGM_RSRC2:TGID_Z_EN: 0
; COMPUTE_PGM_RSRC2:TIDIG_COMP_CNT: 0
	.section	.text._ZN7rocprim17ROCPRIM_400000_NS6detail17trampoline_kernelINS0_14default_configENS1_25partition_config_selectorILNS1_17partition_subalgoE6EsNS0_10empty_typeEbEEZZNS1_14partition_implILS5_6ELb0ES3_mN6thrust23THRUST_200600_302600_NS6detail15normal_iteratorINSA_10device_ptrIsEEEEPS6_SG_NS0_5tupleIJSF_S6_EEENSH_IJSG_SG_EEES6_PlJ5mod_3IsEEEE10hipError_tPvRmT3_T4_T5_T6_T7_T9_mT8_P12ihipStream_tbDpT10_ENKUlT_T0_E_clISt17integral_constantIbLb1EES16_EEDaS11_S12_EUlS11_E_NS1_11comp_targetILNS1_3genE10ELNS1_11target_archE1200ELNS1_3gpuE4ELNS1_3repE0EEENS1_30default_config_static_selectorELNS0_4arch9wavefront6targetE0EEEvT1_,"axG",@progbits,_ZN7rocprim17ROCPRIM_400000_NS6detail17trampoline_kernelINS0_14default_configENS1_25partition_config_selectorILNS1_17partition_subalgoE6EsNS0_10empty_typeEbEEZZNS1_14partition_implILS5_6ELb0ES3_mN6thrust23THRUST_200600_302600_NS6detail15normal_iteratorINSA_10device_ptrIsEEEEPS6_SG_NS0_5tupleIJSF_S6_EEENSH_IJSG_SG_EEES6_PlJ5mod_3IsEEEE10hipError_tPvRmT3_T4_T5_T6_T7_T9_mT8_P12ihipStream_tbDpT10_ENKUlT_T0_E_clISt17integral_constantIbLb1EES16_EEDaS11_S12_EUlS11_E_NS1_11comp_targetILNS1_3genE10ELNS1_11target_archE1200ELNS1_3gpuE4ELNS1_3repE0EEENS1_30default_config_static_selectorELNS0_4arch9wavefront6targetE0EEEvT1_,comdat
	.protected	_ZN7rocprim17ROCPRIM_400000_NS6detail17trampoline_kernelINS0_14default_configENS1_25partition_config_selectorILNS1_17partition_subalgoE6EsNS0_10empty_typeEbEEZZNS1_14partition_implILS5_6ELb0ES3_mN6thrust23THRUST_200600_302600_NS6detail15normal_iteratorINSA_10device_ptrIsEEEEPS6_SG_NS0_5tupleIJSF_S6_EEENSH_IJSG_SG_EEES6_PlJ5mod_3IsEEEE10hipError_tPvRmT3_T4_T5_T6_T7_T9_mT8_P12ihipStream_tbDpT10_ENKUlT_T0_E_clISt17integral_constantIbLb1EES16_EEDaS11_S12_EUlS11_E_NS1_11comp_targetILNS1_3genE10ELNS1_11target_archE1200ELNS1_3gpuE4ELNS1_3repE0EEENS1_30default_config_static_selectorELNS0_4arch9wavefront6targetE0EEEvT1_ ; -- Begin function _ZN7rocprim17ROCPRIM_400000_NS6detail17trampoline_kernelINS0_14default_configENS1_25partition_config_selectorILNS1_17partition_subalgoE6EsNS0_10empty_typeEbEEZZNS1_14partition_implILS5_6ELb0ES3_mN6thrust23THRUST_200600_302600_NS6detail15normal_iteratorINSA_10device_ptrIsEEEEPS6_SG_NS0_5tupleIJSF_S6_EEENSH_IJSG_SG_EEES6_PlJ5mod_3IsEEEE10hipError_tPvRmT3_T4_T5_T6_T7_T9_mT8_P12ihipStream_tbDpT10_ENKUlT_T0_E_clISt17integral_constantIbLb1EES16_EEDaS11_S12_EUlS11_E_NS1_11comp_targetILNS1_3genE10ELNS1_11target_archE1200ELNS1_3gpuE4ELNS1_3repE0EEENS1_30default_config_static_selectorELNS0_4arch9wavefront6targetE0EEEvT1_
	.globl	_ZN7rocprim17ROCPRIM_400000_NS6detail17trampoline_kernelINS0_14default_configENS1_25partition_config_selectorILNS1_17partition_subalgoE6EsNS0_10empty_typeEbEEZZNS1_14partition_implILS5_6ELb0ES3_mN6thrust23THRUST_200600_302600_NS6detail15normal_iteratorINSA_10device_ptrIsEEEEPS6_SG_NS0_5tupleIJSF_S6_EEENSH_IJSG_SG_EEES6_PlJ5mod_3IsEEEE10hipError_tPvRmT3_T4_T5_T6_T7_T9_mT8_P12ihipStream_tbDpT10_ENKUlT_T0_E_clISt17integral_constantIbLb1EES16_EEDaS11_S12_EUlS11_E_NS1_11comp_targetILNS1_3genE10ELNS1_11target_archE1200ELNS1_3gpuE4ELNS1_3repE0EEENS1_30default_config_static_selectorELNS0_4arch9wavefront6targetE0EEEvT1_
	.p2align	8
	.type	_ZN7rocprim17ROCPRIM_400000_NS6detail17trampoline_kernelINS0_14default_configENS1_25partition_config_selectorILNS1_17partition_subalgoE6EsNS0_10empty_typeEbEEZZNS1_14partition_implILS5_6ELb0ES3_mN6thrust23THRUST_200600_302600_NS6detail15normal_iteratorINSA_10device_ptrIsEEEEPS6_SG_NS0_5tupleIJSF_S6_EEENSH_IJSG_SG_EEES6_PlJ5mod_3IsEEEE10hipError_tPvRmT3_T4_T5_T6_T7_T9_mT8_P12ihipStream_tbDpT10_ENKUlT_T0_E_clISt17integral_constantIbLb1EES16_EEDaS11_S12_EUlS11_E_NS1_11comp_targetILNS1_3genE10ELNS1_11target_archE1200ELNS1_3gpuE4ELNS1_3repE0EEENS1_30default_config_static_selectorELNS0_4arch9wavefront6targetE0EEEvT1_,@function
_ZN7rocprim17ROCPRIM_400000_NS6detail17trampoline_kernelINS0_14default_configENS1_25partition_config_selectorILNS1_17partition_subalgoE6EsNS0_10empty_typeEbEEZZNS1_14partition_implILS5_6ELb0ES3_mN6thrust23THRUST_200600_302600_NS6detail15normal_iteratorINSA_10device_ptrIsEEEEPS6_SG_NS0_5tupleIJSF_S6_EEENSH_IJSG_SG_EEES6_PlJ5mod_3IsEEEE10hipError_tPvRmT3_T4_T5_T6_T7_T9_mT8_P12ihipStream_tbDpT10_ENKUlT_T0_E_clISt17integral_constantIbLb1EES16_EEDaS11_S12_EUlS11_E_NS1_11comp_targetILNS1_3genE10ELNS1_11target_archE1200ELNS1_3gpuE4ELNS1_3repE0EEENS1_30default_config_static_selectorELNS0_4arch9wavefront6targetE0EEEvT1_: ; @_ZN7rocprim17ROCPRIM_400000_NS6detail17trampoline_kernelINS0_14default_configENS1_25partition_config_selectorILNS1_17partition_subalgoE6EsNS0_10empty_typeEbEEZZNS1_14partition_implILS5_6ELb0ES3_mN6thrust23THRUST_200600_302600_NS6detail15normal_iteratorINSA_10device_ptrIsEEEEPS6_SG_NS0_5tupleIJSF_S6_EEENSH_IJSG_SG_EEES6_PlJ5mod_3IsEEEE10hipError_tPvRmT3_T4_T5_T6_T7_T9_mT8_P12ihipStream_tbDpT10_ENKUlT_T0_E_clISt17integral_constantIbLb1EES16_EEDaS11_S12_EUlS11_E_NS1_11comp_targetILNS1_3genE10ELNS1_11target_archE1200ELNS1_3gpuE4ELNS1_3repE0EEENS1_30default_config_static_selectorELNS0_4arch9wavefront6targetE0EEEvT1_
; %bb.0:
	.section	.rodata,"a",@progbits
	.p2align	6, 0x0
	.amdhsa_kernel _ZN7rocprim17ROCPRIM_400000_NS6detail17trampoline_kernelINS0_14default_configENS1_25partition_config_selectorILNS1_17partition_subalgoE6EsNS0_10empty_typeEbEEZZNS1_14partition_implILS5_6ELb0ES3_mN6thrust23THRUST_200600_302600_NS6detail15normal_iteratorINSA_10device_ptrIsEEEEPS6_SG_NS0_5tupleIJSF_S6_EEENSH_IJSG_SG_EEES6_PlJ5mod_3IsEEEE10hipError_tPvRmT3_T4_T5_T6_T7_T9_mT8_P12ihipStream_tbDpT10_ENKUlT_T0_E_clISt17integral_constantIbLb1EES16_EEDaS11_S12_EUlS11_E_NS1_11comp_targetILNS1_3genE10ELNS1_11target_archE1200ELNS1_3gpuE4ELNS1_3repE0EEENS1_30default_config_static_selectorELNS0_4arch9wavefront6targetE0EEEvT1_
		.amdhsa_group_segment_fixed_size 0
		.amdhsa_private_segment_fixed_size 0
		.amdhsa_kernarg_size 128
		.amdhsa_user_sgpr_count 15
		.amdhsa_user_sgpr_dispatch_ptr 0
		.amdhsa_user_sgpr_queue_ptr 0
		.amdhsa_user_sgpr_kernarg_segment_ptr 1
		.amdhsa_user_sgpr_dispatch_id 0
		.amdhsa_user_sgpr_private_segment_size 0
		.amdhsa_wavefront_size32 1
		.amdhsa_uses_dynamic_stack 0
		.amdhsa_enable_private_segment 0
		.amdhsa_system_sgpr_workgroup_id_x 1
		.amdhsa_system_sgpr_workgroup_id_y 0
		.amdhsa_system_sgpr_workgroup_id_z 0
		.amdhsa_system_sgpr_workgroup_info 0
		.amdhsa_system_vgpr_workitem_id 0
		.amdhsa_next_free_vgpr 1
		.amdhsa_next_free_sgpr 1
		.amdhsa_reserve_vcc 0
		.amdhsa_float_round_mode_32 0
		.amdhsa_float_round_mode_16_64 0
		.amdhsa_float_denorm_mode_32 3
		.amdhsa_float_denorm_mode_16_64 3
		.amdhsa_dx10_clamp 1
		.amdhsa_ieee_mode 1
		.amdhsa_fp16_overflow 0
		.amdhsa_workgroup_processor_mode 1
		.amdhsa_memory_ordered 1
		.amdhsa_forward_progress 0
		.amdhsa_shared_vgpr_count 0
		.amdhsa_exception_fp_ieee_invalid_op 0
		.amdhsa_exception_fp_denorm_src 0
		.amdhsa_exception_fp_ieee_div_zero 0
		.amdhsa_exception_fp_ieee_overflow 0
		.amdhsa_exception_fp_ieee_underflow 0
		.amdhsa_exception_fp_ieee_inexact 0
		.amdhsa_exception_int_div_zero 0
	.end_amdhsa_kernel
	.section	.text._ZN7rocprim17ROCPRIM_400000_NS6detail17trampoline_kernelINS0_14default_configENS1_25partition_config_selectorILNS1_17partition_subalgoE6EsNS0_10empty_typeEbEEZZNS1_14partition_implILS5_6ELb0ES3_mN6thrust23THRUST_200600_302600_NS6detail15normal_iteratorINSA_10device_ptrIsEEEEPS6_SG_NS0_5tupleIJSF_S6_EEENSH_IJSG_SG_EEES6_PlJ5mod_3IsEEEE10hipError_tPvRmT3_T4_T5_T6_T7_T9_mT8_P12ihipStream_tbDpT10_ENKUlT_T0_E_clISt17integral_constantIbLb1EES16_EEDaS11_S12_EUlS11_E_NS1_11comp_targetILNS1_3genE10ELNS1_11target_archE1200ELNS1_3gpuE4ELNS1_3repE0EEENS1_30default_config_static_selectorELNS0_4arch9wavefront6targetE0EEEvT1_,"axG",@progbits,_ZN7rocprim17ROCPRIM_400000_NS6detail17trampoline_kernelINS0_14default_configENS1_25partition_config_selectorILNS1_17partition_subalgoE6EsNS0_10empty_typeEbEEZZNS1_14partition_implILS5_6ELb0ES3_mN6thrust23THRUST_200600_302600_NS6detail15normal_iteratorINSA_10device_ptrIsEEEEPS6_SG_NS0_5tupleIJSF_S6_EEENSH_IJSG_SG_EEES6_PlJ5mod_3IsEEEE10hipError_tPvRmT3_T4_T5_T6_T7_T9_mT8_P12ihipStream_tbDpT10_ENKUlT_T0_E_clISt17integral_constantIbLb1EES16_EEDaS11_S12_EUlS11_E_NS1_11comp_targetILNS1_3genE10ELNS1_11target_archE1200ELNS1_3gpuE4ELNS1_3repE0EEENS1_30default_config_static_selectorELNS0_4arch9wavefront6targetE0EEEvT1_,comdat
.Lfunc_end629:
	.size	_ZN7rocprim17ROCPRIM_400000_NS6detail17trampoline_kernelINS0_14default_configENS1_25partition_config_selectorILNS1_17partition_subalgoE6EsNS0_10empty_typeEbEEZZNS1_14partition_implILS5_6ELb0ES3_mN6thrust23THRUST_200600_302600_NS6detail15normal_iteratorINSA_10device_ptrIsEEEEPS6_SG_NS0_5tupleIJSF_S6_EEENSH_IJSG_SG_EEES6_PlJ5mod_3IsEEEE10hipError_tPvRmT3_T4_T5_T6_T7_T9_mT8_P12ihipStream_tbDpT10_ENKUlT_T0_E_clISt17integral_constantIbLb1EES16_EEDaS11_S12_EUlS11_E_NS1_11comp_targetILNS1_3genE10ELNS1_11target_archE1200ELNS1_3gpuE4ELNS1_3repE0EEENS1_30default_config_static_selectorELNS0_4arch9wavefront6targetE0EEEvT1_, .Lfunc_end629-_ZN7rocprim17ROCPRIM_400000_NS6detail17trampoline_kernelINS0_14default_configENS1_25partition_config_selectorILNS1_17partition_subalgoE6EsNS0_10empty_typeEbEEZZNS1_14partition_implILS5_6ELb0ES3_mN6thrust23THRUST_200600_302600_NS6detail15normal_iteratorINSA_10device_ptrIsEEEEPS6_SG_NS0_5tupleIJSF_S6_EEENSH_IJSG_SG_EEES6_PlJ5mod_3IsEEEE10hipError_tPvRmT3_T4_T5_T6_T7_T9_mT8_P12ihipStream_tbDpT10_ENKUlT_T0_E_clISt17integral_constantIbLb1EES16_EEDaS11_S12_EUlS11_E_NS1_11comp_targetILNS1_3genE10ELNS1_11target_archE1200ELNS1_3gpuE4ELNS1_3repE0EEENS1_30default_config_static_selectorELNS0_4arch9wavefront6targetE0EEEvT1_
                                        ; -- End function
	.section	.AMDGPU.csdata,"",@progbits
; Kernel info:
; codeLenInByte = 0
; NumSgprs: 0
; NumVgprs: 0
; ScratchSize: 0
; MemoryBound: 0
; FloatMode: 240
; IeeeMode: 1
; LDSByteSize: 0 bytes/workgroup (compile time only)
; SGPRBlocks: 0
; VGPRBlocks: 0
; NumSGPRsForWavesPerEU: 1
; NumVGPRsForWavesPerEU: 1
; Occupancy: 15
; WaveLimiterHint : 0
; COMPUTE_PGM_RSRC2:SCRATCH_EN: 0
; COMPUTE_PGM_RSRC2:USER_SGPR: 15
; COMPUTE_PGM_RSRC2:TRAP_HANDLER: 0
; COMPUTE_PGM_RSRC2:TGID_X_EN: 1
; COMPUTE_PGM_RSRC2:TGID_Y_EN: 0
; COMPUTE_PGM_RSRC2:TGID_Z_EN: 0
; COMPUTE_PGM_RSRC2:TIDIG_COMP_CNT: 0
	.section	.text._ZN7rocprim17ROCPRIM_400000_NS6detail17trampoline_kernelINS0_14default_configENS1_25partition_config_selectorILNS1_17partition_subalgoE6EsNS0_10empty_typeEbEEZZNS1_14partition_implILS5_6ELb0ES3_mN6thrust23THRUST_200600_302600_NS6detail15normal_iteratorINSA_10device_ptrIsEEEEPS6_SG_NS0_5tupleIJSF_S6_EEENSH_IJSG_SG_EEES6_PlJ5mod_3IsEEEE10hipError_tPvRmT3_T4_T5_T6_T7_T9_mT8_P12ihipStream_tbDpT10_ENKUlT_T0_E_clISt17integral_constantIbLb1EES16_EEDaS11_S12_EUlS11_E_NS1_11comp_targetILNS1_3genE9ELNS1_11target_archE1100ELNS1_3gpuE3ELNS1_3repE0EEENS1_30default_config_static_selectorELNS0_4arch9wavefront6targetE0EEEvT1_,"axG",@progbits,_ZN7rocprim17ROCPRIM_400000_NS6detail17trampoline_kernelINS0_14default_configENS1_25partition_config_selectorILNS1_17partition_subalgoE6EsNS0_10empty_typeEbEEZZNS1_14partition_implILS5_6ELb0ES3_mN6thrust23THRUST_200600_302600_NS6detail15normal_iteratorINSA_10device_ptrIsEEEEPS6_SG_NS0_5tupleIJSF_S6_EEENSH_IJSG_SG_EEES6_PlJ5mod_3IsEEEE10hipError_tPvRmT3_T4_T5_T6_T7_T9_mT8_P12ihipStream_tbDpT10_ENKUlT_T0_E_clISt17integral_constantIbLb1EES16_EEDaS11_S12_EUlS11_E_NS1_11comp_targetILNS1_3genE9ELNS1_11target_archE1100ELNS1_3gpuE3ELNS1_3repE0EEENS1_30default_config_static_selectorELNS0_4arch9wavefront6targetE0EEEvT1_,comdat
	.protected	_ZN7rocprim17ROCPRIM_400000_NS6detail17trampoline_kernelINS0_14default_configENS1_25partition_config_selectorILNS1_17partition_subalgoE6EsNS0_10empty_typeEbEEZZNS1_14partition_implILS5_6ELb0ES3_mN6thrust23THRUST_200600_302600_NS6detail15normal_iteratorINSA_10device_ptrIsEEEEPS6_SG_NS0_5tupleIJSF_S6_EEENSH_IJSG_SG_EEES6_PlJ5mod_3IsEEEE10hipError_tPvRmT3_T4_T5_T6_T7_T9_mT8_P12ihipStream_tbDpT10_ENKUlT_T0_E_clISt17integral_constantIbLb1EES16_EEDaS11_S12_EUlS11_E_NS1_11comp_targetILNS1_3genE9ELNS1_11target_archE1100ELNS1_3gpuE3ELNS1_3repE0EEENS1_30default_config_static_selectorELNS0_4arch9wavefront6targetE0EEEvT1_ ; -- Begin function _ZN7rocprim17ROCPRIM_400000_NS6detail17trampoline_kernelINS0_14default_configENS1_25partition_config_selectorILNS1_17partition_subalgoE6EsNS0_10empty_typeEbEEZZNS1_14partition_implILS5_6ELb0ES3_mN6thrust23THRUST_200600_302600_NS6detail15normal_iteratorINSA_10device_ptrIsEEEEPS6_SG_NS0_5tupleIJSF_S6_EEENSH_IJSG_SG_EEES6_PlJ5mod_3IsEEEE10hipError_tPvRmT3_T4_T5_T6_T7_T9_mT8_P12ihipStream_tbDpT10_ENKUlT_T0_E_clISt17integral_constantIbLb1EES16_EEDaS11_S12_EUlS11_E_NS1_11comp_targetILNS1_3genE9ELNS1_11target_archE1100ELNS1_3gpuE3ELNS1_3repE0EEENS1_30default_config_static_selectorELNS0_4arch9wavefront6targetE0EEEvT1_
	.globl	_ZN7rocprim17ROCPRIM_400000_NS6detail17trampoline_kernelINS0_14default_configENS1_25partition_config_selectorILNS1_17partition_subalgoE6EsNS0_10empty_typeEbEEZZNS1_14partition_implILS5_6ELb0ES3_mN6thrust23THRUST_200600_302600_NS6detail15normal_iteratorINSA_10device_ptrIsEEEEPS6_SG_NS0_5tupleIJSF_S6_EEENSH_IJSG_SG_EEES6_PlJ5mod_3IsEEEE10hipError_tPvRmT3_T4_T5_T6_T7_T9_mT8_P12ihipStream_tbDpT10_ENKUlT_T0_E_clISt17integral_constantIbLb1EES16_EEDaS11_S12_EUlS11_E_NS1_11comp_targetILNS1_3genE9ELNS1_11target_archE1100ELNS1_3gpuE3ELNS1_3repE0EEENS1_30default_config_static_selectorELNS0_4arch9wavefront6targetE0EEEvT1_
	.p2align	8
	.type	_ZN7rocprim17ROCPRIM_400000_NS6detail17trampoline_kernelINS0_14default_configENS1_25partition_config_selectorILNS1_17partition_subalgoE6EsNS0_10empty_typeEbEEZZNS1_14partition_implILS5_6ELb0ES3_mN6thrust23THRUST_200600_302600_NS6detail15normal_iteratorINSA_10device_ptrIsEEEEPS6_SG_NS0_5tupleIJSF_S6_EEENSH_IJSG_SG_EEES6_PlJ5mod_3IsEEEE10hipError_tPvRmT3_T4_T5_T6_T7_T9_mT8_P12ihipStream_tbDpT10_ENKUlT_T0_E_clISt17integral_constantIbLb1EES16_EEDaS11_S12_EUlS11_E_NS1_11comp_targetILNS1_3genE9ELNS1_11target_archE1100ELNS1_3gpuE3ELNS1_3repE0EEENS1_30default_config_static_selectorELNS0_4arch9wavefront6targetE0EEEvT1_,@function
_ZN7rocprim17ROCPRIM_400000_NS6detail17trampoline_kernelINS0_14default_configENS1_25partition_config_selectorILNS1_17partition_subalgoE6EsNS0_10empty_typeEbEEZZNS1_14partition_implILS5_6ELb0ES3_mN6thrust23THRUST_200600_302600_NS6detail15normal_iteratorINSA_10device_ptrIsEEEEPS6_SG_NS0_5tupleIJSF_S6_EEENSH_IJSG_SG_EEES6_PlJ5mod_3IsEEEE10hipError_tPvRmT3_T4_T5_T6_T7_T9_mT8_P12ihipStream_tbDpT10_ENKUlT_T0_E_clISt17integral_constantIbLb1EES16_EEDaS11_S12_EUlS11_E_NS1_11comp_targetILNS1_3genE9ELNS1_11target_archE1100ELNS1_3gpuE3ELNS1_3repE0EEENS1_30default_config_static_selectorELNS0_4arch9wavefront6targetE0EEEvT1_: ; @_ZN7rocprim17ROCPRIM_400000_NS6detail17trampoline_kernelINS0_14default_configENS1_25partition_config_selectorILNS1_17partition_subalgoE6EsNS0_10empty_typeEbEEZZNS1_14partition_implILS5_6ELb0ES3_mN6thrust23THRUST_200600_302600_NS6detail15normal_iteratorINSA_10device_ptrIsEEEEPS6_SG_NS0_5tupleIJSF_S6_EEENSH_IJSG_SG_EEES6_PlJ5mod_3IsEEEE10hipError_tPvRmT3_T4_T5_T6_T7_T9_mT8_P12ihipStream_tbDpT10_ENKUlT_T0_E_clISt17integral_constantIbLb1EES16_EEDaS11_S12_EUlS11_E_NS1_11comp_targetILNS1_3genE9ELNS1_11target_archE1100ELNS1_3gpuE3ELNS1_3repE0EEENS1_30default_config_static_selectorELNS0_4arch9wavefront6targetE0EEEvT1_
; %bb.0:
	s_clause 0x3
	s_load_b64 s[12:13], s[0:1], 0x28
	s_load_b128 s[8:11], s[0:1], 0x40
	s_load_b64 s[16:17], s[0:1], 0x50
	s_load_b64 s[14:15], s[0:1], 0x60
	v_cmp_eq_u32_e64 s2, 0, v0
	s_delay_alu instid0(VALU_DEP_1)
	s_and_saveexec_b32 s3, s2
	s_cbranch_execz .LBB630_4
; %bb.1:
	s_mov_b32 s5, exec_lo
	s_mov_b32 s4, exec_lo
	v_mbcnt_lo_u32_b32 v1, s5, 0
                                        ; implicit-def: $vgpr2
	s_delay_alu instid0(VALU_DEP_1)
	v_cmpx_eq_u32_e32 0, v1
	s_cbranch_execz .LBB630_3
; %bb.2:
	s_load_b64 s[6:7], s[0:1], 0x70
	s_bcnt1_i32_b32 s5, s5
	s_delay_alu instid0(SALU_CYCLE_1)
	v_dual_mov_b32 v2, 0 :: v_dual_mov_b32 v3, s5
	s_waitcnt lgkmcnt(0)
	global_atomic_add_u32 v2, v2, v3, s[6:7] glc
.LBB630_3:
	s_or_b32 exec_lo, exec_lo, s4
	s_waitcnt vmcnt(0)
	v_readfirstlane_b32 s4, v2
	s_delay_alu instid0(VALU_DEP_1)
	v_dual_mov_b32 v2, 0 :: v_dual_add_nc_u32 v1, s4, v1
	ds_store_b32 v2, v1
.LBB630_4:
	s_or_b32 exec_lo, exec_lo, s3
	v_mov_b32_e32 v2, 0
	s_clause 0x1
	s_load_b128 s[4:7], s[0:1], 0x8
	s_load_b32 s0, s[0:1], 0x68
	s_waitcnt lgkmcnt(0)
	s_barrier
	buffer_gl0_inv
	ds_load_b32 v1, v2
	s_waitcnt lgkmcnt(0)
	s_barrier
	buffer_gl0_inv
	global_load_b64 v[12:13], v2, s[10:11]
	s_lshl_b64 s[10:11], s[6:7], 1
	s_mul_i32 s3, s0, 0xf00
	s_add_u32 s18, s4, s10
	s_addc_u32 s11, s5, s11
	s_add_i32 s1, s3, s6
	v_readfirstlane_b32 s10, v1
	v_mul_lo_u32 v1, 0xf00, v1
	s_add_i32 s0, s0, -1
	s_sub_i32 s1, s16, s1
	s_add_u32 s4, s6, s3
	s_addc_u32 s5, s7, 0
	s_cmp_eq_u32 s10, s0
	v_cmp_ge_u64_e64 s3, s[4:5], s[16:17]
	s_cselect_b32 s5, -1, 0
	v_lshlrev_b64 v[2:3], 1, v[1:2]
	v_lshlrev_b32_e32 v1, 1, v0
	s_mov_b32 s0, -1
	s_delay_alu instid0(VALU_DEP_3) | instskip(NEXT) | instid1(VALU_DEP_2)
	s_and_b32 s3, s3, s5
	v_add_co_u32 v2, vcc_lo, s18, v2
	s_delay_alu instid0(VALU_DEP_3) | instskip(SKIP_1) | instid1(SALU_CYCLE_1)
	v_add_co_ci_u32_e32 v3, vcc_lo, s11, v3, vcc_lo
	s_xor_b32 s4, s3, -1
	s_and_b32 vcc_lo, exec_lo, s4
	s_cbranch_vccz .LBB630_6
; %bb.5:
	v_add_co_u32 v4, vcc_lo, v2, v1
	v_add_co_ci_u32_e32 v5, vcc_lo, 0, v3, vcc_lo
	s_mov_b32 s0, 0
	s_delay_alu instid0(VALU_DEP_2)
	v_add_co_u32 v6, vcc_lo, 0x1000, v4
	s_clause 0x7
	flat_load_u16 v8, v[4:5]
	flat_load_u16 v9, v[4:5] offset:256
	flat_load_u16 v10, v[4:5] offset:512
	;; [unrolled: 1-line block ×7, first 2 shown]
	v_add_co_ci_u32_e32 v7, vcc_lo, 0, v5, vcc_lo
	s_clause 0x15
	flat_load_u16 v18, v[4:5] offset:2048
	flat_load_u16 v19, v[4:5] offset:2304
	;; [unrolled: 1-line block ×8, first 2 shown]
	flat_load_u16 v5, v[6:7]
	flat_load_u16 v25, v[6:7] offset:256
	flat_load_u16 v26, v[6:7] offset:512
	;; [unrolled: 1-line block ×13, first 2 shown]
	s_waitcnt vmcnt(29) lgkmcnt(29)
	ds_store_b16 v1, v8
	s_waitcnt vmcnt(28) lgkmcnt(29)
	ds_store_b16 v1, v9 offset:256
	s_waitcnt vmcnt(27) lgkmcnt(29)
	ds_store_b16 v1, v10 offset:512
	;; [unrolled: 2-line block ×29, first 2 shown]
	s_waitcnt lgkmcnt(0)
	s_barrier
.LBB630_6:
	s_and_not1_b32 vcc_lo, exec_lo, s0
	s_addk_i32 s1, 0xf00
	s_cbranch_vccnz .LBB630_68
; %bb.7:
	s_mov_b32 s0, exec_lo
                                        ; implicit-def: $vgpr4
	v_cmpx_gt_u32_e64 s1, v0
	s_cbranch_execz .LBB630_9
; %bb.8:
	v_add_co_u32 v4, vcc_lo, v2, v1
	v_add_co_ci_u32_e32 v5, vcc_lo, 0, v3, vcc_lo
	flat_load_u16 v4, v[4:5]
.LBB630_9:
	s_or_b32 exec_lo, exec_lo, s0
	v_or_b32_e32 v5, 0x80, v0
	s_delay_alu instid0(VALU_DEP_1)
	v_cmp_gt_u32_e32 vcc_lo, s1, v5
                                        ; implicit-def: $vgpr5
	s_and_saveexec_b32 s0, vcc_lo
	s_cbranch_execz .LBB630_11
; %bb.10:
	v_add_co_u32 v5, vcc_lo, v2, v1
	v_add_co_ci_u32_e32 v6, vcc_lo, 0, v3, vcc_lo
	flat_load_u16 v5, v[5:6] offset:256
.LBB630_11:
	s_or_b32 exec_lo, exec_lo, s0
	v_or_b32_e32 v6, 0x100, v0
	s_delay_alu instid0(VALU_DEP_1)
	v_cmp_gt_u32_e32 vcc_lo, s1, v6
                                        ; implicit-def: $vgpr6
	s_and_saveexec_b32 s0, vcc_lo
	s_cbranch_execz .LBB630_13
; %bb.12:
	v_add_co_u32 v6, vcc_lo, v2, v1
	v_add_co_ci_u32_e32 v7, vcc_lo, 0, v3, vcc_lo
	flat_load_u16 v6, v[6:7] offset:512
.LBB630_13:
	s_or_b32 exec_lo, exec_lo, s0
	v_or_b32_e32 v7, 0x180, v0
	s_delay_alu instid0(VALU_DEP_1)
	v_cmp_gt_u32_e32 vcc_lo, s1, v7
                                        ; implicit-def: $vgpr7
	s_and_saveexec_b32 s0, vcc_lo
	s_cbranch_execz .LBB630_15
; %bb.14:
	v_add_co_u32 v7, vcc_lo, v2, v1
	v_add_co_ci_u32_e32 v8, vcc_lo, 0, v3, vcc_lo
	flat_load_u16 v7, v[7:8] offset:768
.LBB630_15:
	s_or_b32 exec_lo, exec_lo, s0
	v_or_b32_e32 v8, 0x200, v0
	s_delay_alu instid0(VALU_DEP_1)
	v_cmp_gt_u32_e32 vcc_lo, s1, v8
                                        ; implicit-def: $vgpr8
	s_and_saveexec_b32 s0, vcc_lo
	s_cbranch_execz .LBB630_17
; %bb.16:
	v_add_co_u32 v8, vcc_lo, v2, v1
	v_add_co_ci_u32_e32 v9, vcc_lo, 0, v3, vcc_lo
	flat_load_u16 v8, v[8:9] offset:1024
.LBB630_17:
	s_or_b32 exec_lo, exec_lo, s0
	v_or_b32_e32 v9, 0x280, v0
	s_delay_alu instid0(VALU_DEP_1)
	v_cmp_gt_u32_e32 vcc_lo, s1, v9
                                        ; implicit-def: $vgpr9
	s_and_saveexec_b32 s0, vcc_lo
	s_cbranch_execz .LBB630_19
; %bb.18:
	v_add_co_u32 v9, vcc_lo, v2, v1
	v_add_co_ci_u32_e32 v10, vcc_lo, 0, v3, vcc_lo
	flat_load_u16 v9, v[9:10] offset:1280
.LBB630_19:
	s_or_b32 exec_lo, exec_lo, s0
	v_or_b32_e32 v10, 0x300, v0
	s_delay_alu instid0(VALU_DEP_1)
	v_cmp_gt_u32_e32 vcc_lo, s1, v10
                                        ; implicit-def: $vgpr10
	s_and_saveexec_b32 s0, vcc_lo
	s_cbranch_execz .LBB630_21
; %bb.20:
	v_add_co_u32 v10, vcc_lo, v2, v1
	v_add_co_ci_u32_e32 v11, vcc_lo, 0, v3, vcc_lo
	flat_load_u16 v10, v[10:11] offset:1536
.LBB630_21:
	s_or_b32 exec_lo, exec_lo, s0
	v_or_b32_e32 v11, 0x380, v0
	s_delay_alu instid0(VALU_DEP_1)
	v_cmp_gt_u32_e32 vcc_lo, s1, v11
                                        ; implicit-def: $vgpr11
	s_and_saveexec_b32 s0, vcc_lo
	s_cbranch_execz .LBB630_23
; %bb.22:
	v_add_co_u32 v14, vcc_lo, v2, v1
	v_add_co_ci_u32_e32 v15, vcc_lo, 0, v3, vcc_lo
	flat_load_u16 v11, v[14:15] offset:1792
.LBB630_23:
	s_or_b32 exec_lo, exec_lo, s0
	v_or_b32_e32 v14, 0x400, v0
	s_delay_alu instid0(VALU_DEP_1)
	v_cmp_gt_u32_e32 vcc_lo, s1, v14
                                        ; implicit-def: $vgpr14
	s_and_saveexec_b32 s0, vcc_lo
	s_cbranch_execz .LBB630_25
; %bb.24:
	v_add_co_u32 v14, vcc_lo, v2, v1
	v_add_co_ci_u32_e32 v15, vcc_lo, 0, v3, vcc_lo
	flat_load_u16 v14, v[14:15] offset:2048
.LBB630_25:
	s_or_b32 exec_lo, exec_lo, s0
	v_or_b32_e32 v15, 0x480, v0
	s_delay_alu instid0(VALU_DEP_1)
	v_cmp_gt_u32_e32 vcc_lo, s1, v15
                                        ; implicit-def: $vgpr15
	s_and_saveexec_b32 s0, vcc_lo
	s_cbranch_execz .LBB630_27
; %bb.26:
	v_add_co_u32 v15, vcc_lo, v2, v1
	v_add_co_ci_u32_e32 v16, vcc_lo, 0, v3, vcc_lo
	flat_load_u16 v15, v[15:16] offset:2304
.LBB630_27:
	s_or_b32 exec_lo, exec_lo, s0
	v_or_b32_e32 v16, 0x500, v0
	s_delay_alu instid0(VALU_DEP_1)
	v_cmp_gt_u32_e32 vcc_lo, s1, v16
                                        ; implicit-def: $vgpr16
	s_and_saveexec_b32 s0, vcc_lo
	s_cbranch_execz .LBB630_29
; %bb.28:
	v_add_co_u32 v16, vcc_lo, v2, v1
	v_add_co_ci_u32_e32 v17, vcc_lo, 0, v3, vcc_lo
	flat_load_u16 v16, v[16:17] offset:2560
.LBB630_29:
	s_or_b32 exec_lo, exec_lo, s0
	v_or_b32_e32 v17, 0x580, v0
	s_delay_alu instid0(VALU_DEP_1)
	v_cmp_gt_u32_e32 vcc_lo, s1, v17
                                        ; implicit-def: $vgpr17
	s_and_saveexec_b32 s0, vcc_lo
	s_cbranch_execz .LBB630_31
; %bb.30:
	v_add_co_u32 v17, vcc_lo, v2, v1
	v_add_co_ci_u32_e32 v18, vcc_lo, 0, v3, vcc_lo
	flat_load_u16 v17, v[17:18] offset:2816
.LBB630_31:
	s_or_b32 exec_lo, exec_lo, s0
	v_or_b32_e32 v18, 0x600, v0
	s_delay_alu instid0(VALU_DEP_1)
	v_cmp_gt_u32_e32 vcc_lo, s1, v18
                                        ; implicit-def: $vgpr18
	s_and_saveexec_b32 s0, vcc_lo
	s_cbranch_execz .LBB630_33
; %bb.32:
	v_add_co_u32 v18, vcc_lo, v2, v1
	v_add_co_ci_u32_e32 v19, vcc_lo, 0, v3, vcc_lo
	flat_load_u16 v18, v[18:19] offset:3072
.LBB630_33:
	s_or_b32 exec_lo, exec_lo, s0
	v_or_b32_e32 v19, 0x680, v0
	s_delay_alu instid0(VALU_DEP_1)
	v_cmp_gt_u32_e32 vcc_lo, s1, v19
                                        ; implicit-def: $vgpr19
	s_and_saveexec_b32 s0, vcc_lo
	s_cbranch_execz .LBB630_35
; %bb.34:
	v_add_co_u32 v19, vcc_lo, v2, v1
	v_add_co_ci_u32_e32 v20, vcc_lo, 0, v3, vcc_lo
	flat_load_u16 v19, v[19:20] offset:3328
.LBB630_35:
	s_or_b32 exec_lo, exec_lo, s0
	v_or_b32_e32 v20, 0x700, v0
	s_delay_alu instid0(VALU_DEP_1)
	v_cmp_gt_u32_e32 vcc_lo, s1, v20
                                        ; implicit-def: $vgpr20
	s_and_saveexec_b32 s0, vcc_lo
	s_cbranch_execz .LBB630_37
; %bb.36:
	v_add_co_u32 v20, vcc_lo, v2, v1
	v_add_co_ci_u32_e32 v21, vcc_lo, 0, v3, vcc_lo
	flat_load_u16 v20, v[20:21] offset:3584
.LBB630_37:
	s_or_b32 exec_lo, exec_lo, s0
	v_or_b32_e32 v21, 0x780, v0
	s_delay_alu instid0(VALU_DEP_1)
	v_cmp_gt_u32_e32 vcc_lo, s1, v21
                                        ; implicit-def: $vgpr21
	s_and_saveexec_b32 s0, vcc_lo
	s_cbranch_execz .LBB630_39
; %bb.38:
	v_add_co_u32 v21, vcc_lo, v2, v1
	v_add_co_ci_u32_e32 v22, vcc_lo, 0, v3, vcc_lo
	flat_load_u16 v21, v[21:22] offset:3840
.LBB630_39:
	s_or_b32 exec_lo, exec_lo, s0
	v_or_b32_e32 v23, 0x800, v0
	s_mov_b32 s0, exec_lo
                                        ; implicit-def: $vgpr22
	s_delay_alu instid0(VALU_DEP_1)
	v_cmpx_gt_u32_e64 s1, v23
	s_cbranch_execz .LBB630_41
; %bb.40:
	v_lshlrev_b32_e32 v22, 1, v23
	s_delay_alu instid0(VALU_DEP_1)
	v_add_co_u32 v22, vcc_lo, v2, v22
	v_add_co_ci_u32_e32 v23, vcc_lo, 0, v3, vcc_lo
	flat_load_u16 v22, v[22:23]
.LBB630_41:
	s_or_b32 exec_lo, exec_lo, s0
	v_or_b32_e32 v24, 0x880, v0
	s_mov_b32 s0, exec_lo
                                        ; implicit-def: $vgpr23
	s_delay_alu instid0(VALU_DEP_1)
	v_cmpx_gt_u32_e64 s1, v24
	s_cbranch_execz .LBB630_43
; %bb.42:
	v_lshlrev_b32_e32 v23, 1, v24
	s_delay_alu instid0(VALU_DEP_1)
	v_add_co_u32 v23, vcc_lo, v2, v23
	v_add_co_ci_u32_e32 v24, vcc_lo, 0, v3, vcc_lo
	flat_load_u16 v23, v[23:24]
.LBB630_43:
	s_or_b32 exec_lo, exec_lo, s0
	v_or_b32_e32 v25, 0x900, v0
	s_mov_b32 s0, exec_lo
                                        ; implicit-def: $vgpr24
	s_delay_alu instid0(VALU_DEP_1)
	v_cmpx_gt_u32_e64 s1, v25
	s_cbranch_execz .LBB630_45
; %bb.44:
	v_lshlrev_b32_e32 v24, 1, v25
	s_delay_alu instid0(VALU_DEP_1)
	v_add_co_u32 v24, vcc_lo, v2, v24
	v_add_co_ci_u32_e32 v25, vcc_lo, 0, v3, vcc_lo
	flat_load_u16 v24, v[24:25]
.LBB630_45:
	s_or_b32 exec_lo, exec_lo, s0
	v_or_b32_e32 v26, 0x980, v0
	s_mov_b32 s0, exec_lo
                                        ; implicit-def: $vgpr25
	s_delay_alu instid0(VALU_DEP_1)
	v_cmpx_gt_u32_e64 s1, v26
	s_cbranch_execz .LBB630_47
; %bb.46:
	v_lshlrev_b32_e32 v25, 1, v26
	s_delay_alu instid0(VALU_DEP_1)
	v_add_co_u32 v25, vcc_lo, v2, v25
	v_add_co_ci_u32_e32 v26, vcc_lo, 0, v3, vcc_lo
	flat_load_u16 v25, v[25:26]
.LBB630_47:
	s_or_b32 exec_lo, exec_lo, s0
	v_or_b32_e32 v27, 0xa00, v0
	s_mov_b32 s0, exec_lo
                                        ; implicit-def: $vgpr26
	s_delay_alu instid0(VALU_DEP_1)
	v_cmpx_gt_u32_e64 s1, v27
	s_cbranch_execz .LBB630_49
; %bb.48:
	v_lshlrev_b32_e32 v26, 1, v27
	s_delay_alu instid0(VALU_DEP_1)
	v_add_co_u32 v26, vcc_lo, v2, v26
	v_add_co_ci_u32_e32 v27, vcc_lo, 0, v3, vcc_lo
	flat_load_u16 v26, v[26:27]
.LBB630_49:
	s_or_b32 exec_lo, exec_lo, s0
	v_or_b32_e32 v28, 0xa80, v0
	s_mov_b32 s0, exec_lo
                                        ; implicit-def: $vgpr27
	s_delay_alu instid0(VALU_DEP_1)
	v_cmpx_gt_u32_e64 s1, v28
	s_cbranch_execz .LBB630_51
; %bb.50:
	v_lshlrev_b32_e32 v27, 1, v28
	s_delay_alu instid0(VALU_DEP_1)
	v_add_co_u32 v27, vcc_lo, v2, v27
	v_add_co_ci_u32_e32 v28, vcc_lo, 0, v3, vcc_lo
	flat_load_u16 v27, v[27:28]
.LBB630_51:
	s_or_b32 exec_lo, exec_lo, s0
	v_or_b32_e32 v29, 0xb00, v0
	s_mov_b32 s0, exec_lo
                                        ; implicit-def: $vgpr28
	s_delay_alu instid0(VALU_DEP_1)
	v_cmpx_gt_u32_e64 s1, v29
	s_cbranch_execz .LBB630_53
; %bb.52:
	v_lshlrev_b32_e32 v28, 1, v29
	s_delay_alu instid0(VALU_DEP_1)
	v_add_co_u32 v28, vcc_lo, v2, v28
	v_add_co_ci_u32_e32 v29, vcc_lo, 0, v3, vcc_lo
	flat_load_u16 v28, v[28:29]
.LBB630_53:
	s_or_b32 exec_lo, exec_lo, s0
	v_or_b32_e32 v30, 0xb80, v0
	s_mov_b32 s0, exec_lo
                                        ; implicit-def: $vgpr29
	s_delay_alu instid0(VALU_DEP_1)
	v_cmpx_gt_u32_e64 s1, v30
	s_cbranch_execz .LBB630_55
; %bb.54:
	v_lshlrev_b32_e32 v29, 1, v30
	s_delay_alu instid0(VALU_DEP_1)
	v_add_co_u32 v29, vcc_lo, v2, v29
	v_add_co_ci_u32_e32 v30, vcc_lo, 0, v3, vcc_lo
	flat_load_u16 v29, v[29:30]
.LBB630_55:
	s_or_b32 exec_lo, exec_lo, s0
	v_or_b32_e32 v31, 0xc00, v0
	s_mov_b32 s0, exec_lo
                                        ; implicit-def: $vgpr30
	s_delay_alu instid0(VALU_DEP_1)
	v_cmpx_gt_u32_e64 s1, v31
	s_cbranch_execz .LBB630_57
; %bb.56:
	v_lshlrev_b32_e32 v30, 1, v31
	s_delay_alu instid0(VALU_DEP_1)
	v_add_co_u32 v30, vcc_lo, v2, v30
	v_add_co_ci_u32_e32 v31, vcc_lo, 0, v3, vcc_lo
	flat_load_u16 v30, v[30:31]
.LBB630_57:
	s_or_b32 exec_lo, exec_lo, s0
	v_or_b32_e32 v32, 0xc80, v0
	s_mov_b32 s0, exec_lo
                                        ; implicit-def: $vgpr31
	s_delay_alu instid0(VALU_DEP_1)
	v_cmpx_gt_u32_e64 s1, v32
	s_cbranch_execz .LBB630_59
; %bb.58:
	v_lshlrev_b32_e32 v31, 1, v32
	s_delay_alu instid0(VALU_DEP_1)
	v_add_co_u32 v31, vcc_lo, v2, v31
	v_add_co_ci_u32_e32 v32, vcc_lo, 0, v3, vcc_lo
	flat_load_u16 v31, v[31:32]
.LBB630_59:
	s_or_b32 exec_lo, exec_lo, s0
	v_or_b32_e32 v33, 0xd00, v0
	s_mov_b32 s0, exec_lo
                                        ; implicit-def: $vgpr32
	s_delay_alu instid0(VALU_DEP_1)
	v_cmpx_gt_u32_e64 s1, v33
	s_cbranch_execz .LBB630_61
; %bb.60:
	v_lshlrev_b32_e32 v32, 1, v33
	s_delay_alu instid0(VALU_DEP_1)
	v_add_co_u32 v32, vcc_lo, v2, v32
	v_add_co_ci_u32_e32 v33, vcc_lo, 0, v3, vcc_lo
	flat_load_u16 v32, v[32:33]
.LBB630_61:
	s_or_b32 exec_lo, exec_lo, s0
	v_or_b32_e32 v34, 0xd80, v0
	s_mov_b32 s0, exec_lo
                                        ; implicit-def: $vgpr33
	s_delay_alu instid0(VALU_DEP_1)
	v_cmpx_gt_u32_e64 s1, v34
	s_cbranch_execz .LBB630_63
; %bb.62:
	v_lshlrev_b32_e32 v33, 1, v34
	s_delay_alu instid0(VALU_DEP_1)
	v_add_co_u32 v33, vcc_lo, v2, v33
	v_add_co_ci_u32_e32 v34, vcc_lo, 0, v3, vcc_lo
	flat_load_u16 v33, v[33:34]
.LBB630_63:
	s_or_b32 exec_lo, exec_lo, s0
	v_or_b32_e32 v35, 0xe00, v0
	s_mov_b32 s0, exec_lo
                                        ; implicit-def: $vgpr34
	s_delay_alu instid0(VALU_DEP_1)
	v_cmpx_gt_u32_e64 s1, v35
	s_cbranch_execz .LBB630_65
; %bb.64:
	v_lshlrev_b32_e32 v34, 1, v35
	s_delay_alu instid0(VALU_DEP_1)
	v_add_co_u32 v34, vcc_lo, v2, v34
	v_add_co_ci_u32_e32 v35, vcc_lo, 0, v3, vcc_lo
	flat_load_u16 v34, v[34:35]
.LBB630_65:
	s_or_b32 exec_lo, exec_lo, s0
	v_or_b32_e32 v36, 0xe80, v0
	s_mov_b32 s0, exec_lo
                                        ; implicit-def: $vgpr35
	s_delay_alu instid0(VALU_DEP_1)
	v_cmpx_gt_u32_e64 s1, v36
	s_cbranch_execz .LBB630_67
; %bb.66:
	v_lshlrev_b32_e32 v35, 1, v36
	s_delay_alu instid0(VALU_DEP_1)
	v_add_co_u32 v2, vcc_lo, v2, v35
	v_add_co_ci_u32_e32 v3, vcc_lo, 0, v3, vcc_lo
	flat_load_u16 v35, v[2:3]
.LBB630_67:
	s_or_b32 exec_lo, exec_lo, s0
	s_waitcnt vmcnt(0) lgkmcnt(0)
	ds_store_b16 v1, v4
	ds_store_b16 v1, v5 offset:256
	ds_store_b16 v1, v6 offset:512
	;; [unrolled: 1-line block ×29, first 2 shown]
	s_waitcnt lgkmcnt(0)
	s_barrier
.LBB630_68:
	v_mul_u32_u24_e32 v1, 30, v0
	s_waitcnt vmcnt(0)
	buffer_gl0_inv
	s_and_not1_b32 vcc_lo, exec_lo, s4
	v_lshlrev_b32_e32 v2, 1, v1
	ds_load_b32 v11, v2 offset:56
	ds_load_2addr_b32 v[9:10], v2 offset0:12 offset1:13
	ds_load_2addr_b32 v[14:15], v2 offset0:10 offset1:11
	ds_load_2addr_b32 v[24:25], v2 offset1:1
	ds_load_2addr_b32 v[22:23], v2 offset0:2 offset1:3
	ds_load_2addr_b32 v[20:21], v2 offset0:4 offset1:5
	;; [unrolled: 1-line block ×4, first 2 shown]
	s_waitcnt lgkmcnt(0)
	s_barrier
	buffer_gl0_inv
	v_lshrrev_b32_e32 v86, 16, v11
	v_lshrrev_b32_e32 v88, 16, v9
	;; [unrolled: 1-line block ×15, first 2 shown]
	s_cbranch_vccnz .LBB630_70
; %bb.69:
	v_bfe_i32 v28, v24, 0, 16
	v_bfe_i32 v29, v100, 0, 16
	v_bfe_i32 v30, v25, 0, 16
	v_bfe_i32 v31, v99, 0, 16
	v_bfe_i32 v32, v22, 0, 16
	v_mul_lo_u32 v28, 0xaaaaaaab, v28
	v_mul_lo_u32 v29, 0xaaaaaaab, v29
	;; [unrolled: 1-line block ×4, first 2 shown]
	v_bfe_i32 v33, v98, 0, 16
	v_bfe_i32 v34, v23, 0, 16
	;; [unrolled: 1-line block ×4, first 2 shown]
	v_cmp_lt_u32_e32 vcc_lo, 0x55555555, v28
	v_mul_lo_u32 v28, 0xaaaaaaab, v32
	v_bfe_i32 v37, v96, 0, 16
	v_bfe_i32 v38, v21, 0, 16
	v_bfe_i32 v39, v95, 0, 16
	v_cndmask_b32_e64 v102, 0, 1, vcc_lo
	v_cmp_lt_u32_e32 vcc_lo, 0x55555555, v29
	v_mul_lo_u32 v29, 0xaaaaaaab, v33
	v_bfe_i32 v40, v18, 0, 16
	v_bfe_i32 v41, v94, 0, 16
	v_bfe_i32 v42, v19, 0, 16
	v_cndmask_b32_e64 v101, 0, 1, vcc_lo
	;; [unrolled: 6-line block ×5, first 2 shown]
	v_cmp_lt_u32_e32 vcc_lo, 0x55555555, v29
	v_mul_lo_u32 v29, 0xaaaaaaab, v36
	v_mul_lo_u32 v27, 0xaaaaaaab, v27
	;; [unrolled: 1-line block ×3, first 2 shown]
	v_bfe_i32 v7, v9, 0, 16
	v_cndmask_b32_e64 v105, 0, 1, vcc_lo
	v_cmp_lt_u32_e32 vcc_lo, 0x55555555, v30
	v_mul_lo_u32 v30, 0xaaaaaaab, v38
	v_mul_lo_u32 v8, 0xaaaaaaab, v8
	v_bfe_i32 v6, v88, 0, 16
	v_mul_lo_u32 v7, 0xaaaaaaab, v7
	v_cndmask_b32_e64 v108, 0, 1, vcc_lo
	v_cmp_lt_u32_e32 vcc_lo, 0x55555555, v28
	v_mul_lo_u32 v28, 0xaaaaaaab, v39
	v_bfe_i32 v5, v10, 0, 16
	v_mul_lo_u32 v6, 0xaaaaaaab, v6
	v_bfe_i32 v4, v87, 0, 16
	v_cndmask_b32_e64 v107, 0, 1, vcc_lo
	v_cmp_lt_u32_e32 vcc_lo, 0x55555555, v29
	v_mul_lo_u32 v29, 0xaaaaaaab, v40
	v_mul_lo_u32 v5, 0xaaaaaaab, v5
	v_bfe_i32 v3, v11, 0, 16
	v_bfe_i32 v2, v86, 0, 16
	v_cndmask_b32_e64 v110, 0, 1, vcc_lo
	v_cmp_lt_u32_e32 vcc_lo, 0x55555555, v31
	v_mul_lo_u32 v31, 0xaaaaaaab, v43
	v_mul_lo_u32 v4, 0xaaaaaaab, v4
	;; [unrolled: 1-line block ×4, first 2 shown]
	v_cndmask_b32_e64 v109, 0, 1, vcc_lo
	v_cmp_lt_u32_e32 vcc_lo, 0x55555555, v30
	v_mul_lo_u32 v30, 0xaaaaaaab, v41
	v_cndmask_b32_e64 v112, 0, 1, vcc_lo
	v_cmp_lt_u32_e32 vcc_lo, 0x55555555, v28
	v_mul_lo_u32 v28, 0xaaaaaaab, v42
	v_cmp_lt_u32_e64 s0, 0x55555555, v3
	v_cndmask_b32_e64 v111, 0, 1, vcc_lo
	v_cmp_lt_u32_e32 vcc_lo, 0x55555555, v29
	v_mul_lo_u32 v29, 0xaaaaaaab, v44
	s_delay_alu instid0(VALU_DEP_4)
	v_cndmask_b32_e64 v129, 0, 1, s0
	v_cndmask_b32_e64 v114, 0, 1, vcc_lo
	v_cmp_lt_u32_e32 vcc_lo, 0x55555555, v30
	v_mul_lo_u32 v30, 0xaaaaaaab, v45
	v_cndmask_b32_e64 v113, 0, 1, vcc_lo
	v_cmp_lt_u32_e32 vcc_lo, 0x55555555, v28
	v_mul_lo_u32 v28, 0xaaaaaaab, v46
	v_cndmask_b32_e64 v116, 0, 1, vcc_lo
	v_cmp_lt_u32_e32 vcc_lo, 0x55555555, v31
	v_cndmask_b32_e64 v115, 0, 1, vcc_lo
	v_cmp_lt_u32_e32 vcc_lo, 0x55555555, v29
	v_mul_lo_u32 v29, 0xaaaaaaab, v47
	v_cndmask_b32_e64 v118, 0, 1, vcc_lo
	v_cmp_lt_u32_e32 vcc_lo, 0x55555555, v30
	v_mul_lo_u32 v30, 0xaaaaaaab, v48
	v_cndmask_b32_e64 v117, 0, 1, vcc_lo
	v_cmp_lt_u32_e32 vcc_lo, 0x55555555, v28
	v_cndmask_b32_e64 v120, 0, 1, vcc_lo
	v_cmp_lt_u32_e32 vcc_lo, 0x55555555, v29
	;; [unrolled: 2-line block ×11, first 2 shown]
	s_and_b32 s6, vcc_lo, exec_lo
	s_cbranch_execz .LBB630_71
	s_branch .LBB630_132
.LBB630_70:
                                        ; implicit-def: $sgpr6
                                        ; implicit-def: $vgpr102
                                        ; implicit-def: $vgpr101
                                        ; implicit-def: $vgpr104
                                        ; implicit-def: $vgpr103
                                        ; implicit-def: $vgpr106
                                        ; implicit-def: $vgpr105
                                        ; implicit-def: $vgpr108
                                        ; implicit-def: $vgpr107
                                        ; implicit-def: $vgpr110
                                        ; implicit-def: $vgpr109
                                        ; implicit-def: $vgpr112
                                        ; implicit-def: $vgpr111
                                        ; implicit-def: $vgpr114
                                        ; implicit-def: $vgpr113
                                        ; implicit-def: $vgpr116
                                        ; implicit-def: $vgpr115
                                        ; implicit-def: $vgpr118
                                        ; implicit-def: $vgpr117
                                        ; implicit-def: $vgpr120
                                        ; implicit-def: $vgpr119
                                        ; implicit-def: $vgpr122
                                        ; implicit-def: $vgpr121
                                        ; implicit-def: $vgpr124
                                        ; implicit-def: $vgpr123
                                        ; implicit-def: $vgpr126
                                        ; implicit-def: $vgpr125
                                        ; implicit-def: $vgpr128
                                        ; implicit-def: $vgpr127
                                        ; implicit-def: $vgpr129
.LBB630_71:
	v_dual_mov_b32 v101, 0 :: v_dual_mov_b32 v102, 0
	s_mov_b32 s0, exec_lo
	v_cmpx_gt_u32_e64 s1, v1
; %bb.72:
	v_bfe_i32 v2, v24, 0, 16
	s_delay_alu instid0(VALU_DEP_1) | instskip(NEXT) | instid1(VALU_DEP_1)
	v_mul_lo_u32 v2, 0xaaaaaaab, v2
	v_cmp_lt_u32_e32 vcc_lo, 0x55555555, v2
	v_cndmask_b32_e64 v102, 0, 1, vcc_lo
; %bb.73:
	s_or_b32 exec_lo, exec_lo, s0
	v_or_b32_e32 v2, 1, v1
	s_mov_b32 s0, exec_lo
	s_delay_alu instid0(VALU_DEP_1)
	v_cmpx_gt_u32_e64 s1, v2
; %bb.74:
	v_bfe_i32 v2, v100, 0, 16
	s_delay_alu instid0(VALU_DEP_1) | instskip(NEXT) | instid1(VALU_DEP_1)
	v_mul_lo_u32 v2, 0xaaaaaaab, v2
	v_cmp_lt_u32_e32 vcc_lo, 0x55555555, v2
	v_cndmask_b32_e64 v101, 0, 1, vcc_lo
; %bb.75:
	s_or_b32 exec_lo, exec_lo, s0
	v_dual_mov_b32 v103, 0 :: v_dual_add_nc_u32 v2, 2, v1
	v_mov_b32_e32 v104, 0
	s_mov_b32 s0, exec_lo
	s_delay_alu instid0(VALU_DEP_2)
	v_cmpx_gt_u32_e64 s1, v2
; %bb.76:
	v_bfe_i32 v2, v25, 0, 16
	s_delay_alu instid0(VALU_DEP_1) | instskip(NEXT) | instid1(VALU_DEP_1)
	v_mul_lo_u32 v2, 0xaaaaaaab, v2
	v_cmp_lt_u32_e32 vcc_lo, 0x55555555, v2
	v_cndmask_b32_e64 v104, 0, 1, vcc_lo
; %bb.77:
	s_or_b32 exec_lo, exec_lo, s0
	v_add_nc_u32_e32 v2, 3, v1
	s_mov_b32 s0, exec_lo
	s_delay_alu instid0(VALU_DEP_1)
	v_cmpx_gt_u32_e64 s1, v2
; %bb.78:
	v_bfe_i32 v2, v99, 0, 16
	s_delay_alu instid0(VALU_DEP_1) | instskip(NEXT) | instid1(VALU_DEP_1)
	v_mul_lo_u32 v2, 0xaaaaaaab, v2
	v_cmp_lt_u32_e32 vcc_lo, 0x55555555, v2
	v_cndmask_b32_e64 v103, 0, 1, vcc_lo
; %bb.79:
	s_or_b32 exec_lo, exec_lo, s0
	v_dual_mov_b32 v105, 0 :: v_dual_add_nc_u32 v2, 4, v1
	v_mov_b32_e32 v106, 0
	s_mov_b32 s0, exec_lo
	s_delay_alu instid0(VALU_DEP_2)
	v_cmpx_gt_u32_e64 s1, v2
; %bb.80:
	v_bfe_i32 v2, v22, 0, 16
	s_delay_alu instid0(VALU_DEP_1) | instskip(NEXT) | instid1(VALU_DEP_1)
	v_mul_lo_u32 v2, 0xaaaaaaab, v2
	v_cmp_lt_u32_e32 vcc_lo, 0x55555555, v2
	v_cndmask_b32_e64 v106, 0, 1, vcc_lo
; %bb.81:
	s_or_b32 exec_lo, exec_lo, s0
	v_add_nc_u32_e32 v2, 5, v1
	;; [unrolled: 25-line block ×13, first 2 shown]
	s_mov_b32 s0, exec_lo
	s_delay_alu instid0(VALU_DEP_1)
	v_cmpx_gt_u32_e64 s1, v2
; %bb.126:
	v_bfe_i32 v2, v87, 0, 16
	s_delay_alu instid0(VALU_DEP_1) | instskip(NEXT) | instid1(VALU_DEP_1)
	v_mul_lo_u32 v2, 0xaaaaaaab, v2
	v_cmp_lt_u32_e32 vcc_lo, 0x55555555, v2
	v_cndmask_b32_e64 v127, 0, 1, vcc_lo
; %bb.127:
	s_or_b32 exec_lo, exec_lo, s0
	v_dual_mov_b32 v129, 0 :: v_dual_add_nc_u32 v2, 28, v1
	s_mov_b32 s0, exec_lo
	s_delay_alu instid0(VALU_DEP_1)
	v_cmpx_gt_u32_e64 s1, v2
; %bb.128:
	v_bfe_i32 v2, v11, 0, 16
	s_delay_alu instid0(VALU_DEP_1) | instskip(NEXT) | instid1(VALU_DEP_1)
	v_mul_lo_u32 v2, 0xaaaaaaab, v2
	v_cmp_lt_u32_e32 vcc_lo, 0x55555555, v2
	v_cndmask_b32_e64 v129, 0, 1, vcc_lo
; %bb.129:
	s_or_b32 exec_lo, exec_lo, s0
	v_add_nc_u32_e32 v1, 29, v1
	s_mov_b32 s6, 0
	s_mov_b32 s0, exec_lo
	s_delay_alu instid0(VALU_DEP_1)
	v_cmpx_gt_u32_e64 s1, v1
; %bb.130:
	v_bfe_i32 v1, v86, 0, 16
	s_delay_alu instid0(VALU_DEP_1) | instskip(NEXT) | instid1(VALU_DEP_1)
	v_mul_lo_u32 v1, 0xaaaaaaab, v1
	v_cmp_lt_u32_e32 vcc_lo, 0x55555555, v1
	s_and_b32 s6, vcc_lo, exec_lo
; %bb.131:
	s_or_b32 exec_lo, exec_lo, s0
.LBB630_132:
	v_and_b32_e32 v84, 0xff, v129
	v_cndmask_b32_e64 v1, 0, 1, s6
	v_dual_mov_b32 v2, 0 :: v_dual_and_b32 v85, 0xff, v127
	v_and_b32_e32 v130, 0xff, v128
	v_and_b32_e32 v131, 0xff, v125
	s_delay_alu instid0(VALU_DEP_4) | instskip(NEXT) | instid1(VALU_DEP_1)
	v_add_co_u32 v1, s0, v84, v1
	v_add_co_ci_u32_e64 v3, null, 0, 0, s0
	v_and_b32_e32 v132, 0xff, v126
	s_delay_alu instid0(VALU_DEP_3) | instskip(NEXT) | instid1(VALU_DEP_3)
	v_add_co_u32 v1, vcc_lo, v1, v85
	v_add_co_ci_u32_e32 v3, vcc_lo, 0, v3, vcc_lo
	v_and_b32_e32 v34, 0xff, v123
	s_delay_alu instid0(VALU_DEP_3) | instskip(NEXT) | instid1(VALU_DEP_3)
	v_add_co_u32 v1, vcc_lo, v1, v130
	v_add_co_ci_u32_e32 v3, vcc_lo, 0, v3, vcc_lo
	;; [unrolled: 4-line block ×24, first 2 shown]
	v_mbcnt_lo_u32_b32 v58, -1, 0
	s_delay_alu instid0(VALU_DEP_3) | instskip(NEXT) | instid1(VALU_DEP_3)
	v_add_co_u32 v1, vcc_lo, v1, v55
	v_add_co_ci_u32_e32 v3, vcc_lo, 0, v3, vcc_lo
	v_and_b32_e32 v46, 0xff, v102
	s_delay_alu instid0(VALU_DEP_3) | instskip(NEXT) | instid1(VALU_DEP_3)
	v_add_co_u32 v1, vcc_lo, v1, v56
	v_add_co_ci_u32_e32 v3, vcc_lo, 0, v3, vcc_lo
	v_and_b32_e32 v59, 15, v58
	s_delay_alu instid0(VALU_DEP_3) | instskip(NEXT) | instid1(VALU_DEP_3)
	v_add_co_u32 v1, vcc_lo, v1, v57
	v_add_co_ci_u32_e32 v3, vcc_lo, 0, v3, vcc_lo
	s_delay_alu instid0(VALU_DEP_3) | instskip(NEXT) | instid1(VALU_DEP_3)
	v_cmp_ne_u32_e64 s0, 0, v59
	v_add_co_u32 v26, vcc_lo, v1, v46
	s_delay_alu instid0(VALU_DEP_3)
	v_add_co_ci_u32_e32 v27, vcc_lo, 0, v3, vcc_lo
	s_cmp_lg_u32 s10, 0
	s_mov_b32 s1, -1
	s_cbranch_scc0 .LBB630_197
; %bb.133:
	v_mov_b32_e32 v3, v26
	v_mov_b32_dpp v1, v26 row_shr:1 row_mask:0xf bank_mask:0xf
	v_mov_b32_dpp v6, v2 row_shr:1 row_mask:0xf bank_mask:0xf
	v_dual_mov_b32 v5, v26 :: v_dual_mov_b32 v4, v27
	s_and_saveexec_b32 s1, s0
; %bb.134:
	s_delay_alu instid0(VALU_DEP_3) | instskip(SKIP_1) | instid1(VALU_DEP_2)
	v_add_co_u32 v5, vcc_lo, v26, v1
	v_add_co_ci_u32_e32 v2, vcc_lo, 0, v27, vcc_lo
	v_add_co_u32 v1, vcc_lo, 0, v5
	s_delay_alu instid0(VALU_DEP_2) | instskip(NEXT) | instid1(VALU_DEP_1)
	v_add_co_ci_u32_e32 v2, vcc_lo, v6, v2, vcc_lo
	v_dual_mov_b32 v4, v2 :: v_dual_mov_b32 v3, v1
; %bb.135:
	s_or_b32 exec_lo, exec_lo, s1
	v_mov_b32_dpp v1, v5 row_shr:2 row_mask:0xf bank_mask:0xf
	v_mov_b32_dpp v6, v2 row_shr:2 row_mask:0xf bank_mask:0xf
	s_mov_b32 s1, exec_lo
	v_cmpx_lt_u32_e32 1, v59
; %bb.136:
	s_delay_alu instid0(VALU_DEP_3) | instskip(SKIP_1) | instid1(VALU_DEP_2)
	v_add_co_u32 v5, vcc_lo, v3, v1
	v_add_co_ci_u32_e32 v2, vcc_lo, 0, v4, vcc_lo
	v_add_co_u32 v1, vcc_lo, 0, v5
	s_delay_alu instid0(VALU_DEP_2) | instskip(NEXT) | instid1(VALU_DEP_1)
	v_add_co_ci_u32_e32 v2, vcc_lo, v6, v2, vcc_lo
	v_dual_mov_b32 v4, v2 :: v_dual_mov_b32 v3, v1
; %bb.137:
	s_or_b32 exec_lo, exec_lo, s1
	v_mov_b32_dpp v1, v5 row_shr:4 row_mask:0xf bank_mask:0xf
	v_mov_b32_dpp v6, v2 row_shr:4 row_mask:0xf bank_mask:0xf
	s_mov_b32 s1, exec_lo
	v_cmpx_lt_u32_e32 3, v59
	;; [unrolled: 14-line block ×3, first 2 shown]
; %bb.140:
	s_delay_alu instid0(VALU_DEP_3) | instskip(SKIP_1) | instid1(VALU_DEP_2)
	v_add_co_u32 v5, vcc_lo, v3, v6
	v_add_co_ci_u32_e32 v2, vcc_lo, 0, v4, vcc_lo
	v_add_co_u32 v3, vcc_lo, 0, v5
	s_delay_alu instid0(VALU_DEP_2) | instskip(NEXT) | instid1(VALU_DEP_1)
	v_add_co_ci_u32_e32 v4, vcc_lo, v1, v2, vcc_lo
	v_mov_b32_e32 v2, v4
; %bb.141:
	s_or_b32 exec_lo, exec_lo, s1
	ds_swizzle_b32 v1, v5 offset:swizzle(BROADCAST,32,15)
	ds_swizzle_b32 v6, v2 offset:swizzle(BROADCAST,32,15)
	v_and_b32_e32 v7, 16, v58
	s_mov_b32 s1, exec_lo
	s_delay_alu instid0(VALU_DEP_1)
	v_cmpx_ne_u32_e32 0, v7
	s_cbranch_execz .LBB630_143
; %bb.142:
	s_waitcnt lgkmcnt(1)
	v_add_co_u32 v5, vcc_lo, v3, v1
	v_add_co_ci_u32_e32 v2, vcc_lo, 0, v4, vcc_lo
	s_delay_alu instid0(VALU_DEP_2) | instskip(SKIP_1) | instid1(VALU_DEP_2)
	v_add_co_u32 v1, vcc_lo, 0, v5
	s_waitcnt lgkmcnt(0)
	v_add_co_ci_u32_e32 v2, vcc_lo, v6, v2, vcc_lo
	s_delay_alu instid0(VALU_DEP_1)
	v_dual_mov_b32 v4, v2 :: v_dual_mov_b32 v3, v1
.LBB630_143:
	s_or_b32 exec_lo, exec_lo, s1
	s_waitcnt lgkmcnt(0)
	v_or_b32_e32 v6, 31, v0
	v_lshrrev_b32_e32 v1, 5, v0
	s_mov_b32 s1, exec_lo
	s_delay_alu instid0(VALU_DEP_2)
	v_cmpx_eq_u32_e64 v6, v0
	s_cbranch_execz .LBB630_145
; %bb.144:
	s_delay_alu instid0(VALU_DEP_2)
	v_lshlrev_b32_e32 v6, 3, v1
	ds_store_b64 v6, v[3:4]
.LBB630_145:
	s_or_b32 exec_lo, exec_lo, s1
	s_delay_alu instid0(SALU_CYCLE_1)
	s_mov_b32 s1, exec_lo
	s_waitcnt lgkmcnt(0)
	s_barrier
	buffer_gl0_inv
	v_cmpx_gt_u32_e32 4, v0
	s_cbranch_execz .LBB630_151
; %bb.146:
	v_lshlrev_b32_e32 v6, 3, v0
	s_mov_b32 s7, exec_lo
	ds_load_b64 v[3:4], v6
	s_waitcnt lgkmcnt(0)
	v_dual_mov_b32 v8, v3 :: v_dual_and_b32 v7, 3, v58
	v_mov_b32_dpp v29, v3 row_shr:1 row_mask:0xf bank_mask:0xf
	v_mov_b32_dpp v28, v4 row_shr:1 row_mask:0xf bank_mask:0xf
	s_delay_alu instid0(VALU_DEP_3)
	v_cmpx_ne_u32_e32 0, v7
; %bb.147:
	s_delay_alu instid0(VALU_DEP_3) | instskip(SKIP_1) | instid1(VALU_DEP_2)
	v_add_co_u32 v8, vcc_lo, v3, v29
	v_add_co_ci_u32_e32 v4, vcc_lo, 0, v4, vcc_lo
	v_add_co_u32 v3, vcc_lo, 0, v8
	s_delay_alu instid0(VALU_DEP_2)
	v_add_co_ci_u32_e32 v4, vcc_lo, v28, v4, vcc_lo
; %bb.148:
	s_or_b32 exec_lo, exec_lo, s7
	v_mov_b32_dpp v28, v8 row_shr:2 row_mask:0xf bank_mask:0xf
	s_delay_alu instid0(VALU_DEP_2)
	v_mov_b32_dpp v8, v4 row_shr:2 row_mask:0xf bank_mask:0xf
	s_mov_b32 s7, exec_lo
	v_cmpx_lt_u32_e32 1, v7
; %bb.149:
	s_delay_alu instid0(VALU_DEP_3) | instskip(SKIP_1) | instid1(VALU_DEP_2)
	v_add_co_u32 v3, vcc_lo, v3, v28
	v_add_co_ci_u32_e32 v4, vcc_lo, 0, v4, vcc_lo
	v_add_co_u32 v3, vcc_lo, v3, 0
	s_delay_alu instid0(VALU_DEP_2)
	v_add_co_ci_u32_e32 v4, vcc_lo, v4, v8, vcc_lo
; %bb.150:
	s_or_b32 exec_lo, exec_lo, s7
	ds_store_b64 v6, v[3:4]
.LBB630_151:
	s_or_b32 exec_lo, exec_lo, s1
	v_cmp_gt_u32_e32 vcc_lo, 32, v0
	s_mov_b32 s7, exec_lo
	s_waitcnt lgkmcnt(0)
	s_barrier
	buffer_gl0_inv
                                        ; implicit-def: $vgpr28_vgpr29
	v_cmpx_lt_u32_e32 31, v0
	s_cbranch_execz .LBB630_153
; %bb.152:
	v_lshl_add_u32 v1, v1, 3, -8
	ds_load_b64 v[28:29], v1
	s_waitcnt lgkmcnt(0)
	v_add_co_u32 v5, s1, v5, v28
	s_delay_alu instid0(VALU_DEP_1)
	v_add_co_ci_u32_e64 v2, s1, v2, v29, s1
.LBB630_153:
	s_or_b32 exec_lo, exec_lo, s7
	v_add_nc_u32_e32 v1, -1, v58
	s_delay_alu instid0(VALU_DEP_1) | instskip(NEXT) | instid1(VALU_DEP_1)
	v_cmp_gt_i32_e64 s1, 0, v1
	v_cndmask_b32_e64 v1, v1, v58, s1
	v_cmp_eq_u32_e64 s1, 0, v58
	s_delay_alu instid0(VALU_DEP_2)
	v_lshlrev_b32_e32 v1, 2, v1
	ds_bpermute_b32 v60, v1, v5
	ds_bpermute_b32 v61, v1, v2
	s_and_saveexec_b32 s7, vcc_lo
	s_cbranch_execz .LBB630_196
; %bb.154:
	v_mov_b32_e32 v4, 0
	ds_load_b64 v[1:2], v4 offset:24
	s_and_saveexec_b32 s11, s1
	s_cbranch_execz .LBB630_156
; %bb.155:
	s_add_i32 s16, s10, 32
	s_mov_b32 s17, 0
	s_delay_alu instid0(SALU_CYCLE_1) | instskip(NEXT) | instid1(SALU_CYCLE_1)
	s_lshl_b64 s[16:17], s[16:17], 4
	s_add_u32 s16, s14, s16
	s_addc_u32 s17, s15, s17
	v_mov_b32_e32 v5, s16
	v_dual_mov_b32 v3, 1 :: v_dual_mov_b32 v6, s17
	s_waitcnt lgkmcnt(0)
	;;#ASMSTART
	global_store_dwordx4 v[5:6], v[1:4] off	
s_waitcnt vmcnt(0)
	;;#ASMEND
.LBB630_156:
	s_or_b32 exec_lo, exec_lo, s11
	v_xad_u32 v30, v58, -1, s10
	s_mov_b32 s16, 0
	s_mov_b32 s11, exec_lo
	s_delay_alu instid0(VALU_DEP_1) | instskip(NEXT) | instid1(VALU_DEP_1)
	v_add_nc_u32_e32 v3, 32, v30
	v_lshlrev_b64 v[3:4], 4, v[3:4]
	s_delay_alu instid0(VALU_DEP_1) | instskip(NEXT) | instid1(VALU_DEP_2)
	v_add_co_u32 v3, vcc_lo, s14, v3
	v_add_co_ci_u32_e32 v4, vcc_lo, s15, v4, vcc_lo
	;;#ASMSTART
	global_load_dwordx4 v[5:8], v[3:4] off glc	
s_waitcnt vmcnt(0)
	;;#ASMEND
	v_and_b32_e32 v8, 0xff, v6
	v_and_b32_e32 v31, 0xff00, v6
	v_or3_b32 v5, v5, 0, 0
	v_and_b32_e32 v32, 0xff000000, v6
	v_and_b32_e32 v6, 0xff0000, v6
	s_delay_alu instid0(VALU_DEP_4) | instskip(SKIP_2) | instid1(VALU_DEP_3)
	v_or3_b32 v8, 0, v8, v31
	v_and_b32_e32 v31, 0xff, v7
	v_or3_b32 v5, v5, 0, 0
	v_or3_b32 v6, v8, v6, v32
	s_delay_alu instid0(VALU_DEP_3)
	v_cmpx_eq_u16_e32 0, v31
	s_cbranch_execz .LBB630_162
; %bb.157:
	s_mov_b32 s17, 1
	.p2align	6
.LBB630_158:                            ; =>This Loop Header: Depth=1
                                        ;     Child Loop BB630_159 Depth 2
	s_delay_alu instid0(SALU_CYCLE_1)
	s_max_u32 s18, s17, 1
.LBB630_159:                            ;   Parent Loop BB630_158 Depth=1
                                        ; =>  This Inner Loop Header: Depth=2
	s_delay_alu instid0(SALU_CYCLE_1)
	s_add_i32 s18, s18, -1
	s_sleep 1
	s_cmp_eq_u32 s18, 0
	s_cbranch_scc0 .LBB630_159
; %bb.160:                              ;   in Loop: Header=BB630_158 Depth=1
	;;#ASMSTART
	global_load_dwordx4 v[5:8], v[3:4] off glc	
s_waitcnt vmcnt(0)
	;;#ASMEND
	v_and_b32_e32 v8, 0xff, v7
	s_cmp_lt_u32 s17, 32
	s_cselect_b32 s18, -1, 0
	s_delay_alu instid0(SALU_CYCLE_1) | instskip(NEXT) | instid1(VALU_DEP_1)
	s_cmp_lg_u32 s18, 0
	v_cmp_ne_u16_e32 vcc_lo, 0, v8
	s_addc_u32 s17, s17, 0
	s_or_b32 s16, vcc_lo, s16
	s_delay_alu instid0(SALU_CYCLE_1)
	s_and_not1_b32 exec_lo, exec_lo, s16
	s_cbranch_execnz .LBB630_158
; %bb.161:
	s_or_b32 exec_lo, exec_lo, s16
.LBB630_162:
	s_delay_alu instid0(SALU_CYCLE_1)
	s_or_b32 exec_lo, exec_lo, s11
	v_cmp_ne_u32_e32 vcc_lo, 31, v58
	v_and_b32_e32 v4, 0xff, v7
	v_lshlrev_b32_e64 v63, v58, -1
	s_mov_b32 s11, exec_lo
	v_add_co_ci_u32_e32 v3, vcc_lo, 0, v58, vcc_lo
	s_delay_alu instid0(VALU_DEP_3) | instskip(SKIP_1) | instid1(VALU_DEP_3)
	v_cmp_eq_u16_e32 vcc_lo, 2, v4
	v_mov_b32_e32 v4, v5
	v_lshlrev_b32_e32 v62, 2, v3
	v_and_or_b32 v3, vcc_lo, v63, 0x80000000
	ds_bpermute_b32 v31, v62, v5
	ds_bpermute_b32 v8, v62, v6
	v_ctz_i32_b32_e32 v3, v3
	s_delay_alu instid0(VALU_DEP_1)
	v_cmpx_lt_u32_e64 v58, v3
	s_cbranch_execz .LBB630_164
; %bb.163:
	s_waitcnt lgkmcnt(1)
	v_add_co_u32 v4, vcc_lo, v5, v31
	v_add_co_ci_u32_e32 v6, vcc_lo, 0, v6, vcc_lo
	s_delay_alu instid0(VALU_DEP_2) | instskip(SKIP_1) | instid1(VALU_DEP_2)
	v_add_co_u32 v5, vcc_lo, 0, v4
	s_waitcnt lgkmcnt(0)
	v_add_co_ci_u32_e32 v6, vcc_lo, v8, v6, vcc_lo
.LBB630_164:
	s_or_b32 exec_lo, exec_lo, s11
	v_cmp_gt_u32_e32 vcc_lo, 30, v58
	v_add_nc_u32_e32 v65, 2, v58
	s_mov_b32 s11, exec_lo
	s_waitcnt lgkmcnt(0)
	v_cndmask_b32_e64 v8, 0, 1, vcc_lo
	s_delay_alu instid0(VALU_DEP_1) | instskip(NEXT) | instid1(VALU_DEP_1)
	v_lshlrev_b32_e32 v8, 1, v8
	v_add_lshl_u32 v64, v8, v58, 2
	ds_bpermute_b32 v31, v64, v4
	ds_bpermute_b32 v8, v64, v6
	v_cmpx_le_u32_e64 v65, v3
	s_cbranch_execz .LBB630_166
; %bb.165:
	s_waitcnt lgkmcnt(1)
	v_add_co_u32 v4, vcc_lo, v5, v31
	v_add_co_ci_u32_e32 v6, vcc_lo, 0, v6, vcc_lo
	s_delay_alu instid0(VALU_DEP_2) | instskip(SKIP_1) | instid1(VALU_DEP_2)
	v_add_co_u32 v5, vcc_lo, 0, v4
	s_waitcnt lgkmcnt(0)
	v_add_co_ci_u32_e32 v6, vcc_lo, v8, v6, vcc_lo
.LBB630_166:
	s_or_b32 exec_lo, exec_lo, s11
	v_cmp_gt_u32_e32 vcc_lo, 28, v58
	v_add_nc_u32_e32 v67, 4, v58
	s_mov_b32 s11, exec_lo
	s_waitcnt lgkmcnt(0)
	v_cndmask_b32_e64 v8, 0, 1, vcc_lo
	s_delay_alu instid0(VALU_DEP_1) | instskip(NEXT) | instid1(VALU_DEP_1)
	v_lshlrev_b32_e32 v8, 2, v8
	v_add_lshl_u32 v66, v8, v58, 2
	ds_bpermute_b32 v31, v66, v4
	ds_bpermute_b32 v8, v66, v6
	v_cmpx_le_u32_e64 v67, v3
	;; [unrolled: 22-line block ×4, first 2 shown]
	s_cbranch_execz .LBB630_172
; %bb.171:
	s_waitcnt lgkmcnt(1)
	v_add_co_u32 v3, vcc_lo, v5, v8
	v_add_co_ci_u32_e32 v6, vcc_lo, 0, v6, vcc_lo
	s_delay_alu instid0(VALU_DEP_2) | instskip(SKIP_1) | instid1(VALU_DEP_2)
	v_add_co_u32 v5, vcc_lo, v3, 0
	s_waitcnt lgkmcnt(0)
	v_add_co_ci_u32_e32 v6, vcc_lo, v6, v4, vcc_lo
.LBB630_172:
	s_or_b32 exec_lo, exec_lo, s11
	v_mov_b32_e32 v31, 0
	s_branch .LBB630_174
.LBB630_173:                            ;   in Loop: Header=BB630_174 Depth=1
	s_or_b32 exec_lo, exec_lo, s11
	v_add_co_u32 v5, vcc_lo, v5, v3
	v_subrev_nc_u32_e32 v30, 32, v30
	v_add_co_ci_u32_e32 v6, vcc_lo, v6, v4, vcc_lo
.LBB630_174:                            ; =>This Loop Header: Depth=1
                                        ;     Child Loop BB630_177 Depth 2
                                        ;       Child Loop BB630_178 Depth 3
	v_and_b32_e32 v3, 0xff, v7
	s_delay_alu instid0(VALU_DEP_1) | instskip(SKIP_2) | instid1(VALU_DEP_1)
	v_cmp_ne_u16_e32 vcc_lo, 2, v3
	v_cndmask_b32_e64 v3, 0, 1, vcc_lo
	;;#ASMSTART
	;;#ASMEND
	v_cmp_ne_u32_e32 vcc_lo, 0, v3
	s_waitcnt lgkmcnt(0)
	v_dual_mov_b32 v3, v5 :: v_dual_mov_b32 v4, v6
	s_cmp_lg_u32 vcc_lo, exec_lo
	s_cbranch_scc1 .LBB630_191
; %bb.175:                              ;   in Loop: Header=BB630_174 Depth=1
	v_lshlrev_b64 v[5:6], 4, v[30:31]
	s_mov_b32 s11, exec_lo
	s_delay_alu instid0(VALU_DEP_1) | instskip(NEXT) | instid1(VALU_DEP_2)
	v_add_co_u32 v32, vcc_lo, s14, v5
	v_add_co_ci_u32_e32 v33, vcc_lo, s15, v6, vcc_lo
	;;#ASMSTART
	global_load_dwordx4 v[5:8], v[32:33] off glc	
s_waitcnt vmcnt(0)
	;;#ASMEND
	v_and_b32_e32 v8, 0xff, v6
	v_and_b32_e32 v72, 0xff00, v6
	v_or3_b32 v5, v5, 0, 0
	v_and_b32_e32 v73, 0xff000000, v6
	v_and_b32_e32 v6, 0xff0000, v6
	s_delay_alu instid0(VALU_DEP_4) | instskip(SKIP_2) | instid1(VALU_DEP_3)
	v_or3_b32 v8, 0, v8, v72
	v_and_b32_e32 v72, 0xff, v7
	v_or3_b32 v5, v5, 0, 0
	v_or3_b32 v6, v8, v6, v73
	s_delay_alu instid0(VALU_DEP_3)
	v_cmpx_eq_u16_e32 0, v72
	s_cbranch_execz .LBB630_181
; %bb.176:                              ;   in Loop: Header=BB630_174 Depth=1
	s_mov_b32 s17, 1
	s_mov_b32 s16, 0
	.p2align	6
.LBB630_177:                            ;   Parent Loop BB630_174 Depth=1
                                        ; =>  This Loop Header: Depth=2
                                        ;       Child Loop BB630_178 Depth 3
	s_max_u32 s18, s17, 1
.LBB630_178:                            ;   Parent Loop BB630_174 Depth=1
                                        ;     Parent Loop BB630_177 Depth=2
                                        ; =>    This Inner Loop Header: Depth=3
	s_delay_alu instid0(SALU_CYCLE_1)
	s_add_i32 s18, s18, -1
	s_sleep 1
	s_cmp_eq_u32 s18, 0
	s_cbranch_scc0 .LBB630_178
; %bb.179:                              ;   in Loop: Header=BB630_177 Depth=2
	;;#ASMSTART
	global_load_dwordx4 v[5:8], v[32:33] off glc	
s_waitcnt vmcnt(0)
	;;#ASMEND
	v_and_b32_e32 v8, 0xff, v7
	s_cmp_lt_u32 s17, 32
	s_cselect_b32 s18, -1, 0
	s_delay_alu instid0(SALU_CYCLE_1) | instskip(NEXT) | instid1(VALU_DEP_1)
	s_cmp_lg_u32 s18, 0
	v_cmp_ne_u16_e32 vcc_lo, 0, v8
	s_addc_u32 s17, s17, 0
	s_or_b32 s16, vcc_lo, s16
	s_delay_alu instid0(SALU_CYCLE_1)
	s_and_not1_b32 exec_lo, exec_lo, s16
	s_cbranch_execnz .LBB630_177
; %bb.180:                              ;   in Loop: Header=BB630_174 Depth=1
	s_or_b32 exec_lo, exec_lo, s16
.LBB630_181:                            ;   in Loop: Header=BB630_174 Depth=1
	s_delay_alu instid0(SALU_CYCLE_1)
	s_or_b32 exec_lo, exec_lo, s11
	v_and_b32_e32 v8, 0xff, v7
	ds_bpermute_b32 v72, v62, v5
	ds_bpermute_b32 v33, v62, v6
	v_mov_b32_e32 v32, v5
	s_mov_b32 s11, exec_lo
	v_cmp_eq_u16_e32 vcc_lo, 2, v8
	v_and_or_b32 v8, vcc_lo, v63, 0x80000000
	s_delay_alu instid0(VALU_DEP_1) | instskip(NEXT) | instid1(VALU_DEP_1)
	v_ctz_i32_b32_e32 v8, v8
	v_cmpx_lt_u32_e64 v58, v8
	s_cbranch_execz .LBB630_183
; %bb.182:                              ;   in Loop: Header=BB630_174 Depth=1
	s_waitcnt lgkmcnt(1)
	v_add_co_u32 v32, vcc_lo, v5, v72
	v_add_co_ci_u32_e32 v6, vcc_lo, 0, v6, vcc_lo
	s_delay_alu instid0(VALU_DEP_2) | instskip(SKIP_1) | instid1(VALU_DEP_2)
	v_add_co_u32 v5, vcc_lo, 0, v32
	s_waitcnt lgkmcnt(0)
	v_add_co_ci_u32_e32 v6, vcc_lo, v33, v6, vcc_lo
.LBB630_183:                            ;   in Loop: Header=BB630_174 Depth=1
	s_or_b32 exec_lo, exec_lo, s11
	s_waitcnt lgkmcnt(1)
	ds_bpermute_b32 v72, v64, v32
	s_waitcnt lgkmcnt(1)
	ds_bpermute_b32 v33, v64, v6
	s_mov_b32 s11, exec_lo
	v_cmpx_le_u32_e64 v65, v8
	s_cbranch_execz .LBB630_185
; %bb.184:                              ;   in Loop: Header=BB630_174 Depth=1
	s_waitcnt lgkmcnt(1)
	v_add_co_u32 v32, vcc_lo, v5, v72
	v_add_co_ci_u32_e32 v6, vcc_lo, 0, v6, vcc_lo
	s_delay_alu instid0(VALU_DEP_2) | instskip(SKIP_1) | instid1(VALU_DEP_2)
	v_add_co_u32 v5, vcc_lo, 0, v32
	s_waitcnt lgkmcnt(0)
	v_add_co_ci_u32_e32 v6, vcc_lo, v33, v6, vcc_lo
.LBB630_185:                            ;   in Loop: Header=BB630_174 Depth=1
	s_or_b32 exec_lo, exec_lo, s11
	s_waitcnt lgkmcnt(1)
	ds_bpermute_b32 v72, v66, v32
	s_waitcnt lgkmcnt(1)
	ds_bpermute_b32 v33, v66, v6
	s_mov_b32 s11, exec_lo
	v_cmpx_le_u32_e64 v67, v8
	;; [unrolled: 17-line block ×3, first 2 shown]
	s_cbranch_execz .LBB630_189
; %bb.188:                              ;   in Loop: Header=BB630_174 Depth=1
	s_waitcnt lgkmcnt(1)
	v_add_co_u32 v32, vcc_lo, v5, v72
	v_add_co_ci_u32_e32 v6, vcc_lo, 0, v6, vcc_lo
	s_delay_alu instid0(VALU_DEP_2) | instskip(SKIP_1) | instid1(VALU_DEP_2)
	v_add_co_u32 v5, vcc_lo, 0, v32
	s_waitcnt lgkmcnt(0)
	v_add_co_ci_u32_e32 v6, vcc_lo, v33, v6, vcc_lo
.LBB630_189:                            ;   in Loop: Header=BB630_174 Depth=1
	s_or_b32 exec_lo, exec_lo, s11
	s_waitcnt lgkmcnt(0)
	ds_bpermute_b32 v33, v70, v32
	ds_bpermute_b32 v32, v70, v6
	s_mov_b32 s11, exec_lo
	v_cmpx_le_u32_e64 v71, v8
	s_cbranch_execz .LBB630_173
; %bb.190:                              ;   in Loop: Header=BB630_174 Depth=1
	s_waitcnt lgkmcnt(1)
	v_add_co_u32 v5, vcc_lo, v5, v33
	v_add_co_ci_u32_e32 v6, vcc_lo, 0, v6, vcc_lo
	s_delay_alu instid0(VALU_DEP_2) | instskip(SKIP_1) | instid1(VALU_DEP_2)
	v_add_co_u32 v5, vcc_lo, v5, 0
	s_waitcnt lgkmcnt(0)
	v_add_co_ci_u32_e32 v6, vcc_lo, v6, v32, vcc_lo
	s_branch .LBB630_173
.LBB630_191:                            ;   in Loop: Header=BB630_174 Depth=1
                                        ; implicit-def: $vgpr5_vgpr6
	s_cbranch_execz .LBB630_174
; %bb.192:
	s_and_saveexec_b32 s11, s1
	s_cbranch_execz .LBB630_194
; %bb.193:
	s_add_i32 s16, s10, 32
	s_mov_b32 s17, 0
	v_add_co_u32 v5, vcc_lo, v3, v1
	s_lshl_b64 s[16:17], s[16:17], 4
	v_dual_mov_b32 v7, 2 :: v_dual_mov_b32 v8, 0
	s_add_u32 s16, s14, s16
	s_addc_u32 s17, s15, s17
	v_add_co_ci_u32_e32 v6, vcc_lo, v4, v2, vcc_lo
	v_dual_mov_b32 v31, s17 :: v_dual_mov_b32 v30, s16
	;;#ASMSTART
	global_store_dwordx4 v[30:31], v[5:8] off	
s_waitcnt vmcnt(0)
	;;#ASMEND
	ds_store_b128 v8, v[1:4] offset:7680
.LBB630_194:
	s_or_b32 exec_lo, exec_lo, s11
	s_delay_alu instid0(SALU_CYCLE_1)
	s_and_b32 exec_lo, exec_lo, s2
	s_cbranch_execz .LBB630_196
; %bb.195:
	v_mov_b32_e32 v1, 0
	ds_store_b64 v1, v[3:4] offset:24
.LBB630_196:
	s_or_b32 exec_lo, exec_lo, s7
	v_mov_b32_e32 v3, 0
	s_waitcnt lgkmcnt(0)
	s_barrier
	buffer_gl0_inv
	v_cndmask_b32_e64 v8, v61, v29, s1
	ds_load_b64 v[1:2], v3 offset:24
	s_waitcnt lgkmcnt(0)
	s_barrier
	buffer_gl0_inv
	ds_load_b128 v[4:7], v3 offset:7680
	v_cndmask_b32_e64 v3, v60, v28, s1
	v_cndmask_b32_e64 v8, v8, 0, s2
	s_delay_alu instid0(VALU_DEP_2) | instskip(NEXT) | instid1(VALU_DEP_1)
	v_cndmask_b32_e64 v3, v3, 0, s2
	v_add_co_u32 v74, vcc_lo, v1, v3
	s_delay_alu instid0(VALU_DEP_3)
	v_add_co_ci_u32_e32 v75, vcc_lo, v2, v8, vcc_lo
	s_branch .LBB630_221
.LBB630_197:
                                        ; implicit-def: $vgpr6_vgpr7
                                        ; implicit-def: $vgpr74_vgpr75
	s_and_b32 vcc_lo, exec_lo, s1
	s_cbranch_vccz .LBB630_221
; %bb.198:
	v_dual_mov_b32 v2, 0 :: v_dual_mov_b32 v3, v26
	s_waitcnt lgkmcnt(0)
	v_mov_b32_dpp v4, v26 row_shr:1 row_mask:0xf bank_mask:0xf
	s_delay_alu instid0(VALU_DEP_2)
	v_mov_b32_dpp v1, v2 row_shr:1 row_mask:0xf bank_mask:0xf
	s_and_saveexec_b32 s1, s0
; %bb.199:
	s_delay_alu instid0(VALU_DEP_2) | instskip(SKIP_1) | instid1(VALU_DEP_2)
	v_add_co_u32 v3, vcc_lo, v26, v4
	v_add_co_ci_u32_e32 v2, vcc_lo, 0, v27, vcc_lo
	v_add_co_u32 v26, vcc_lo, 0, v3
	s_delay_alu instid0(VALU_DEP_2) | instskip(NEXT) | instid1(VALU_DEP_1)
	v_add_co_ci_u32_e32 v27, vcc_lo, v1, v2, vcc_lo
	v_mov_b32_e32 v2, v27
; %bb.200:
	s_or_b32 exec_lo, exec_lo, s1
	v_mov_b32_dpp v1, v3 row_shr:2 row_mask:0xf bank_mask:0xf
	s_delay_alu instid0(VALU_DEP_2)
	v_mov_b32_dpp v4, v2 row_shr:2 row_mask:0xf bank_mask:0xf
	s_mov_b32 s0, exec_lo
	v_cmpx_lt_u32_e32 1, v59
; %bb.201:
	s_delay_alu instid0(VALU_DEP_3) | instskip(SKIP_1) | instid1(VALU_DEP_2)
	v_add_co_u32 v3, vcc_lo, v26, v1
	v_add_co_ci_u32_e32 v2, vcc_lo, 0, v27, vcc_lo
	v_add_co_u32 v1, vcc_lo, 0, v3
	s_delay_alu instid0(VALU_DEP_2) | instskip(NEXT) | instid1(VALU_DEP_1)
	v_add_co_ci_u32_e32 v2, vcc_lo, v4, v2, vcc_lo
	v_dual_mov_b32 v27, v2 :: v_dual_mov_b32 v26, v1
; %bb.202:
	s_or_b32 exec_lo, exec_lo, s0
	v_mov_b32_dpp v1, v3 row_shr:4 row_mask:0xf bank_mask:0xf
	v_mov_b32_dpp v4, v2 row_shr:4 row_mask:0xf bank_mask:0xf
	s_mov_b32 s0, exec_lo
	v_cmpx_lt_u32_e32 3, v59
; %bb.203:
	s_delay_alu instid0(VALU_DEP_3) | instskip(SKIP_1) | instid1(VALU_DEP_2)
	v_add_co_u32 v3, vcc_lo, v26, v1
	v_add_co_ci_u32_e32 v2, vcc_lo, 0, v27, vcc_lo
	v_add_co_u32 v1, vcc_lo, 0, v3
	s_delay_alu instid0(VALU_DEP_2) | instskip(NEXT) | instid1(VALU_DEP_1)
	v_add_co_ci_u32_e32 v2, vcc_lo, v4, v2, vcc_lo
	v_dual_mov_b32 v27, v2 :: v_dual_mov_b32 v26, v1
; %bb.204:
	s_or_b32 exec_lo, exec_lo, s0
	v_mov_b32_dpp v4, v3 row_shr:8 row_mask:0xf bank_mask:0xf
	v_mov_b32_dpp v1, v2 row_shr:8 row_mask:0xf bank_mask:0xf
	s_mov_b32 s0, exec_lo
	v_cmpx_lt_u32_e32 7, v59
; %bb.205:
	s_delay_alu instid0(VALU_DEP_3) | instskip(SKIP_1) | instid1(VALU_DEP_2)
	v_add_co_u32 v3, vcc_lo, v26, v4
	v_add_co_ci_u32_e32 v2, vcc_lo, 0, v27, vcc_lo
	v_add_co_u32 v26, vcc_lo, 0, v3
	s_delay_alu instid0(VALU_DEP_2) | instskip(NEXT) | instid1(VALU_DEP_1)
	v_add_co_ci_u32_e32 v27, vcc_lo, v1, v2, vcc_lo
	v_mov_b32_e32 v2, v27
; %bb.206:
	s_or_b32 exec_lo, exec_lo, s0
	ds_swizzle_b32 v3, v3 offset:swizzle(BROADCAST,32,15)
	ds_swizzle_b32 v1, v2 offset:swizzle(BROADCAST,32,15)
	v_and_b32_e32 v2, 16, v58
	s_mov_b32 s0, exec_lo
	s_delay_alu instid0(VALU_DEP_1)
	v_cmpx_ne_u32_e32 0, v2
	s_cbranch_execz .LBB630_208
; %bb.207:
	s_waitcnt lgkmcnt(1)
	v_add_co_u32 v2, vcc_lo, v26, v3
	v_add_co_ci_u32_e32 v3, vcc_lo, 0, v27, vcc_lo
	s_delay_alu instid0(VALU_DEP_2) | instskip(SKIP_1) | instid1(VALU_DEP_2)
	v_add_co_u32 v26, vcc_lo, v2, 0
	s_waitcnt lgkmcnt(0)
	v_add_co_ci_u32_e32 v27, vcc_lo, v3, v1, vcc_lo
.LBB630_208:
	s_or_b32 exec_lo, exec_lo, s0
	s_waitcnt lgkmcnt(0)
	v_or_b32_e32 v1, 31, v0
	v_lshrrev_b32_e32 v3, 5, v0
	s_mov_b32 s0, exec_lo
	s_delay_alu instid0(VALU_DEP_2)
	v_cmpx_eq_u32_e64 v1, v0
	s_cbranch_execz .LBB630_210
; %bb.209:
	s_delay_alu instid0(VALU_DEP_2)
	v_lshlrev_b32_e32 v1, 3, v3
	ds_store_b64 v1, v[26:27]
.LBB630_210:
	s_or_b32 exec_lo, exec_lo, s0
	s_delay_alu instid0(SALU_CYCLE_1)
	s_mov_b32 s0, exec_lo
	s_waitcnt lgkmcnt(0)
	s_barrier
	buffer_gl0_inv
	v_cmpx_gt_u32_e32 4, v0
	s_cbranch_execz .LBB630_216
; %bb.211:
	v_lshlrev_b32_e32 v4, 3, v0
	s_mov_b32 s1, exec_lo
	ds_load_b64 v[1:2], v4
	s_waitcnt lgkmcnt(0)
	v_dual_mov_b32 v6, v1 :: v_dual_and_b32 v5, 3, v58
	v_mov_b32_dpp v8, v1 row_shr:1 row_mask:0xf bank_mask:0xf
	v_mov_b32_dpp v7, v2 row_shr:1 row_mask:0xf bank_mask:0xf
	s_delay_alu instid0(VALU_DEP_3)
	v_cmpx_ne_u32_e32 0, v5
; %bb.212:
	s_delay_alu instid0(VALU_DEP_3) | instskip(SKIP_1) | instid1(VALU_DEP_2)
	v_add_co_u32 v6, vcc_lo, v1, v8
	v_add_co_ci_u32_e32 v2, vcc_lo, 0, v2, vcc_lo
	v_add_co_u32 v1, vcc_lo, 0, v6
	s_delay_alu instid0(VALU_DEP_2)
	v_add_co_ci_u32_e32 v2, vcc_lo, v7, v2, vcc_lo
; %bb.213:
	s_or_b32 exec_lo, exec_lo, s1
	v_mov_b32_dpp v7, v6 row_shr:2 row_mask:0xf bank_mask:0xf
	s_delay_alu instid0(VALU_DEP_2)
	v_mov_b32_dpp v6, v2 row_shr:2 row_mask:0xf bank_mask:0xf
	s_mov_b32 s1, exec_lo
	v_cmpx_lt_u32_e32 1, v5
; %bb.214:
	s_delay_alu instid0(VALU_DEP_3) | instskip(SKIP_1) | instid1(VALU_DEP_2)
	v_add_co_u32 v1, vcc_lo, v1, v7
	v_add_co_ci_u32_e32 v2, vcc_lo, 0, v2, vcc_lo
	v_add_co_u32 v1, vcc_lo, v1, 0
	s_delay_alu instid0(VALU_DEP_2)
	v_add_co_ci_u32_e32 v2, vcc_lo, v2, v6, vcc_lo
; %bb.215:
	s_or_b32 exec_lo, exec_lo, s1
	ds_store_b64 v4, v[1:2]
.LBB630_216:
	s_or_b32 exec_lo, exec_lo, s0
	v_mov_b32_e32 v1, 0
	v_mov_b32_e32 v2, 0
	s_mov_b32 s0, exec_lo
	s_waitcnt lgkmcnt(0)
	s_barrier
	buffer_gl0_inv
	v_cmpx_lt_u32_e32 31, v0
	s_cbranch_execz .LBB630_218
; %bb.217:
	v_lshl_add_u32 v1, v3, 3, -8
	ds_load_b64 v[1:2], v1
.LBB630_218:
	s_or_b32 exec_lo, exec_lo, s0
	v_add_nc_u32_e32 v3, -1, v58
	v_mov_b32_e32 v7, 0
	s_delay_alu instid0(VALU_DEP_2) | instskip(SKIP_1) | instid1(VALU_DEP_1)
	v_cmp_gt_i32_e32 vcc_lo, 0, v3
	v_cndmask_b32_e32 v3, v3, v58, vcc_lo
	v_lshlrev_b32_e32 v4, 2, v3
	s_waitcnt lgkmcnt(0)
	v_add_co_u32 v3, vcc_lo, v1, v26
	v_add_co_ci_u32_e32 v5, vcc_lo, v2, v27, vcc_lo
	ds_bpermute_b32 v3, v4, v3
	ds_bpermute_b32 v8, v4, v5
	ds_load_b64 v[4:5], v7 offset:24
	s_and_saveexec_b32 s0, s2
	s_cbranch_execz .LBB630_220
; %bb.219:
	s_add_u32 s10, s14, 0x200
	s_addc_u32 s11, s15, 0
	s_delay_alu instid0(SALU_CYCLE_1)
	v_dual_mov_b32 v6, 2 :: v_dual_mov_b32 v27, s11
	v_mov_b32_e32 v26, s10
	s_waitcnt lgkmcnt(0)
	;;#ASMSTART
	global_store_dwordx4 v[26:27], v[4:7] off	
s_waitcnt vmcnt(0)
	;;#ASMEND
.LBB630_220:
	s_or_b32 exec_lo, exec_lo, s0
	v_cmp_eq_u32_e32 vcc_lo, 0, v58
	v_mov_b32_e32 v6, 0
	v_mov_b32_e32 v7, 0
	s_waitcnt lgkmcnt(0)
	s_barrier
	v_dual_cndmask_b32 v1, v3, v1 :: v_dual_cndmask_b32 v2, v8, v2
	buffer_gl0_inv
	v_cndmask_b32_e64 v74, v1, 0, s2
	v_cndmask_b32_e64 v75, v2, 0, s2
.LBB630_221:
	s_delay_alu instid0(VALU_DEP_2) | instskip(NEXT) | instid1(VALU_DEP_2)
	v_add_co_u32 v82, vcc_lo, v74, v46
	v_add_co_ci_u32_e32 v83, vcc_lo, 0, v75, vcc_lo
	s_delay_alu instid0(VALU_DEP_2) | instskip(NEXT) | instid1(VALU_DEP_2)
	v_add_co_u32 v80, vcc_lo, v82, v57
	v_add_co_ci_u32_e32 v81, vcc_lo, 0, v83, vcc_lo
	;; [unrolled: 3-line block ×27, first 2 shown]
	s_waitcnt lgkmcnt(0)
	v_cmp_gt_u64_e32 vcc_lo, 0x81, v[4:5]
	s_delay_alu instid0(VALU_DEP_3) | instskip(NEXT) | instid1(VALU_DEP_1)
	v_add_co_u32 v28, s0, v26, v85
	v_add_co_ci_u32_e64 v29, s0, 0, v27, s0
	s_delay_alu instid0(VALU_DEP_2) | instskip(NEXT) | instid1(VALU_DEP_1)
	v_add_co_u32 v1, s0, v28, v84
	v_add_co_ci_u32_e64 v2, s0, 0, v29, s0
	s_mov_b32 s0, -1
	s_cbranch_vccnz .LBB630_225
; %bb.222:
	s_and_b32 vcc_lo, exec_lo, s0
	s_cbranch_vccnz .LBB630_315
.LBB630_223:
	s_and_b32 s0, s2, s5
	s_delay_alu instid0(SALU_CYCLE_1)
	s_and_saveexec_b32 s1, s0
	s_cbranch_execnz .LBB630_386
.LBB630_224:
	s_nop 0
	s_sendmsg sendmsg(MSG_DEALLOC_VGPRS)
	s_endpgm
.LBB630_225:
	v_add_co_u32 v84, vcc_lo, v6, v4
	v_add_co_ci_u32_e32 v85, vcc_lo, v7, v5, vcc_lo
	v_lshlrev_b64 v[130:131], 1, v[12:13]
	s_delay_alu instid0(VALU_DEP_2) | instskip(NEXT) | instid1(VALU_DEP_2)
	v_cmp_lt_u64_e32 vcc_lo, v[74:75], v[84:85]
	v_add_co_u32 v3, s0, s12, v130
	s_delay_alu instid0(VALU_DEP_1) | instskip(SKIP_1) | instid1(SALU_CYCLE_1)
	v_add_co_ci_u32_e64 v8, s0, s13, v131, s0
	s_or_b32 s1, s4, vcc_lo
	s_and_saveexec_b32 s0, s1
	s_cbranch_execz .LBB630_228
; %bb.226:
	v_and_b32_e32 v130, 1, v102
	s_delay_alu instid0(VALU_DEP_1)
	v_cmp_eq_u32_e32 vcc_lo, 1, v130
	s_and_b32 exec_lo, exec_lo, vcc_lo
	s_cbranch_execz .LBB630_228
; %bb.227:
	v_lshlrev_b64 v[130:131], 1, v[74:75]
	s_delay_alu instid0(VALU_DEP_1) | instskip(NEXT) | instid1(VALU_DEP_2)
	v_add_co_u32 v130, vcc_lo, v3, v130
	v_add_co_ci_u32_e32 v131, vcc_lo, v8, v131, vcc_lo
	global_store_b16 v[130:131], v24, off
.LBB630_228:
	s_or_b32 exec_lo, exec_lo, s0
	v_cmp_lt_u64_e32 vcc_lo, v[82:83], v[84:85]
	s_or_b32 s1, s4, vcc_lo
	s_delay_alu instid0(SALU_CYCLE_1)
	s_and_saveexec_b32 s0, s1
	s_cbranch_execz .LBB630_231
; %bb.229:
	v_and_b32_e32 v75, 1, v101
	s_delay_alu instid0(VALU_DEP_1)
	v_cmp_eq_u32_e32 vcc_lo, 1, v75
	s_and_b32 exec_lo, exec_lo, vcc_lo
	s_cbranch_execz .LBB630_231
; %bb.230:
	v_lshlrev_b64 v[130:131], 1, v[82:83]
	s_delay_alu instid0(VALU_DEP_1) | instskip(NEXT) | instid1(VALU_DEP_2)
	v_add_co_u32 v130, vcc_lo, v3, v130
	v_add_co_ci_u32_e32 v131, vcc_lo, v8, v131, vcc_lo
	global_store_b16 v[130:131], v100, off
.LBB630_231:
	s_or_b32 exec_lo, exec_lo, s0
	v_cmp_lt_u64_e32 vcc_lo, v[80:81], v[84:85]
	s_or_b32 s1, s4, vcc_lo
	s_delay_alu instid0(SALU_CYCLE_1)
	;; [unrolled: 19-line block ×28, first 2 shown]
	s_and_saveexec_b32 s0, s1
	s_cbranch_execz .LBB630_312
; %bb.310:
	v_and_b32_e32 v27, 1, v129
	s_delay_alu instid0(VALU_DEP_1)
	v_cmp_eq_u32_e32 vcc_lo, 1, v27
	s_and_b32 exec_lo, exec_lo, vcc_lo
	s_cbranch_execz .LBB630_312
; %bb.311:
	v_lshlrev_b64 v[130:131], 1, v[28:29]
	s_delay_alu instid0(VALU_DEP_1) | instskip(NEXT) | instid1(VALU_DEP_2)
	v_add_co_u32 v130, vcc_lo, v3, v130
	v_add_co_ci_u32_e32 v131, vcc_lo, v8, v131, vcc_lo
	global_store_b16 v[130:131], v11, off
.LBB630_312:
	s_or_b32 exec_lo, exec_lo, s0
	v_cmp_ge_u64_e32 vcc_lo, v[1:2], v[84:85]
	s_xor_b32 s1, s6, -1
	s_and_b32 s0, s3, vcc_lo
	s_delay_alu instid0(SALU_CYCLE_1) | instskip(NEXT) | instid1(SALU_CYCLE_1)
	s_or_b32 s0, s0, s1
	s_xor_b32 s1, s0, -1
	s_delay_alu instid0(SALU_CYCLE_1)
	s_and_saveexec_b32 s0, s1
	s_cbranch_execz .LBB630_314
; %bb.313:
	v_lshlrev_b64 v[83:84], 1, v[1:2]
	s_delay_alu instid0(VALU_DEP_1) | instskip(NEXT) | instid1(VALU_DEP_2)
	v_add_co_u32 v2, vcc_lo, v3, v83
	v_add_co_ci_u32_e32 v3, vcc_lo, v8, v84, vcc_lo
	global_store_b16 v[2:3], v86, off
.LBB630_314:
	s_or_b32 exec_lo, exec_lo, s0
	s_branch .LBB630_223
.LBB630_315:
	v_and_b32_e32 v2, 1, v102
	s_mov_b32 s0, exec_lo
	s_delay_alu instid0(VALU_DEP_1)
	v_cmpx_eq_u32_e32 1, v2
	s_cbranch_execz .LBB630_317
; %bb.316:
	v_sub_nc_u32_e32 v2, v74, v6
	s_delay_alu instid0(VALU_DEP_1)
	v_lshlrev_b32_e32 v2, 1, v2
	ds_store_b16 v2, v24
.LBB630_317:
	s_or_b32 exec_lo, exec_lo, s0
	v_and_b32_e32 v2, 1, v101
	s_mov_b32 s0, exec_lo
	s_delay_alu instid0(VALU_DEP_1)
	v_cmpx_eq_u32_e32 1, v2
	s_cbranch_execz .LBB630_319
; %bb.318:
	v_sub_nc_u32_e32 v2, v82, v6
	s_delay_alu instid0(VALU_DEP_1)
	v_lshlrev_b32_e32 v2, 1, v2
	ds_store_b16 v2, v100
.LBB630_319:
	s_or_b32 exec_lo, exec_lo, s0
	;; [unrolled: 12-line block ×29, first 2 shown]
	s_and_saveexec_b32 s0, s6
	s_cbranch_execz .LBB630_375
; %bb.374:
	v_sub_nc_u32_e32 v1, v1, v6
	s_delay_alu instid0(VALU_DEP_1)
	v_lshlrev_b32_e32 v1, 1, v1
	ds_store_b16 v1, v86
.LBB630_375:
	s_or_b32 exec_lo, exec_lo, s0
	v_mov_b32_e32 v1, 0
	s_mov_b32 s10, exec_lo
	s_waitcnt lgkmcnt(0)
	s_waitcnt_vscnt null, 0x0
	s_barrier
	buffer_gl0_inv
	v_cmpx_gt_u64_e64 v[4:5], v[0:1]
	s_cbranch_execz .LBB630_385
; %bb.376:
	v_not_b32_e32 v2, v0
	v_not_b32_e32 v3, 0
	s_mov_b32 s11, exec_lo
	s_delay_alu instid0(VALU_DEP_2) | instskip(NEXT) | instid1(VALU_DEP_2)
	v_add_co_u32 v8, vcc_lo, v4, v2
	v_add_co_ci_u32_e32 v9, vcc_lo, v5, v3, vcc_lo
	v_dual_mov_b32 v3, v1 :: v_dual_mov_b32 v2, v0
	s_delay_alu instid0(VALU_DEP_2)
	v_cmp_gt_u64_e32 vcc_lo, 0x1a80, v[8:9]
	v_cmpx_lt_u64_e32 0x1a7f, v[8:9]
	s_cbranch_execz .LBB630_382
; %bb.377:
	v_alignbit_b32 v2, v9, v8, 7
	v_not_b32_e32 v3, v0
	v_xor_b32_e32 v10, 0xffffff7f, v0
	s_movk_i32 s7, 0x7f
	s_mov_b32 s6, -1
	v_lshlrev_b32_e32 v11, 7, v2
	v_cmp_lt_u64_e64 s0, s[6:7], v[8:9]
	v_cmp_lt_u32_e64 s1, 0x1ffffff, v2
	s_delay_alu instid0(VALU_DEP_3) | instskip(SKIP_2) | instid1(VALU_DEP_4)
	v_cmp_gt_u32_e64 s3, v11, v3
	v_dual_mov_b32 v3, v1 :: v_dual_mov_b32 v2, v0
	v_cmp_lt_u32_e64 s4, v10, v11
	s_or_b32 s0, s1, s0
	s_delay_alu instid0(VALU_DEP_3) | instskip(NEXT) | instid1(VALU_DEP_1)
	s_or_b32 s1, s3, s1
	s_or_b32 s0, s0, s4
	s_delay_alu instid0(SALU_CYCLE_1) | instskip(NEXT) | instid1(SALU_CYCLE_1)
	s_or_b32 s0, s1, s0
	s_xor_b32 s0, s0, -1
	s_delay_alu instid0(SALU_CYCLE_1)
	s_and_saveexec_b32 s3, s0
	s_cbranch_execz .LBB630_381
; %bb.378:
	v_lshrrev_b64 v[2:3], 7, v[8:9]
	v_lshlrev_b64 v[8:9], 1, v[6:7]
	s_mov_b32 s4, 0
	s_delay_alu instid0(VALU_DEP_2) | instskip(NEXT) | instid1(VALU_DEP_1)
	v_add_co_u32 v14, s0, v2, 1
	v_add_co_ci_u32_e64 v15, s0, 0, v3, s0
	v_lshlrev_b64 v[2:3], 1, v[12:13]
	s_delay_alu instid0(VALU_DEP_2) | instskip(NEXT) | instid1(VALU_DEP_2)
	v_dual_mov_b32 v17, v15 :: v_dual_and_b32 v16, -2, v14
	v_add_co_u32 v2, s0, v8, v2
	s_delay_alu instid0(VALU_DEP_1) | instskip(SKIP_1) | instid1(VALU_DEP_3)
	v_add_co_ci_u32_e64 v3, s0, v9, v3, s0
	v_lshlrev_b32_e32 v8, 1, v0
	v_add_co_u32 v9, s0, s12, v2
	s_delay_alu instid0(VALU_DEP_1) | instskip(SKIP_1) | instid1(VALU_DEP_3)
	v_add_co_ci_u32_e64 v3, s0, s13, v3, s0
	v_or_b32_e32 v2, 0x80, v0
	v_add_co_u32 v8, s0, v9, v8
	s_delay_alu instid0(VALU_DEP_1) | instskip(SKIP_1) | instid1(VALU_DEP_3)
	v_add_co_ci_u32_e64 v9, s0, 0, v3, s0
	v_mov_b32_e32 v3, v1
	v_add_co_u32 v18, s0, 0x100, v8
	s_delay_alu instid0(VALU_DEP_1) | instskip(NEXT) | instid1(VALU_DEP_3)
	v_add_co_ci_u32_e64 v19, s0, 0, v9, s0
	v_dual_mov_b32 v11, v3 :: v_dual_mov_b32 v10, v2
	v_dual_mov_b32 v21, v17 :: v_dual_mov_b32 v20, v16
	;; [unrolled: 1-line block ×3, first 2 shown]
	s_set_inst_prefetch_distance 0x1
	.p2align	6
.LBB630_379:                            ; =>This Inner Loop Header: Depth=1
	s_delay_alu instid0(VALU_DEP_1) | instskip(SKIP_2) | instid1(VALU_DEP_1)
	v_lshlrev_b32_e32 v1, 1, v8
	v_lshlrev_b32_e32 v2, 1, v10
	v_add_co_u32 v10, s0, 0x100, v10
	v_add_co_ci_u32_e64 v11, s0, 0, v11, s0
	ds_load_u16 v1, v1
	ds_load_u16 v2, v2
	v_add_co_u32 v20, s0, v20, -2
	s_delay_alu instid0(VALU_DEP_1) | instskip(SKIP_1) | instid1(VALU_DEP_1)
	v_add_co_ci_u32_e64 v21, s0, -1, v21, s0
	v_add_co_u32 v8, s0, 0x100, v8
	v_add_co_ci_u32_e64 v9, s0, 0, v9, s0
	s_delay_alu instid0(VALU_DEP_3)
	v_cmp_eq_u64_e64 s0, 0, v[20:21]
	s_waitcnt lgkmcnt(1)
	global_store_b16 v[18:19], v1, off offset:-256
	s_waitcnt lgkmcnt(0)
	global_store_b16 v[18:19], v2, off
	v_add_co_u32 v18, s1, 0x200, v18
	s_delay_alu instid0(VALU_DEP_1) | instskip(SKIP_1) | instid1(SALU_CYCLE_1)
	v_add_co_ci_u32_e64 v19, s1, 0, v19, s1
	s_or_b32 s4, s0, s4
	s_and_not1_b32 exec_lo, exec_lo, s4
	s_cbranch_execnz .LBB630_379
; %bb.380:
	s_set_inst_prefetch_distance 0x2
	s_or_b32 exec_lo, exec_lo, s4
	v_lshlrev_b64 v[1:2], 7, v[16:17]
	v_cmp_ne_u64_e64 s0, v[14:15], v[16:17]
	s_delay_alu instid0(VALU_DEP_2) | instskip(NEXT) | instid1(VALU_DEP_3)
	v_or_b32_e32 v3, 0, v2
	v_or_b32_e32 v2, v1, v0
	v_lshl_or_b32 v0, v16, 7, v0
	s_delay_alu instid0(VALU_DEP_4)
	s_or_not1_b32 s6, s0, exec_lo
.LBB630_381:
	s_or_b32 exec_lo, exec_lo, s3
	s_delay_alu instid0(SALU_CYCLE_1) | instskip(SKIP_1) | instid1(SALU_CYCLE_1)
	s_and_not1_b32 s0, vcc_lo, exec_lo
	s_and_b32 s1, s6, exec_lo
	s_or_b32 vcc_lo, s0, s1
.LBB630_382:
	s_or_b32 exec_lo, exec_lo, s11
	s_delay_alu instid0(SALU_CYCLE_1)
	s_and_b32 exec_lo, exec_lo, vcc_lo
	s_cbranch_execz .LBB630_385
; %bb.383:
	v_lshlrev_b64 v[8:9], 1, v[6:7]
	v_lshlrev_b64 v[10:11], 1, v[12:13]
	v_add_nc_u32_e32 v0, 0x80, v0
	s_mov_b32 s1, 0
	s_delay_alu instid0(VALU_DEP_3) | instskip(NEXT) | instid1(VALU_DEP_4)
	v_add_co_u32 v1, vcc_lo, s12, v8
	v_add_co_ci_u32_e32 v9, vcc_lo, s13, v9, vcc_lo
	s_delay_alu instid0(VALU_DEP_2) | instskip(SKIP_1) | instid1(VALU_DEP_3)
	v_add_co_u32 v8, vcc_lo, v1, v10
	v_mov_b32_e32 v1, 0
	v_add_co_ci_u32_e32 v9, vcc_lo, v9, v11, vcc_lo
	.p2align	6
.LBB630_384:                            ; =>This Inner Loop Header: Depth=1
	v_lshlrev_b32_e32 v10, 1, v2
	s_delay_alu instid0(VALU_DEP_3)
	v_cmp_le_u64_e32 vcc_lo, v[4:5], v[0:1]
	ds_load_u16 v14, v10
	v_lshlrev_b64 v[10:11], 1, v[2:3]
	v_dual_mov_b32 v3, v1 :: v_dual_mov_b32 v2, v0
	v_add_nc_u32_e32 v0, 0x80, v0
	s_or_b32 s1, vcc_lo, s1
	s_delay_alu instid0(VALU_DEP_3) | instskip(NEXT) | instid1(VALU_DEP_1)
	v_add_co_u32 v10, s0, v8, v10
	v_add_co_ci_u32_e64 v11, s0, v9, v11, s0
	s_waitcnt lgkmcnt(0)
	global_store_b16 v[10:11], v14, off
	s_and_not1_b32 exec_lo, exec_lo, s1
	s_cbranch_execnz .LBB630_384
.LBB630_385:
	s_or_b32 exec_lo, exec_lo, s10
	s_and_b32 s0, s2, s5
	s_delay_alu instid0(SALU_CYCLE_1)
	s_and_saveexec_b32 s1, s0
	s_cbranch_execz .LBB630_224
.LBB630_386:
	v_add_co_u32 v0, vcc_lo, v6, v4
	v_add_co_ci_u32_e32 v1, vcc_lo, v7, v5, vcc_lo
	v_mov_b32_e32 v2, 0
	s_delay_alu instid0(VALU_DEP_3) | instskip(NEXT) | instid1(VALU_DEP_3)
	v_add_co_u32 v0, vcc_lo, v0, v12
	v_add_co_ci_u32_e32 v1, vcc_lo, v1, v13, vcc_lo
	global_store_b64 v2, v[0:1], s[8:9]
	s_nop 0
	s_sendmsg sendmsg(MSG_DEALLOC_VGPRS)
	s_endpgm
	.section	.rodata,"a",@progbits
	.p2align	6, 0x0
	.amdhsa_kernel _ZN7rocprim17ROCPRIM_400000_NS6detail17trampoline_kernelINS0_14default_configENS1_25partition_config_selectorILNS1_17partition_subalgoE6EsNS0_10empty_typeEbEEZZNS1_14partition_implILS5_6ELb0ES3_mN6thrust23THRUST_200600_302600_NS6detail15normal_iteratorINSA_10device_ptrIsEEEEPS6_SG_NS0_5tupleIJSF_S6_EEENSH_IJSG_SG_EEES6_PlJ5mod_3IsEEEE10hipError_tPvRmT3_T4_T5_T6_T7_T9_mT8_P12ihipStream_tbDpT10_ENKUlT_T0_E_clISt17integral_constantIbLb1EES16_EEDaS11_S12_EUlS11_E_NS1_11comp_targetILNS1_3genE9ELNS1_11target_archE1100ELNS1_3gpuE3ELNS1_3repE0EEENS1_30default_config_static_selectorELNS0_4arch9wavefront6targetE0EEEvT1_
		.amdhsa_group_segment_fixed_size 7696
		.amdhsa_private_segment_fixed_size 0
		.amdhsa_kernarg_size 128
		.amdhsa_user_sgpr_count 15
		.amdhsa_user_sgpr_dispatch_ptr 0
		.amdhsa_user_sgpr_queue_ptr 0
		.amdhsa_user_sgpr_kernarg_segment_ptr 1
		.amdhsa_user_sgpr_dispatch_id 0
		.amdhsa_user_sgpr_private_segment_size 0
		.amdhsa_wavefront_size32 1
		.amdhsa_uses_dynamic_stack 0
		.amdhsa_enable_private_segment 0
		.amdhsa_system_sgpr_workgroup_id_x 1
		.amdhsa_system_sgpr_workgroup_id_y 0
		.amdhsa_system_sgpr_workgroup_id_z 0
		.amdhsa_system_sgpr_workgroup_info 0
		.amdhsa_system_vgpr_workitem_id 0
		.amdhsa_next_free_vgpr 133
		.amdhsa_next_free_sgpr 19
		.amdhsa_reserve_vcc 1
		.amdhsa_float_round_mode_32 0
		.amdhsa_float_round_mode_16_64 0
		.amdhsa_float_denorm_mode_32 3
		.amdhsa_float_denorm_mode_16_64 3
		.amdhsa_dx10_clamp 1
		.amdhsa_ieee_mode 1
		.amdhsa_fp16_overflow 0
		.amdhsa_workgroup_processor_mode 1
		.amdhsa_memory_ordered 1
		.amdhsa_forward_progress 0
		.amdhsa_shared_vgpr_count 0
		.amdhsa_exception_fp_ieee_invalid_op 0
		.amdhsa_exception_fp_denorm_src 0
		.amdhsa_exception_fp_ieee_div_zero 0
		.amdhsa_exception_fp_ieee_overflow 0
		.amdhsa_exception_fp_ieee_underflow 0
		.amdhsa_exception_fp_ieee_inexact 0
		.amdhsa_exception_int_div_zero 0
	.end_amdhsa_kernel
	.section	.text._ZN7rocprim17ROCPRIM_400000_NS6detail17trampoline_kernelINS0_14default_configENS1_25partition_config_selectorILNS1_17partition_subalgoE6EsNS0_10empty_typeEbEEZZNS1_14partition_implILS5_6ELb0ES3_mN6thrust23THRUST_200600_302600_NS6detail15normal_iteratorINSA_10device_ptrIsEEEEPS6_SG_NS0_5tupleIJSF_S6_EEENSH_IJSG_SG_EEES6_PlJ5mod_3IsEEEE10hipError_tPvRmT3_T4_T5_T6_T7_T9_mT8_P12ihipStream_tbDpT10_ENKUlT_T0_E_clISt17integral_constantIbLb1EES16_EEDaS11_S12_EUlS11_E_NS1_11comp_targetILNS1_3genE9ELNS1_11target_archE1100ELNS1_3gpuE3ELNS1_3repE0EEENS1_30default_config_static_selectorELNS0_4arch9wavefront6targetE0EEEvT1_,"axG",@progbits,_ZN7rocprim17ROCPRIM_400000_NS6detail17trampoline_kernelINS0_14default_configENS1_25partition_config_selectorILNS1_17partition_subalgoE6EsNS0_10empty_typeEbEEZZNS1_14partition_implILS5_6ELb0ES3_mN6thrust23THRUST_200600_302600_NS6detail15normal_iteratorINSA_10device_ptrIsEEEEPS6_SG_NS0_5tupleIJSF_S6_EEENSH_IJSG_SG_EEES6_PlJ5mod_3IsEEEE10hipError_tPvRmT3_T4_T5_T6_T7_T9_mT8_P12ihipStream_tbDpT10_ENKUlT_T0_E_clISt17integral_constantIbLb1EES16_EEDaS11_S12_EUlS11_E_NS1_11comp_targetILNS1_3genE9ELNS1_11target_archE1100ELNS1_3gpuE3ELNS1_3repE0EEENS1_30default_config_static_selectorELNS0_4arch9wavefront6targetE0EEEvT1_,comdat
.Lfunc_end630:
	.size	_ZN7rocprim17ROCPRIM_400000_NS6detail17trampoline_kernelINS0_14default_configENS1_25partition_config_selectorILNS1_17partition_subalgoE6EsNS0_10empty_typeEbEEZZNS1_14partition_implILS5_6ELb0ES3_mN6thrust23THRUST_200600_302600_NS6detail15normal_iteratorINSA_10device_ptrIsEEEEPS6_SG_NS0_5tupleIJSF_S6_EEENSH_IJSG_SG_EEES6_PlJ5mod_3IsEEEE10hipError_tPvRmT3_T4_T5_T6_T7_T9_mT8_P12ihipStream_tbDpT10_ENKUlT_T0_E_clISt17integral_constantIbLb1EES16_EEDaS11_S12_EUlS11_E_NS1_11comp_targetILNS1_3genE9ELNS1_11target_archE1100ELNS1_3gpuE3ELNS1_3repE0EEENS1_30default_config_static_selectorELNS0_4arch9wavefront6targetE0EEEvT1_, .Lfunc_end630-_ZN7rocprim17ROCPRIM_400000_NS6detail17trampoline_kernelINS0_14default_configENS1_25partition_config_selectorILNS1_17partition_subalgoE6EsNS0_10empty_typeEbEEZZNS1_14partition_implILS5_6ELb0ES3_mN6thrust23THRUST_200600_302600_NS6detail15normal_iteratorINSA_10device_ptrIsEEEEPS6_SG_NS0_5tupleIJSF_S6_EEENSH_IJSG_SG_EEES6_PlJ5mod_3IsEEEE10hipError_tPvRmT3_T4_T5_T6_T7_T9_mT8_P12ihipStream_tbDpT10_ENKUlT_T0_E_clISt17integral_constantIbLb1EES16_EEDaS11_S12_EUlS11_E_NS1_11comp_targetILNS1_3genE9ELNS1_11target_archE1100ELNS1_3gpuE3ELNS1_3repE0EEENS1_30default_config_static_selectorELNS0_4arch9wavefront6targetE0EEEvT1_
                                        ; -- End function
	.section	.AMDGPU.csdata,"",@progbits
; Kernel info:
; codeLenInByte = 15572
; NumSgprs: 21
; NumVgprs: 133
; ScratchSize: 0
; MemoryBound: 0
; FloatMode: 240
; IeeeMode: 1
; LDSByteSize: 7696 bytes/workgroup (compile time only)
; SGPRBlocks: 2
; VGPRBlocks: 16
; NumSGPRsForWavesPerEU: 21
; NumVGPRsForWavesPerEU: 133
; Occupancy: 10
; WaveLimiterHint : 1
; COMPUTE_PGM_RSRC2:SCRATCH_EN: 0
; COMPUTE_PGM_RSRC2:USER_SGPR: 15
; COMPUTE_PGM_RSRC2:TRAP_HANDLER: 0
; COMPUTE_PGM_RSRC2:TGID_X_EN: 1
; COMPUTE_PGM_RSRC2:TGID_Y_EN: 0
; COMPUTE_PGM_RSRC2:TGID_Z_EN: 0
; COMPUTE_PGM_RSRC2:TIDIG_COMP_CNT: 0
	.section	.text._ZN7rocprim17ROCPRIM_400000_NS6detail17trampoline_kernelINS0_14default_configENS1_25partition_config_selectorILNS1_17partition_subalgoE6EsNS0_10empty_typeEbEEZZNS1_14partition_implILS5_6ELb0ES3_mN6thrust23THRUST_200600_302600_NS6detail15normal_iteratorINSA_10device_ptrIsEEEEPS6_SG_NS0_5tupleIJSF_S6_EEENSH_IJSG_SG_EEES6_PlJ5mod_3IsEEEE10hipError_tPvRmT3_T4_T5_T6_T7_T9_mT8_P12ihipStream_tbDpT10_ENKUlT_T0_E_clISt17integral_constantIbLb1EES16_EEDaS11_S12_EUlS11_E_NS1_11comp_targetILNS1_3genE8ELNS1_11target_archE1030ELNS1_3gpuE2ELNS1_3repE0EEENS1_30default_config_static_selectorELNS0_4arch9wavefront6targetE0EEEvT1_,"axG",@progbits,_ZN7rocprim17ROCPRIM_400000_NS6detail17trampoline_kernelINS0_14default_configENS1_25partition_config_selectorILNS1_17partition_subalgoE6EsNS0_10empty_typeEbEEZZNS1_14partition_implILS5_6ELb0ES3_mN6thrust23THRUST_200600_302600_NS6detail15normal_iteratorINSA_10device_ptrIsEEEEPS6_SG_NS0_5tupleIJSF_S6_EEENSH_IJSG_SG_EEES6_PlJ5mod_3IsEEEE10hipError_tPvRmT3_T4_T5_T6_T7_T9_mT8_P12ihipStream_tbDpT10_ENKUlT_T0_E_clISt17integral_constantIbLb1EES16_EEDaS11_S12_EUlS11_E_NS1_11comp_targetILNS1_3genE8ELNS1_11target_archE1030ELNS1_3gpuE2ELNS1_3repE0EEENS1_30default_config_static_selectorELNS0_4arch9wavefront6targetE0EEEvT1_,comdat
	.protected	_ZN7rocprim17ROCPRIM_400000_NS6detail17trampoline_kernelINS0_14default_configENS1_25partition_config_selectorILNS1_17partition_subalgoE6EsNS0_10empty_typeEbEEZZNS1_14partition_implILS5_6ELb0ES3_mN6thrust23THRUST_200600_302600_NS6detail15normal_iteratorINSA_10device_ptrIsEEEEPS6_SG_NS0_5tupleIJSF_S6_EEENSH_IJSG_SG_EEES6_PlJ5mod_3IsEEEE10hipError_tPvRmT3_T4_T5_T6_T7_T9_mT8_P12ihipStream_tbDpT10_ENKUlT_T0_E_clISt17integral_constantIbLb1EES16_EEDaS11_S12_EUlS11_E_NS1_11comp_targetILNS1_3genE8ELNS1_11target_archE1030ELNS1_3gpuE2ELNS1_3repE0EEENS1_30default_config_static_selectorELNS0_4arch9wavefront6targetE0EEEvT1_ ; -- Begin function _ZN7rocprim17ROCPRIM_400000_NS6detail17trampoline_kernelINS0_14default_configENS1_25partition_config_selectorILNS1_17partition_subalgoE6EsNS0_10empty_typeEbEEZZNS1_14partition_implILS5_6ELb0ES3_mN6thrust23THRUST_200600_302600_NS6detail15normal_iteratorINSA_10device_ptrIsEEEEPS6_SG_NS0_5tupleIJSF_S6_EEENSH_IJSG_SG_EEES6_PlJ5mod_3IsEEEE10hipError_tPvRmT3_T4_T5_T6_T7_T9_mT8_P12ihipStream_tbDpT10_ENKUlT_T0_E_clISt17integral_constantIbLb1EES16_EEDaS11_S12_EUlS11_E_NS1_11comp_targetILNS1_3genE8ELNS1_11target_archE1030ELNS1_3gpuE2ELNS1_3repE0EEENS1_30default_config_static_selectorELNS0_4arch9wavefront6targetE0EEEvT1_
	.globl	_ZN7rocprim17ROCPRIM_400000_NS6detail17trampoline_kernelINS0_14default_configENS1_25partition_config_selectorILNS1_17partition_subalgoE6EsNS0_10empty_typeEbEEZZNS1_14partition_implILS5_6ELb0ES3_mN6thrust23THRUST_200600_302600_NS6detail15normal_iteratorINSA_10device_ptrIsEEEEPS6_SG_NS0_5tupleIJSF_S6_EEENSH_IJSG_SG_EEES6_PlJ5mod_3IsEEEE10hipError_tPvRmT3_T4_T5_T6_T7_T9_mT8_P12ihipStream_tbDpT10_ENKUlT_T0_E_clISt17integral_constantIbLb1EES16_EEDaS11_S12_EUlS11_E_NS1_11comp_targetILNS1_3genE8ELNS1_11target_archE1030ELNS1_3gpuE2ELNS1_3repE0EEENS1_30default_config_static_selectorELNS0_4arch9wavefront6targetE0EEEvT1_
	.p2align	8
	.type	_ZN7rocprim17ROCPRIM_400000_NS6detail17trampoline_kernelINS0_14default_configENS1_25partition_config_selectorILNS1_17partition_subalgoE6EsNS0_10empty_typeEbEEZZNS1_14partition_implILS5_6ELb0ES3_mN6thrust23THRUST_200600_302600_NS6detail15normal_iteratorINSA_10device_ptrIsEEEEPS6_SG_NS0_5tupleIJSF_S6_EEENSH_IJSG_SG_EEES6_PlJ5mod_3IsEEEE10hipError_tPvRmT3_T4_T5_T6_T7_T9_mT8_P12ihipStream_tbDpT10_ENKUlT_T0_E_clISt17integral_constantIbLb1EES16_EEDaS11_S12_EUlS11_E_NS1_11comp_targetILNS1_3genE8ELNS1_11target_archE1030ELNS1_3gpuE2ELNS1_3repE0EEENS1_30default_config_static_selectorELNS0_4arch9wavefront6targetE0EEEvT1_,@function
_ZN7rocprim17ROCPRIM_400000_NS6detail17trampoline_kernelINS0_14default_configENS1_25partition_config_selectorILNS1_17partition_subalgoE6EsNS0_10empty_typeEbEEZZNS1_14partition_implILS5_6ELb0ES3_mN6thrust23THRUST_200600_302600_NS6detail15normal_iteratorINSA_10device_ptrIsEEEEPS6_SG_NS0_5tupleIJSF_S6_EEENSH_IJSG_SG_EEES6_PlJ5mod_3IsEEEE10hipError_tPvRmT3_T4_T5_T6_T7_T9_mT8_P12ihipStream_tbDpT10_ENKUlT_T0_E_clISt17integral_constantIbLb1EES16_EEDaS11_S12_EUlS11_E_NS1_11comp_targetILNS1_3genE8ELNS1_11target_archE1030ELNS1_3gpuE2ELNS1_3repE0EEENS1_30default_config_static_selectorELNS0_4arch9wavefront6targetE0EEEvT1_: ; @_ZN7rocprim17ROCPRIM_400000_NS6detail17trampoline_kernelINS0_14default_configENS1_25partition_config_selectorILNS1_17partition_subalgoE6EsNS0_10empty_typeEbEEZZNS1_14partition_implILS5_6ELb0ES3_mN6thrust23THRUST_200600_302600_NS6detail15normal_iteratorINSA_10device_ptrIsEEEEPS6_SG_NS0_5tupleIJSF_S6_EEENSH_IJSG_SG_EEES6_PlJ5mod_3IsEEEE10hipError_tPvRmT3_T4_T5_T6_T7_T9_mT8_P12ihipStream_tbDpT10_ENKUlT_T0_E_clISt17integral_constantIbLb1EES16_EEDaS11_S12_EUlS11_E_NS1_11comp_targetILNS1_3genE8ELNS1_11target_archE1030ELNS1_3gpuE2ELNS1_3repE0EEENS1_30default_config_static_selectorELNS0_4arch9wavefront6targetE0EEEvT1_
; %bb.0:
	.section	.rodata,"a",@progbits
	.p2align	6, 0x0
	.amdhsa_kernel _ZN7rocprim17ROCPRIM_400000_NS6detail17trampoline_kernelINS0_14default_configENS1_25partition_config_selectorILNS1_17partition_subalgoE6EsNS0_10empty_typeEbEEZZNS1_14partition_implILS5_6ELb0ES3_mN6thrust23THRUST_200600_302600_NS6detail15normal_iteratorINSA_10device_ptrIsEEEEPS6_SG_NS0_5tupleIJSF_S6_EEENSH_IJSG_SG_EEES6_PlJ5mod_3IsEEEE10hipError_tPvRmT3_T4_T5_T6_T7_T9_mT8_P12ihipStream_tbDpT10_ENKUlT_T0_E_clISt17integral_constantIbLb1EES16_EEDaS11_S12_EUlS11_E_NS1_11comp_targetILNS1_3genE8ELNS1_11target_archE1030ELNS1_3gpuE2ELNS1_3repE0EEENS1_30default_config_static_selectorELNS0_4arch9wavefront6targetE0EEEvT1_
		.amdhsa_group_segment_fixed_size 0
		.amdhsa_private_segment_fixed_size 0
		.amdhsa_kernarg_size 128
		.amdhsa_user_sgpr_count 15
		.amdhsa_user_sgpr_dispatch_ptr 0
		.amdhsa_user_sgpr_queue_ptr 0
		.amdhsa_user_sgpr_kernarg_segment_ptr 1
		.amdhsa_user_sgpr_dispatch_id 0
		.amdhsa_user_sgpr_private_segment_size 0
		.amdhsa_wavefront_size32 1
		.amdhsa_uses_dynamic_stack 0
		.amdhsa_enable_private_segment 0
		.amdhsa_system_sgpr_workgroup_id_x 1
		.amdhsa_system_sgpr_workgroup_id_y 0
		.amdhsa_system_sgpr_workgroup_id_z 0
		.amdhsa_system_sgpr_workgroup_info 0
		.amdhsa_system_vgpr_workitem_id 0
		.amdhsa_next_free_vgpr 1
		.amdhsa_next_free_sgpr 1
		.amdhsa_reserve_vcc 0
		.amdhsa_float_round_mode_32 0
		.amdhsa_float_round_mode_16_64 0
		.amdhsa_float_denorm_mode_32 3
		.amdhsa_float_denorm_mode_16_64 3
		.amdhsa_dx10_clamp 1
		.amdhsa_ieee_mode 1
		.amdhsa_fp16_overflow 0
		.amdhsa_workgroup_processor_mode 1
		.amdhsa_memory_ordered 1
		.amdhsa_forward_progress 0
		.amdhsa_shared_vgpr_count 0
		.amdhsa_exception_fp_ieee_invalid_op 0
		.amdhsa_exception_fp_denorm_src 0
		.amdhsa_exception_fp_ieee_div_zero 0
		.amdhsa_exception_fp_ieee_overflow 0
		.amdhsa_exception_fp_ieee_underflow 0
		.amdhsa_exception_fp_ieee_inexact 0
		.amdhsa_exception_int_div_zero 0
	.end_amdhsa_kernel
	.section	.text._ZN7rocprim17ROCPRIM_400000_NS6detail17trampoline_kernelINS0_14default_configENS1_25partition_config_selectorILNS1_17partition_subalgoE6EsNS0_10empty_typeEbEEZZNS1_14partition_implILS5_6ELb0ES3_mN6thrust23THRUST_200600_302600_NS6detail15normal_iteratorINSA_10device_ptrIsEEEEPS6_SG_NS0_5tupleIJSF_S6_EEENSH_IJSG_SG_EEES6_PlJ5mod_3IsEEEE10hipError_tPvRmT3_T4_T5_T6_T7_T9_mT8_P12ihipStream_tbDpT10_ENKUlT_T0_E_clISt17integral_constantIbLb1EES16_EEDaS11_S12_EUlS11_E_NS1_11comp_targetILNS1_3genE8ELNS1_11target_archE1030ELNS1_3gpuE2ELNS1_3repE0EEENS1_30default_config_static_selectorELNS0_4arch9wavefront6targetE0EEEvT1_,"axG",@progbits,_ZN7rocprim17ROCPRIM_400000_NS6detail17trampoline_kernelINS0_14default_configENS1_25partition_config_selectorILNS1_17partition_subalgoE6EsNS0_10empty_typeEbEEZZNS1_14partition_implILS5_6ELb0ES3_mN6thrust23THRUST_200600_302600_NS6detail15normal_iteratorINSA_10device_ptrIsEEEEPS6_SG_NS0_5tupleIJSF_S6_EEENSH_IJSG_SG_EEES6_PlJ5mod_3IsEEEE10hipError_tPvRmT3_T4_T5_T6_T7_T9_mT8_P12ihipStream_tbDpT10_ENKUlT_T0_E_clISt17integral_constantIbLb1EES16_EEDaS11_S12_EUlS11_E_NS1_11comp_targetILNS1_3genE8ELNS1_11target_archE1030ELNS1_3gpuE2ELNS1_3repE0EEENS1_30default_config_static_selectorELNS0_4arch9wavefront6targetE0EEEvT1_,comdat
.Lfunc_end631:
	.size	_ZN7rocprim17ROCPRIM_400000_NS6detail17trampoline_kernelINS0_14default_configENS1_25partition_config_selectorILNS1_17partition_subalgoE6EsNS0_10empty_typeEbEEZZNS1_14partition_implILS5_6ELb0ES3_mN6thrust23THRUST_200600_302600_NS6detail15normal_iteratorINSA_10device_ptrIsEEEEPS6_SG_NS0_5tupleIJSF_S6_EEENSH_IJSG_SG_EEES6_PlJ5mod_3IsEEEE10hipError_tPvRmT3_T4_T5_T6_T7_T9_mT8_P12ihipStream_tbDpT10_ENKUlT_T0_E_clISt17integral_constantIbLb1EES16_EEDaS11_S12_EUlS11_E_NS1_11comp_targetILNS1_3genE8ELNS1_11target_archE1030ELNS1_3gpuE2ELNS1_3repE0EEENS1_30default_config_static_selectorELNS0_4arch9wavefront6targetE0EEEvT1_, .Lfunc_end631-_ZN7rocprim17ROCPRIM_400000_NS6detail17trampoline_kernelINS0_14default_configENS1_25partition_config_selectorILNS1_17partition_subalgoE6EsNS0_10empty_typeEbEEZZNS1_14partition_implILS5_6ELb0ES3_mN6thrust23THRUST_200600_302600_NS6detail15normal_iteratorINSA_10device_ptrIsEEEEPS6_SG_NS0_5tupleIJSF_S6_EEENSH_IJSG_SG_EEES6_PlJ5mod_3IsEEEE10hipError_tPvRmT3_T4_T5_T6_T7_T9_mT8_P12ihipStream_tbDpT10_ENKUlT_T0_E_clISt17integral_constantIbLb1EES16_EEDaS11_S12_EUlS11_E_NS1_11comp_targetILNS1_3genE8ELNS1_11target_archE1030ELNS1_3gpuE2ELNS1_3repE0EEENS1_30default_config_static_selectorELNS0_4arch9wavefront6targetE0EEEvT1_
                                        ; -- End function
	.section	.AMDGPU.csdata,"",@progbits
; Kernel info:
; codeLenInByte = 0
; NumSgprs: 0
; NumVgprs: 0
; ScratchSize: 0
; MemoryBound: 0
; FloatMode: 240
; IeeeMode: 1
; LDSByteSize: 0 bytes/workgroup (compile time only)
; SGPRBlocks: 0
; VGPRBlocks: 0
; NumSGPRsForWavesPerEU: 1
; NumVGPRsForWavesPerEU: 1
; Occupancy: 16
; WaveLimiterHint : 0
; COMPUTE_PGM_RSRC2:SCRATCH_EN: 0
; COMPUTE_PGM_RSRC2:USER_SGPR: 15
; COMPUTE_PGM_RSRC2:TRAP_HANDLER: 0
; COMPUTE_PGM_RSRC2:TGID_X_EN: 1
; COMPUTE_PGM_RSRC2:TGID_Y_EN: 0
; COMPUTE_PGM_RSRC2:TGID_Z_EN: 0
; COMPUTE_PGM_RSRC2:TIDIG_COMP_CNT: 0
	.section	.text._ZN7rocprim17ROCPRIM_400000_NS6detail17trampoline_kernelINS0_14default_configENS1_25partition_config_selectorILNS1_17partition_subalgoE6EsNS0_10empty_typeEbEEZZNS1_14partition_implILS5_6ELb0ES3_mN6thrust23THRUST_200600_302600_NS6detail15normal_iteratorINSA_10device_ptrIsEEEEPS6_SG_NS0_5tupleIJSF_S6_EEENSH_IJSG_SG_EEES6_PlJ5mod_3IsEEEE10hipError_tPvRmT3_T4_T5_T6_T7_T9_mT8_P12ihipStream_tbDpT10_ENKUlT_T0_E_clISt17integral_constantIbLb1EES15_IbLb0EEEEDaS11_S12_EUlS11_E_NS1_11comp_targetILNS1_3genE0ELNS1_11target_archE4294967295ELNS1_3gpuE0ELNS1_3repE0EEENS1_30default_config_static_selectorELNS0_4arch9wavefront6targetE0EEEvT1_,"axG",@progbits,_ZN7rocprim17ROCPRIM_400000_NS6detail17trampoline_kernelINS0_14default_configENS1_25partition_config_selectorILNS1_17partition_subalgoE6EsNS0_10empty_typeEbEEZZNS1_14partition_implILS5_6ELb0ES3_mN6thrust23THRUST_200600_302600_NS6detail15normal_iteratorINSA_10device_ptrIsEEEEPS6_SG_NS0_5tupleIJSF_S6_EEENSH_IJSG_SG_EEES6_PlJ5mod_3IsEEEE10hipError_tPvRmT3_T4_T5_T6_T7_T9_mT8_P12ihipStream_tbDpT10_ENKUlT_T0_E_clISt17integral_constantIbLb1EES15_IbLb0EEEEDaS11_S12_EUlS11_E_NS1_11comp_targetILNS1_3genE0ELNS1_11target_archE4294967295ELNS1_3gpuE0ELNS1_3repE0EEENS1_30default_config_static_selectorELNS0_4arch9wavefront6targetE0EEEvT1_,comdat
	.protected	_ZN7rocprim17ROCPRIM_400000_NS6detail17trampoline_kernelINS0_14default_configENS1_25partition_config_selectorILNS1_17partition_subalgoE6EsNS0_10empty_typeEbEEZZNS1_14partition_implILS5_6ELb0ES3_mN6thrust23THRUST_200600_302600_NS6detail15normal_iteratorINSA_10device_ptrIsEEEEPS6_SG_NS0_5tupleIJSF_S6_EEENSH_IJSG_SG_EEES6_PlJ5mod_3IsEEEE10hipError_tPvRmT3_T4_T5_T6_T7_T9_mT8_P12ihipStream_tbDpT10_ENKUlT_T0_E_clISt17integral_constantIbLb1EES15_IbLb0EEEEDaS11_S12_EUlS11_E_NS1_11comp_targetILNS1_3genE0ELNS1_11target_archE4294967295ELNS1_3gpuE0ELNS1_3repE0EEENS1_30default_config_static_selectorELNS0_4arch9wavefront6targetE0EEEvT1_ ; -- Begin function _ZN7rocprim17ROCPRIM_400000_NS6detail17trampoline_kernelINS0_14default_configENS1_25partition_config_selectorILNS1_17partition_subalgoE6EsNS0_10empty_typeEbEEZZNS1_14partition_implILS5_6ELb0ES3_mN6thrust23THRUST_200600_302600_NS6detail15normal_iteratorINSA_10device_ptrIsEEEEPS6_SG_NS0_5tupleIJSF_S6_EEENSH_IJSG_SG_EEES6_PlJ5mod_3IsEEEE10hipError_tPvRmT3_T4_T5_T6_T7_T9_mT8_P12ihipStream_tbDpT10_ENKUlT_T0_E_clISt17integral_constantIbLb1EES15_IbLb0EEEEDaS11_S12_EUlS11_E_NS1_11comp_targetILNS1_3genE0ELNS1_11target_archE4294967295ELNS1_3gpuE0ELNS1_3repE0EEENS1_30default_config_static_selectorELNS0_4arch9wavefront6targetE0EEEvT1_
	.globl	_ZN7rocprim17ROCPRIM_400000_NS6detail17trampoline_kernelINS0_14default_configENS1_25partition_config_selectorILNS1_17partition_subalgoE6EsNS0_10empty_typeEbEEZZNS1_14partition_implILS5_6ELb0ES3_mN6thrust23THRUST_200600_302600_NS6detail15normal_iteratorINSA_10device_ptrIsEEEEPS6_SG_NS0_5tupleIJSF_S6_EEENSH_IJSG_SG_EEES6_PlJ5mod_3IsEEEE10hipError_tPvRmT3_T4_T5_T6_T7_T9_mT8_P12ihipStream_tbDpT10_ENKUlT_T0_E_clISt17integral_constantIbLb1EES15_IbLb0EEEEDaS11_S12_EUlS11_E_NS1_11comp_targetILNS1_3genE0ELNS1_11target_archE4294967295ELNS1_3gpuE0ELNS1_3repE0EEENS1_30default_config_static_selectorELNS0_4arch9wavefront6targetE0EEEvT1_
	.p2align	8
	.type	_ZN7rocprim17ROCPRIM_400000_NS6detail17trampoline_kernelINS0_14default_configENS1_25partition_config_selectorILNS1_17partition_subalgoE6EsNS0_10empty_typeEbEEZZNS1_14partition_implILS5_6ELb0ES3_mN6thrust23THRUST_200600_302600_NS6detail15normal_iteratorINSA_10device_ptrIsEEEEPS6_SG_NS0_5tupleIJSF_S6_EEENSH_IJSG_SG_EEES6_PlJ5mod_3IsEEEE10hipError_tPvRmT3_T4_T5_T6_T7_T9_mT8_P12ihipStream_tbDpT10_ENKUlT_T0_E_clISt17integral_constantIbLb1EES15_IbLb0EEEEDaS11_S12_EUlS11_E_NS1_11comp_targetILNS1_3genE0ELNS1_11target_archE4294967295ELNS1_3gpuE0ELNS1_3repE0EEENS1_30default_config_static_selectorELNS0_4arch9wavefront6targetE0EEEvT1_,@function
_ZN7rocprim17ROCPRIM_400000_NS6detail17trampoline_kernelINS0_14default_configENS1_25partition_config_selectorILNS1_17partition_subalgoE6EsNS0_10empty_typeEbEEZZNS1_14partition_implILS5_6ELb0ES3_mN6thrust23THRUST_200600_302600_NS6detail15normal_iteratorINSA_10device_ptrIsEEEEPS6_SG_NS0_5tupleIJSF_S6_EEENSH_IJSG_SG_EEES6_PlJ5mod_3IsEEEE10hipError_tPvRmT3_T4_T5_T6_T7_T9_mT8_P12ihipStream_tbDpT10_ENKUlT_T0_E_clISt17integral_constantIbLb1EES15_IbLb0EEEEDaS11_S12_EUlS11_E_NS1_11comp_targetILNS1_3genE0ELNS1_11target_archE4294967295ELNS1_3gpuE0ELNS1_3repE0EEENS1_30default_config_static_selectorELNS0_4arch9wavefront6targetE0EEEvT1_: ; @_ZN7rocprim17ROCPRIM_400000_NS6detail17trampoline_kernelINS0_14default_configENS1_25partition_config_selectorILNS1_17partition_subalgoE6EsNS0_10empty_typeEbEEZZNS1_14partition_implILS5_6ELb0ES3_mN6thrust23THRUST_200600_302600_NS6detail15normal_iteratorINSA_10device_ptrIsEEEEPS6_SG_NS0_5tupleIJSF_S6_EEENSH_IJSG_SG_EEES6_PlJ5mod_3IsEEEE10hipError_tPvRmT3_T4_T5_T6_T7_T9_mT8_P12ihipStream_tbDpT10_ENKUlT_T0_E_clISt17integral_constantIbLb1EES15_IbLb0EEEEDaS11_S12_EUlS11_E_NS1_11comp_targetILNS1_3genE0ELNS1_11target_archE4294967295ELNS1_3gpuE0ELNS1_3repE0EEENS1_30default_config_static_selectorELNS0_4arch9wavefront6targetE0EEEvT1_
; %bb.0:
	.section	.rodata,"a",@progbits
	.p2align	6, 0x0
	.amdhsa_kernel _ZN7rocprim17ROCPRIM_400000_NS6detail17trampoline_kernelINS0_14default_configENS1_25partition_config_selectorILNS1_17partition_subalgoE6EsNS0_10empty_typeEbEEZZNS1_14partition_implILS5_6ELb0ES3_mN6thrust23THRUST_200600_302600_NS6detail15normal_iteratorINSA_10device_ptrIsEEEEPS6_SG_NS0_5tupleIJSF_S6_EEENSH_IJSG_SG_EEES6_PlJ5mod_3IsEEEE10hipError_tPvRmT3_T4_T5_T6_T7_T9_mT8_P12ihipStream_tbDpT10_ENKUlT_T0_E_clISt17integral_constantIbLb1EES15_IbLb0EEEEDaS11_S12_EUlS11_E_NS1_11comp_targetILNS1_3genE0ELNS1_11target_archE4294967295ELNS1_3gpuE0ELNS1_3repE0EEENS1_30default_config_static_selectorELNS0_4arch9wavefront6targetE0EEEvT1_
		.amdhsa_group_segment_fixed_size 0
		.amdhsa_private_segment_fixed_size 0
		.amdhsa_kernarg_size 112
		.amdhsa_user_sgpr_count 15
		.amdhsa_user_sgpr_dispatch_ptr 0
		.amdhsa_user_sgpr_queue_ptr 0
		.amdhsa_user_sgpr_kernarg_segment_ptr 1
		.amdhsa_user_sgpr_dispatch_id 0
		.amdhsa_user_sgpr_private_segment_size 0
		.amdhsa_wavefront_size32 1
		.amdhsa_uses_dynamic_stack 0
		.amdhsa_enable_private_segment 0
		.amdhsa_system_sgpr_workgroup_id_x 1
		.amdhsa_system_sgpr_workgroup_id_y 0
		.amdhsa_system_sgpr_workgroup_id_z 0
		.amdhsa_system_sgpr_workgroup_info 0
		.amdhsa_system_vgpr_workitem_id 0
		.amdhsa_next_free_vgpr 1
		.amdhsa_next_free_sgpr 1
		.amdhsa_reserve_vcc 0
		.amdhsa_float_round_mode_32 0
		.amdhsa_float_round_mode_16_64 0
		.amdhsa_float_denorm_mode_32 3
		.amdhsa_float_denorm_mode_16_64 3
		.amdhsa_dx10_clamp 1
		.amdhsa_ieee_mode 1
		.amdhsa_fp16_overflow 0
		.amdhsa_workgroup_processor_mode 1
		.amdhsa_memory_ordered 1
		.amdhsa_forward_progress 0
		.amdhsa_shared_vgpr_count 0
		.amdhsa_exception_fp_ieee_invalid_op 0
		.amdhsa_exception_fp_denorm_src 0
		.amdhsa_exception_fp_ieee_div_zero 0
		.amdhsa_exception_fp_ieee_overflow 0
		.amdhsa_exception_fp_ieee_underflow 0
		.amdhsa_exception_fp_ieee_inexact 0
		.amdhsa_exception_int_div_zero 0
	.end_amdhsa_kernel
	.section	.text._ZN7rocprim17ROCPRIM_400000_NS6detail17trampoline_kernelINS0_14default_configENS1_25partition_config_selectorILNS1_17partition_subalgoE6EsNS0_10empty_typeEbEEZZNS1_14partition_implILS5_6ELb0ES3_mN6thrust23THRUST_200600_302600_NS6detail15normal_iteratorINSA_10device_ptrIsEEEEPS6_SG_NS0_5tupleIJSF_S6_EEENSH_IJSG_SG_EEES6_PlJ5mod_3IsEEEE10hipError_tPvRmT3_T4_T5_T6_T7_T9_mT8_P12ihipStream_tbDpT10_ENKUlT_T0_E_clISt17integral_constantIbLb1EES15_IbLb0EEEEDaS11_S12_EUlS11_E_NS1_11comp_targetILNS1_3genE0ELNS1_11target_archE4294967295ELNS1_3gpuE0ELNS1_3repE0EEENS1_30default_config_static_selectorELNS0_4arch9wavefront6targetE0EEEvT1_,"axG",@progbits,_ZN7rocprim17ROCPRIM_400000_NS6detail17trampoline_kernelINS0_14default_configENS1_25partition_config_selectorILNS1_17partition_subalgoE6EsNS0_10empty_typeEbEEZZNS1_14partition_implILS5_6ELb0ES3_mN6thrust23THRUST_200600_302600_NS6detail15normal_iteratorINSA_10device_ptrIsEEEEPS6_SG_NS0_5tupleIJSF_S6_EEENSH_IJSG_SG_EEES6_PlJ5mod_3IsEEEE10hipError_tPvRmT3_T4_T5_T6_T7_T9_mT8_P12ihipStream_tbDpT10_ENKUlT_T0_E_clISt17integral_constantIbLb1EES15_IbLb0EEEEDaS11_S12_EUlS11_E_NS1_11comp_targetILNS1_3genE0ELNS1_11target_archE4294967295ELNS1_3gpuE0ELNS1_3repE0EEENS1_30default_config_static_selectorELNS0_4arch9wavefront6targetE0EEEvT1_,comdat
.Lfunc_end632:
	.size	_ZN7rocprim17ROCPRIM_400000_NS6detail17trampoline_kernelINS0_14default_configENS1_25partition_config_selectorILNS1_17partition_subalgoE6EsNS0_10empty_typeEbEEZZNS1_14partition_implILS5_6ELb0ES3_mN6thrust23THRUST_200600_302600_NS6detail15normal_iteratorINSA_10device_ptrIsEEEEPS6_SG_NS0_5tupleIJSF_S6_EEENSH_IJSG_SG_EEES6_PlJ5mod_3IsEEEE10hipError_tPvRmT3_T4_T5_T6_T7_T9_mT8_P12ihipStream_tbDpT10_ENKUlT_T0_E_clISt17integral_constantIbLb1EES15_IbLb0EEEEDaS11_S12_EUlS11_E_NS1_11comp_targetILNS1_3genE0ELNS1_11target_archE4294967295ELNS1_3gpuE0ELNS1_3repE0EEENS1_30default_config_static_selectorELNS0_4arch9wavefront6targetE0EEEvT1_, .Lfunc_end632-_ZN7rocprim17ROCPRIM_400000_NS6detail17trampoline_kernelINS0_14default_configENS1_25partition_config_selectorILNS1_17partition_subalgoE6EsNS0_10empty_typeEbEEZZNS1_14partition_implILS5_6ELb0ES3_mN6thrust23THRUST_200600_302600_NS6detail15normal_iteratorINSA_10device_ptrIsEEEEPS6_SG_NS0_5tupleIJSF_S6_EEENSH_IJSG_SG_EEES6_PlJ5mod_3IsEEEE10hipError_tPvRmT3_T4_T5_T6_T7_T9_mT8_P12ihipStream_tbDpT10_ENKUlT_T0_E_clISt17integral_constantIbLb1EES15_IbLb0EEEEDaS11_S12_EUlS11_E_NS1_11comp_targetILNS1_3genE0ELNS1_11target_archE4294967295ELNS1_3gpuE0ELNS1_3repE0EEENS1_30default_config_static_selectorELNS0_4arch9wavefront6targetE0EEEvT1_
                                        ; -- End function
	.section	.AMDGPU.csdata,"",@progbits
; Kernel info:
; codeLenInByte = 0
; NumSgprs: 0
; NumVgprs: 0
; ScratchSize: 0
; MemoryBound: 0
; FloatMode: 240
; IeeeMode: 1
; LDSByteSize: 0 bytes/workgroup (compile time only)
; SGPRBlocks: 0
; VGPRBlocks: 0
; NumSGPRsForWavesPerEU: 1
; NumVGPRsForWavesPerEU: 1
; Occupancy: 16
; WaveLimiterHint : 0
; COMPUTE_PGM_RSRC2:SCRATCH_EN: 0
; COMPUTE_PGM_RSRC2:USER_SGPR: 15
; COMPUTE_PGM_RSRC2:TRAP_HANDLER: 0
; COMPUTE_PGM_RSRC2:TGID_X_EN: 1
; COMPUTE_PGM_RSRC2:TGID_Y_EN: 0
; COMPUTE_PGM_RSRC2:TGID_Z_EN: 0
; COMPUTE_PGM_RSRC2:TIDIG_COMP_CNT: 0
	.section	.text._ZN7rocprim17ROCPRIM_400000_NS6detail17trampoline_kernelINS0_14default_configENS1_25partition_config_selectorILNS1_17partition_subalgoE6EsNS0_10empty_typeEbEEZZNS1_14partition_implILS5_6ELb0ES3_mN6thrust23THRUST_200600_302600_NS6detail15normal_iteratorINSA_10device_ptrIsEEEEPS6_SG_NS0_5tupleIJSF_S6_EEENSH_IJSG_SG_EEES6_PlJ5mod_3IsEEEE10hipError_tPvRmT3_T4_T5_T6_T7_T9_mT8_P12ihipStream_tbDpT10_ENKUlT_T0_E_clISt17integral_constantIbLb1EES15_IbLb0EEEEDaS11_S12_EUlS11_E_NS1_11comp_targetILNS1_3genE5ELNS1_11target_archE942ELNS1_3gpuE9ELNS1_3repE0EEENS1_30default_config_static_selectorELNS0_4arch9wavefront6targetE0EEEvT1_,"axG",@progbits,_ZN7rocprim17ROCPRIM_400000_NS6detail17trampoline_kernelINS0_14default_configENS1_25partition_config_selectorILNS1_17partition_subalgoE6EsNS0_10empty_typeEbEEZZNS1_14partition_implILS5_6ELb0ES3_mN6thrust23THRUST_200600_302600_NS6detail15normal_iteratorINSA_10device_ptrIsEEEEPS6_SG_NS0_5tupleIJSF_S6_EEENSH_IJSG_SG_EEES6_PlJ5mod_3IsEEEE10hipError_tPvRmT3_T4_T5_T6_T7_T9_mT8_P12ihipStream_tbDpT10_ENKUlT_T0_E_clISt17integral_constantIbLb1EES15_IbLb0EEEEDaS11_S12_EUlS11_E_NS1_11comp_targetILNS1_3genE5ELNS1_11target_archE942ELNS1_3gpuE9ELNS1_3repE0EEENS1_30default_config_static_selectorELNS0_4arch9wavefront6targetE0EEEvT1_,comdat
	.protected	_ZN7rocprim17ROCPRIM_400000_NS6detail17trampoline_kernelINS0_14default_configENS1_25partition_config_selectorILNS1_17partition_subalgoE6EsNS0_10empty_typeEbEEZZNS1_14partition_implILS5_6ELb0ES3_mN6thrust23THRUST_200600_302600_NS6detail15normal_iteratorINSA_10device_ptrIsEEEEPS6_SG_NS0_5tupleIJSF_S6_EEENSH_IJSG_SG_EEES6_PlJ5mod_3IsEEEE10hipError_tPvRmT3_T4_T5_T6_T7_T9_mT8_P12ihipStream_tbDpT10_ENKUlT_T0_E_clISt17integral_constantIbLb1EES15_IbLb0EEEEDaS11_S12_EUlS11_E_NS1_11comp_targetILNS1_3genE5ELNS1_11target_archE942ELNS1_3gpuE9ELNS1_3repE0EEENS1_30default_config_static_selectorELNS0_4arch9wavefront6targetE0EEEvT1_ ; -- Begin function _ZN7rocprim17ROCPRIM_400000_NS6detail17trampoline_kernelINS0_14default_configENS1_25partition_config_selectorILNS1_17partition_subalgoE6EsNS0_10empty_typeEbEEZZNS1_14partition_implILS5_6ELb0ES3_mN6thrust23THRUST_200600_302600_NS6detail15normal_iteratorINSA_10device_ptrIsEEEEPS6_SG_NS0_5tupleIJSF_S6_EEENSH_IJSG_SG_EEES6_PlJ5mod_3IsEEEE10hipError_tPvRmT3_T4_T5_T6_T7_T9_mT8_P12ihipStream_tbDpT10_ENKUlT_T0_E_clISt17integral_constantIbLb1EES15_IbLb0EEEEDaS11_S12_EUlS11_E_NS1_11comp_targetILNS1_3genE5ELNS1_11target_archE942ELNS1_3gpuE9ELNS1_3repE0EEENS1_30default_config_static_selectorELNS0_4arch9wavefront6targetE0EEEvT1_
	.globl	_ZN7rocprim17ROCPRIM_400000_NS6detail17trampoline_kernelINS0_14default_configENS1_25partition_config_selectorILNS1_17partition_subalgoE6EsNS0_10empty_typeEbEEZZNS1_14partition_implILS5_6ELb0ES3_mN6thrust23THRUST_200600_302600_NS6detail15normal_iteratorINSA_10device_ptrIsEEEEPS6_SG_NS0_5tupleIJSF_S6_EEENSH_IJSG_SG_EEES6_PlJ5mod_3IsEEEE10hipError_tPvRmT3_T4_T5_T6_T7_T9_mT8_P12ihipStream_tbDpT10_ENKUlT_T0_E_clISt17integral_constantIbLb1EES15_IbLb0EEEEDaS11_S12_EUlS11_E_NS1_11comp_targetILNS1_3genE5ELNS1_11target_archE942ELNS1_3gpuE9ELNS1_3repE0EEENS1_30default_config_static_selectorELNS0_4arch9wavefront6targetE0EEEvT1_
	.p2align	8
	.type	_ZN7rocprim17ROCPRIM_400000_NS6detail17trampoline_kernelINS0_14default_configENS1_25partition_config_selectorILNS1_17partition_subalgoE6EsNS0_10empty_typeEbEEZZNS1_14partition_implILS5_6ELb0ES3_mN6thrust23THRUST_200600_302600_NS6detail15normal_iteratorINSA_10device_ptrIsEEEEPS6_SG_NS0_5tupleIJSF_S6_EEENSH_IJSG_SG_EEES6_PlJ5mod_3IsEEEE10hipError_tPvRmT3_T4_T5_T6_T7_T9_mT8_P12ihipStream_tbDpT10_ENKUlT_T0_E_clISt17integral_constantIbLb1EES15_IbLb0EEEEDaS11_S12_EUlS11_E_NS1_11comp_targetILNS1_3genE5ELNS1_11target_archE942ELNS1_3gpuE9ELNS1_3repE0EEENS1_30default_config_static_selectorELNS0_4arch9wavefront6targetE0EEEvT1_,@function
_ZN7rocprim17ROCPRIM_400000_NS6detail17trampoline_kernelINS0_14default_configENS1_25partition_config_selectorILNS1_17partition_subalgoE6EsNS0_10empty_typeEbEEZZNS1_14partition_implILS5_6ELb0ES3_mN6thrust23THRUST_200600_302600_NS6detail15normal_iteratorINSA_10device_ptrIsEEEEPS6_SG_NS0_5tupleIJSF_S6_EEENSH_IJSG_SG_EEES6_PlJ5mod_3IsEEEE10hipError_tPvRmT3_T4_T5_T6_T7_T9_mT8_P12ihipStream_tbDpT10_ENKUlT_T0_E_clISt17integral_constantIbLb1EES15_IbLb0EEEEDaS11_S12_EUlS11_E_NS1_11comp_targetILNS1_3genE5ELNS1_11target_archE942ELNS1_3gpuE9ELNS1_3repE0EEENS1_30default_config_static_selectorELNS0_4arch9wavefront6targetE0EEEvT1_: ; @_ZN7rocprim17ROCPRIM_400000_NS6detail17trampoline_kernelINS0_14default_configENS1_25partition_config_selectorILNS1_17partition_subalgoE6EsNS0_10empty_typeEbEEZZNS1_14partition_implILS5_6ELb0ES3_mN6thrust23THRUST_200600_302600_NS6detail15normal_iteratorINSA_10device_ptrIsEEEEPS6_SG_NS0_5tupleIJSF_S6_EEENSH_IJSG_SG_EEES6_PlJ5mod_3IsEEEE10hipError_tPvRmT3_T4_T5_T6_T7_T9_mT8_P12ihipStream_tbDpT10_ENKUlT_T0_E_clISt17integral_constantIbLb1EES15_IbLb0EEEEDaS11_S12_EUlS11_E_NS1_11comp_targetILNS1_3genE5ELNS1_11target_archE942ELNS1_3gpuE9ELNS1_3repE0EEENS1_30default_config_static_selectorELNS0_4arch9wavefront6targetE0EEEvT1_
; %bb.0:
	.section	.rodata,"a",@progbits
	.p2align	6, 0x0
	.amdhsa_kernel _ZN7rocprim17ROCPRIM_400000_NS6detail17trampoline_kernelINS0_14default_configENS1_25partition_config_selectorILNS1_17partition_subalgoE6EsNS0_10empty_typeEbEEZZNS1_14partition_implILS5_6ELb0ES3_mN6thrust23THRUST_200600_302600_NS6detail15normal_iteratorINSA_10device_ptrIsEEEEPS6_SG_NS0_5tupleIJSF_S6_EEENSH_IJSG_SG_EEES6_PlJ5mod_3IsEEEE10hipError_tPvRmT3_T4_T5_T6_T7_T9_mT8_P12ihipStream_tbDpT10_ENKUlT_T0_E_clISt17integral_constantIbLb1EES15_IbLb0EEEEDaS11_S12_EUlS11_E_NS1_11comp_targetILNS1_3genE5ELNS1_11target_archE942ELNS1_3gpuE9ELNS1_3repE0EEENS1_30default_config_static_selectorELNS0_4arch9wavefront6targetE0EEEvT1_
		.amdhsa_group_segment_fixed_size 0
		.amdhsa_private_segment_fixed_size 0
		.amdhsa_kernarg_size 112
		.amdhsa_user_sgpr_count 15
		.amdhsa_user_sgpr_dispatch_ptr 0
		.amdhsa_user_sgpr_queue_ptr 0
		.amdhsa_user_sgpr_kernarg_segment_ptr 1
		.amdhsa_user_sgpr_dispatch_id 0
		.amdhsa_user_sgpr_private_segment_size 0
		.amdhsa_wavefront_size32 1
		.amdhsa_uses_dynamic_stack 0
		.amdhsa_enable_private_segment 0
		.amdhsa_system_sgpr_workgroup_id_x 1
		.amdhsa_system_sgpr_workgroup_id_y 0
		.amdhsa_system_sgpr_workgroup_id_z 0
		.amdhsa_system_sgpr_workgroup_info 0
		.amdhsa_system_vgpr_workitem_id 0
		.amdhsa_next_free_vgpr 1
		.amdhsa_next_free_sgpr 1
		.amdhsa_reserve_vcc 0
		.amdhsa_float_round_mode_32 0
		.amdhsa_float_round_mode_16_64 0
		.amdhsa_float_denorm_mode_32 3
		.amdhsa_float_denorm_mode_16_64 3
		.amdhsa_dx10_clamp 1
		.amdhsa_ieee_mode 1
		.amdhsa_fp16_overflow 0
		.amdhsa_workgroup_processor_mode 1
		.amdhsa_memory_ordered 1
		.amdhsa_forward_progress 0
		.amdhsa_shared_vgpr_count 0
		.amdhsa_exception_fp_ieee_invalid_op 0
		.amdhsa_exception_fp_denorm_src 0
		.amdhsa_exception_fp_ieee_div_zero 0
		.amdhsa_exception_fp_ieee_overflow 0
		.amdhsa_exception_fp_ieee_underflow 0
		.amdhsa_exception_fp_ieee_inexact 0
		.amdhsa_exception_int_div_zero 0
	.end_amdhsa_kernel
	.section	.text._ZN7rocprim17ROCPRIM_400000_NS6detail17trampoline_kernelINS0_14default_configENS1_25partition_config_selectorILNS1_17partition_subalgoE6EsNS0_10empty_typeEbEEZZNS1_14partition_implILS5_6ELb0ES3_mN6thrust23THRUST_200600_302600_NS6detail15normal_iteratorINSA_10device_ptrIsEEEEPS6_SG_NS0_5tupleIJSF_S6_EEENSH_IJSG_SG_EEES6_PlJ5mod_3IsEEEE10hipError_tPvRmT3_T4_T5_T6_T7_T9_mT8_P12ihipStream_tbDpT10_ENKUlT_T0_E_clISt17integral_constantIbLb1EES15_IbLb0EEEEDaS11_S12_EUlS11_E_NS1_11comp_targetILNS1_3genE5ELNS1_11target_archE942ELNS1_3gpuE9ELNS1_3repE0EEENS1_30default_config_static_selectorELNS0_4arch9wavefront6targetE0EEEvT1_,"axG",@progbits,_ZN7rocprim17ROCPRIM_400000_NS6detail17trampoline_kernelINS0_14default_configENS1_25partition_config_selectorILNS1_17partition_subalgoE6EsNS0_10empty_typeEbEEZZNS1_14partition_implILS5_6ELb0ES3_mN6thrust23THRUST_200600_302600_NS6detail15normal_iteratorINSA_10device_ptrIsEEEEPS6_SG_NS0_5tupleIJSF_S6_EEENSH_IJSG_SG_EEES6_PlJ5mod_3IsEEEE10hipError_tPvRmT3_T4_T5_T6_T7_T9_mT8_P12ihipStream_tbDpT10_ENKUlT_T0_E_clISt17integral_constantIbLb1EES15_IbLb0EEEEDaS11_S12_EUlS11_E_NS1_11comp_targetILNS1_3genE5ELNS1_11target_archE942ELNS1_3gpuE9ELNS1_3repE0EEENS1_30default_config_static_selectorELNS0_4arch9wavefront6targetE0EEEvT1_,comdat
.Lfunc_end633:
	.size	_ZN7rocprim17ROCPRIM_400000_NS6detail17trampoline_kernelINS0_14default_configENS1_25partition_config_selectorILNS1_17partition_subalgoE6EsNS0_10empty_typeEbEEZZNS1_14partition_implILS5_6ELb0ES3_mN6thrust23THRUST_200600_302600_NS6detail15normal_iteratorINSA_10device_ptrIsEEEEPS6_SG_NS0_5tupleIJSF_S6_EEENSH_IJSG_SG_EEES6_PlJ5mod_3IsEEEE10hipError_tPvRmT3_T4_T5_T6_T7_T9_mT8_P12ihipStream_tbDpT10_ENKUlT_T0_E_clISt17integral_constantIbLb1EES15_IbLb0EEEEDaS11_S12_EUlS11_E_NS1_11comp_targetILNS1_3genE5ELNS1_11target_archE942ELNS1_3gpuE9ELNS1_3repE0EEENS1_30default_config_static_selectorELNS0_4arch9wavefront6targetE0EEEvT1_, .Lfunc_end633-_ZN7rocprim17ROCPRIM_400000_NS6detail17trampoline_kernelINS0_14default_configENS1_25partition_config_selectorILNS1_17partition_subalgoE6EsNS0_10empty_typeEbEEZZNS1_14partition_implILS5_6ELb0ES3_mN6thrust23THRUST_200600_302600_NS6detail15normal_iteratorINSA_10device_ptrIsEEEEPS6_SG_NS0_5tupleIJSF_S6_EEENSH_IJSG_SG_EEES6_PlJ5mod_3IsEEEE10hipError_tPvRmT3_T4_T5_T6_T7_T9_mT8_P12ihipStream_tbDpT10_ENKUlT_T0_E_clISt17integral_constantIbLb1EES15_IbLb0EEEEDaS11_S12_EUlS11_E_NS1_11comp_targetILNS1_3genE5ELNS1_11target_archE942ELNS1_3gpuE9ELNS1_3repE0EEENS1_30default_config_static_selectorELNS0_4arch9wavefront6targetE0EEEvT1_
                                        ; -- End function
	.section	.AMDGPU.csdata,"",@progbits
; Kernel info:
; codeLenInByte = 0
; NumSgprs: 0
; NumVgprs: 0
; ScratchSize: 0
; MemoryBound: 0
; FloatMode: 240
; IeeeMode: 1
; LDSByteSize: 0 bytes/workgroup (compile time only)
; SGPRBlocks: 0
; VGPRBlocks: 0
; NumSGPRsForWavesPerEU: 1
; NumVGPRsForWavesPerEU: 1
; Occupancy: 16
; WaveLimiterHint : 0
; COMPUTE_PGM_RSRC2:SCRATCH_EN: 0
; COMPUTE_PGM_RSRC2:USER_SGPR: 15
; COMPUTE_PGM_RSRC2:TRAP_HANDLER: 0
; COMPUTE_PGM_RSRC2:TGID_X_EN: 1
; COMPUTE_PGM_RSRC2:TGID_Y_EN: 0
; COMPUTE_PGM_RSRC2:TGID_Z_EN: 0
; COMPUTE_PGM_RSRC2:TIDIG_COMP_CNT: 0
	.section	.text._ZN7rocprim17ROCPRIM_400000_NS6detail17trampoline_kernelINS0_14default_configENS1_25partition_config_selectorILNS1_17partition_subalgoE6EsNS0_10empty_typeEbEEZZNS1_14partition_implILS5_6ELb0ES3_mN6thrust23THRUST_200600_302600_NS6detail15normal_iteratorINSA_10device_ptrIsEEEEPS6_SG_NS0_5tupleIJSF_S6_EEENSH_IJSG_SG_EEES6_PlJ5mod_3IsEEEE10hipError_tPvRmT3_T4_T5_T6_T7_T9_mT8_P12ihipStream_tbDpT10_ENKUlT_T0_E_clISt17integral_constantIbLb1EES15_IbLb0EEEEDaS11_S12_EUlS11_E_NS1_11comp_targetILNS1_3genE4ELNS1_11target_archE910ELNS1_3gpuE8ELNS1_3repE0EEENS1_30default_config_static_selectorELNS0_4arch9wavefront6targetE0EEEvT1_,"axG",@progbits,_ZN7rocprim17ROCPRIM_400000_NS6detail17trampoline_kernelINS0_14default_configENS1_25partition_config_selectorILNS1_17partition_subalgoE6EsNS0_10empty_typeEbEEZZNS1_14partition_implILS5_6ELb0ES3_mN6thrust23THRUST_200600_302600_NS6detail15normal_iteratorINSA_10device_ptrIsEEEEPS6_SG_NS0_5tupleIJSF_S6_EEENSH_IJSG_SG_EEES6_PlJ5mod_3IsEEEE10hipError_tPvRmT3_T4_T5_T6_T7_T9_mT8_P12ihipStream_tbDpT10_ENKUlT_T0_E_clISt17integral_constantIbLb1EES15_IbLb0EEEEDaS11_S12_EUlS11_E_NS1_11comp_targetILNS1_3genE4ELNS1_11target_archE910ELNS1_3gpuE8ELNS1_3repE0EEENS1_30default_config_static_selectorELNS0_4arch9wavefront6targetE0EEEvT1_,comdat
	.protected	_ZN7rocprim17ROCPRIM_400000_NS6detail17trampoline_kernelINS0_14default_configENS1_25partition_config_selectorILNS1_17partition_subalgoE6EsNS0_10empty_typeEbEEZZNS1_14partition_implILS5_6ELb0ES3_mN6thrust23THRUST_200600_302600_NS6detail15normal_iteratorINSA_10device_ptrIsEEEEPS6_SG_NS0_5tupleIJSF_S6_EEENSH_IJSG_SG_EEES6_PlJ5mod_3IsEEEE10hipError_tPvRmT3_T4_T5_T6_T7_T9_mT8_P12ihipStream_tbDpT10_ENKUlT_T0_E_clISt17integral_constantIbLb1EES15_IbLb0EEEEDaS11_S12_EUlS11_E_NS1_11comp_targetILNS1_3genE4ELNS1_11target_archE910ELNS1_3gpuE8ELNS1_3repE0EEENS1_30default_config_static_selectorELNS0_4arch9wavefront6targetE0EEEvT1_ ; -- Begin function _ZN7rocprim17ROCPRIM_400000_NS6detail17trampoline_kernelINS0_14default_configENS1_25partition_config_selectorILNS1_17partition_subalgoE6EsNS0_10empty_typeEbEEZZNS1_14partition_implILS5_6ELb0ES3_mN6thrust23THRUST_200600_302600_NS6detail15normal_iteratorINSA_10device_ptrIsEEEEPS6_SG_NS0_5tupleIJSF_S6_EEENSH_IJSG_SG_EEES6_PlJ5mod_3IsEEEE10hipError_tPvRmT3_T4_T5_T6_T7_T9_mT8_P12ihipStream_tbDpT10_ENKUlT_T0_E_clISt17integral_constantIbLb1EES15_IbLb0EEEEDaS11_S12_EUlS11_E_NS1_11comp_targetILNS1_3genE4ELNS1_11target_archE910ELNS1_3gpuE8ELNS1_3repE0EEENS1_30default_config_static_selectorELNS0_4arch9wavefront6targetE0EEEvT1_
	.globl	_ZN7rocprim17ROCPRIM_400000_NS6detail17trampoline_kernelINS0_14default_configENS1_25partition_config_selectorILNS1_17partition_subalgoE6EsNS0_10empty_typeEbEEZZNS1_14partition_implILS5_6ELb0ES3_mN6thrust23THRUST_200600_302600_NS6detail15normal_iteratorINSA_10device_ptrIsEEEEPS6_SG_NS0_5tupleIJSF_S6_EEENSH_IJSG_SG_EEES6_PlJ5mod_3IsEEEE10hipError_tPvRmT3_T4_T5_T6_T7_T9_mT8_P12ihipStream_tbDpT10_ENKUlT_T0_E_clISt17integral_constantIbLb1EES15_IbLb0EEEEDaS11_S12_EUlS11_E_NS1_11comp_targetILNS1_3genE4ELNS1_11target_archE910ELNS1_3gpuE8ELNS1_3repE0EEENS1_30default_config_static_selectorELNS0_4arch9wavefront6targetE0EEEvT1_
	.p2align	8
	.type	_ZN7rocprim17ROCPRIM_400000_NS6detail17trampoline_kernelINS0_14default_configENS1_25partition_config_selectorILNS1_17partition_subalgoE6EsNS0_10empty_typeEbEEZZNS1_14partition_implILS5_6ELb0ES3_mN6thrust23THRUST_200600_302600_NS6detail15normal_iteratorINSA_10device_ptrIsEEEEPS6_SG_NS0_5tupleIJSF_S6_EEENSH_IJSG_SG_EEES6_PlJ5mod_3IsEEEE10hipError_tPvRmT3_T4_T5_T6_T7_T9_mT8_P12ihipStream_tbDpT10_ENKUlT_T0_E_clISt17integral_constantIbLb1EES15_IbLb0EEEEDaS11_S12_EUlS11_E_NS1_11comp_targetILNS1_3genE4ELNS1_11target_archE910ELNS1_3gpuE8ELNS1_3repE0EEENS1_30default_config_static_selectorELNS0_4arch9wavefront6targetE0EEEvT1_,@function
_ZN7rocprim17ROCPRIM_400000_NS6detail17trampoline_kernelINS0_14default_configENS1_25partition_config_selectorILNS1_17partition_subalgoE6EsNS0_10empty_typeEbEEZZNS1_14partition_implILS5_6ELb0ES3_mN6thrust23THRUST_200600_302600_NS6detail15normal_iteratorINSA_10device_ptrIsEEEEPS6_SG_NS0_5tupleIJSF_S6_EEENSH_IJSG_SG_EEES6_PlJ5mod_3IsEEEE10hipError_tPvRmT3_T4_T5_T6_T7_T9_mT8_P12ihipStream_tbDpT10_ENKUlT_T0_E_clISt17integral_constantIbLb1EES15_IbLb0EEEEDaS11_S12_EUlS11_E_NS1_11comp_targetILNS1_3genE4ELNS1_11target_archE910ELNS1_3gpuE8ELNS1_3repE0EEENS1_30default_config_static_selectorELNS0_4arch9wavefront6targetE0EEEvT1_: ; @_ZN7rocprim17ROCPRIM_400000_NS6detail17trampoline_kernelINS0_14default_configENS1_25partition_config_selectorILNS1_17partition_subalgoE6EsNS0_10empty_typeEbEEZZNS1_14partition_implILS5_6ELb0ES3_mN6thrust23THRUST_200600_302600_NS6detail15normal_iteratorINSA_10device_ptrIsEEEEPS6_SG_NS0_5tupleIJSF_S6_EEENSH_IJSG_SG_EEES6_PlJ5mod_3IsEEEE10hipError_tPvRmT3_T4_T5_T6_T7_T9_mT8_P12ihipStream_tbDpT10_ENKUlT_T0_E_clISt17integral_constantIbLb1EES15_IbLb0EEEEDaS11_S12_EUlS11_E_NS1_11comp_targetILNS1_3genE4ELNS1_11target_archE910ELNS1_3gpuE8ELNS1_3repE0EEENS1_30default_config_static_selectorELNS0_4arch9wavefront6targetE0EEEvT1_
; %bb.0:
	.section	.rodata,"a",@progbits
	.p2align	6, 0x0
	.amdhsa_kernel _ZN7rocprim17ROCPRIM_400000_NS6detail17trampoline_kernelINS0_14default_configENS1_25partition_config_selectorILNS1_17partition_subalgoE6EsNS0_10empty_typeEbEEZZNS1_14partition_implILS5_6ELb0ES3_mN6thrust23THRUST_200600_302600_NS6detail15normal_iteratorINSA_10device_ptrIsEEEEPS6_SG_NS0_5tupleIJSF_S6_EEENSH_IJSG_SG_EEES6_PlJ5mod_3IsEEEE10hipError_tPvRmT3_T4_T5_T6_T7_T9_mT8_P12ihipStream_tbDpT10_ENKUlT_T0_E_clISt17integral_constantIbLb1EES15_IbLb0EEEEDaS11_S12_EUlS11_E_NS1_11comp_targetILNS1_3genE4ELNS1_11target_archE910ELNS1_3gpuE8ELNS1_3repE0EEENS1_30default_config_static_selectorELNS0_4arch9wavefront6targetE0EEEvT1_
		.amdhsa_group_segment_fixed_size 0
		.amdhsa_private_segment_fixed_size 0
		.amdhsa_kernarg_size 112
		.amdhsa_user_sgpr_count 15
		.amdhsa_user_sgpr_dispatch_ptr 0
		.amdhsa_user_sgpr_queue_ptr 0
		.amdhsa_user_sgpr_kernarg_segment_ptr 1
		.amdhsa_user_sgpr_dispatch_id 0
		.amdhsa_user_sgpr_private_segment_size 0
		.amdhsa_wavefront_size32 1
		.amdhsa_uses_dynamic_stack 0
		.amdhsa_enable_private_segment 0
		.amdhsa_system_sgpr_workgroup_id_x 1
		.amdhsa_system_sgpr_workgroup_id_y 0
		.amdhsa_system_sgpr_workgroup_id_z 0
		.amdhsa_system_sgpr_workgroup_info 0
		.amdhsa_system_vgpr_workitem_id 0
		.amdhsa_next_free_vgpr 1
		.amdhsa_next_free_sgpr 1
		.amdhsa_reserve_vcc 0
		.amdhsa_float_round_mode_32 0
		.amdhsa_float_round_mode_16_64 0
		.amdhsa_float_denorm_mode_32 3
		.amdhsa_float_denorm_mode_16_64 3
		.amdhsa_dx10_clamp 1
		.amdhsa_ieee_mode 1
		.amdhsa_fp16_overflow 0
		.amdhsa_workgroup_processor_mode 1
		.amdhsa_memory_ordered 1
		.amdhsa_forward_progress 0
		.amdhsa_shared_vgpr_count 0
		.amdhsa_exception_fp_ieee_invalid_op 0
		.amdhsa_exception_fp_denorm_src 0
		.amdhsa_exception_fp_ieee_div_zero 0
		.amdhsa_exception_fp_ieee_overflow 0
		.amdhsa_exception_fp_ieee_underflow 0
		.amdhsa_exception_fp_ieee_inexact 0
		.amdhsa_exception_int_div_zero 0
	.end_amdhsa_kernel
	.section	.text._ZN7rocprim17ROCPRIM_400000_NS6detail17trampoline_kernelINS0_14default_configENS1_25partition_config_selectorILNS1_17partition_subalgoE6EsNS0_10empty_typeEbEEZZNS1_14partition_implILS5_6ELb0ES3_mN6thrust23THRUST_200600_302600_NS6detail15normal_iteratorINSA_10device_ptrIsEEEEPS6_SG_NS0_5tupleIJSF_S6_EEENSH_IJSG_SG_EEES6_PlJ5mod_3IsEEEE10hipError_tPvRmT3_T4_T5_T6_T7_T9_mT8_P12ihipStream_tbDpT10_ENKUlT_T0_E_clISt17integral_constantIbLb1EES15_IbLb0EEEEDaS11_S12_EUlS11_E_NS1_11comp_targetILNS1_3genE4ELNS1_11target_archE910ELNS1_3gpuE8ELNS1_3repE0EEENS1_30default_config_static_selectorELNS0_4arch9wavefront6targetE0EEEvT1_,"axG",@progbits,_ZN7rocprim17ROCPRIM_400000_NS6detail17trampoline_kernelINS0_14default_configENS1_25partition_config_selectorILNS1_17partition_subalgoE6EsNS0_10empty_typeEbEEZZNS1_14partition_implILS5_6ELb0ES3_mN6thrust23THRUST_200600_302600_NS6detail15normal_iteratorINSA_10device_ptrIsEEEEPS6_SG_NS0_5tupleIJSF_S6_EEENSH_IJSG_SG_EEES6_PlJ5mod_3IsEEEE10hipError_tPvRmT3_T4_T5_T6_T7_T9_mT8_P12ihipStream_tbDpT10_ENKUlT_T0_E_clISt17integral_constantIbLb1EES15_IbLb0EEEEDaS11_S12_EUlS11_E_NS1_11comp_targetILNS1_3genE4ELNS1_11target_archE910ELNS1_3gpuE8ELNS1_3repE0EEENS1_30default_config_static_selectorELNS0_4arch9wavefront6targetE0EEEvT1_,comdat
.Lfunc_end634:
	.size	_ZN7rocprim17ROCPRIM_400000_NS6detail17trampoline_kernelINS0_14default_configENS1_25partition_config_selectorILNS1_17partition_subalgoE6EsNS0_10empty_typeEbEEZZNS1_14partition_implILS5_6ELb0ES3_mN6thrust23THRUST_200600_302600_NS6detail15normal_iteratorINSA_10device_ptrIsEEEEPS6_SG_NS0_5tupleIJSF_S6_EEENSH_IJSG_SG_EEES6_PlJ5mod_3IsEEEE10hipError_tPvRmT3_T4_T5_T6_T7_T9_mT8_P12ihipStream_tbDpT10_ENKUlT_T0_E_clISt17integral_constantIbLb1EES15_IbLb0EEEEDaS11_S12_EUlS11_E_NS1_11comp_targetILNS1_3genE4ELNS1_11target_archE910ELNS1_3gpuE8ELNS1_3repE0EEENS1_30default_config_static_selectorELNS0_4arch9wavefront6targetE0EEEvT1_, .Lfunc_end634-_ZN7rocprim17ROCPRIM_400000_NS6detail17trampoline_kernelINS0_14default_configENS1_25partition_config_selectorILNS1_17partition_subalgoE6EsNS0_10empty_typeEbEEZZNS1_14partition_implILS5_6ELb0ES3_mN6thrust23THRUST_200600_302600_NS6detail15normal_iteratorINSA_10device_ptrIsEEEEPS6_SG_NS0_5tupleIJSF_S6_EEENSH_IJSG_SG_EEES6_PlJ5mod_3IsEEEE10hipError_tPvRmT3_T4_T5_T6_T7_T9_mT8_P12ihipStream_tbDpT10_ENKUlT_T0_E_clISt17integral_constantIbLb1EES15_IbLb0EEEEDaS11_S12_EUlS11_E_NS1_11comp_targetILNS1_3genE4ELNS1_11target_archE910ELNS1_3gpuE8ELNS1_3repE0EEENS1_30default_config_static_selectorELNS0_4arch9wavefront6targetE0EEEvT1_
                                        ; -- End function
	.section	.AMDGPU.csdata,"",@progbits
; Kernel info:
; codeLenInByte = 0
; NumSgprs: 0
; NumVgprs: 0
; ScratchSize: 0
; MemoryBound: 0
; FloatMode: 240
; IeeeMode: 1
; LDSByteSize: 0 bytes/workgroup (compile time only)
; SGPRBlocks: 0
; VGPRBlocks: 0
; NumSGPRsForWavesPerEU: 1
; NumVGPRsForWavesPerEU: 1
; Occupancy: 16
; WaveLimiterHint : 0
; COMPUTE_PGM_RSRC2:SCRATCH_EN: 0
; COMPUTE_PGM_RSRC2:USER_SGPR: 15
; COMPUTE_PGM_RSRC2:TRAP_HANDLER: 0
; COMPUTE_PGM_RSRC2:TGID_X_EN: 1
; COMPUTE_PGM_RSRC2:TGID_Y_EN: 0
; COMPUTE_PGM_RSRC2:TGID_Z_EN: 0
; COMPUTE_PGM_RSRC2:TIDIG_COMP_CNT: 0
	.section	.text._ZN7rocprim17ROCPRIM_400000_NS6detail17trampoline_kernelINS0_14default_configENS1_25partition_config_selectorILNS1_17partition_subalgoE6EsNS0_10empty_typeEbEEZZNS1_14partition_implILS5_6ELb0ES3_mN6thrust23THRUST_200600_302600_NS6detail15normal_iteratorINSA_10device_ptrIsEEEEPS6_SG_NS0_5tupleIJSF_S6_EEENSH_IJSG_SG_EEES6_PlJ5mod_3IsEEEE10hipError_tPvRmT3_T4_T5_T6_T7_T9_mT8_P12ihipStream_tbDpT10_ENKUlT_T0_E_clISt17integral_constantIbLb1EES15_IbLb0EEEEDaS11_S12_EUlS11_E_NS1_11comp_targetILNS1_3genE3ELNS1_11target_archE908ELNS1_3gpuE7ELNS1_3repE0EEENS1_30default_config_static_selectorELNS0_4arch9wavefront6targetE0EEEvT1_,"axG",@progbits,_ZN7rocprim17ROCPRIM_400000_NS6detail17trampoline_kernelINS0_14default_configENS1_25partition_config_selectorILNS1_17partition_subalgoE6EsNS0_10empty_typeEbEEZZNS1_14partition_implILS5_6ELb0ES3_mN6thrust23THRUST_200600_302600_NS6detail15normal_iteratorINSA_10device_ptrIsEEEEPS6_SG_NS0_5tupleIJSF_S6_EEENSH_IJSG_SG_EEES6_PlJ5mod_3IsEEEE10hipError_tPvRmT3_T4_T5_T6_T7_T9_mT8_P12ihipStream_tbDpT10_ENKUlT_T0_E_clISt17integral_constantIbLb1EES15_IbLb0EEEEDaS11_S12_EUlS11_E_NS1_11comp_targetILNS1_3genE3ELNS1_11target_archE908ELNS1_3gpuE7ELNS1_3repE0EEENS1_30default_config_static_selectorELNS0_4arch9wavefront6targetE0EEEvT1_,comdat
	.protected	_ZN7rocprim17ROCPRIM_400000_NS6detail17trampoline_kernelINS0_14default_configENS1_25partition_config_selectorILNS1_17partition_subalgoE6EsNS0_10empty_typeEbEEZZNS1_14partition_implILS5_6ELb0ES3_mN6thrust23THRUST_200600_302600_NS6detail15normal_iteratorINSA_10device_ptrIsEEEEPS6_SG_NS0_5tupleIJSF_S6_EEENSH_IJSG_SG_EEES6_PlJ5mod_3IsEEEE10hipError_tPvRmT3_T4_T5_T6_T7_T9_mT8_P12ihipStream_tbDpT10_ENKUlT_T0_E_clISt17integral_constantIbLb1EES15_IbLb0EEEEDaS11_S12_EUlS11_E_NS1_11comp_targetILNS1_3genE3ELNS1_11target_archE908ELNS1_3gpuE7ELNS1_3repE0EEENS1_30default_config_static_selectorELNS0_4arch9wavefront6targetE0EEEvT1_ ; -- Begin function _ZN7rocprim17ROCPRIM_400000_NS6detail17trampoline_kernelINS0_14default_configENS1_25partition_config_selectorILNS1_17partition_subalgoE6EsNS0_10empty_typeEbEEZZNS1_14partition_implILS5_6ELb0ES3_mN6thrust23THRUST_200600_302600_NS6detail15normal_iteratorINSA_10device_ptrIsEEEEPS6_SG_NS0_5tupleIJSF_S6_EEENSH_IJSG_SG_EEES6_PlJ5mod_3IsEEEE10hipError_tPvRmT3_T4_T5_T6_T7_T9_mT8_P12ihipStream_tbDpT10_ENKUlT_T0_E_clISt17integral_constantIbLb1EES15_IbLb0EEEEDaS11_S12_EUlS11_E_NS1_11comp_targetILNS1_3genE3ELNS1_11target_archE908ELNS1_3gpuE7ELNS1_3repE0EEENS1_30default_config_static_selectorELNS0_4arch9wavefront6targetE0EEEvT1_
	.globl	_ZN7rocprim17ROCPRIM_400000_NS6detail17trampoline_kernelINS0_14default_configENS1_25partition_config_selectorILNS1_17partition_subalgoE6EsNS0_10empty_typeEbEEZZNS1_14partition_implILS5_6ELb0ES3_mN6thrust23THRUST_200600_302600_NS6detail15normal_iteratorINSA_10device_ptrIsEEEEPS6_SG_NS0_5tupleIJSF_S6_EEENSH_IJSG_SG_EEES6_PlJ5mod_3IsEEEE10hipError_tPvRmT3_T4_T5_T6_T7_T9_mT8_P12ihipStream_tbDpT10_ENKUlT_T0_E_clISt17integral_constantIbLb1EES15_IbLb0EEEEDaS11_S12_EUlS11_E_NS1_11comp_targetILNS1_3genE3ELNS1_11target_archE908ELNS1_3gpuE7ELNS1_3repE0EEENS1_30default_config_static_selectorELNS0_4arch9wavefront6targetE0EEEvT1_
	.p2align	8
	.type	_ZN7rocprim17ROCPRIM_400000_NS6detail17trampoline_kernelINS0_14default_configENS1_25partition_config_selectorILNS1_17partition_subalgoE6EsNS0_10empty_typeEbEEZZNS1_14partition_implILS5_6ELb0ES3_mN6thrust23THRUST_200600_302600_NS6detail15normal_iteratorINSA_10device_ptrIsEEEEPS6_SG_NS0_5tupleIJSF_S6_EEENSH_IJSG_SG_EEES6_PlJ5mod_3IsEEEE10hipError_tPvRmT3_T4_T5_T6_T7_T9_mT8_P12ihipStream_tbDpT10_ENKUlT_T0_E_clISt17integral_constantIbLb1EES15_IbLb0EEEEDaS11_S12_EUlS11_E_NS1_11comp_targetILNS1_3genE3ELNS1_11target_archE908ELNS1_3gpuE7ELNS1_3repE0EEENS1_30default_config_static_selectorELNS0_4arch9wavefront6targetE0EEEvT1_,@function
_ZN7rocprim17ROCPRIM_400000_NS6detail17trampoline_kernelINS0_14default_configENS1_25partition_config_selectorILNS1_17partition_subalgoE6EsNS0_10empty_typeEbEEZZNS1_14partition_implILS5_6ELb0ES3_mN6thrust23THRUST_200600_302600_NS6detail15normal_iteratorINSA_10device_ptrIsEEEEPS6_SG_NS0_5tupleIJSF_S6_EEENSH_IJSG_SG_EEES6_PlJ5mod_3IsEEEE10hipError_tPvRmT3_T4_T5_T6_T7_T9_mT8_P12ihipStream_tbDpT10_ENKUlT_T0_E_clISt17integral_constantIbLb1EES15_IbLb0EEEEDaS11_S12_EUlS11_E_NS1_11comp_targetILNS1_3genE3ELNS1_11target_archE908ELNS1_3gpuE7ELNS1_3repE0EEENS1_30default_config_static_selectorELNS0_4arch9wavefront6targetE0EEEvT1_: ; @_ZN7rocprim17ROCPRIM_400000_NS6detail17trampoline_kernelINS0_14default_configENS1_25partition_config_selectorILNS1_17partition_subalgoE6EsNS0_10empty_typeEbEEZZNS1_14partition_implILS5_6ELb0ES3_mN6thrust23THRUST_200600_302600_NS6detail15normal_iteratorINSA_10device_ptrIsEEEEPS6_SG_NS0_5tupleIJSF_S6_EEENSH_IJSG_SG_EEES6_PlJ5mod_3IsEEEE10hipError_tPvRmT3_T4_T5_T6_T7_T9_mT8_P12ihipStream_tbDpT10_ENKUlT_T0_E_clISt17integral_constantIbLb1EES15_IbLb0EEEEDaS11_S12_EUlS11_E_NS1_11comp_targetILNS1_3genE3ELNS1_11target_archE908ELNS1_3gpuE7ELNS1_3repE0EEENS1_30default_config_static_selectorELNS0_4arch9wavefront6targetE0EEEvT1_
; %bb.0:
	.section	.rodata,"a",@progbits
	.p2align	6, 0x0
	.amdhsa_kernel _ZN7rocprim17ROCPRIM_400000_NS6detail17trampoline_kernelINS0_14default_configENS1_25partition_config_selectorILNS1_17partition_subalgoE6EsNS0_10empty_typeEbEEZZNS1_14partition_implILS5_6ELb0ES3_mN6thrust23THRUST_200600_302600_NS6detail15normal_iteratorINSA_10device_ptrIsEEEEPS6_SG_NS0_5tupleIJSF_S6_EEENSH_IJSG_SG_EEES6_PlJ5mod_3IsEEEE10hipError_tPvRmT3_T4_T5_T6_T7_T9_mT8_P12ihipStream_tbDpT10_ENKUlT_T0_E_clISt17integral_constantIbLb1EES15_IbLb0EEEEDaS11_S12_EUlS11_E_NS1_11comp_targetILNS1_3genE3ELNS1_11target_archE908ELNS1_3gpuE7ELNS1_3repE0EEENS1_30default_config_static_selectorELNS0_4arch9wavefront6targetE0EEEvT1_
		.amdhsa_group_segment_fixed_size 0
		.amdhsa_private_segment_fixed_size 0
		.amdhsa_kernarg_size 112
		.amdhsa_user_sgpr_count 15
		.amdhsa_user_sgpr_dispatch_ptr 0
		.amdhsa_user_sgpr_queue_ptr 0
		.amdhsa_user_sgpr_kernarg_segment_ptr 1
		.amdhsa_user_sgpr_dispatch_id 0
		.amdhsa_user_sgpr_private_segment_size 0
		.amdhsa_wavefront_size32 1
		.amdhsa_uses_dynamic_stack 0
		.amdhsa_enable_private_segment 0
		.amdhsa_system_sgpr_workgroup_id_x 1
		.amdhsa_system_sgpr_workgroup_id_y 0
		.amdhsa_system_sgpr_workgroup_id_z 0
		.amdhsa_system_sgpr_workgroup_info 0
		.amdhsa_system_vgpr_workitem_id 0
		.amdhsa_next_free_vgpr 1
		.amdhsa_next_free_sgpr 1
		.amdhsa_reserve_vcc 0
		.amdhsa_float_round_mode_32 0
		.amdhsa_float_round_mode_16_64 0
		.amdhsa_float_denorm_mode_32 3
		.amdhsa_float_denorm_mode_16_64 3
		.amdhsa_dx10_clamp 1
		.amdhsa_ieee_mode 1
		.amdhsa_fp16_overflow 0
		.amdhsa_workgroup_processor_mode 1
		.amdhsa_memory_ordered 1
		.amdhsa_forward_progress 0
		.amdhsa_shared_vgpr_count 0
		.amdhsa_exception_fp_ieee_invalid_op 0
		.amdhsa_exception_fp_denorm_src 0
		.amdhsa_exception_fp_ieee_div_zero 0
		.amdhsa_exception_fp_ieee_overflow 0
		.amdhsa_exception_fp_ieee_underflow 0
		.amdhsa_exception_fp_ieee_inexact 0
		.amdhsa_exception_int_div_zero 0
	.end_amdhsa_kernel
	.section	.text._ZN7rocprim17ROCPRIM_400000_NS6detail17trampoline_kernelINS0_14default_configENS1_25partition_config_selectorILNS1_17partition_subalgoE6EsNS0_10empty_typeEbEEZZNS1_14partition_implILS5_6ELb0ES3_mN6thrust23THRUST_200600_302600_NS6detail15normal_iteratorINSA_10device_ptrIsEEEEPS6_SG_NS0_5tupleIJSF_S6_EEENSH_IJSG_SG_EEES6_PlJ5mod_3IsEEEE10hipError_tPvRmT3_T4_T5_T6_T7_T9_mT8_P12ihipStream_tbDpT10_ENKUlT_T0_E_clISt17integral_constantIbLb1EES15_IbLb0EEEEDaS11_S12_EUlS11_E_NS1_11comp_targetILNS1_3genE3ELNS1_11target_archE908ELNS1_3gpuE7ELNS1_3repE0EEENS1_30default_config_static_selectorELNS0_4arch9wavefront6targetE0EEEvT1_,"axG",@progbits,_ZN7rocprim17ROCPRIM_400000_NS6detail17trampoline_kernelINS0_14default_configENS1_25partition_config_selectorILNS1_17partition_subalgoE6EsNS0_10empty_typeEbEEZZNS1_14partition_implILS5_6ELb0ES3_mN6thrust23THRUST_200600_302600_NS6detail15normal_iteratorINSA_10device_ptrIsEEEEPS6_SG_NS0_5tupleIJSF_S6_EEENSH_IJSG_SG_EEES6_PlJ5mod_3IsEEEE10hipError_tPvRmT3_T4_T5_T6_T7_T9_mT8_P12ihipStream_tbDpT10_ENKUlT_T0_E_clISt17integral_constantIbLb1EES15_IbLb0EEEEDaS11_S12_EUlS11_E_NS1_11comp_targetILNS1_3genE3ELNS1_11target_archE908ELNS1_3gpuE7ELNS1_3repE0EEENS1_30default_config_static_selectorELNS0_4arch9wavefront6targetE0EEEvT1_,comdat
.Lfunc_end635:
	.size	_ZN7rocprim17ROCPRIM_400000_NS6detail17trampoline_kernelINS0_14default_configENS1_25partition_config_selectorILNS1_17partition_subalgoE6EsNS0_10empty_typeEbEEZZNS1_14partition_implILS5_6ELb0ES3_mN6thrust23THRUST_200600_302600_NS6detail15normal_iteratorINSA_10device_ptrIsEEEEPS6_SG_NS0_5tupleIJSF_S6_EEENSH_IJSG_SG_EEES6_PlJ5mod_3IsEEEE10hipError_tPvRmT3_T4_T5_T6_T7_T9_mT8_P12ihipStream_tbDpT10_ENKUlT_T0_E_clISt17integral_constantIbLb1EES15_IbLb0EEEEDaS11_S12_EUlS11_E_NS1_11comp_targetILNS1_3genE3ELNS1_11target_archE908ELNS1_3gpuE7ELNS1_3repE0EEENS1_30default_config_static_selectorELNS0_4arch9wavefront6targetE0EEEvT1_, .Lfunc_end635-_ZN7rocprim17ROCPRIM_400000_NS6detail17trampoline_kernelINS0_14default_configENS1_25partition_config_selectorILNS1_17partition_subalgoE6EsNS0_10empty_typeEbEEZZNS1_14partition_implILS5_6ELb0ES3_mN6thrust23THRUST_200600_302600_NS6detail15normal_iteratorINSA_10device_ptrIsEEEEPS6_SG_NS0_5tupleIJSF_S6_EEENSH_IJSG_SG_EEES6_PlJ5mod_3IsEEEE10hipError_tPvRmT3_T4_T5_T6_T7_T9_mT8_P12ihipStream_tbDpT10_ENKUlT_T0_E_clISt17integral_constantIbLb1EES15_IbLb0EEEEDaS11_S12_EUlS11_E_NS1_11comp_targetILNS1_3genE3ELNS1_11target_archE908ELNS1_3gpuE7ELNS1_3repE0EEENS1_30default_config_static_selectorELNS0_4arch9wavefront6targetE0EEEvT1_
                                        ; -- End function
	.section	.AMDGPU.csdata,"",@progbits
; Kernel info:
; codeLenInByte = 0
; NumSgprs: 0
; NumVgprs: 0
; ScratchSize: 0
; MemoryBound: 0
; FloatMode: 240
; IeeeMode: 1
; LDSByteSize: 0 bytes/workgroup (compile time only)
; SGPRBlocks: 0
; VGPRBlocks: 0
; NumSGPRsForWavesPerEU: 1
; NumVGPRsForWavesPerEU: 1
; Occupancy: 16
; WaveLimiterHint : 0
; COMPUTE_PGM_RSRC2:SCRATCH_EN: 0
; COMPUTE_PGM_RSRC2:USER_SGPR: 15
; COMPUTE_PGM_RSRC2:TRAP_HANDLER: 0
; COMPUTE_PGM_RSRC2:TGID_X_EN: 1
; COMPUTE_PGM_RSRC2:TGID_Y_EN: 0
; COMPUTE_PGM_RSRC2:TGID_Z_EN: 0
; COMPUTE_PGM_RSRC2:TIDIG_COMP_CNT: 0
	.section	.text._ZN7rocprim17ROCPRIM_400000_NS6detail17trampoline_kernelINS0_14default_configENS1_25partition_config_selectorILNS1_17partition_subalgoE6EsNS0_10empty_typeEbEEZZNS1_14partition_implILS5_6ELb0ES3_mN6thrust23THRUST_200600_302600_NS6detail15normal_iteratorINSA_10device_ptrIsEEEEPS6_SG_NS0_5tupleIJSF_S6_EEENSH_IJSG_SG_EEES6_PlJ5mod_3IsEEEE10hipError_tPvRmT3_T4_T5_T6_T7_T9_mT8_P12ihipStream_tbDpT10_ENKUlT_T0_E_clISt17integral_constantIbLb1EES15_IbLb0EEEEDaS11_S12_EUlS11_E_NS1_11comp_targetILNS1_3genE2ELNS1_11target_archE906ELNS1_3gpuE6ELNS1_3repE0EEENS1_30default_config_static_selectorELNS0_4arch9wavefront6targetE0EEEvT1_,"axG",@progbits,_ZN7rocprim17ROCPRIM_400000_NS6detail17trampoline_kernelINS0_14default_configENS1_25partition_config_selectorILNS1_17partition_subalgoE6EsNS0_10empty_typeEbEEZZNS1_14partition_implILS5_6ELb0ES3_mN6thrust23THRUST_200600_302600_NS6detail15normal_iteratorINSA_10device_ptrIsEEEEPS6_SG_NS0_5tupleIJSF_S6_EEENSH_IJSG_SG_EEES6_PlJ5mod_3IsEEEE10hipError_tPvRmT3_T4_T5_T6_T7_T9_mT8_P12ihipStream_tbDpT10_ENKUlT_T0_E_clISt17integral_constantIbLb1EES15_IbLb0EEEEDaS11_S12_EUlS11_E_NS1_11comp_targetILNS1_3genE2ELNS1_11target_archE906ELNS1_3gpuE6ELNS1_3repE0EEENS1_30default_config_static_selectorELNS0_4arch9wavefront6targetE0EEEvT1_,comdat
	.protected	_ZN7rocprim17ROCPRIM_400000_NS6detail17trampoline_kernelINS0_14default_configENS1_25partition_config_selectorILNS1_17partition_subalgoE6EsNS0_10empty_typeEbEEZZNS1_14partition_implILS5_6ELb0ES3_mN6thrust23THRUST_200600_302600_NS6detail15normal_iteratorINSA_10device_ptrIsEEEEPS6_SG_NS0_5tupleIJSF_S6_EEENSH_IJSG_SG_EEES6_PlJ5mod_3IsEEEE10hipError_tPvRmT3_T4_T5_T6_T7_T9_mT8_P12ihipStream_tbDpT10_ENKUlT_T0_E_clISt17integral_constantIbLb1EES15_IbLb0EEEEDaS11_S12_EUlS11_E_NS1_11comp_targetILNS1_3genE2ELNS1_11target_archE906ELNS1_3gpuE6ELNS1_3repE0EEENS1_30default_config_static_selectorELNS0_4arch9wavefront6targetE0EEEvT1_ ; -- Begin function _ZN7rocprim17ROCPRIM_400000_NS6detail17trampoline_kernelINS0_14default_configENS1_25partition_config_selectorILNS1_17partition_subalgoE6EsNS0_10empty_typeEbEEZZNS1_14partition_implILS5_6ELb0ES3_mN6thrust23THRUST_200600_302600_NS6detail15normal_iteratorINSA_10device_ptrIsEEEEPS6_SG_NS0_5tupleIJSF_S6_EEENSH_IJSG_SG_EEES6_PlJ5mod_3IsEEEE10hipError_tPvRmT3_T4_T5_T6_T7_T9_mT8_P12ihipStream_tbDpT10_ENKUlT_T0_E_clISt17integral_constantIbLb1EES15_IbLb0EEEEDaS11_S12_EUlS11_E_NS1_11comp_targetILNS1_3genE2ELNS1_11target_archE906ELNS1_3gpuE6ELNS1_3repE0EEENS1_30default_config_static_selectorELNS0_4arch9wavefront6targetE0EEEvT1_
	.globl	_ZN7rocprim17ROCPRIM_400000_NS6detail17trampoline_kernelINS0_14default_configENS1_25partition_config_selectorILNS1_17partition_subalgoE6EsNS0_10empty_typeEbEEZZNS1_14partition_implILS5_6ELb0ES3_mN6thrust23THRUST_200600_302600_NS6detail15normal_iteratorINSA_10device_ptrIsEEEEPS6_SG_NS0_5tupleIJSF_S6_EEENSH_IJSG_SG_EEES6_PlJ5mod_3IsEEEE10hipError_tPvRmT3_T4_T5_T6_T7_T9_mT8_P12ihipStream_tbDpT10_ENKUlT_T0_E_clISt17integral_constantIbLb1EES15_IbLb0EEEEDaS11_S12_EUlS11_E_NS1_11comp_targetILNS1_3genE2ELNS1_11target_archE906ELNS1_3gpuE6ELNS1_3repE0EEENS1_30default_config_static_selectorELNS0_4arch9wavefront6targetE0EEEvT1_
	.p2align	8
	.type	_ZN7rocprim17ROCPRIM_400000_NS6detail17trampoline_kernelINS0_14default_configENS1_25partition_config_selectorILNS1_17partition_subalgoE6EsNS0_10empty_typeEbEEZZNS1_14partition_implILS5_6ELb0ES3_mN6thrust23THRUST_200600_302600_NS6detail15normal_iteratorINSA_10device_ptrIsEEEEPS6_SG_NS0_5tupleIJSF_S6_EEENSH_IJSG_SG_EEES6_PlJ5mod_3IsEEEE10hipError_tPvRmT3_T4_T5_T6_T7_T9_mT8_P12ihipStream_tbDpT10_ENKUlT_T0_E_clISt17integral_constantIbLb1EES15_IbLb0EEEEDaS11_S12_EUlS11_E_NS1_11comp_targetILNS1_3genE2ELNS1_11target_archE906ELNS1_3gpuE6ELNS1_3repE0EEENS1_30default_config_static_selectorELNS0_4arch9wavefront6targetE0EEEvT1_,@function
_ZN7rocprim17ROCPRIM_400000_NS6detail17trampoline_kernelINS0_14default_configENS1_25partition_config_selectorILNS1_17partition_subalgoE6EsNS0_10empty_typeEbEEZZNS1_14partition_implILS5_6ELb0ES3_mN6thrust23THRUST_200600_302600_NS6detail15normal_iteratorINSA_10device_ptrIsEEEEPS6_SG_NS0_5tupleIJSF_S6_EEENSH_IJSG_SG_EEES6_PlJ5mod_3IsEEEE10hipError_tPvRmT3_T4_T5_T6_T7_T9_mT8_P12ihipStream_tbDpT10_ENKUlT_T0_E_clISt17integral_constantIbLb1EES15_IbLb0EEEEDaS11_S12_EUlS11_E_NS1_11comp_targetILNS1_3genE2ELNS1_11target_archE906ELNS1_3gpuE6ELNS1_3repE0EEENS1_30default_config_static_selectorELNS0_4arch9wavefront6targetE0EEEvT1_: ; @_ZN7rocprim17ROCPRIM_400000_NS6detail17trampoline_kernelINS0_14default_configENS1_25partition_config_selectorILNS1_17partition_subalgoE6EsNS0_10empty_typeEbEEZZNS1_14partition_implILS5_6ELb0ES3_mN6thrust23THRUST_200600_302600_NS6detail15normal_iteratorINSA_10device_ptrIsEEEEPS6_SG_NS0_5tupleIJSF_S6_EEENSH_IJSG_SG_EEES6_PlJ5mod_3IsEEEE10hipError_tPvRmT3_T4_T5_T6_T7_T9_mT8_P12ihipStream_tbDpT10_ENKUlT_T0_E_clISt17integral_constantIbLb1EES15_IbLb0EEEEDaS11_S12_EUlS11_E_NS1_11comp_targetILNS1_3genE2ELNS1_11target_archE906ELNS1_3gpuE6ELNS1_3repE0EEENS1_30default_config_static_selectorELNS0_4arch9wavefront6targetE0EEEvT1_
; %bb.0:
	.section	.rodata,"a",@progbits
	.p2align	6, 0x0
	.amdhsa_kernel _ZN7rocprim17ROCPRIM_400000_NS6detail17trampoline_kernelINS0_14default_configENS1_25partition_config_selectorILNS1_17partition_subalgoE6EsNS0_10empty_typeEbEEZZNS1_14partition_implILS5_6ELb0ES3_mN6thrust23THRUST_200600_302600_NS6detail15normal_iteratorINSA_10device_ptrIsEEEEPS6_SG_NS0_5tupleIJSF_S6_EEENSH_IJSG_SG_EEES6_PlJ5mod_3IsEEEE10hipError_tPvRmT3_T4_T5_T6_T7_T9_mT8_P12ihipStream_tbDpT10_ENKUlT_T0_E_clISt17integral_constantIbLb1EES15_IbLb0EEEEDaS11_S12_EUlS11_E_NS1_11comp_targetILNS1_3genE2ELNS1_11target_archE906ELNS1_3gpuE6ELNS1_3repE0EEENS1_30default_config_static_selectorELNS0_4arch9wavefront6targetE0EEEvT1_
		.amdhsa_group_segment_fixed_size 0
		.amdhsa_private_segment_fixed_size 0
		.amdhsa_kernarg_size 112
		.amdhsa_user_sgpr_count 15
		.amdhsa_user_sgpr_dispatch_ptr 0
		.amdhsa_user_sgpr_queue_ptr 0
		.amdhsa_user_sgpr_kernarg_segment_ptr 1
		.amdhsa_user_sgpr_dispatch_id 0
		.amdhsa_user_sgpr_private_segment_size 0
		.amdhsa_wavefront_size32 1
		.amdhsa_uses_dynamic_stack 0
		.amdhsa_enable_private_segment 0
		.amdhsa_system_sgpr_workgroup_id_x 1
		.amdhsa_system_sgpr_workgroup_id_y 0
		.amdhsa_system_sgpr_workgroup_id_z 0
		.amdhsa_system_sgpr_workgroup_info 0
		.amdhsa_system_vgpr_workitem_id 0
		.amdhsa_next_free_vgpr 1
		.amdhsa_next_free_sgpr 1
		.amdhsa_reserve_vcc 0
		.amdhsa_float_round_mode_32 0
		.amdhsa_float_round_mode_16_64 0
		.amdhsa_float_denorm_mode_32 3
		.amdhsa_float_denorm_mode_16_64 3
		.amdhsa_dx10_clamp 1
		.amdhsa_ieee_mode 1
		.amdhsa_fp16_overflow 0
		.amdhsa_workgroup_processor_mode 1
		.amdhsa_memory_ordered 1
		.amdhsa_forward_progress 0
		.amdhsa_shared_vgpr_count 0
		.amdhsa_exception_fp_ieee_invalid_op 0
		.amdhsa_exception_fp_denorm_src 0
		.amdhsa_exception_fp_ieee_div_zero 0
		.amdhsa_exception_fp_ieee_overflow 0
		.amdhsa_exception_fp_ieee_underflow 0
		.amdhsa_exception_fp_ieee_inexact 0
		.amdhsa_exception_int_div_zero 0
	.end_amdhsa_kernel
	.section	.text._ZN7rocprim17ROCPRIM_400000_NS6detail17trampoline_kernelINS0_14default_configENS1_25partition_config_selectorILNS1_17partition_subalgoE6EsNS0_10empty_typeEbEEZZNS1_14partition_implILS5_6ELb0ES3_mN6thrust23THRUST_200600_302600_NS6detail15normal_iteratorINSA_10device_ptrIsEEEEPS6_SG_NS0_5tupleIJSF_S6_EEENSH_IJSG_SG_EEES6_PlJ5mod_3IsEEEE10hipError_tPvRmT3_T4_T5_T6_T7_T9_mT8_P12ihipStream_tbDpT10_ENKUlT_T0_E_clISt17integral_constantIbLb1EES15_IbLb0EEEEDaS11_S12_EUlS11_E_NS1_11comp_targetILNS1_3genE2ELNS1_11target_archE906ELNS1_3gpuE6ELNS1_3repE0EEENS1_30default_config_static_selectorELNS0_4arch9wavefront6targetE0EEEvT1_,"axG",@progbits,_ZN7rocprim17ROCPRIM_400000_NS6detail17trampoline_kernelINS0_14default_configENS1_25partition_config_selectorILNS1_17partition_subalgoE6EsNS0_10empty_typeEbEEZZNS1_14partition_implILS5_6ELb0ES3_mN6thrust23THRUST_200600_302600_NS6detail15normal_iteratorINSA_10device_ptrIsEEEEPS6_SG_NS0_5tupleIJSF_S6_EEENSH_IJSG_SG_EEES6_PlJ5mod_3IsEEEE10hipError_tPvRmT3_T4_T5_T6_T7_T9_mT8_P12ihipStream_tbDpT10_ENKUlT_T0_E_clISt17integral_constantIbLb1EES15_IbLb0EEEEDaS11_S12_EUlS11_E_NS1_11comp_targetILNS1_3genE2ELNS1_11target_archE906ELNS1_3gpuE6ELNS1_3repE0EEENS1_30default_config_static_selectorELNS0_4arch9wavefront6targetE0EEEvT1_,comdat
.Lfunc_end636:
	.size	_ZN7rocprim17ROCPRIM_400000_NS6detail17trampoline_kernelINS0_14default_configENS1_25partition_config_selectorILNS1_17partition_subalgoE6EsNS0_10empty_typeEbEEZZNS1_14partition_implILS5_6ELb0ES3_mN6thrust23THRUST_200600_302600_NS6detail15normal_iteratorINSA_10device_ptrIsEEEEPS6_SG_NS0_5tupleIJSF_S6_EEENSH_IJSG_SG_EEES6_PlJ5mod_3IsEEEE10hipError_tPvRmT3_T4_T5_T6_T7_T9_mT8_P12ihipStream_tbDpT10_ENKUlT_T0_E_clISt17integral_constantIbLb1EES15_IbLb0EEEEDaS11_S12_EUlS11_E_NS1_11comp_targetILNS1_3genE2ELNS1_11target_archE906ELNS1_3gpuE6ELNS1_3repE0EEENS1_30default_config_static_selectorELNS0_4arch9wavefront6targetE0EEEvT1_, .Lfunc_end636-_ZN7rocprim17ROCPRIM_400000_NS6detail17trampoline_kernelINS0_14default_configENS1_25partition_config_selectorILNS1_17partition_subalgoE6EsNS0_10empty_typeEbEEZZNS1_14partition_implILS5_6ELb0ES3_mN6thrust23THRUST_200600_302600_NS6detail15normal_iteratorINSA_10device_ptrIsEEEEPS6_SG_NS0_5tupleIJSF_S6_EEENSH_IJSG_SG_EEES6_PlJ5mod_3IsEEEE10hipError_tPvRmT3_T4_T5_T6_T7_T9_mT8_P12ihipStream_tbDpT10_ENKUlT_T0_E_clISt17integral_constantIbLb1EES15_IbLb0EEEEDaS11_S12_EUlS11_E_NS1_11comp_targetILNS1_3genE2ELNS1_11target_archE906ELNS1_3gpuE6ELNS1_3repE0EEENS1_30default_config_static_selectorELNS0_4arch9wavefront6targetE0EEEvT1_
                                        ; -- End function
	.section	.AMDGPU.csdata,"",@progbits
; Kernel info:
; codeLenInByte = 0
; NumSgprs: 0
; NumVgprs: 0
; ScratchSize: 0
; MemoryBound: 0
; FloatMode: 240
; IeeeMode: 1
; LDSByteSize: 0 bytes/workgroup (compile time only)
; SGPRBlocks: 0
; VGPRBlocks: 0
; NumSGPRsForWavesPerEU: 1
; NumVGPRsForWavesPerEU: 1
; Occupancy: 16
; WaveLimiterHint : 0
; COMPUTE_PGM_RSRC2:SCRATCH_EN: 0
; COMPUTE_PGM_RSRC2:USER_SGPR: 15
; COMPUTE_PGM_RSRC2:TRAP_HANDLER: 0
; COMPUTE_PGM_RSRC2:TGID_X_EN: 1
; COMPUTE_PGM_RSRC2:TGID_Y_EN: 0
; COMPUTE_PGM_RSRC2:TGID_Z_EN: 0
; COMPUTE_PGM_RSRC2:TIDIG_COMP_CNT: 0
	.section	.text._ZN7rocprim17ROCPRIM_400000_NS6detail17trampoline_kernelINS0_14default_configENS1_25partition_config_selectorILNS1_17partition_subalgoE6EsNS0_10empty_typeEbEEZZNS1_14partition_implILS5_6ELb0ES3_mN6thrust23THRUST_200600_302600_NS6detail15normal_iteratorINSA_10device_ptrIsEEEEPS6_SG_NS0_5tupleIJSF_S6_EEENSH_IJSG_SG_EEES6_PlJ5mod_3IsEEEE10hipError_tPvRmT3_T4_T5_T6_T7_T9_mT8_P12ihipStream_tbDpT10_ENKUlT_T0_E_clISt17integral_constantIbLb1EES15_IbLb0EEEEDaS11_S12_EUlS11_E_NS1_11comp_targetILNS1_3genE10ELNS1_11target_archE1200ELNS1_3gpuE4ELNS1_3repE0EEENS1_30default_config_static_selectorELNS0_4arch9wavefront6targetE0EEEvT1_,"axG",@progbits,_ZN7rocprim17ROCPRIM_400000_NS6detail17trampoline_kernelINS0_14default_configENS1_25partition_config_selectorILNS1_17partition_subalgoE6EsNS0_10empty_typeEbEEZZNS1_14partition_implILS5_6ELb0ES3_mN6thrust23THRUST_200600_302600_NS6detail15normal_iteratorINSA_10device_ptrIsEEEEPS6_SG_NS0_5tupleIJSF_S6_EEENSH_IJSG_SG_EEES6_PlJ5mod_3IsEEEE10hipError_tPvRmT3_T4_T5_T6_T7_T9_mT8_P12ihipStream_tbDpT10_ENKUlT_T0_E_clISt17integral_constantIbLb1EES15_IbLb0EEEEDaS11_S12_EUlS11_E_NS1_11comp_targetILNS1_3genE10ELNS1_11target_archE1200ELNS1_3gpuE4ELNS1_3repE0EEENS1_30default_config_static_selectorELNS0_4arch9wavefront6targetE0EEEvT1_,comdat
	.protected	_ZN7rocprim17ROCPRIM_400000_NS6detail17trampoline_kernelINS0_14default_configENS1_25partition_config_selectorILNS1_17partition_subalgoE6EsNS0_10empty_typeEbEEZZNS1_14partition_implILS5_6ELb0ES3_mN6thrust23THRUST_200600_302600_NS6detail15normal_iteratorINSA_10device_ptrIsEEEEPS6_SG_NS0_5tupleIJSF_S6_EEENSH_IJSG_SG_EEES6_PlJ5mod_3IsEEEE10hipError_tPvRmT3_T4_T5_T6_T7_T9_mT8_P12ihipStream_tbDpT10_ENKUlT_T0_E_clISt17integral_constantIbLb1EES15_IbLb0EEEEDaS11_S12_EUlS11_E_NS1_11comp_targetILNS1_3genE10ELNS1_11target_archE1200ELNS1_3gpuE4ELNS1_3repE0EEENS1_30default_config_static_selectorELNS0_4arch9wavefront6targetE0EEEvT1_ ; -- Begin function _ZN7rocprim17ROCPRIM_400000_NS6detail17trampoline_kernelINS0_14default_configENS1_25partition_config_selectorILNS1_17partition_subalgoE6EsNS0_10empty_typeEbEEZZNS1_14partition_implILS5_6ELb0ES3_mN6thrust23THRUST_200600_302600_NS6detail15normal_iteratorINSA_10device_ptrIsEEEEPS6_SG_NS0_5tupleIJSF_S6_EEENSH_IJSG_SG_EEES6_PlJ5mod_3IsEEEE10hipError_tPvRmT3_T4_T5_T6_T7_T9_mT8_P12ihipStream_tbDpT10_ENKUlT_T0_E_clISt17integral_constantIbLb1EES15_IbLb0EEEEDaS11_S12_EUlS11_E_NS1_11comp_targetILNS1_3genE10ELNS1_11target_archE1200ELNS1_3gpuE4ELNS1_3repE0EEENS1_30default_config_static_selectorELNS0_4arch9wavefront6targetE0EEEvT1_
	.globl	_ZN7rocprim17ROCPRIM_400000_NS6detail17trampoline_kernelINS0_14default_configENS1_25partition_config_selectorILNS1_17partition_subalgoE6EsNS0_10empty_typeEbEEZZNS1_14partition_implILS5_6ELb0ES3_mN6thrust23THRUST_200600_302600_NS6detail15normal_iteratorINSA_10device_ptrIsEEEEPS6_SG_NS0_5tupleIJSF_S6_EEENSH_IJSG_SG_EEES6_PlJ5mod_3IsEEEE10hipError_tPvRmT3_T4_T5_T6_T7_T9_mT8_P12ihipStream_tbDpT10_ENKUlT_T0_E_clISt17integral_constantIbLb1EES15_IbLb0EEEEDaS11_S12_EUlS11_E_NS1_11comp_targetILNS1_3genE10ELNS1_11target_archE1200ELNS1_3gpuE4ELNS1_3repE0EEENS1_30default_config_static_selectorELNS0_4arch9wavefront6targetE0EEEvT1_
	.p2align	8
	.type	_ZN7rocprim17ROCPRIM_400000_NS6detail17trampoline_kernelINS0_14default_configENS1_25partition_config_selectorILNS1_17partition_subalgoE6EsNS0_10empty_typeEbEEZZNS1_14partition_implILS5_6ELb0ES3_mN6thrust23THRUST_200600_302600_NS6detail15normal_iteratorINSA_10device_ptrIsEEEEPS6_SG_NS0_5tupleIJSF_S6_EEENSH_IJSG_SG_EEES6_PlJ5mod_3IsEEEE10hipError_tPvRmT3_T4_T5_T6_T7_T9_mT8_P12ihipStream_tbDpT10_ENKUlT_T0_E_clISt17integral_constantIbLb1EES15_IbLb0EEEEDaS11_S12_EUlS11_E_NS1_11comp_targetILNS1_3genE10ELNS1_11target_archE1200ELNS1_3gpuE4ELNS1_3repE0EEENS1_30default_config_static_selectorELNS0_4arch9wavefront6targetE0EEEvT1_,@function
_ZN7rocprim17ROCPRIM_400000_NS6detail17trampoline_kernelINS0_14default_configENS1_25partition_config_selectorILNS1_17partition_subalgoE6EsNS0_10empty_typeEbEEZZNS1_14partition_implILS5_6ELb0ES3_mN6thrust23THRUST_200600_302600_NS6detail15normal_iteratorINSA_10device_ptrIsEEEEPS6_SG_NS0_5tupleIJSF_S6_EEENSH_IJSG_SG_EEES6_PlJ5mod_3IsEEEE10hipError_tPvRmT3_T4_T5_T6_T7_T9_mT8_P12ihipStream_tbDpT10_ENKUlT_T0_E_clISt17integral_constantIbLb1EES15_IbLb0EEEEDaS11_S12_EUlS11_E_NS1_11comp_targetILNS1_3genE10ELNS1_11target_archE1200ELNS1_3gpuE4ELNS1_3repE0EEENS1_30default_config_static_selectorELNS0_4arch9wavefront6targetE0EEEvT1_: ; @_ZN7rocprim17ROCPRIM_400000_NS6detail17trampoline_kernelINS0_14default_configENS1_25partition_config_selectorILNS1_17partition_subalgoE6EsNS0_10empty_typeEbEEZZNS1_14partition_implILS5_6ELb0ES3_mN6thrust23THRUST_200600_302600_NS6detail15normal_iteratorINSA_10device_ptrIsEEEEPS6_SG_NS0_5tupleIJSF_S6_EEENSH_IJSG_SG_EEES6_PlJ5mod_3IsEEEE10hipError_tPvRmT3_T4_T5_T6_T7_T9_mT8_P12ihipStream_tbDpT10_ENKUlT_T0_E_clISt17integral_constantIbLb1EES15_IbLb0EEEEDaS11_S12_EUlS11_E_NS1_11comp_targetILNS1_3genE10ELNS1_11target_archE1200ELNS1_3gpuE4ELNS1_3repE0EEENS1_30default_config_static_selectorELNS0_4arch9wavefront6targetE0EEEvT1_
; %bb.0:
	.section	.rodata,"a",@progbits
	.p2align	6, 0x0
	.amdhsa_kernel _ZN7rocprim17ROCPRIM_400000_NS6detail17trampoline_kernelINS0_14default_configENS1_25partition_config_selectorILNS1_17partition_subalgoE6EsNS0_10empty_typeEbEEZZNS1_14partition_implILS5_6ELb0ES3_mN6thrust23THRUST_200600_302600_NS6detail15normal_iteratorINSA_10device_ptrIsEEEEPS6_SG_NS0_5tupleIJSF_S6_EEENSH_IJSG_SG_EEES6_PlJ5mod_3IsEEEE10hipError_tPvRmT3_T4_T5_T6_T7_T9_mT8_P12ihipStream_tbDpT10_ENKUlT_T0_E_clISt17integral_constantIbLb1EES15_IbLb0EEEEDaS11_S12_EUlS11_E_NS1_11comp_targetILNS1_3genE10ELNS1_11target_archE1200ELNS1_3gpuE4ELNS1_3repE0EEENS1_30default_config_static_selectorELNS0_4arch9wavefront6targetE0EEEvT1_
		.amdhsa_group_segment_fixed_size 0
		.amdhsa_private_segment_fixed_size 0
		.amdhsa_kernarg_size 112
		.amdhsa_user_sgpr_count 15
		.amdhsa_user_sgpr_dispatch_ptr 0
		.amdhsa_user_sgpr_queue_ptr 0
		.amdhsa_user_sgpr_kernarg_segment_ptr 1
		.amdhsa_user_sgpr_dispatch_id 0
		.amdhsa_user_sgpr_private_segment_size 0
		.amdhsa_wavefront_size32 1
		.amdhsa_uses_dynamic_stack 0
		.amdhsa_enable_private_segment 0
		.amdhsa_system_sgpr_workgroup_id_x 1
		.amdhsa_system_sgpr_workgroup_id_y 0
		.amdhsa_system_sgpr_workgroup_id_z 0
		.amdhsa_system_sgpr_workgroup_info 0
		.amdhsa_system_vgpr_workitem_id 0
		.amdhsa_next_free_vgpr 1
		.amdhsa_next_free_sgpr 1
		.amdhsa_reserve_vcc 0
		.amdhsa_float_round_mode_32 0
		.amdhsa_float_round_mode_16_64 0
		.amdhsa_float_denorm_mode_32 3
		.amdhsa_float_denorm_mode_16_64 3
		.amdhsa_dx10_clamp 1
		.amdhsa_ieee_mode 1
		.amdhsa_fp16_overflow 0
		.amdhsa_workgroup_processor_mode 1
		.amdhsa_memory_ordered 1
		.amdhsa_forward_progress 0
		.amdhsa_shared_vgpr_count 0
		.amdhsa_exception_fp_ieee_invalid_op 0
		.amdhsa_exception_fp_denorm_src 0
		.amdhsa_exception_fp_ieee_div_zero 0
		.amdhsa_exception_fp_ieee_overflow 0
		.amdhsa_exception_fp_ieee_underflow 0
		.amdhsa_exception_fp_ieee_inexact 0
		.amdhsa_exception_int_div_zero 0
	.end_amdhsa_kernel
	.section	.text._ZN7rocprim17ROCPRIM_400000_NS6detail17trampoline_kernelINS0_14default_configENS1_25partition_config_selectorILNS1_17partition_subalgoE6EsNS0_10empty_typeEbEEZZNS1_14partition_implILS5_6ELb0ES3_mN6thrust23THRUST_200600_302600_NS6detail15normal_iteratorINSA_10device_ptrIsEEEEPS6_SG_NS0_5tupleIJSF_S6_EEENSH_IJSG_SG_EEES6_PlJ5mod_3IsEEEE10hipError_tPvRmT3_T4_T5_T6_T7_T9_mT8_P12ihipStream_tbDpT10_ENKUlT_T0_E_clISt17integral_constantIbLb1EES15_IbLb0EEEEDaS11_S12_EUlS11_E_NS1_11comp_targetILNS1_3genE10ELNS1_11target_archE1200ELNS1_3gpuE4ELNS1_3repE0EEENS1_30default_config_static_selectorELNS0_4arch9wavefront6targetE0EEEvT1_,"axG",@progbits,_ZN7rocprim17ROCPRIM_400000_NS6detail17trampoline_kernelINS0_14default_configENS1_25partition_config_selectorILNS1_17partition_subalgoE6EsNS0_10empty_typeEbEEZZNS1_14partition_implILS5_6ELb0ES3_mN6thrust23THRUST_200600_302600_NS6detail15normal_iteratorINSA_10device_ptrIsEEEEPS6_SG_NS0_5tupleIJSF_S6_EEENSH_IJSG_SG_EEES6_PlJ5mod_3IsEEEE10hipError_tPvRmT3_T4_T5_T6_T7_T9_mT8_P12ihipStream_tbDpT10_ENKUlT_T0_E_clISt17integral_constantIbLb1EES15_IbLb0EEEEDaS11_S12_EUlS11_E_NS1_11comp_targetILNS1_3genE10ELNS1_11target_archE1200ELNS1_3gpuE4ELNS1_3repE0EEENS1_30default_config_static_selectorELNS0_4arch9wavefront6targetE0EEEvT1_,comdat
.Lfunc_end637:
	.size	_ZN7rocprim17ROCPRIM_400000_NS6detail17trampoline_kernelINS0_14default_configENS1_25partition_config_selectorILNS1_17partition_subalgoE6EsNS0_10empty_typeEbEEZZNS1_14partition_implILS5_6ELb0ES3_mN6thrust23THRUST_200600_302600_NS6detail15normal_iteratorINSA_10device_ptrIsEEEEPS6_SG_NS0_5tupleIJSF_S6_EEENSH_IJSG_SG_EEES6_PlJ5mod_3IsEEEE10hipError_tPvRmT3_T4_T5_T6_T7_T9_mT8_P12ihipStream_tbDpT10_ENKUlT_T0_E_clISt17integral_constantIbLb1EES15_IbLb0EEEEDaS11_S12_EUlS11_E_NS1_11comp_targetILNS1_3genE10ELNS1_11target_archE1200ELNS1_3gpuE4ELNS1_3repE0EEENS1_30default_config_static_selectorELNS0_4arch9wavefront6targetE0EEEvT1_, .Lfunc_end637-_ZN7rocprim17ROCPRIM_400000_NS6detail17trampoline_kernelINS0_14default_configENS1_25partition_config_selectorILNS1_17partition_subalgoE6EsNS0_10empty_typeEbEEZZNS1_14partition_implILS5_6ELb0ES3_mN6thrust23THRUST_200600_302600_NS6detail15normal_iteratorINSA_10device_ptrIsEEEEPS6_SG_NS0_5tupleIJSF_S6_EEENSH_IJSG_SG_EEES6_PlJ5mod_3IsEEEE10hipError_tPvRmT3_T4_T5_T6_T7_T9_mT8_P12ihipStream_tbDpT10_ENKUlT_T0_E_clISt17integral_constantIbLb1EES15_IbLb0EEEEDaS11_S12_EUlS11_E_NS1_11comp_targetILNS1_3genE10ELNS1_11target_archE1200ELNS1_3gpuE4ELNS1_3repE0EEENS1_30default_config_static_selectorELNS0_4arch9wavefront6targetE0EEEvT1_
                                        ; -- End function
	.section	.AMDGPU.csdata,"",@progbits
; Kernel info:
; codeLenInByte = 0
; NumSgprs: 0
; NumVgprs: 0
; ScratchSize: 0
; MemoryBound: 0
; FloatMode: 240
; IeeeMode: 1
; LDSByteSize: 0 bytes/workgroup (compile time only)
; SGPRBlocks: 0
; VGPRBlocks: 0
; NumSGPRsForWavesPerEU: 1
; NumVGPRsForWavesPerEU: 1
; Occupancy: 15
; WaveLimiterHint : 0
; COMPUTE_PGM_RSRC2:SCRATCH_EN: 0
; COMPUTE_PGM_RSRC2:USER_SGPR: 15
; COMPUTE_PGM_RSRC2:TRAP_HANDLER: 0
; COMPUTE_PGM_RSRC2:TGID_X_EN: 1
; COMPUTE_PGM_RSRC2:TGID_Y_EN: 0
; COMPUTE_PGM_RSRC2:TGID_Z_EN: 0
; COMPUTE_PGM_RSRC2:TIDIG_COMP_CNT: 0
	.section	.text._ZN7rocprim17ROCPRIM_400000_NS6detail17trampoline_kernelINS0_14default_configENS1_25partition_config_selectorILNS1_17partition_subalgoE6EsNS0_10empty_typeEbEEZZNS1_14partition_implILS5_6ELb0ES3_mN6thrust23THRUST_200600_302600_NS6detail15normal_iteratorINSA_10device_ptrIsEEEEPS6_SG_NS0_5tupleIJSF_S6_EEENSH_IJSG_SG_EEES6_PlJ5mod_3IsEEEE10hipError_tPvRmT3_T4_T5_T6_T7_T9_mT8_P12ihipStream_tbDpT10_ENKUlT_T0_E_clISt17integral_constantIbLb1EES15_IbLb0EEEEDaS11_S12_EUlS11_E_NS1_11comp_targetILNS1_3genE9ELNS1_11target_archE1100ELNS1_3gpuE3ELNS1_3repE0EEENS1_30default_config_static_selectorELNS0_4arch9wavefront6targetE0EEEvT1_,"axG",@progbits,_ZN7rocprim17ROCPRIM_400000_NS6detail17trampoline_kernelINS0_14default_configENS1_25partition_config_selectorILNS1_17partition_subalgoE6EsNS0_10empty_typeEbEEZZNS1_14partition_implILS5_6ELb0ES3_mN6thrust23THRUST_200600_302600_NS6detail15normal_iteratorINSA_10device_ptrIsEEEEPS6_SG_NS0_5tupleIJSF_S6_EEENSH_IJSG_SG_EEES6_PlJ5mod_3IsEEEE10hipError_tPvRmT3_T4_T5_T6_T7_T9_mT8_P12ihipStream_tbDpT10_ENKUlT_T0_E_clISt17integral_constantIbLb1EES15_IbLb0EEEEDaS11_S12_EUlS11_E_NS1_11comp_targetILNS1_3genE9ELNS1_11target_archE1100ELNS1_3gpuE3ELNS1_3repE0EEENS1_30default_config_static_selectorELNS0_4arch9wavefront6targetE0EEEvT1_,comdat
	.protected	_ZN7rocprim17ROCPRIM_400000_NS6detail17trampoline_kernelINS0_14default_configENS1_25partition_config_selectorILNS1_17partition_subalgoE6EsNS0_10empty_typeEbEEZZNS1_14partition_implILS5_6ELb0ES3_mN6thrust23THRUST_200600_302600_NS6detail15normal_iteratorINSA_10device_ptrIsEEEEPS6_SG_NS0_5tupleIJSF_S6_EEENSH_IJSG_SG_EEES6_PlJ5mod_3IsEEEE10hipError_tPvRmT3_T4_T5_T6_T7_T9_mT8_P12ihipStream_tbDpT10_ENKUlT_T0_E_clISt17integral_constantIbLb1EES15_IbLb0EEEEDaS11_S12_EUlS11_E_NS1_11comp_targetILNS1_3genE9ELNS1_11target_archE1100ELNS1_3gpuE3ELNS1_3repE0EEENS1_30default_config_static_selectorELNS0_4arch9wavefront6targetE0EEEvT1_ ; -- Begin function _ZN7rocprim17ROCPRIM_400000_NS6detail17trampoline_kernelINS0_14default_configENS1_25partition_config_selectorILNS1_17partition_subalgoE6EsNS0_10empty_typeEbEEZZNS1_14partition_implILS5_6ELb0ES3_mN6thrust23THRUST_200600_302600_NS6detail15normal_iteratorINSA_10device_ptrIsEEEEPS6_SG_NS0_5tupleIJSF_S6_EEENSH_IJSG_SG_EEES6_PlJ5mod_3IsEEEE10hipError_tPvRmT3_T4_T5_T6_T7_T9_mT8_P12ihipStream_tbDpT10_ENKUlT_T0_E_clISt17integral_constantIbLb1EES15_IbLb0EEEEDaS11_S12_EUlS11_E_NS1_11comp_targetILNS1_3genE9ELNS1_11target_archE1100ELNS1_3gpuE3ELNS1_3repE0EEENS1_30default_config_static_selectorELNS0_4arch9wavefront6targetE0EEEvT1_
	.globl	_ZN7rocprim17ROCPRIM_400000_NS6detail17trampoline_kernelINS0_14default_configENS1_25partition_config_selectorILNS1_17partition_subalgoE6EsNS0_10empty_typeEbEEZZNS1_14partition_implILS5_6ELb0ES3_mN6thrust23THRUST_200600_302600_NS6detail15normal_iteratorINSA_10device_ptrIsEEEEPS6_SG_NS0_5tupleIJSF_S6_EEENSH_IJSG_SG_EEES6_PlJ5mod_3IsEEEE10hipError_tPvRmT3_T4_T5_T6_T7_T9_mT8_P12ihipStream_tbDpT10_ENKUlT_T0_E_clISt17integral_constantIbLb1EES15_IbLb0EEEEDaS11_S12_EUlS11_E_NS1_11comp_targetILNS1_3genE9ELNS1_11target_archE1100ELNS1_3gpuE3ELNS1_3repE0EEENS1_30default_config_static_selectorELNS0_4arch9wavefront6targetE0EEEvT1_
	.p2align	8
	.type	_ZN7rocprim17ROCPRIM_400000_NS6detail17trampoline_kernelINS0_14default_configENS1_25partition_config_selectorILNS1_17partition_subalgoE6EsNS0_10empty_typeEbEEZZNS1_14partition_implILS5_6ELb0ES3_mN6thrust23THRUST_200600_302600_NS6detail15normal_iteratorINSA_10device_ptrIsEEEEPS6_SG_NS0_5tupleIJSF_S6_EEENSH_IJSG_SG_EEES6_PlJ5mod_3IsEEEE10hipError_tPvRmT3_T4_T5_T6_T7_T9_mT8_P12ihipStream_tbDpT10_ENKUlT_T0_E_clISt17integral_constantIbLb1EES15_IbLb0EEEEDaS11_S12_EUlS11_E_NS1_11comp_targetILNS1_3genE9ELNS1_11target_archE1100ELNS1_3gpuE3ELNS1_3repE0EEENS1_30default_config_static_selectorELNS0_4arch9wavefront6targetE0EEEvT1_,@function
_ZN7rocprim17ROCPRIM_400000_NS6detail17trampoline_kernelINS0_14default_configENS1_25partition_config_selectorILNS1_17partition_subalgoE6EsNS0_10empty_typeEbEEZZNS1_14partition_implILS5_6ELb0ES3_mN6thrust23THRUST_200600_302600_NS6detail15normal_iteratorINSA_10device_ptrIsEEEEPS6_SG_NS0_5tupleIJSF_S6_EEENSH_IJSG_SG_EEES6_PlJ5mod_3IsEEEE10hipError_tPvRmT3_T4_T5_T6_T7_T9_mT8_P12ihipStream_tbDpT10_ENKUlT_T0_E_clISt17integral_constantIbLb1EES15_IbLb0EEEEDaS11_S12_EUlS11_E_NS1_11comp_targetILNS1_3genE9ELNS1_11target_archE1100ELNS1_3gpuE3ELNS1_3repE0EEENS1_30default_config_static_selectorELNS0_4arch9wavefront6targetE0EEEvT1_: ; @_ZN7rocprim17ROCPRIM_400000_NS6detail17trampoline_kernelINS0_14default_configENS1_25partition_config_selectorILNS1_17partition_subalgoE6EsNS0_10empty_typeEbEEZZNS1_14partition_implILS5_6ELb0ES3_mN6thrust23THRUST_200600_302600_NS6detail15normal_iteratorINSA_10device_ptrIsEEEEPS6_SG_NS0_5tupleIJSF_S6_EEENSH_IJSG_SG_EEES6_PlJ5mod_3IsEEEE10hipError_tPvRmT3_T4_T5_T6_T7_T9_mT8_P12ihipStream_tbDpT10_ENKUlT_T0_E_clISt17integral_constantIbLb1EES15_IbLb0EEEEDaS11_S12_EUlS11_E_NS1_11comp_targetILNS1_3genE9ELNS1_11target_archE1100ELNS1_3gpuE3ELNS1_3repE0EEENS1_30default_config_static_selectorELNS0_4arch9wavefront6targetE0EEEvT1_
; %bb.0:
	s_clause 0x3
	s_load_b128 s[16:19], s[0:1], 0x8
	s_load_b128 s[4:7], s[0:1], 0x40
	s_load_b32 s10, s[0:1], 0x68
	s_load_b64 s[2:3], s[0:1], 0x50
	v_lshlrev_b32_e32 v1, 1, v0
	s_waitcnt lgkmcnt(0)
	s_lshl_b64 s[8:9], s[18:19], 1
	s_load_b64 s[6:7], s[6:7], 0x0
	s_mul_i32 s11, s10, 0xf00
	s_add_u32 s16, s16, s8
	s_addc_u32 s17, s17, s9
	s_add_i32 s8, s11, s18
	s_add_i32 s12, s10, -1
	s_sub_i32 s10, s2, s8
	s_add_u32 s8, s18, s11
	s_addc_u32 s9, s19, 0
	s_cmp_eq_u32 s15, s12
	v_cmp_ge_u64_e64 s8, s[8:9], s[2:3]
	s_cselect_b32 s14, -1, 0
	s_mov_b32 s3, 0
	s_mul_i32 s2, s15, 0xf00
	s_delay_alu instid0(SALU_CYCLE_1) | instskip(NEXT) | instid1(VALU_DEP_1)
	s_lshl_b64 s[2:3], s[2:3], 1
	s_and_b32 s12, s14, s8
	s_mov_b32 s8, -1
	s_xor_b32 s13, s12, -1
	s_add_u32 s2, s16, s2
	s_addc_u32 s3, s17, s3
	s_and_b32 vcc_lo, exec_lo, s13
	s_cbranch_vccz .LBB638_2
; %bb.1:
	v_add_co_u32 v2, s8, s2, v1
	s_delay_alu instid0(VALU_DEP_1) | instskip(SKIP_1) | instid1(VALU_DEP_2)
	v_add_co_ci_u32_e64 v3, null, s3, 0, s8
	s_mov_b32 s8, 0
	v_add_co_u32 v4, vcc_lo, 0x1000, v2
	s_clause 0x7
	flat_load_u16 v6, v[2:3]
	flat_load_u16 v7, v[2:3] offset:256
	flat_load_u16 v8, v[2:3] offset:512
	;; [unrolled: 1-line block ×7, first 2 shown]
	v_add_co_ci_u32_e32 v5, vcc_lo, 0, v3, vcc_lo
	s_clause 0x15
	flat_load_u16 v14, v[2:3] offset:2048
	flat_load_u16 v15, v[2:3] offset:2304
	;; [unrolled: 1-line block ×8, first 2 shown]
	flat_load_u16 v3, v[4:5]
	flat_load_u16 v21, v[4:5] offset:256
	flat_load_u16 v22, v[4:5] offset:512
	;; [unrolled: 1-line block ×13, first 2 shown]
	s_waitcnt vmcnt(29) lgkmcnt(0)
	ds_store_b16 v1, v6
	s_waitcnt vmcnt(28)
	ds_store_b16 v1, v7 offset:256
	s_waitcnt vmcnt(27)
	ds_store_b16 v1, v8 offset:512
	;; [unrolled: 2-line block ×29, first 2 shown]
	s_waitcnt lgkmcnt(0)
	s_barrier
.LBB638_2:
	s_and_not1_b32 vcc_lo, exec_lo, s8
	s_addk_i32 s10, 0xf00
	s_cbranch_vccnz .LBB638_64
; %bb.3:
	s_mov_b32 s8, exec_lo
                                        ; implicit-def: $vgpr2
	v_cmpx_gt_u32_e64 s10, v0
	s_cbranch_execz .LBB638_5
; %bb.4:
	v_add_co_u32 v2, s9, s2, v1
	s_delay_alu instid0(VALU_DEP_1)
	v_add_co_ci_u32_e64 v3, null, s3, 0, s9
	flat_load_u16 v2, v[2:3]
.LBB638_5:
	s_or_b32 exec_lo, exec_lo, s8
	v_or_b32_e32 v3, 0x80, v0
	s_delay_alu instid0(VALU_DEP_1)
	v_cmp_gt_u32_e32 vcc_lo, s10, v3
                                        ; implicit-def: $vgpr3
	s_and_saveexec_b32 s8, vcc_lo
	s_cbranch_execz .LBB638_7
; %bb.6:
	v_add_co_u32 v3, s9, s2, v1
	s_delay_alu instid0(VALU_DEP_1)
	v_add_co_ci_u32_e64 v4, null, s3, 0, s9
	flat_load_u16 v3, v[3:4] offset:256
.LBB638_7:
	s_or_b32 exec_lo, exec_lo, s8
	v_or_b32_e32 v4, 0x100, v0
	s_delay_alu instid0(VALU_DEP_1)
	v_cmp_gt_u32_e32 vcc_lo, s10, v4
                                        ; implicit-def: $vgpr4
	s_and_saveexec_b32 s8, vcc_lo
	s_cbranch_execz .LBB638_9
; %bb.8:
	v_add_co_u32 v4, s9, s2, v1
	s_delay_alu instid0(VALU_DEP_1)
	v_add_co_ci_u32_e64 v5, null, s3, 0, s9
	flat_load_u16 v4, v[4:5] offset:512
.LBB638_9:
	s_or_b32 exec_lo, exec_lo, s8
	v_or_b32_e32 v5, 0x180, v0
	s_delay_alu instid0(VALU_DEP_1)
	v_cmp_gt_u32_e32 vcc_lo, s10, v5
                                        ; implicit-def: $vgpr5
	s_and_saveexec_b32 s8, vcc_lo
	s_cbranch_execz .LBB638_11
; %bb.10:
	v_add_co_u32 v5, s9, s2, v1
	s_delay_alu instid0(VALU_DEP_1)
	v_add_co_ci_u32_e64 v6, null, s3, 0, s9
	flat_load_u16 v5, v[5:6] offset:768
.LBB638_11:
	s_or_b32 exec_lo, exec_lo, s8
	v_or_b32_e32 v6, 0x200, v0
	s_delay_alu instid0(VALU_DEP_1)
	v_cmp_gt_u32_e32 vcc_lo, s10, v6
                                        ; implicit-def: $vgpr6
	s_and_saveexec_b32 s8, vcc_lo
	s_cbranch_execz .LBB638_13
; %bb.12:
	v_add_co_u32 v6, s9, s2, v1
	s_delay_alu instid0(VALU_DEP_1)
	v_add_co_ci_u32_e64 v7, null, s3, 0, s9
	flat_load_u16 v6, v[6:7] offset:1024
.LBB638_13:
	s_or_b32 exec_lo, exec_lo, s8
	v_or_b32_e32 v7, 0x280, v0
	s_delay_alu instid0(VALU_DEP_1)
	v_cmp_gt_u32_e32 vcc_lo, s10, v7
                                        ; implicit-def: $vgpr7
	s_and_saveexec_b32 s8, vcc_lo
	s_cbranch_execz .LBB638_15
; %bb.14:
	v_add_co_u32 v7, s9, s2, v1
	s_delay_alu instid0(VALU_DEP_1)
	v_add_co_ci_u32_e64 v8, null, s3, 0, s9
	flat_load_u16 v7, v[7:8] offset:1280
.LBB638_15:
	s_or_b32 exec_lo, exec_lo, s8
	v_or_b32_e32 v8, 0x300, v0
	s_delay_alu instid0(VALU_DEP_1)
	v_cmp_gt_u32_e32 vcc_lo, s10, v8
                                        ; implicit-def: $vgpr8
	s_and_saveexec_b32 s8, vcc_lo
	s_cbranch_execz .LBB638_17
; %bb.16:
	v_add_co_u32 v8, s9, s2, v1
	s_delay_alu instid0(VALU_DEP_1)
	v_add_co_ci_u32_e64 v9, null, s3, 0, s9
	flat_load_u16 v8, v[8:9] offset:1536
.LBB638_17:
	s_or_b32 exec_lo, exec_lo, s8
	v_or_b32_e32 v9, 0x380, v0
	s_delay_alu instid0(VALU_DEP_1)
	v_cmp_gt_u32_e32 vcc_lo, s10, v9
                                        ; implicit-def: $vgpr9
	s_and_saveexec_b32 s8, vcc_lo
	s_cbranch_execz .LBB638_19
; %bb.18:
	v_add_co_u32 v9, s9, s2, v1
	s_delay_alu instid0(VALU_DEP_1)
	v_add_co_ci_u32_e64 v10, null, s3, 0, s9
	flat_load_u16 v9, v[9:10] offset:1792
.LBB638_19:
	s_or_b32 exec_lo, exec_lo, s8
	v_or_b32_e32 v10, 0x400, v0
	s_delay_alu instid0(VALU_DEP_1)
	v_cmp_gt_u32_e32 vcc_lo, s10, v10
                                        ; implicit-def: $vgpr10
	s_and_saveexec_b32 s8, vcc_lo
	s_cbranch_execz .LBB638_21
; %bb.20:
	v_add_co_u32 v10, s9, s2, v1
	s_delay_alu instid0(VALU_DEP_1)
	v_add_co_ci_u32_e64 v11, null, s3, 0, s9
	flat_load_u16 v10, v[10:11] offset:2048
.LBB638_21:
	s_or_b32 exec_lo, exec_lo, s8
	v_or_b32_e32 v11, 0x480, v0
	s_delay_alu instid0(VALU_DEP_1)
	v_cmp_gt_u32_e32 vcc_lo, s10, v11
                                        ; implicit-def: $vgpr11
	s_and_saveexec_b32 s8, vcc_lo
	s_cbranch_execz .LBB638_23
; %bb.22:
	v_add_co_u32 v11, s9, s2, v1
	s_delay_alu instid0(VALU_DEP_1)
	v_add_co_ci_u32_e64 v12, null, s3, 0, s9
	flat_load_u16 v11, v[11:12] offset:2304
.LBB638_23:
	s_or_b32 exec_lo, exec_lo, s8
	v_or_b32_e32 v12, 0x500, v0
	s_delay_alu instid0(VALU_DEP_1)
	v_cmp_gt_u32_e32 vcc_lo, s10, v12
                                        ; implicit-def: $vgpr12
	s_and_saveexec_b32 s8, vcc_lo
	s_cbranch_execz .LBB638_25
; %bb.24:
	v_add_co_u32 v12, s9, s2, v1
	s_delay_alu instid0(VALU_DEP_1)
	v_add_co_ci_u32_e64 v13, null, s3, 0, s9
	flat_load_u16 v12, v[12:13] offset:2560
.LBB638_25:
	s_or_b32 exec_lo, exec_lo, s8
	v_or_b32_e32 v13, 0x580, v0
	s_delay_alu instid0(VALU_DEP_1)
	v_cmp_gt_u32_e32 vcc_lo, s10, v13
                                        ; implicit-def: $vgpr13
	s_and_saveexec_b32 s8, vcc_lo
	s_cbranch_execz .LBB638_27
; %bb.26:
	v_add_co_u32 v13, s9, s2, v1
	s_delay_alu instid0(VALU_DEP_1)
	v_add_co_ci_u32_e64 v14, null, s3, 0, s9
	flat_load_u16 v13, v[13:14] offset:2816
.LBB638_27:
	s_or_b32 exec_lo, exec_lo, s8
	v_or_b32_e32 v14, 0x600, v0
	s_delay_alu instid0(VALU_DEP_1)
	v_cmp_gt_u32_e32 vcc_lo, s10, v14
                                        ; implicit-def: $vgpr14
	s_and_saveexec_b32 s8, vcc_lo
	s_cbranch_execz .LBB638_29
; %bb.28:
	v_add_co_u32 v14, s9, s2, v1
	s_delay_alu instid0(VALU_DEP_1)
	v_add_co_ci_u32_e64 v15, null, s3, 0, s9
	flat_load_u16 v14, v[14:15] offset:3072
.LBB638_29:
	s_or_b32 exec_lo, exec_lo, s8
	v_or_b32_e32 v15, 0x680, v0
	s_delay_alu instid0(VALU_DEP_1)
	v_cmp_gt_u32_e32 vcc_lo, s10, v15
                                        ; implicit-def: $vgpr15
	s_and_saveexec_b32 s8, vcc_lo
	s_cbranch_execz .LBB638_31
; %bb.30:
	v_add_co_u32 v15, s9, s2, v1
	s_delay_alu instid0(VALU_DEP_1)
	v_add_co_ci_u32_e64 v16, null, s3, 0, s9
	flat_load_u16 v15, v[15:16] offset:3328
.LBB638_31:
	s_or_b32 exec_lo, exec_lo, s8
	v_or_b32_e32 v16, 0x700, v0
	s_delay_alu instid0(VALU_DEP_1)
	v_cmp_gt_u32_e32 vcc_lo, s10, v16
                                        ; implicit-def: $vgpr16
	s_and_saveexec_b32 s8, vcc_lo
	s_cbranch_execz .LBB638_33
; %bb.32:
	v_add_co_u32 v16, s9, s2, v1
	s_delay_alu instid0(VALU_DEP_1)
	v_add_co_ci_u32_e64 v17, null, s3, 0, s9
	flat_load_u16 v16, v[16:17] offset:3584
.LBB638_33:
	s_or_b32 exec_lo, exec_lo, s8
	v_or_b32_e32 v17, 0x780, v0
	s_delay_alu instid0(VALU_DEP_1)
	v_cmp_gt_u32_e32 vcc_lo, s10, v17
                                        ; implicit-def: $vgpr17
	s_and_saveexec_b32 s8, vcc_lo
	s_cbranch_execz .LBB638_35
; %bb.34:
	v_add_co_u32 v17, s9, s2, v1
	s_delay_alu instid0(VALU_DEP_1)
	v_add_co_ci_u32_e64 v18, null, s3, 0, s9
	flat_load_u16 v17, v[17:18] offset:3840
.LBB638_35:
	s_or_b32 exec_lo, exec_lo, s8
	v_or_b32_e32 v19, 0x800, v0
	s_mov_b32 s8, exec_lo
                                        ; implicit-def: $vgpr18
	s_delay_alu instid0(VALU_DEP_1)
	v_cmpx_gt_u32_e64 s10, v19
	s_cbranch_execz .LBB638_37
; %bb.36:
	v_lshlrev_b32_e32 v18, 1, v19
	s_delay_alu instid0(VALU_DEP_1) | instskip(NEXT) | instid1(VALU_DEP_1)
	v_add_co_u32 v18, s9, s2, v18
	v_add_co_ci_u32_e64 v19, null, s3, 0, s9
	flat_load_u16 v18, v[18:19]
.LBB638_37:
	s_or_b32 exec_lo, exec_lo, s8
	v_or_b32_e32 v20, 0x880, v0
	s_mov_b32 s8, exec_lo
                                        ; implicit-def: $vgpr19
	s_delay_alu instid0(VALU_DEP_1)
	v_cmpx_gt_u32_e64 s10, v20
	s_cbranch_execz .LBB638_39
; %bb.38:
	v_lshlrev_b32_e32 v19, 1, v20
	s_delay_alu instid0(VALU_DEP_1) | instskip(NEXT) | instid1(VALU_DEP_1)
	v_add_co_u32 v19, s9, s2, v19
	v_add_co_ci_u32_e64 v20, null, s3, 0, s9
	flat_load_u16 v19, v[19:20]
.LBB638_39:
	s_or_b32 exec_lo, exec_lo, s8
	v_or_b32_e32 v21, 0x900, v0
	s_mov_b32 s8, exec_lo
                                        ; implicit-def: $vgpr20
	s_delay_alu instid0(VALU_DEP_1)
	v_cmpx_gt_u32_e64 s10, v21
	s_cbranch_execz .LBB638_41
; %bb.40:
	v_lshlrev_b32_e32 v20, 1, v21
	s_delay_alu instid0(VALU_DEP_1) | instskip(NEXT) | instid1(VALU_DEP_1)
	v_add_co_u32 v20, s9, s2, v20
	v_add_co_ci_u32_e64 v21, null, s3, 0, s9
	flat_load_u16 v20, v[20:21]
.LBB638_41:
	s_or_b32 exec_lo, exec_lo, s8
	v_or_b32_e32 v22, 0x980, v0
	s_mov_b32 s8, exec_lo
                                        ; implicit-def: $vgpr21
	s_delay_alu instid0(VALU_DEP_1)
	v_cmpx_gt_u32_e64 s10, v22
	s_cbranch_execz .LBB638_43
; %bb.42:
	v_lshlrev_b32_e32 v21, 1, v22
	s_delay_alu instid0(VALU_DEP_1) | instskip(NEXT) | instid1(VALU_DEP_1)
	v_add_co_u32 v21, s9, s2, v21
	v_add_co_ci_u32_e64 v22, null, s3, 0, s9
	flat_load_u16 v21, v[21:22]
.LBB638_43:
	s_or_b32 exec_lo, exec_lo, s8
	v_or_b32_e32 v23, 0xa00, v0
	s_mov_b32 s8, exec_lo
                                        ; implicit-def: $vgpr22
	s_delay_alu instid0(VALU_DEP_1)
	v_cmpx_gt_u32_e64 s10, v23
	s_cbranch_execz .LBB638_45
; %bb.44:
	v_lshlrev_b32_e32 v22, 1, v23
	s_delay_alu instid0(VALU_DEP_1) | instskip(NEXT) | instid1(VALU_DEP_1)
	v_add_co_u32 v22, s9, s2, v22
	v_add_co_ci_u32_e64 v23, null, s3, 0, s9
	flat_load_u16 v22, v[22:23]
.LBB638_45:
	s_or_b32 exec_lo, exec_lo, s8
	v_or_b32_e32 v24, 0xa80, v0
	s_mov_b32 s8, exec_lo
                                        ; implicit-def: $vgpr23
	s_delay_alu instid0(VALU_DEP_1)
	v_cmpx_gt_u32_e64 s10, v24
	s_cbranch_execz .LBB638_47
; %bb.46:
	v_lshlrev_b32_e32 v23, 1, v24
	s_delay_alu instid0(VALU_DEP_1) | instskip(NEXT) | instid1(VALU_DEP_1)
	v_add_co_u32 v23, s9, s2, v23
	v_add_co_ci_u32_e64 v24, null, s3, 0, s9
	flat_load_u16 v23, v[23:24]
.LBB638_47:
	s_or_b32 exec_lo, exec_lo, s8
	v_or_b32_e32 v25, 0xb00, v0
	s_mov_b32 s8, exec_lo
                                        ; implicit-def: $vgpr24
	s_delay_alu instid0(VALU_DEP_1)
	v_cmpx_gt_u32_e64 s10, v25
	s_cbranch_execz .LBB638_49
; %bb.48:
	v_lshlrev_b32_e32 v24, 1, v25
	s_delay_alu instid0(VALU_DEP_1) | instskip(NEXT) | instid1(VALU_DEP_1)
	v_add_co_u32 v24, s9, s2, v24
	v_add_co_ci_u32_e64 v25, null, s3, 0, s9
	flat_load_u16 v24, v[24:25]
.LBB638_49:
	s_or_b32 exec_lo, exec_lo, s8
	v_or_b32_e32 v26, 0xb80, v0
	s_mov_b32 s8, exec_lo
                                        ; implicit-def: $vgpr25
	s_delay_alu instid0(VALU_DEP_1)
	v_cmpx_gt_u32_e64 s10, v26
	s_cbranch_execz .LBB638_51
; %bb.50:
	v_lshlrev_b32_e32 v25, 1, v26
	s_delay_alu instid0(VALU_DEP_1) | instskip(NEXT) | instid1(VALU_DEP_1)
	v_add_co_u32 v25, s9, s2, v25
	v_add_co_ci_u32_e64 v26, null, s3, 0, s9
	flat_load_u16 v25, v[25:26]
.LBB638_51:
	s_or_b32 exec_lo, exec_lo, s8
	v_or_b32_e32 v27, 0xc00, v0
	s_mov_b32 s8, exec_lo
                                        ; implicit-def: $vgpr26
	s_delay_alu instid0(VALU_DEP_1)
	v_cmpx_gt_u32_e64 s10, v27
	s_cbranch_execz .LBB638_53
; %bb.52:
	v_lshlrev_b32_e32 v26, 1, v27
	s_delay_alu instid0(VALU_DEP_1) | instskip(NEXT) | instid1(VALU_DEP_1)
	v_add_co_u32 v26, s9, s2, v26
	v_add_co_ci_u32_e64 v27, null, s3, 0, s9
	flat_load_u16 v26, v[26:27]
.LBB638_53:
	s_or_b32 exec_lo, exec_lo, s8
	v_or_b32_e32 v28, 0xc80, v0
	s_mov_b32 s8, exec_lo
                                        ; implicit-def: $vgpr27
	s_delay_alu instid0(VALU_DEP_1)
	v_cmpx_gt_u32_e64 s10, v28
	s_cbranch_execz .LBB638_55
; %bb.54:
	v_lshlrev_b32_e32 v27, 1, v28
	s_delay_alu instid0(VALU_DEP_1) | instskip(NEXT) | instid1(VALU_DEP_1)
	v_add_co_u32 v27, s9, s2, v27
	v_add_co_ci_u32_e64 v28, null, s3, 0, s9
	flat_load_u16 v27, v[27:28]
.LBB638_55:
	s_or_b32 exec_lo, exec_lo, s8
	v_or_b32_e32 v29, 0xd00, v0
	s_mov_b32 s8, exec_lo
                                        ; implicit-def: $vgpr28
	s_delay_alu instid0(VALU_DEP_1)
	v_cmpx_gt_u32_e64 s10, v29
	s_cbranch_execz .LBB638_57
; %bb.56:
	v_lshlrev_b32_e32 v28, 1, v29
	s_delay_alu instid0(VALU_DEP_1) | instskip(NEXT) | instid1(VALU_DEP_1)
	v_add_co_u32 v28, s9, s2, v28
	v_add_co_ci_u32_e64 v29, null, s3, 0, s9
	flat_load_u16 v28, v[28:29]
.LBB638_57:
	s_or_b32 exec_lo, exec_lo, s8
	v_or_b32_e32 v30, 0xd80, v0
	s_mov_b32 s8, exec_lo
                                        ; implicit-def: $vgpr29
	s_delay_alu instid0(VALU_DEP_1)
	v_cmpx_gt_u32_e64 s10, v30
	s_cbranch_execz .LBB638_59
; %bb.58:
	v_lshlrev_b32_e32 v29, 1, v30
	s_delay_alu instid0(VALU_DEP_1) | instskip(NEXT) | instid1(VALU_DEP_1)
	v_add_co_u32 v29, s9, s2, v29
	v_add_co_ci_u32_e64 v30, null, s3, 0, s9
	flat_load_u16 v29, v[29:30]
.LBB638_59:
	s_or_b32 exec_lo, exec_lo, s8
	v_or_b32_e32 v31, 0xe00, v0
	s_mov_b32 s8, exec_lo
                                        ; implicit-def: $vgpr30
	s_delay_alu instid0(VALU_DEP_1)
	v_cmpx_gt_u32_e64 s10, v31
	s_cbranch_execz .LBB638_61
; %bb.60:
	v_lshlrev_b32_e32 v30, 1, v31
	s_delay_alu instid0(VALU_DEP_1) | instskip(NEXT) | instid1(VALU_DEP_1)
	v_add_co_u32 v30, s9, s2, v30
	v_add_co_ci_u32_e64 v31, null, s3, 0, s9
	flat_load_u16 v30, v[30:31]
.LBB638_61:
	s_or_b32 exec_lo, exec_lo, s8
	v_or_b32_e32 v32, 0xe80, v0
	s_mov_b32 s8, exec_lo
                                        ; implicit-def: $vgpr31
	s_delay_alu instid0(VALU_DEP_1)
	v_cmpx_gt_u32_e64 s10, v32
	s_cbranch_execz .LBB638_63
; %bb.62:
	v_lshlrev_b32_e32 v31, 1, v32
	s_delay_alu instid0(VALU_DEP_1) | instskip(NEXT) | instid1(VALU_DEP_1)
	v_add_co_u32 v31, s2, s2, v31
	v_add_co_ci_u32_e64 v32, null, s3, 0, s2
	flat_load_u16 v31, v[31:32]
.LBB638_63:
	s_or_b32 exec_lo, exec_lo, s8
	s_waitcnt vmcnt(0) lgkmcnt(0)
	ds_store_b16 v1, v2
	ds_store_b16 v1, v3 offset:256
	ds_store_b16 v1, v4 offset:512
	;; [unrolled: 1-line block ×29, first 2 shown]
	s_waitcnt lgkmcnt(0)
	s_barrier
.LBB638_64:
	v_mul_u32_u24_e32 v1, 30, v0
	s_waitcnt lgkmcnt(0)
	buffer_gl0_inv
	s_and_not1_b32 vcc_lo, exec_lo, s13
	v_lshlrev_b32_e32 v2, 1, v1
	ds_load_b32 v81, v2 offset:56
	ds_load_2addr_b32 v[9:10], v2 offset0:12 offset1:13
	ds_load_2addr_b32 v[11:12], v2 offset0:10 offset1:11
	ds_load_2addr_b32 v[21:22], v2 offset1:1
	ds_load_2addr_b32 v[19:20], v2 offset0:2 offset1:3
	ds_load_2addr_b32 v[17:18], v2 offset0:4 offset1:5
	;; [unrolled: 1-line block ×4, first 2 shown]
	s_waitcnt lgkmcnt(0)
	s_barrier
	buffer_gl0_inv
	v_lshrrev_b32_e32 v82, 16, v81
	v_lshrrev_b32_e32 v84, 16, v9
	;; [unrolled: 1-line block ×15, first 2 shown]
	s_cbranch_vccnz .LBB638_66
; %bb.65:
	v_bfe_i32 v25, v21, 0, 16
	v_bfe_i32 v26, v96, 0, 16
	;; [unrolled: 1-line block ×5, first 2 shown]
	v_mul_lo_u32 v25, 0xaaaaaaab, v25
	v_mul_lo_u32 v26, 0xaaaaaaab, v26
	;; [unrolled: 1-line block ×4, first 2 shown]
	v_bfe_i32 v30, v94, 0, 16
	v_bfe_i32 v31, v20, 0, 16
	;; [unrolled: 1-line block ×4, first 2 shown]
	v_cmp_lt_u32_e32 vcc_lo, 0x55555555, v25
	v_mul_lo_u32 v25, 0xaaaaaaab, v29
	v_bfe_i32 v34, v92, 0, 16
	v_bfe_i32 v35, v18, 0, 16
	v_bfe_i32 v36, v91, 0, 16
	v_cndmask_b32_e64 v98, 0, 1, vcc_lo
	v_cmp_lt_u32_e32 vcc_lo, 0x55555555, v26
	v_mul_lo_u32 v26, 0xaaaaaaab, v30
	v_bfe_i32 v37, v15, 0, 16
	v_bfe_i32 v38, v90, 0, 16
	v_bfe_i32 v39, v16, 0, 16
	v_cndmask_b32_e64 v97, 0, 1, vcc_lo
	;; [unrolled: 6-line block ×5, first 2 shown]
	v_cmp_lt_u32_e32 vcc_lo, 0x55555555, v26
	v_mul_lo_u32 v26, 0xaaaaaaab, v33
	v_mul_lo_u32 v24, 0xaaaaaaab, v24
	;; [unrolled: 1-line block ×3, first 2 shown]
	v_bfe_i32 v7, v9, 0, 16
	v_cndmask_b32_e64 v101, 0, 1, vcc_lo
	v_cmp_lt_u32_e32 vcc_lo, 0x55555555, v27
	v_mul_lo_u32 v27, 0xaaaaaaab, v35
	v_mul_lo_u32 v8, 0xaaaaaaab, v8
	v_bfe_i32 v6, v84, 0, 16
	v_mul_lo_u32 v7, 0xaaaaaaab, v7
	v_cndmask_b32_e64 v104, 0, 1, vcc_lo
	v_cmp_lt_u32_e32 vcc_lo, 0x55555555, v25
	v_mul_lo_u32 v25, 0xaaaaaaab, v36
	v_bfe_i32 v5, v10, 0, 16
	v_mul_lo_u32 v6, 0xaaaaaaab, v6
	v_bfe_i32 v4, v83, 0, 16
	v_cndmask_b32_e64 v103, 0, 1, vcc_lo
	v_cmp_lt_u32_e32 vcc_lo, 0x55555555, v26
	v_mul_lo_u32 v26, 0xaaaaaaab, v37
	v_mul_lo_u32 v5, 0xaaaaaaab, v5
	v_bfe_i32 v3, v81, 0, 16
	v_bfe_i32 v2, v82, 0, 16
	v_cndmask_b32_e64 v106, 0, 1, vcc_lo
	v_cmp_lt_u32_e32 vcc_lo, 0x55555555, v28
	v_mul_lo_u32 v28, 0xaaaaaaab, v40
	v_mul_lo_u32 v4, 0xaaaaaaab, v4
	v_mul_lo_u32 v3, 0xaaaaaaab, v3
	v_mul_lo_u32 v2, 0xaaaaaaab, v2
	v_cndmask_b32_e64 v105, 0, 1, vcc_lo
	v_cmp_lt_u32_e32 vcc_lo, 0x55555555, v27
	v_mul_lo_u32 v27, 0xaaaaaaab, v38
	v_cndmask_b32_e64 v108, 0, 1, vcc_lo
	v_cmp_lt_u32_e32 vcc_lo, 0x55555555, v25
	v_mul_lo_u32 v25, 0xaaaaaaab, v39
	v_cmp_lt_u32_e64 s2, 0x55555555, v3
	v_cndmask_b32_e64 v107, 0, 1, vcc_lo
	v_cmp_lt_u32_e32 vcc_lo, 0x55555555, v26
	v_mul_lo_u32 v26, 0xaaaaaaab, v41
	s_delay_alu instid0(VALU_DEP_4)
	v_cndmask_b32_e64 v125, 0, 1, s2
	v_cndmask_b32_e64 v110, 0, 1, vcc_lo
	v_cmp_lt_u32_e32 vcc_lo, 0x55555555, v27
	v_mul_lo_u32 v27, 0xaaaaaaab, v42
	v_cndmask_b32_e64 v109, 0, 1, vcc_lo
	v_cmp_lt_u32_e32 vcc_lo, 0x55555555, v25
	v_mul_lo_u32 v25, 0xaaaaaaab, v43
	v_cndmask_b32_e64 v112, 0, 1, vcc_lo
	v_cmp_lt_u32_e32 vcc_lo, 0x55555555, v28
	v_cndmask_b32_e64 v111, 0, 1, vcc_lo
	v_cmp_lt_u32_e32 vcc_lo, 0x55555555, v26
	v_mul_lo_u32 v26, 0xaaaaaaab, v44
	v_cndmask_b32_e64 v114, 0, 1, vcc_lo
	v_cmp_lt_u32_e32 vcc_lo, 0x55555555, v27
	v_mul_lo_u32 v27, 0xaaaaaaab, v45
	v_cndmask_b32_e64 v113, 0, 1, vcc_lo
	v_cmp_lt_u32_e32 vcc_lo, 0x55555555, v25
	v_cndmask_b32_e64 v116, 0, 1, vcc_lo
	v_cmp_lt_u32_e32 vcc_lo, 0x55555555, v26
	;; [unrolled: 2-line block ×11, first 2 shown]
	s_and_b32 s16, vcc_lo, exec_lo
	s_clause 0x1
	s_load_b64 s[8:9], s[0:1], 0x28
	s_load_b64 s[2:3], s[0:1], 0x60
	s_cbranch_execz .LBB638_67
	s_branch .LBB638_128
.LBB638_66:
                                        ; implicit-def: $sgpr16
                                        ; implicit-def: $vgpr98
                                        ; implicit-def: $vgpr97
                                        ; implicit-def: $vgpr100
                                        ; implicit-def: $vgpr99
                                        ; implicit-def: $vgpr102
                                        ; implicit-def: $vgpr101
                                        ; implicit-def: $vgpr104
                                        ; implicit-def: $vgpr103
                                        ; implicit-def: $vgpr106
                                        ; implicit-def: $vgpr105
                                        ; implicit-def: $vgpr108
                                        ; implicit-def: $vgpr107
                                        ; implicit-def: $vgpr110
                                        ; implicit-def: $vgpr109
                                        ; implicit-def: $vgpr112
                                        ; implicit-def: $vgpr111
                                        ; implicit-def: $vgpr114
                                        ; implicit-def: $vgpr113
                                        ; implicit-def: $vgpr116
                                        ; implicit-def: $vgpr115
                                        ; implicit-def: $vgpr118
                                        ; implicit-def: $vgpr117
                                        ; implicit-def: $vgpr120
                                        ; implicit-def: $vgpr119
                                        ; implicit-def: $vgpr122
                                        ; implicit-def: $vgpr121
                                        ; implicit-def: $vgpr124
                                        ; implicit-def: $vgpr123
                                        ; implicit-def: $vgpr125
	s_clause 0x1
	s_load_b64 s[8:9], s[0:1], 0x28
	s_load_b64 s[2:3], s[0:1], 0x60
.LBB638_67:
	v_dual_mov_b32 v97, 0 :: v_dual_mov_b32 v98, 0
	s_mov_b32 s0, exec_lo
	v_cmpx_gt_u32_e64 s10, v1
; %bb.68:
	v_bfe_i32 v2, v21, 0, 16
	s_delay_alu instid0(VALU_DEP_1) | instskip(NEXT) | instid1(VALU_DEP_1)
	v_mul_lo_u32 v2, 0xaaaaaaab, v2
	v_cmp_lt_u32_e32 vcc_lo, 0x55555555, v2
	v_cndmask_b32_e64 v98, 0, 1, vcc_lo
; %bb.69:
	s_or_b32 exec_lo, exec_lo, s0
	v_or_b32_e32 v2, 1, v1
	s_mov_b32 s0, exec_lo
	s_delay_alu instid0(VALU_DEP_1)
	v_cmpx_gt_u32_e64 s10, v2
; %bb.70:
	v_bfe_i32 v2, v96, 0, 16
	s_delay_alu instid0(VALU_DEP_1) | instskip(NEXT) | instid1(VALU_DEP_1)
	v_mul_lo_u32 v2, 0xaaaaaaab, v2
	v_cmp_lt_u32_e32 vcc_lo, 0x55555555, v2
	v_cndmask_b32_e64 v97, 0, 1, vcc_lo
; %bb.71:
	s_or_b32 exec_lo, exec_lo, s0
	v_dual_mov_b32 v99, 0 :: v_dual_add_nc_u32 v2, 2, v1
	v_mov_b32_e32 v100, 0
	s_mov_b32 s0, exec_lo
	s_delay_alu instid0(VALU_DEP_2)
	v_cmpx_gt_u32_e64 s10, v2
; %bb.72:
	v_bfe_i32 v2, v22, 0, 16
	s_delay_alu instid0(VALU_DEP_1) | instskip(NEXT) | instid1(VALU_DEP_1)
	v_mul_lo_u32 v2, 0xaaaaaaab, v2
	v_cmp_lt_u32_e32 vcc_lo, 0x55555555, v2
	v_cndmask_b32_e64 v100, 0, 1, vcc_lo
; %bb.73:
	s_or_b32 exec_lo, exec_lo, s0
	v_add_nc_u32_e32 v2, 3, v1
	s_mov_b32 s0, exec_lo
	s_delay_alu instid0(VALU_DEP_1)
	v_cmpx_gt_u32_e64 s10, v2
; %bb.74:
	v_bfe_i32 v2, v95, 0, 16
	s_delay_alu instid0(VALU_DEP_1) | instskip(NEXT) | instid1(VALU_DEP_1)
	v_mul_lo_u32 v2, 0xaaaaaaab, v2
	v_cmp_lt_u32_e32 vcc_lo, 0x55555555, v2
	v_cndmask_b32_e64 v99, 0, 1, vcc_lo
; %bb.75:
	s_or_b32 exec_lo, exec_lo, s0
	v_dual_mov_b32 v101, 0 :: v_dual_add_nc_u32 v2, 4, v1
	v_mov_b32_e32 v102, 0
	s_mov_b32 s0, exec_lo
	s_delay_alu instid0(VALU_DEP_2)
	v_cmpx_gt_u32_e64 s10, v2
; %bb.76:
	v_bfe_i32 v2, v19, 0, 16
	s_delay_alu instid0(VALU_DEP_1) | instskip(NEXT) | instid1(VALU_DEP_1)
	v_mul_lo_u32 v2, 0xaaaaaaab, v2
	v_cmp_lt_u32_e32 vcc_lo, 0x55555555, v2
	v_cndmask_b32_e64 v102, 0, 1, vcc_lo
; %bb.77:
	s_or_b32 exec_lo, exec_lo, s0
	v_add_nc_u32_e32 v2, 5, v1
	s_mov_b32 s0, exec_lo
	s_delay_alu instid0(VALU_DEP_1)
	v_cmpx_gt_u32_e64 s10, v2
; %bb.78:
	v_bfe_i32 v2, v94, 0, 16
	s_delay_alu instid0(VALU_DEP_1) | instskip(NEXT) | instid1(VALU_DEP_1)
	v_mul_lo_u32 v2, 0xaaaaaaab, v2
	v_cmp_lt_u32_e32 vcc_lo, 0x55555555, v2
	v_cndmask_b32_e64 v101, 0, 1, vcc_lo
; %bb.79:
	s_or_b32 exec_lo, exec_lo, s0
	v_dual_mov_b32 v103, 0 :: v_dual_add_nc_u32 v2, 6, v1
	v_mov_b32_e32 v104, 0
	s_mov_b32 s0, exec_lo
	s_delay_alu instid0(VALU_DEP_2)
	v_cmpx_gt_u32_e64 s10, v2
; %bb.80:
	v_bfe_i32 v2, v20, 0, 16
	s_delay_alu instid0(VALU_DEP_1) | instskip(NEXT) | instid1(VALU_DEP_1)
	v_mul_lo_u32 v2, 0xaaaaaaab, v2
	v_cmp_lt_u32_e32 vcc_lo, 0x55555555, v2
	v_cndmask_b32_e64 v104, 0, 1, vcc_lo
; %bb.81:
	s_or_b32 exec_lo, exec_lo, s0
	v_add_nc_u32_e32 v2, 7, v1
	s_mov_b32 s0, exec_lo
	s_delay_alu instid0(VALU_DEP_1)
	v_cmpx_gt_u32_e64 s10, v2
; %bb.82:
	v_bfe_i32 v2, v93, 0, 16
	s_delay_alu instid0(VALU_DEP_1) | instskip(NEXT) | instid1(VALU_DEP_1)
	v_mul_lo_u32 v2, 0xaaaaaaab, v2
	v_cmp_lt_u32_e32 vcc_lo, 0x55555555, v2
	v_cndmask_b32_e64 v103, 0, 1, vcc_lo
; %bb.83:
	s_or_b32 exec_lo, exec_lo, s0
	v_dual_mov_b32 v105, 0 :: v_dual_add_nc_u32 v2, 8, v1
	v_mov_b32_e32 v106, 0
	s_mov_b32 s0, exec_lo
	s_delay_alu instid0(VALU_DEP_2)
	v_cmpx_gt_u32_e64 s10, v2
; %bb.84:
	v_bfe_i32 v2, v17, 0, 16
	s_delay_alu instid0(VALU_DEP_1) | instskip(NEXT) | instid1(VALU_DEP_1)
	v_mul_lo_u32 v2, 0xaaaaaaab, v2
	v_cmp_lt_u32_e32 vcc_lo, 0x55555555, v2
	v_cndmask_b32_e64 v106, 0, 1, vcc_lo
; %bb.85:
	s_or_b32 exec_lo, exec_lo, s0
	v_add_nc_u32_e32 v2, 9, v1
	s_mov_b32 s0, exec_lo
	s_delay_alu instid0(VALU_DEP_1)
	v_cmpx_gt_u32_e64 s10, v2
; %bb.86:
	v_bfe_i32 v2, v92, 0, 16
	s_delay_alu instid0(VALU_DEP_1) | instskip(NEXT) | instid1(VALU_DEP_1)
	v_mul_lo_u32 v2, 0xaaaaaaab, v2
	v_cmp_lt_u32_e32 vcc_lo, 0x55555555, v2
	v_cndmask_b32_e64 v105, 0, 1, vcc_lo
; %bb.87:
	s_or_b32 exec_lo, exec_lo, s0
	v_dual_mov_b32 v107, 0 :: v_dual_add_nc_u32 v2, 10, v1
	v_mov_b32_e32 v108, 0
	s_mov_b32 s0, exec_lo
	s_delay_alu instid0(VALU_DEP_2)
	v_cmpx_gt_u32_e64 s10, v2
; %bb.88:
	v_bfe_i32 v2, v18, 0, 16
	s_delay_alu instid0(VALU_DEP_1) | instskip(NEXT) | instid1(VALU_DEP_1)
	v_mul_lo_u32 v2, 0xaaaaaaab, v2
	v_cmp_lt_u32_e32 vcc_lo, 0x55555555, v2
	v_cndmask_b32_e64 v108, 0, 1, vcc_lo
; %bb.89:
	s_or_b32 exec_lo, exec_lo, s0
	v_add_nc_u32_e32 v2, 11, v1
	s_mov_b32 s0, exec_lo
	s_delay_alu instid0(VALU_DEP_1)
	v_cmpx_gt_u32_e64 s10, v2
; %bb.90:
	v_bfe_i32 v2, v91, 0, 16
	s_delay_alu instid0(VALU_DEP_1) | instskip(NEXT) | instid1(VALU_DEP_1)
	v_mul_lo_u32 v2, 0xaaaaaaab, v2
	v_cmp_lt_u32_e32 vcc_lo, 0x55555555, v2
	v_cndmask_b32_e64 v107, 0, 1, vcc_lo
; %bb.91:
	s_or_b32 exec_lo, exec_lo, s0
	v_dual_mov_b32 v109, 0 :: v_dual_add_nc_u32 v2, 12, v1
	v_mov_b32_e32 v110, 0
	s_mov_b32 s0, exec_lo
	s_delay_alu instid0(VALU_DEP_2)
	v_cmpx_gt_u32_e64 s10, v2
; %bb.92:
	v_bfe_i32 v2, v15, 0, 16
	s_delay_alu instid0(VALU_DEP_1) | instskip(NEXT) | instid1(VALU_DEP_1)
	v_mul_lo_u32 v2, 0xaaaaaaab, v2
	v_cmp_lt_u32_e32 vcc_lo, 0x55555555, v2
	v_cndmask_b32_e64 v110, 0, 1, vcc_lo
; %bb.93:
	s_or_b32 exec_lo, exec_lo, s0
	v_add_nc_u32_e32 v2, 13, v1
	s_mov_b32 s0, exec_lo
	s_delay_alu instid0(VALU_DEP_1)
	v_cmpx_gt_u32_e64 s10, v2
; %bb.94:
	v_bfe_i32 v2, v90, 0, 16
	s_delay_alu instid0(VALU_DEP_1) | instskip(NEXT) | instid1(VALU_DEP_1)
	v_mul_lo_u32 v2, 0xaaaaaaab, v2
	v_cmp_lt_u32_e32 vcc_lo, 0x55555555, v2
	v_cndmask_b32_e64 v109, 0, 1, vcc_lo
; %bb.95:
	s_or_b32 exec_lo, exec_lo, s0
	v_dual_mov_b32 v111, 0 :: v_dual_add_nc_u32 v2, 14, v1
	v_mov_b32_e32 v112, 0
	s_mov_b32 s0, exec_lo
	s_delay_alu instid0(VALU_DEP_2)
	v_cmpx_gt_u32_e64 s10, v2
; %bb.96:
	v_bfe_i32 v2, v16, 0, 16
	s_delay_alu instid0(VALU_DEP_1) | instskip(NEXT) | instid1(VALU_DEP_1)
	v_mul_lo_u32 v2, 0xaaaaaaab, v2
	v_cmp_lt_u32_e32 vcc_lo, 0x55555555, v2
	v_cndmask_b32_e64 v112, 0, 1, vcc_lo
; %bb.97:
	s_or_b32 exec_lo, exec_lo, s0
	v_add_nc_u32_e32 v2, 15, v1
	s_mov_b32 s0, exec_lo
	s_delay_alu instid0(VALU_DEP_1)
	v_cmpx_gt_u32_e64 s10, v2
; %bb.98:
	v_bfe_i32 v2, v89, 0, 16
	s_delay_alu instid0(VALU_DEP_1) | instskip(NEXT) | instid1(VALU_DEP_1)
	v_mul_lo_u32 v2, 0xaaaaaaab, v2
	v_cmp_lt_u32_e32 vcc_lo, 0x55555555, v2
	v_cndmask_b32_e64 v111, 0, 1, vcc_lo
; %bb.99:
	s_or_b32 exec_lo, exec_lo, s0
	v_dual_mov_b32 v113, 0 :: v_dual_add_nc_u32 v2, 16, v1
	v_mov_b32_e32 v114, 0
	s_mov_b32 s0, exec_lo
	s_delay_alu instid0(VALU_DEP_2)
	v_cmpx_gt_u32_e64 s10, v2
; %bb.100:
	v_bfe_i32 v2, v13, 0, 16
	s_delay_alu instid0(VALU_DEP_1) | instskip(NEXT) | instid1(VALU_DEP_1)
	v_mul_lo_u32 v2, 0xaaaaaaab, v2
	v_cmp_lt_u32_e32 vcc_lo, 0x55555555, v2
	v_cndmask_b32_e64 v114, 0, 1, vcc_lo
; %bb.101:
	s_or_b32 exec_lo, exec_lo, s0
	v_add_nc_u32_e32 v2, 17, v1
	s_mov_b32 s0, exec_lo
	s_delay_alu instid0(VALU_DEP_1)
	v_cmpx_gt_u32_e64 s10, v2
; %bb.102:
	v_bfe_i32 v2, v88, 0, 16
	s_delay_alu instid0(VALU_DEP_1) | instskip(NEXT) | instid1(VALU_DEP_1)
	v_mul_lo_u32 v2, 0xaaaaaaab, v2
	v_cmp_lt_u32_e32 vcc_lo, 0x55555555, v2
	v_cndmask_b32_e64 v113, 0, 1, vcc_lo
; %bb.103:
	s_or_b32 exec_lo, exec_lo, s0
	v_dual_mov_b32 v115, 0 :: v_dual_add_nc_u32 v2, 18, v1
	v_mov_b32_e32 v116, 0
	s_mov_b32 s0, exec_lo
	s_delay_alu instid0(VALU_DEP_2)
	v_cmpx_gt_u32_e64 s10, v2
; %bb.104:
	v_bfe_i32 v2, v14, 0, 16
	s_delay_alu instid0(VALU_DEP_1) | instskip(NEXT) | instid1(VALU_DEP_1)
	v_mul_lo_u32 v2, 0xaaaaaaab, v2
	v_cmp_lt_u32_e32 vcc_lo, 0x55555555, v2
	v_cndmask_b32_e64 v116, 0, 1, vcc_lo
; %bb.105:
	s_or_b32 exec_lo, exec_lo, s0
	v_add_nc_u32_e32 v2, 19, v1
	s_mov_b32 s0, exec_lo
	s_delay_alu instid0(VALU_DEP_1)
	v_cmpx_gt_u32_e64 s10, v2
; %bb.106:
	v_bfe_i32 v2, v87, 0, 16
	s_delay_alu instid0(VALU_DEP_1) | instskip(NEXT) | instid1(VALU_DEP_1)
	v_mul_lo_u32 v2, 0xaaaaaaab, v2
	v_cmp_lt_u32_e32 vcc_lo, 0x55555555, v2
	v_cndmask_b32_e64 v115, 0, 1, vcc_lo
; %bb.107:
	s_or_b32 exec_lo, exec_lo, s0
	v_dual_mov_b32 v117, 0 :: v_dual_add_nc_u32 v2, 20, v1
	v_mov_b32_e32 v118, 0
	s_mov_b32 s0, exec_lo
	s_delay_alu instid0(VALU_DEP_2)
	v_cmpx_gt_u32_e64 s10, v2
; %bb.108:
	v_bfe_i32 v2, v11, 0, 16
	s_delay_alu instid0(VALU_DEP_1) | instskip(NEXT) | instid1(VALU_DEP_1)
	v_mul_lo_u32 v2, 0xaaaaaaab, v2
	v_cmp_lt_u32_e32 vcc_lo, 0x55555555, v2
	v_cndmask_b32_e64 v118, 0, 1, vcc_lo
; %bb.109:
	s_or_b32 exec_lo, exec_lo, s0
	v_add_nc_u32_e32 v2, 21, v1
	s_mov_b32 s0, exec_lo
	s_delay_alu instid0(VALU_DEP_1)
	v_cmpx_gt_u32_e64 s10, v2
; %bb.110:
	v_bfe_i32 v2, v86, 0, 16
	s_delay_alu instid0(VALU_DEP_1) | instskip(NEXT) | instid1(VALU_DEP_1)
	v_mul_lo_u32 v2, 0xaaaaaaab, v2
	v_cmp_lt_u32_e32 vcc_lo, 0x55555555, v2
	v_cndmask_b32_e64 v117, 0, 1, vcc_lo
; %bb.111:
	s_or_b32 exec_lo, exec_lo, s0
	v_dual_mov_b32 v119, 0 :: v_dual_add_nc_u32 v2, 22, v1
	v_mov_b32_e32 v120, 0
	s_mov_b32 s0, exec_lo
	s_delay_alu instid0(VALU_DEP_2)
	v_cmpx_gt_u32_e64 s10, v2
; %bb.112:
	v_bfe_i32 v2, v12, 0, 16
	s_delay_alu instid0(VALU_DEP_1) | instskip(NEXT) | instid1(VALU_DEP_1)
	v_mul_lo_u32 v2, 0xaaaaaaab, v2
	v_cmp_lt_u32_e32 vcc_lo, 0x55555555, v2
	v_cndmask_b32_e64 v120, 0, 1, vcc_lo
; %bb.113:
	s_or_b32 exec_lo, exec_lo, s0
	v_add_nc_u32_e32 v2, 23, v1
	s_mov_b32 s0, exec_lo
	s_delay_alu instid0(VALU_DEP_1)
	v_cmpx_gt_u32_e64 s10, v2
; %bb.114:
	v_bfe_i32 v2, v85, 0, 16
	s_delay_alu instid0(VALU_DEP_1) | instskip(NEXT) | instid1(VALU_DEP_1)
	v_mul_lo_u32 v2, 0xaaaaaaab, v2
	v_cmp_lt_u32_e32 vcc_lo, 0x55555555, v2
	v_cndmask_b32_e64 v119, 0, 1, vcc_lo
; %bb.115:
	s_or_b32 exec_lo, exec_lo, s0
	v_dual_mov_b32 v121, 0 :: v_dual_add_nc_u32 v2, 24, v1
	v_mov_b32_e32 v122, 0
	s_mov_b32 s0, exec_lo
	s_delay_alu instid0(VALU_DEP_2)
	v_cmpx_gt_u32_e64 s10, v2
; %bb.116:
	v_bfe_i32 v2, v9, 0, 16
	s_delay_alu instid0(VALU_DEP_1) | instskip(NEXT) | instid1(VALU_DEP_1)
	v_mul_lo_u32 v2, 0xaaaaaaab, v2
	v_cmp_lt_u32_e32 vcc_lo, 0x55555555, v2
	v_cndmask_b32_e64 v122, 0, 1, vcc_lo
; %bb.117:
	s_or_b32 exec_lo, exec_lo, s0
	v_add_nc_u32_e32 v2, 25, v1
	s_mov_b32 s0, exec_lo
	s_delay_alu instid0(VALU_DEP_1)
	v_cmpx_gt_u32_e64 s10, v2
; %bb.118:
	v_bfe_i32 v2, v84, 0, 16
	s_delay_alu instid0(VALU_DEP_1) | instskip(NEXT) | instid1(VALU_DEP_1)
	v_mul_lo_u32 v2, 0xaaaaaaab, v2
	v_cmp_lt_u32_e32 vcc_lo, 0x55555555, v2
	v_cndmask_b32_e64 v121, 0, 1, vcc_lo
; %bb.119:
	s_or_b32 exec_lo, exec_lo, s0
	v_dual_mov_b32 v123, 0 :: v_dual_add_nc_u32 v2, 26, v1
	v_mov_b32_e32 v124, 0
	s_mov_b32 s0, exec_lo
	s_delay_alu instid0(VALU_DEP_2)
	v_cmpx_gt_u32_e64 s10, v2
; %bb.120:
	v_bfe_i32 v2, v10, 0, 16
	s_delay_alu instid0(VALU_DEP_1) | instskip(NEXT) | instid1(VALU_DEP_1)
	v_mul_lo_u32 v2, 0xaaaaaaab, v2
	v_cmp_lt_u32_e32 vcc_lo, 0x55555555, v2
	v_cndmask_b32_e64 v124, 0, 1, vcc_lo
; %bb.121:
	s_or_b32 exec_lo, exec_lo, s0
	v_add_nc_u32_e32 v2, 27, v1
	s_mov_b32 s0, exec_lo
	s_delay_alu instid0(VALU_DEP_1)
	v_cmpx_gt_u32_e64 s10, v2
; %bb.122:
	v_bfe_i32 v2, v83, 0, 16
	s_delay_alu instid0(VALU_DEP_1) | instskip(NEXT) | instid1(VALU_DEP_1)
	v_mul_lo_u32 v2, 0xaaaaaaab, v2
	v_cmp_lt_u32_e32 vcc_lo, 0x55555555, v2
	v_cndmask_b32_e64 v123, 0, 1, vcc_lo
; %bb.123:
	s_or_b32 exec_lo, exec_lo, s0
	v_dual_mov_b32 v125, 0 :: v_dual_add_nc_u32 v2, 28, v1
	s_mov_b32 s0, exec_lo
	s_delay_alu instid0(VALU_DEP_1)
	v_cmpx_gt_u32_e64 s10, v2
; %bb.124:
	v_bfe_i32 v2, v81, 0, 16
	s_delay_alu instid0(VALU_DEP_1) | instskip(NEXT) | instid1(VALU_DEP_1)
	v_mul_lo_u32 v2, 0xaaaaaaab, v2
	v_cmp_lt_u32_e32 vcc_lo, 0x55555555, v2
	v_cndmask_b32_e64 v125, 0, 1, vcc_lo
; %bb.125:
	s_or_b32 exec_lo, exec_lo, s0
	v_add_nc_u32_e32 v1, 29, v1
	s_mov_b32 s16, 0
	s_mov_b32 s0, exec_lo
	s_delay_alu instid0(VALU_DEP_1)
	v_cmpx_gt_u32_e64 s10, v1
; %bb.126:
	v_bfe_i32 v1, v82, 0, 16
	s_delay_alu instid0(VALU_DEP_1) | instskip(NEXT) | instid1(VALU_DEP_1)
	v_mul_lo_u32 v1, 0xaaaaaaab, v1
	v_cmp_lt_u32_e32 vcc_lo, 0x55555555, v1
	s_and_b32 s16, vcc_lo, exec_lo
; %bb.127:
	s_or_b32 exec_lo, exec_lo, s0
.LBB638_128:
	v_dual_mov_b32 v2, 0 :: v_dual_and_b32 v79, 0xff, v125
	v_cndmask_b32_e64 v1, 0, 1, s16
	v_and_b32_e32 v80, 0xff, v123
	v_and_b32_e32 v126, 0xff, v124
	;; [unrolled: 1-line block ×4, first 2 shown]
	v_add_co_u32 v1, s0, v79, v1
	s_delay_alu instid0(VALU_DEP_1) | instskip(SKIP_1) | instid1(VALU_DEP_3)
	v_add_co_ci_u32_e64 v3, null, 0, 0, s0
	v_and_b32_e32 v129, 0xff, v119
	v_add_co_u32 v1, vcc_lo, v1, v80
	s_delay_alu instid0(VALU_DEP_3) | instskip(SKIP_1) | instid1(VALU_DEP_3)
	v_add_co_ci_u32_e32 v3, vcc_lo, 0, v3, vcc_lo
	v_and_b32_e32 v31, 0xff, v120
	v_add_co_u32 v1, vcc_lo, v1, v126
	s_delay_alu instid0(VALU_DEP_3) | instskip(SKIP_1) | instid1(VALU_DEP_3)
	v_add_co_ci_u32_e32 v3, vcc_lo, 0, v3, vcc_lo
	;; [unrolled: 4-line block ×23, first 2 shown]
	v_mbcnt_lo_u32_b32 v54, -1, 0
	v_add_co_u32 v1, vcc_lo, v1, v50
	s_delay_alu instid0(VALU_DEP_3) | instskip(SKIP_1) | instid1(VALU_DEP_3)
	v_add_co_ci_u32_e32 v3, vcc_lo, 0, v3, vcc_lo
	v_and_b32_e32 v42, 0xff, v98
	v_add_co_u32 v1, vcc_lo, v1, v51
	s_delay_alu instid0(VALU_DEP_3) | instskip(SKIP_1) | instid1(VALU_DEP_3)
	v_add_co_ci_u32_e32 v3, vcc_lo, 0, v3, vcc_lo
	v_and_b32_e32 v55, 15, v54
	v_add_co_u32 v1, vcc_lo, v1, v52
	s_delay_alu instid0(VALU_DEP_3) | instskip(NEXT) | instid1(VALU_DEP_3)
	v_add_co_ci_u32_e32 v3, vcc_lo, 0, v3, vcc_lo
	v_cmp_ne_u32_e64 s0, 0, v55
	s_delay_alu instid0(VALU_DEP_3) | instskip(NEXT) | instid1(VALU_DEP_3)
	v_add_co_u32 v1, vcc_lo, v1, v53
	v_add_co_ci_u32_e32 v3, vcc_lo, 0, v3, vcc_lo
	s_cmp_lg_u32 s15, 0
	s_delay_alu instid0(VALU_DEP_2) | instskip(NEXT) | instid1(VALU_DEP_2)
	v_add_co_u32 v23, vcc_lo, v1, v42
	v_add_co_ci_u32_e32 v24, vcc_lo, 0, v3, vcc_lo
	s_mov_b32 s1, -1
	s_cbranch_scc0 .LBB638_193
; %bb.129:
	s_delay_alu instid0(VALU_DEP_2)
	v_mov_b32_e32 v3, v23
	v_mov_b32_dpp v1, v23 row_shr:1 row_mask:0xf bank_mask:0xf
	v_mov_b32_dpp v6, v2 row_shr:1 row_mask:0xf bank_mask:0xf
	v_dual_mov_b32 v5, v23 :: v_dual_mov_b32 v4, v24
	s_and_saveexec_b32 s1, s0
; %bb.130:
	s_delay_alu instid0(VALU_DEP_3) | instskip(SKIP_1) | instid1(VALU_DEP_2)
	v_add_co_u32 v5, vcc_lo, v23, v1
	v_add_co_ci_u32_e32 v2, vcc_lo, 0, v24, vcc_lo
	v_add_co_u32 v1, vcc_lo, 0, v5
	s_delay_alu instid0(VALU_DEP_2) | instskip(NEXT) | instid1(VALU_DEP_1)
	v_add_co_ci_u32_e32 v2, vcc_lo, v6, v2, vcc_lo
	v_dual_mov_b32 v4, v2 :: v_dual_mov_b32 v3, v1
; %bb.131:
	s_or_b32 exec_lo, exec_lo, s1
	v_mov_b32_dpp v1, v5 row_shr:2 row_mask:0xf bank_mask:0xf
	v_mov_b32_dpp v6, v2 row_shr:2 row_mask:0xf bank_mask:0xf
	s_mov_b32 s1, exec_lo
	v_cmpx_lt_u32_e32 1, v55
; %bb.132:
	s_delay_alu instid0(VALU_DEP_3) | instskip(SKIP_1) | instid1(VALU_DEP_2)
	v_add_co_u32 v5, vcc_lo, v3, v1
	v_add_co_ci_u32_e32 v2, vcc_lo, 0, v4, vcc_lo
	v_add_co_u32 v1, vcc_lo, 0, v5
	s_delay_alu instid0(VALU_DEP_2) | instskip(NEXT) | instid1(VALU_DEP_1)
	v_add_co_ci_u32_e32 v2, vcc_lo, v6, v2, vcc_lo
	v_dual_mov_b32 v4, v2 :: v_dual_mov_b32 v3, v1
; %bb.133:
	s_or_b32 exec_lo, exec_lo, s1
	v_mov_b32_dpp v1, v5 row_shr:4 row_mask:0xf bank_mask:0xf
	v_mov_b32_dpp v6, v2 row_shr:4 row_mask:0xf bank_mask:0xf
	s_mov_b32 s1, exec_lo
	v_cmpx_lt_u32_e32 3, v55
; %bb.134:
	s_delay_alu instid0(VALU_DEP_3) | instskip(SKIP_1) | instid1(VALU_DEP_2)
	v_add_co_u32 v5, vcc_lo, v3, v1
	v_add_co_ci_u32_e32 v2, vcc_lo, 0, v4, vcc_lo
	v_add_co_u32 v1, vcc_lo, 0, v5
	s_delay_alu instid0(VALU_DEP_2) | instskip(NEXT) | instid1(VALU_DEP_1)
	v_add_co_ci_u32_e32 v2, vcc_lo, v6, v2, vcc_lo
	v_dual_mov_b32 v4, v2 :: v_dual_mov_b32 v3, v1
; %bb.135:
	s_or_b32 exec_lo, exec_lo, s1
	v_mov_b32_dpp v6, v5 row_shr:8 row_mask:0xf bank_mask:0xf
	v_mov_b32_dpp v1, v2 row_shr:8 row_mask:0xf bank_mask:0xf
	s_mov_b32 s1, exec_lo
	v_cmpx_lt_u32_e32 7, v55
; %bb.136:
	s_delay_alu instid0(VALU_DEP_3) | instskip(SKIP_1) | instid1(VALU_DEP_2)
	v_add_co_u32 v5, vcc_lo, v3, v6
	v_add_co_ci_u32_e32 v2, vcc_lo, 0, v4, vcc_lo
	v_add_co_u32 v3, vcc_lo, 0, v5
	s_delay_alu instid0(VALU_DEP_2) | instskip(NEXT) | instid1(VALU_DEP_1)
	v_add_co_ci_u32_e32 v4, vcc_lo, v1, v2, vcc_lo
	v_mov_b32_e32 v2, v4
; %bb.137:
	s_or_b32 exec_lo, exec_lo, s1
	ds_swizzle_b32 v1, v5 offset:swizzle(BROADCAST,32,15)
	ds_swizzle_b32 v6, v2 offset:swizzle(BROADCAST,32,15)
	v_and_b32_e32 v7, 16, v54
	s_mov_b32 s1, exec_lo
	s_delay_alu instid0(VALU_DEP_1)
	v_cmpx_ne_u32_e32 0, v7
	s_cbranch_execz .LBB638_139
; %bb.138:
	s_waitcnt lgkmcnt(0)
	v_add_co_u32 v5, vcc_lo, v3, v1
	v_add_co_ci_u32_e32 v2, vcc_lo, 0, v4, vcc_lo
	s_delay_alu instid0(VALU_DEP_2) | instskip(NEXT) | instid1(VALU_DEP_2)
	v_add_co_u32 v1, vcc_lo, 0, v5
	v_add_co_ci_u32_e32 v2, vcc_lo, v6, v2, vcc_lo
	s_delay_alu instid0(VALU_DEP_1)
	v_dual_mov_b32 v4, v2 :: v_dual_mov_b32 v3, v1
.LBB638_139:
	s_or_b32 exec_lo, exec_lo, s1
	s_waitcnt lgkmcnt(0)
	v_or_b32_e32 v6, 31, v0
	v_lshrrev_b32_e32 v1, 5, v0
	s_mov_b32 s1, exec_lo
	s_delay_alu instid0(VALU_DEP_2)
	v_cmpx_eq_u32_e64 v6, v0
	s_cbranch_execz .LBB638_141
; %bb.140:
	s_delay_alu instid0(VALU_DEP_2)
	v_lshlrev_b32_e32 v6, 3, v1
	ds_store_b64 v6, v[3:4]
.LBB638_141:
	s_or_b32 exec_lo, exec_lo, s1
	s_delay_alu instid0(SALU_CYCLE_1)
	s_mov_b32 s1, exec_lo
	s_waitcnt lgkmcnt(0)
	s_barrier
	buffer_gl0_inv
	v_cmpx_gt_u32_e32 4, v0
	s_cbranch_execz .LBB638_147
; %bb.142:
	v_lshlrev_b32_e32 v6, 3, v0
	s_mov_b32 s10, exec_lo
	ds_load_b64 v[3:4], v6
	s_waitcnt lgkmcnt(0)
	v_dual_mov_b32 v8, v3 :: v_dual_and_b32 v7, 3, v54
	v_mov_b32_dpp v26, v3 row_shr:1 row_mask:0xf bank_mask:0xf
	v_mov_b32_dpp v25, v4 row_shr:1 row_mask:0xf bank_mask:0xf
	s_delay_alu instid0(VALU_DEP_3)
	v_cmpx_ne_u32_e32 0, v7
; %bb.143:
	s_delay_alu instid0(VALU_DEP_3) | instskip(SKIP_1) | instid1(VALU_DEP_2)
	v_add_co_u32 v8, vcc_lo, v3, v26
	v_add_co_ci_u32_e32 v4, vcc_lo, 0, v4, vcc_lo
	v_add_co_u32 v3, vcc_lo, 0, v8
	s_delay_alu instid0(VALU_DEP_2)
	v_add_co_ci_u32_e32 v4, vcc_lo, v25, v4, vcc_lo
; %bb.144:
	s_or_b32 exec_lo, exec_lo, s10
	v_mov_b32_dpp v25, v8 row_shr:2 row_mask:0xf bank_mask:0xf
	s_delay_alu instid0(VALU_DEP_2)
	v_mov_b32_dpp v8, v4 row_shr:2 row_mask:0xf bank_mask:0xf
	s_mov_b32 s10, exec_lo
	v_cmpx_lt_u32_e32 1, v7
; %bb.145:
	s_delay_alu instid0(VALU_DEP_3) | instskip(SKIP_1) | instid1(VALU_DEP_2)
	v_add_co_u32 v3, vcc_lo, v3, v25
	v_add_co_ci_u32_e32 v4, vcc_lo, 0, v4, vcc_lo
	v_add_co_u32 v3, vcc_lo, v3, 0
	s_delay_alu instid0(VALU_DEP_2)
	v_add_co_ci_u32_e32 v4, vcc_lo, v4, v8, vcc_lo
; %bb.146:
	s_or_b32 exec_lo, exec_lo, s10
	ds_store_b64 v6, v[3:4]
.LBB638_147:
	s_or_b32 exec_lo, exec_lo, s1
	v_cmp_gt_u32_e32 vcc_lo, 32, v0
	s_mov_b32 s10, exec_lo
	s_waitcnt lgkmcnt(0)
	s_barrier
	buffer_gl0_inv
                                        ; implicit-def: $vgpr25_vgpr26
	v_cmpx_lt_u32_e32 31, v0
	s_cbranch_execz .LBB638_149
; %bb.148:
	v_lshl_add_u32 v1, v1, 3, -8
	ds_load_b64 v[25:26], v1
	s_waitcnt lgkmcnt(0)
	v_add_co_u32 v5, s1, v5, v25
	s_delay_alu instid0(VALU_DEP_1)
	v_add_co_ci_u32_e64 v2, s1, v2, v26, s1
.LBB638_149:
	s_or_b32 exec_lo, exec_lo, s10
	v_add_nc_u32_e32 v1, -1, v54
	s_delay_alu instid0(VALU_DEP_1) | instskip(NEXT) | instid1(VALU_DEP_1)
	v_cmp_gt_i32_e64 s1, 0, v1
	v_cndmask_b32_e64 v1, v1, v54, s1
	v_cmp_eq_u32_e64 s1, 0, v54
	s_delay_alu instid0(VALU_DEP_2)
	v_lshlrev_b32_e32 v1, 2, v1
	ds_bpermute_b32 v56, v1, v5
	ds_bpermute_b32 v57, v1, v2
	s_and_saveexec_b32 s10, vcc_lo
	s_cbranch_execz .LBB638_192
; %bb.150:
	v_mov_b32_e32 v4, 0
	ds_load_b64 v[1:2], v4 offset:24
	s_and_saveexec_b32 s11, s1
	s_cbranch_execz .LBB638_152
; %bb.151:
	s_add_i32 s18, s15, 32
	s_mov_b32 s19, 0
	s_delay_alu instid0(SALU_CYCLE_1) | instskip(NEXT) | instid1(SALU_CYCLE_1)
	s_lshl_b64 s[18:19], s[18:19], 4
	s_add_u32 s18, s2, s18
	s_addc_u32 s19, s3, s19
	v_mov_b32_e32 v5, s18
	v_dual_mov_b32 v3, 1 :: v_dual_mov_b32 v6, s19
	s_waitcnt lgkmcnt(0)
	;;#ASMSTART
	global_store_dwordx4 v[5:6], v[1:4] off	
s_waitcnt vmcnt(0)
	;;#ASMEND
.LBB638_152:
	s_or_b32 exec_lo, exec_lo, s11
	v_xad_u32 v27, v54, -1, s15
	s_mov_b32 s17, 0
	s_mov_b32 s11, exec_lo
	s_delay_alu instid0(VALU_DEP_1) | instskip(NEXT) | instid1(VALU_DEP_1)
	v_add_nc_u32_e32 v3, 32, v27
	v_lshlrev_b64 v[3:4], 4, v[3:4]
	s_delay_alu instid0(VALU_DEP_1) | instskip(NEXT) | instid1(VALU_DEP_2)
	v_add_co_u32 v3, vcc_lo, s2, v3
	v_add_co_ci_u32_e32 v4, vcc_lo, s3, v4, vcc_lo
	;;#ASMSTART
	global_load_dwordx4 v[5:8], v[3:4] off glc	
s_waitcnt vmcnt(0)
	;;#ASMEND
	v_and_b32_e32 v8, 0xff, v6
	v_and_b32_e32 v28, 0xff00, v6
	v_or3_b32 v5, v5, 0, 0
	v_and_b32_e32 v29, 0xff000000, v6
	v_and_b32_e32 v6, 0xff0000, v6
	s_delay_alu instid0(VALU_DEP_4) | instskip(SKIP_2) | instid1(VALU_DEP_3)
	v_or3_b32 v8, 0, v8, v28
	v_and_b32_e32 v28, 0xff, v7
	v_or3_b32 v5, v5, 0, 0
	v_or3_b32 v6, v8, v6, v29
	s_delay_alu instid0(VALU_DEP_3)
	v_cmpx_eq_u16_e32 0, v28
	s_cbranch_execz .LBB638_158
; %bb.153:
	s_mov_b32 s18, 1
	.p2align	6
.LBB638_154:                            ; =>This Loop Header: Depth=1
                                        ;     Child Loop BB638_155 Depth 2
	s_delay_alu instid0(SALU_CYCLE_1)
	s_max_u32 s19, s18, 1
.LBB638_155:                            ;   Parent Loop BB638_154 Depth=1
                                        ; =>  This Inner Loop Header: Depth=2
	s_delay_alu instid0(SALU_CYCLE_1)
	s_add_i32 s19, s19, -1
	s_sleep 1
	s_cmp_eq_u32 s19, 0
	s_cbranch_scc0 .LBB638_155
; %bb.156:                              ;   in Loop: Header=BB638_154 Depth=1
	;;#ASMSTART
	global_load_dwordx4 v[5:8], v[3:4] off glc	
s_waitcnt vmcnt(0)
	;;#ASMEND
	v_and_b32_e32 v8, 0xff, v7
	s_cmp_lt_u32 s18, 32
	s_cselect_b32 s19, -1, 0
	s_delay_alu instid0(SALU_CYCLE_1) | instskip(NEXT) | instid1(VALU_DEP_1)
	s_cmp_lg_u32 s19, 0
	v_cmp_ne_u16_e32 vcc_lo, 0, v8
	s_addc_u32 s18, s18, 0
	s_or_b32 s17, vcc_lo, s17
	s_delay_alu instid0(SALU_CYCLE_1)
	s_and_not1_b32 exec_lo, exec_lo, s17
	s_cbranch_execnz .LBB638_154
; %bb.157:
	s_or_b32 exec_lo, exec_lo, s17
.LBB638_158:
	s_delay_alu instid0(SALU_CYCLE_1)
	s_or_b32 exec_lo, exec_lo, s11
	v_cmp_ne_u32_e32 vcc_lo, 31, v54
	v_and_b32_e32 v4, 0xff, v7
	v_lshlrev_b32_e64 v59, v54, -1
	s_mov_b32 s11, exec_lo
	v_add_co_ci_u32_e32 v3, vcc_lo, 0, v54, vcc_lo
	s_delay_alu instid0(VALU_DEP_3) | instskip(SKIP_1) | instid1(VALU_DEP_3)
	v_cmp_eq_u16_e32 vcc_lo, 2, v4
	v_mov_b32_e32 v4, v5
	v_lshlrev_b32_e32 v58, 2, v3
	v_and_or_b32 v3, vcc_lo, v59, 0x80000000
	ds_bpermute_b32 v28, v58, v5
	ds_bpermute_b32 v8, v58, v6
	v_ctz_i32_b32_e32 v3, v3
	s_delay_alu instid0(VALU_DEP_1)
	v_cmpx_lt_u32_e64 v54, v3
	s_cbranch_execz .LBB638_160
; %bb.159:
	s_waitcnt lgkmcnt(1)
	v_add_co_u32 v4, vcc_lo, v5, v28
	v_add_co_ci_u32_e32 v6, vcc_lo, 0, v6, vcc_lo
	s_delay_alu instid0(VALU_DEP_2) | instskip(SKIP_1) | instid1(VALU_DEP_2)
	v_add_co_u32 v5, vcc_lo, 0, v4
	s_waitcnt lgkmcnt(0)
	v_add_co_ci_u32_e32 v6, vcc_lo, v8, v6, vcc_lo
.LBB638_160:
	s_or_b32 exec_lo, exec_lo, s11
	v_cmp_gt_u32_e32 vcc_lo, 30, v54
	v_add_nc_u32_e32 v61, 2, v54
	s_mov_b32 s11, exec_lo
	s_waitcnt lgkmcnt(0)
	v_cndmask_b32_e64 v8, 0, 1, vcc_lo
	s_delay_alu instid0(VALU_DEP_1) | instskip(NEXT) | instid1(VALU_DEP_1)
	v_lshlrev_b32_e32 v8, 1, v8
	v_add_lshl_u32 v60, v8, v54, 2
	ds_bpermute_b32 v28, v60, v4
	ds_bpermute_b32 v8, v60, v6
	v_cmpx_le_u32_e64 v61, v3
	s_cbranch_execz .LBB638_162
; %bb.161:
	s_waitcnt lgkmcnt(1)
	v_add_co_u32 v4, vcc_lo, v5, v28
	v_add_co_ci_u32_e32 v6, vcc_lo, 0, v6, vcc_lo
	s_delay_alu instid0(VALU_DEP_2) | instskip(SKIP_1) | instid1(VALU_DEP_2)
	v_add_co_u32 v5, vcc_lo, 0, v4
	s_waitcnt lgkmcnt(0)
	v_add_co_ci_u32_e32 v6, vcc_lo, v8, v6, vcc_lo
.LBB638_162:
	s_or_b32 exec_lo, exec_lo, s11
	v_cmp_gt_u32_e32 vcc_lo, 28, v54
	v_add_nc_u32_e32 v63, 4, v54
	s_mov_b32 s11, exec_lo
	s_waitcnt lgkmcnt(0)
	v_cndmask_b32_e64 v8, 0, 1, vcc_lo
	s_delay_alu instid0(VALU_DEP_1) | instskip(NEXT) | instid1(VALU_DEP_1)
	v_lshlrev_b32_e32 v8, 2, v8
	v_add_lshl_u32 v62, v8, v54, 2
	ds_bpermute_b32 v28, v62, v4
	ds_bpermute_b32 v8, v62, v6
	v_cmpx_le_u32_e64 v63, v3
	;; [unrolled: 22-line block ×4, first 2 shown]
	s_cbranch_execz .LBB638_168
; %bb.167:
	s_waitcnt lgkmcnt(1)
	v_add_co_u32 v3, vcc_lo, v5, v8
	v_add_co_ci_u32_e32 v6, vcc_lo, 0, v6, vcc_lo
	s_delay_alu instid0(VALU_DEP_2) | instskip(SKIP_1) | instid1(VALU_DEP_2)
	v_add_co_u32 v5, vcc_lo, v3, 0
	s_waitcnt lgkmcnt(0)
	v_add_co_ci_u32_e32 v6, vcc_lo, v6, v4, vcc_lo
.LBB638_168:
	s_or_b32 exec_lo, exec_lo, s11
	v_mov_b32_e32 v28, 0
	s_branch .LBB638_170
.LBB638_169:                            ;   in Loop: Header=BB638_170 Depth=1
	s_or_b32 exec_lo, exec_lo, s11
	v_add_co_u32 v5, vcc_lo, v5, v3
	v_subrev_nc_u32_e32 v27, 32, v27
	v_add_co_ci_u32_e32 v6, vcc_lo, v6, v4, vcc_lo
.LBB638_170:                            ; =>This Loop Header: Depth=1
                                        ;     Child Loop BB638_173 Depth 2
                                        ;       Child Loop BB638_174 Depth 3
	v_and_b32_e32 v3, 0xff, v7
	s_delay_alu instid0(VALU_DEP_1) | instskip(SKIP_2) | instid1(VALU_DEP_1)
	v_cmp_ne_u16_e32 vcc_lo, 2, v3
	v_cndmask_b32_e64 v3, 0, 1, vcc_lo
	;;#ASMSTART
	;;#ASMEND
	v_cmp_ne_u32_e32 vcc_lo, 0, v3
	s_waitcnt lgkmcnt(0)
	v_dual_mov_b32 v3, v5 :: v_dual_mov_b32 v4, v6
	s_cmp_lg_u32 vcc_lo, exec_lo
	s_cbranch_scc1 .LBB638_187
; %bb.171:                              ;   in Loop: Header=BB638_170 Depth=1
	v_lshlrev_b64 v[5:6], 4, v[27:28]
	s_mov_b32 s11, exec_lo
	s_delay_alu instid0(VALU_DEP_1) | instskip(NEXT) | instid1(VALU_DEP_2)
	v_add_co_u32 v29, vcc_lo, s2, v5
	v_add_co_ci_u32_e32 v30, vcc_lo, s3, v6, vcc_lo
	;;#ASMSTART
	global_load_dwordx4 v[5:8], v[29:30] off glc	
s_waitcnt vmcnt(0)
	;;#ASMEND
	v_and_b32_e32 v8, 0xff, v6
	v_and_b32_e32 v68, 0xff00, v6
	v_or3_b32 v5, v5, 0, 0
	v_and_b32_e32 v69, 0xff000000, v6
	v_and_b32_e32 v6, 0xff0000, v6
	s_delay_alu instid0(VALU_DEP_4) | instskip(SKIP_2) | instid1(VALU_DEP_3)
	v_or3_b32 v8, 0, v8, v68
	v_and_b32_e32 v68, 0xff, v7
	v_or3_b32 v5, v5, 0, 0
	v_or3_b32 v6, v8, v6, v69
	s_delay_alu instid0(VALU_DEP_3)
	v_cmpx_eq_u16_e32 0, v68
	s_cbranch_execz .LBB638_177
; %bb.172:                              ;   in Loop: Header=BB638_170 Depth=1
	s_mov_b32 s18, 1
	s_mov_b32 s17, 0
	.p2align	6
.LBB638_173:                            ;   Parent Loop BB638_170 Depth=1
                                        ; =>  This Loop Header: Depth=2
                                        ;       Child Loop BB638_174 Depth 3
	s_max_u32 s19, s18, 1
.LBB638_174:                            ;   Parent Loop BB638_170 Depth=1
                                        ;     Parent Loop BB638_173 Depth=2
                                        ; =>    This Inner Loop Header: Depth=3
	s_delay_alu instid0(SALU_CYCLE_1)
	s_add_i32 s19, s19, -1
	s_sleep 1
	s_cmp_eq_u32 s19, 0
	s_cbranch_scc0 .LBB638_174
; %bb.175:                              ;   in Loop: Header=BB638_173 Depth=2
	;;#ASMSTART
	global_load_dwordx4 v[5:8], v[29:30] off glc	
s_waitcnt vmcnt(0)
	;;#ASMEND
	v_and_b32_e32 v8, 0xff, v7
	s_cmp_lt_u32 s18, 32
	s_cselect_b32 s19, -1, 0
	s_delay_alu instid0(SALU_CYCLE_1) | instskip(NEXT) | instid1(VALU_DEP_1)
	s_cmp_lg_u32 s19, 0
	v_cmp_ne_u16_e32 vcc_lo, 0, v8
	s_addc_u32 s18, s18, 0
	s_or_b32 s17, vcc_lo, s17
	s_delay_alu instid0(SALU_CYCLE_1)
	s_and_not1_b32 exec_lo, exec_lo, s17
	s_cbranch_execnz .LBB638_173
; %bb.176:                              ;   in Loop: Header=BB638_170 Depth=1
	s_or_b32 exec_lo, exec_lo, s17
.LBB638_177:                            ;   in Loop: Header=BB638_170 Depth=1
	s_delay_alu instid0(SALU_CYCLE_1)
	s_or_b32 exec_lo, exec_lo, s11
	v_dual_mov_b32 v29, v5 :: v_dual_and_b32 v8, 0xff, v7
	ds_bpermute_b32 v68, v58, v5
	ds_bpermute_b32 v30, v58, v6
	s_mov_b32 s11, exec_lo
	v_cmp_eq_u16_e32 vcc_lo, 2, v8
	v_and_or_b32 v8, vcc_lo, v59, 0x80000000
	s_delay_alu instid0(VALU_DEP_1) | instskip(NEXT) | instid1(VALU_DEP_1)
	v_ctz_i32_b32_e32 v8, v8
	v_cmpx_lt_u32_e64 v54, v8
	s_cbranch_execz .LBB638_179
; %bb.178:                              ;   in Loop: Header=BB638_170 Depth=1
	s_waitcnt lgkmcnt(1)
	v_add_co_u32 v29, vcc_lo, v5, v68
	v_add_co_ci_u32_e32 v6, vcc_lo, 0, v6, vcc_lo
	s_delay_alu instid0(VALU_DEP_2) | instskip(SKIP_1) | instid1(VALU_DEP_2)
	v_add_co_u32 v5, vcc_lo, 0, v29
	s_waitcnt lgkmcnt(0)
	v_add_co_ci_u32_e32 v6, vcc_lo, v30, v6, vcc_lo
.LBB638_179:                            ;   in Loop: Header=BB638_170 Depth=1
	s_or_b32 exec_lo, exec_lo, s11
	s_waitcnt lgkmcnt(1)
	ds_bpermute_b32 v68, v60, v29
	s_waitcnt lgkmcnt(1)
	ds_bpermute_b32 v30, v60, v6
	s_mov_b32 s11, exec_lo
	v_cmpx_le_u32_e64 v61, v8
	s_cbranch_execz .LBB638_181
; %bb.180:                              ;   in Loop: Header=BB638_170 Depth=1
	s_waitcnt lgkmcnt(1)
	v_add_co_u32 v29, vcc_lo, v5, v68
	v_add_co_ci_u32_e32 v6, vcc_lo, 0, v6, vcc_lo
	s_delay_alu instid0(VALU_DEP_2) | instskip(SKIP_1) | instid1(VALU_DEP_2)
	v_add_co_u32 v5, vcc_lo, 0, v29
	s_waitcnt lgkmcnt(0)
	v_add_co_ci_u32_e32 v6, vcc_lo, v30, v6, vcc_lo
.LBB638_181:                            ;   in Loop: Header=BB638_170 Depth=1
	s_or_b32 exec_lo, exec_lo, s11
	s_waitcnt lgkmcnt(1)
	ds_bpermute_b32 v68, v62, v29
	s_waitcnt lgkmcnt(1)
	ds_bpermute_b32 v30, v62, v6
	s_mov_b32 s11, exec_lo
	v_cmpx_le_u32_e64 v63, v8
	;; [unrolled: 17-line block ×3, first 2 shown]
	s_cbranch_execz .LBB638_185
; %bb.184:                              ;   in Loop: Header=BB638_170 Depth=1
	s_waitcnt lgkmcnt(1)
	v_add_co_u32 v29, vcc_lo, v5, v68
	v_add_co_ci_u32_e32 v6, vcc_lo, 0, v6, vcc_lo
	s_delay_alu instid0(VALU_DEP_2) | instskip(SKIP_1) | instid1(VALU_DEP_2)
	v_add_co_u32 v5, vcc_lo, 0, v29
	s_waitcnt lgkmcnt(0)
	v_add_co_ci_u32_e32 v6, vcc_lo, v30, v6, vcc_lo
.LBB638_185:                            ;   in Loop: Header=BB638_170 Depth=1
	s_or_b32 exec_lo, exec_lo, s11
	s_waitcnt lgkmcnt(0)
	ds_bpermute_b32 v30, v66, v29
	ds_bpermute_b32 v29, v66, v6
	s_mov_b32 s11, exec_lo
	v_cmpx_le_u32_e64 v67, v8
	s_cbranch_execz .LBB638_169
; %bb.186:                              ;   in Loop: Header=BB638_170 Depth=1
	s_waitcnt lgkmcnt(1)
	v_add_co_u32 v5, vcc_lo, v5, v30
	v_add_co_ci_u32_e32 v6, vcc_lo, 0, v6, vcc_lo
	s_delay_alu instid0(VALU_DEP_2) | instskip(SKIP_1) | instid1(VALU_DEP_2)
	v_add_co_u32 v5, vcc_lo, v5, 0
	s_waitcnt lgkmcnt(0)
	v_add_co_ci_u32_e32 v6, vcc_lo, v6, v29, vcc_lo
	s_branch .LBB638_169
.LBB638_187:                            ;   in Loop: Header=BB638_170 Depth=1
                                        ; implicit-def: $vgpr5_vgpr6
	s_cbranch_execz .LBB638_170
; %bb.188:
	s_and_saveexec_b32 s11, s1
	s_cbranch_execz .LBB638_190
; %bb.189:
	s_add_i32 s18, s15, 32
	s_mov_b32 s19, 0
	v_add_co_u32 v5, vcc_lo, v3, v1
	s_lshl_b64 s[18:19], s[18:19], 4
	v_dual_mov_b32 v7, 2 :: v_dual_mov_b32 v8, 0
	s_add_u32 s18, s2, s18
	s_addc_u32 s19, s3, s19
	v_add_co_ci_u32_e32 v6, vcc_lo, v4, v2, vcc_lo
	v_dual_mov_b32 v28, s19 :: v_dual_mov_b32 v27, s18
	;;#ASMSTART
	global_store_dwordx4 v[27:28], v[5:8] off	
s_waitcnt vmcnt(0)
	;;#ASMEND
	ds_store_b128 v8, v[1:4] offset:7680
.LBB638_190:
	s_or_b32 exec_lo, exec_lo, s11
	v_cmp_eq_u32_e32 vcc_lo, 0, v0
	s_and_b32 exec_lo, exec_lo, vcc_lo
	s_cbranch_execz .LBB638_192
; %bb.191:
	v_mov_b32_e32 v1, 0
	ds_store_b64 v1, v[3:4] offset:24
.LBB638_192:
	s_or_b32 exec_lo, exec_lo, s10
	s_waitcnt lgkmcnt(0)
	v_cndmask_b32_e64 v8, v57, v26, s1
	v_cmp_ne_u32_e32 vcc_lo, 0, v0
	v_mov_b32_e32 v3, 0
	s_barrier
	buffer_gl0_inv
	v_cndmask_b32_e32 v8, 0, v8, vcc_lo
	ds_load_b64 v[1:2], v3 offset:24
	s_waitcnt lgkmcnt(0)
	s_barrier
	buffer_gl0_inv
	ds_load_b128 v[4:7], v3 offset:7680
	v_cndmask_b32_e64 v3, v56, v25, s1
	s_delay_alu instid0(VALU_DEP_1) | instskip(NEXT) | instid1(VALU_DEP_1)
	v_cndmask_b32_e32 v3, 0, v3, vcc_lo
	v_add_co_u32 v67, vcc_lo, v1, v3
	v_add_co_ci_u32_e32 v68, vcc_lo, v2, v8, vcc_lo
	s_waitcnt lgkmcnt(0)
	v_readfirstlane_b32 s11, v7
	v_readfirstlane_b32 s10, v6
	s_branch .LBB638_217
.LBB638_193:
                                        ; implicit-def: $sgpr10_sgpr11
                                        ; implicit-def: $vgpr4_vgpr5
                                        ; implicit-def: $vgpr67_vgpr68
	s_and_b32 vcc_lo, exec_lo, s1
	s_cbranch_vccz .LBB638_217
; %bb.194:
	v_dual_mov_b32 v2, 0 :: v_dual_mov_b32 v3, v23
	v_mov_b32_dpp v4, v23 row_shr:1 row_mask:0xf bank_mask:0xf
	s_delay_alu instid0(VALU_DEP_2)
	v_mov_b32_dpp v1, v2 row_shr:1 row_mask:0xf bank_mask:0xf
	s_and_saveexec_b32 s1, s0
; %bb.195:
	s_delay_alu instid0(VALU_DEP_2) | instskip(SKIP_1) | instid1(VALU_DEP_2)
	v_add_co_u32 v3, vcc_lo, v23, v4
	v_add_co_ci_u32_e32 v2, vcc_lo, 0, v24, vcc_lo
	v_add_co_u32 v23, vcc_lo, 0, v3
	s_delay_alu instid0(VALU_DEP_2) | instskip(NEXT) | instid1(VALU_DEP_1)
	v_add_co_ci_u32_e32 v24, vcc_lo, v1, v2, vcc_lo
	v_mov_b32_e32 v2, v24
; %bb.196:
	s_or_b32 exec_lo, exec_lo, s1
	v_mov_b32_dpp v1, v3 row_shr:2 row_mask:0xf bank_mask:0xf
	s_delay_alu instid0(VALU_DEP_2)
	v_mov_b32_dpp v4, v2 row_shr:2 row_mask:0xf bank_mask:0xf
	s_mov_b32 s0, exec_lo
	v_cmpx_lt_u32_e32 1, v55
; %bb.197:
	s_delay_alu instid0(VALU_DEP_3) | instskip(SKIP_1) | instid1(VALU_DEP_2)
	v_add_co_u32 v3, vcc_lo, v23, v1
	v_add_co_ci_u32_e32 v2, vcc_lo, 0, v24, vcc_lo
	v_add_co_u32 v1, vcc_lo, 0, v3
	s_delay_alu instid0(VALU_DEP_2) | instskip(NEXT) | instid1(VALU_DEP_1)
	v_add_co_ci_u32_e32 v2, vcc_lo, v4, v2, vcc_lo
	v_dual_mov_b32 v24, v2 :: v_dual_mov_b32 v23, v1
; %bb.198:
	s_or_b32 exec_lo, exec_lo, s0
	v_mov_b32_dpp v1, v3 row_shr:4 row_mask:0xf bank_mask:0xf
	v_mov_b32_dpp v4, v2 row_shr:4 row_mask:0xf bank_mask:0xf
	s_mov_b32 s0, exec_lo
	v_cmpx_lt_u32_e32 3, v55
; %bb.199:
	s_delay_alu instid0(VALU_DEP_3) | instskip(SKIP_1) | instid1(VALU_DEP_2)
	v_add_co_u32 v3, vcc_lo, v23, v1
	v_add_co_ci_u32_e32 v2, vcc_lo, 0, v24, vcc_lo
	v_add_co_u32 v1, vcc_lo, 0, v3
	s_delay_alu instid0(VALU_DEP_2) | instskip(NEXT) | instid1(VALU_DEP_1)
	v_add_co_ci_u32_e32 v2, vcc_lo, v4, v2, vcc_lo
	v_dual_mov_b32 v24, v2 :: v_dual_mov_b32 v23, v1
; %bb.200:
	s_or_b32 exec_lo, exec_lo, s0
	v_mov_b32_dpp v4, v3 row_shr:8 row_mask:0xf bank_mask:0xf
	v_mov_b32_dpp v1, v2 row_shr:8 row_mask:0xf bank_mask:0xf
	s_mov_b32 s0, exec_lo
	v_cmpx_lt_u32_e32 7, v55
; %bb.201:
	s_delay_alu instid0(VALU_DEP_3) | instskip(SKIP_1) | instid1(VALU_DEP_2)
	v_add_co_u32 v3, vcc_lo, v23, v4
	v_add_co_ci_u32_e32 v2, vcc_lo, 0, v24, vcc_lo
	v_add_co_u32 v23, vcc_lo, 0, v3
	s_delay_alu instid0(VALU_DEP_2) | instskip(NEXT) | instid1(VALU_DEP_1)
	v_add_co_ci_u32_e32 v24, vcc_lo, v1, v2, vcc_lo
	v_mov_b32_e32 v2, v24
; %bb.202:
	s_or_b32 exec_lo, exec_lo, s0
	ds_swizzle_b32 v3, v3 offset:swizzle(BROADCAST,32,15)
	ds_swizzle_b32 v1, v2 offset:swizzle(BROADCAST,32,15)
	v_and_b32_e32 v2, 16, v54
	s_mov_b32 s0, exec_lo
	s_delay_alu instid0(VALU_DEP_1)
	v_cmpx_ne_u32_e32 0, v2
	s_cbranch_execz .LBB638_204
; %bb.203:
	s_waitcnt lgkmcnt(0)
	v_add_co_u32 v2, vcc_lo, v23, v3
	v_add_co_ci_u32_e32 v3, vcc_lo, 0, v24, vcc_lo
	s_delay_alu instid0(VALU_DEP_2) | instskip(NEXT) | instid1(VALU_DEP_2)
	v_add_co_u32 v23, vcc_lo, v2, 0
	v_add_co_ci_u32_e32 v24, vcc_lo, v3, v1, vcc_lo
.LBB638_204:
	s_or_b32 exec_lo, exec_lo, s0
	s_waitcnt lgkmcnt(0)
	v_or_b32_e32 v1, 31, v0
	v_lshrrev_b32_e32 v3, 5, v0
	s_mov_b32 s0, exec_lo
	s_delay_alu instid0(VALU_DEP_2)
	v_cmpx_eq_u32_e64 v1, v0
	s_cbranch_execz .LBB638_206
; %bb.205:
	s_delay_alu instid0(VALU_DEP_2)
	v_lshlrev_b32_e32 v1, 3, v3
	ds_store_b64 v1, v[23:24]
.LBB638_206:
	s_or_b32 exec_lo, exec_lo, s0
	s_delay_alu instid0(SALU_CYCLE_1)
	s_mov_b32 s0, exec_lo
	s_waitcnt lgkmcnt(0)
	s_barrier
	buffer_gl0_inv
	v_cmpx_gt_u32_e32 4, v0
	s_cbranch_execz .LBB638_212
; %bb.207:
	v_lshlrev_b32_e32 v4, 3, v0
	s_mov_b32 s1, exec_lo
	ds_load_b64 v[1:2], v4
	s_waitcnt lgkmcnt(0)
	v_dual_mov_b32 v6, v1 :: v_dual_and_b32 v5, 3, v54
	v_mov_b32_dpp v8, v1 row_shr:1 row_mask:0xf bank_mask:0xf
	v_mov_b32_dpp v7, v2 row_shr:1 row_mask:0xf bank_mask:0xf
	s_delay_alu instid0(VALU_DEP_3)
	v_cmpx_ne_u32_e32 0, v5
; %bb.208:
	s_delay_alu instid0(VALU_DEP_3) | instskip(SKIP_1) | instid1(VALU_DEP_2)
	v_add_co_u32 v6, vcc_lo, v1, v8
	v_add_co_ci_u32_e32 v2, vcc_lo, 0, v2, vcc_lo
	v_add_co_u32 v1, vcc_lo, 0, v6
	s_delay_alu instid0(VALU_DEP_2)
	v_add_co_ci_u32_e32 v2, vcc_lo, v7, v2, vcc_lo
; %bb.209:
	s_or_b32 exec_lo, exec_lo, s1
	v_mov_b32_dpp v7, v6 row_shr:2 row_mask:0xf bank_mask:0xf
	s_delay_alu instid0(VALU_DEP_2)
	v_mov_b32_dpp v6, v2 row_shr:2 row_mask:0xf bank_mask:0xf
	s_mov_b32 s1, exec_lo
	v_cmpx_lt_u32_e32 1, v5
; %bb.210:
	s_delay_alu instid0(VALU_DEP_3) | instskip(SKIP_1) | instid1(VALU_DEP_2)
	v_add_co_u32 v1, vcc_lo, v1, v7
	v_add_co_ci_u32_e32 v2, vcc_lo, 0, v2, vcc_lo
	v_add_co_u32 v1, vcc_lo, v1, 0
	s_delay_alu instid0(VALU_DEP_2)
	v_add_co_ci_u32_e32 v2, vcc_lo, v2, v6, vcc_lo
; %bb.211:
	s_or_b32 exec_lo, exec_lo, s1
	ds_store_b64 v4, v[1:2]
.LBB638_212:
	s_or_b32 exec_lo, exec_lo, s0
	v_mov_b32_e32 v1, 0
	v_mov_b32_e32 v2, 0
	s_mov_b32 s0, exec_lo
	s_waitcnt lgkmcnt(0)
	s_barrier
	buffer_gl0_inv
	v_cmpx_lt_u32_e32 31, v0
	s_cbranch_execz .LBB638_214
; %bb.213:
	v_lshl_add_u32 v1, v3, 3, -8
	ds_load_b64 v[1:2], v1
.LBB638_214:
	s_or_b32 exec_lo, exec_lo, s0
	v_add_nc_u32_e32 v3, -1, v54
	v_mov_b32_e32 v7, 0
	s_delay_alu instid0(VALU_DEP_2) | instskip(SKIP_1) | instid1(VALU_DEP_1)
	v_cmp_gt_i32_e32 vcc_lo, 0, v3
	v_cndmask_b32_e32 v3, v3, v54, vcc_lo
	v_lshlrev_b32_e32 v4, 2, v3
	s_waitcnt lgkmcnt(0)
	v_add_co_u32 v3, vcc_lo, v1, v23
	v_add_co_ci_u32_e32 v5, vcc_lo, v2, v24, vcc_lo
	v_cmp_eq_u32_e32 vcc_lo, 0, v0
	ds_bpermute_b32 v3, v4, v3
	ds_bpermute_b32 v8, v4, v5
	ds_load_b64 v[4:5], v7 offset:24
	s_and_saveexec_b32 s0, vcc_lo
	s_cbranch_execz .LBB638_216
; %bb.215:
	s_add_u32 s2, s2, 0x200
	s_addc_u32 s3, s3, 0
	v_mov_b32_e32 v6, 2
	v_dual_mov_b32 v24, s3 :: v_dual_mov_b32 v23, s2
	s_waitcnt lgkmcnt(0)
	;;#ASMSTART
	global_store_dwordx4 v[23:24], v[4:7] off	
s_waitcnt vmcnt(0)
	;;#ASMEND
.LBB638_216:
	s_or_b32 exec_lo, exec_lo, s0
	v_cmp_eq_u32_e64 s0, 0, v54
	s_waitcnt lgkmcnt(0)
	s_barrier
	s_mov_b64 s[10:11], 0
	buffer_gl0_inv
	v_cndmask_b32_e64 v1, v3, v1, s0
	v_cndmask_b32_e64 v2, v8, v2, s0
	s_delay_alu instid0(VALU_DEP_2) | instskip(NEXT) | instid1(VALU_DEP_2)
	v_cndmask_b32_e64 v67, v1, 0, vcc_lo
	v_cndmask_b32_e64 v68, v2, 0, vcc_lo
.LBB638_217:
	s_delay_alu instid0(VALU_DEP_2) | instskip(NEXT) | instid1(VALU_DEP_2)
	v_add_co_u32 v77, vcc_lo, v67, v42
	v_add_co_ci_u32_e32 v78, vcc_lo, 0, v68, vcc_lo
	s_delay_alu instid0(VALU_DEP_2) | instskip(NEXT) | instid1(VALU_DEP_2)
	v_add_co_u32 v75, vcc_lo, v77, v53
	v_add_co_ci_u32_e32 v76, vcc_lo, 0, v78, vcc_lo
	;; [unrolled: 3-line block ×27, first 2 shown]
	v_cmp_gt_u64_e32 vcc_lo, 0x81, v[4:5]
	s_delay_alu instid0(VALU_DEP_3) | instskip(NEXT) | instid1(VALU_DEP_1)
	v_add_co_u32 v23, s0, v6, v80
	v_add_co_ci_u32_e64 v24, s0, 0, v7, s0
	s_delay_alu instid0(VALU_DEP_2) | instskip(NEXT) | instid1(VALU_DEP_1)
	v_add_co_u32 v1, s0, v23, v79
	v_add_co_ci_u32_e64 v2, s0, 0, v24, s0
	s_mov_b32 s0, -1
	s_cbranch_vccnz .LBB638_221
; %bb.218:
	s_and_b32 vcc_lo, exec_lo, s0
	s_cbranch_vccnz .LBB638_311
.LBB638_219:
	v_cmp_eq_u32_e32 vcc_lo, 0, v0
	s_and_b32 s0, vcc_lo, s14
	s_delay_alu instid0(SALU_CYCLE_1)
	s_and_saveexec_b32 s1, s0
	s_cbranch_execnz .LBB638_382
.LBB638_220:
	s_nop 0
	s_sendmsg sendmsg(MSG_DEALLOC_VGPRS)
	s_endpgm
.LBB638_221:
	v_add_co_u32 v79, vcc_lo, s10, v4
	v_add_co_ci_u32_e32 v80, vcc_lo, s11, v5, vcc_lo
	s_lshl_b64 s[0:1], s[6:7], 1
	s_waitcnt lgkmcnt(0)
	s_add_u32 s0, s8, s0
	s_delay_alu instid0(VALU_DEP_1) | instskip(SKIP_2) | instid1(SALU_CYCLE_1)
	v_cmp_lt_u64_e32 vcc_lo, v[67:68], v[79:80]
	s_addc_u32 s1, s9, s1
	s_or_b32 s3, s13, vcc_lo
	s_and_saveexec_b32 s2, s3
	s_cbranch_execz .LBB638_224
; %bb.222:
	v_and_b32_e32 v3, 1, v98
	s_delay_alu instid0(VALU_DEP_1)
	v_cmp_eq_u32_e32 vcc_lo, 1, v3
	s_and_b32 exec_lo, exec_lo, vcc_lo
	s_cbranch_execz .LBB638_224
; %bb.223:
	v_lshlrev_b64 v[126:127], 1, v[67:68]
	s_delay_alu instid0(VALU_DEP_1) | instskip(NEXT) | instid1(VALU_DEP_2)
	v_add_co_u32 v126, vcc_lo, s0, v126
	v_add_co_ci_u32_e32 v127, vcc_lo, s1, v127, vcc_lo
	global_store_b16 v[126:127], v21, off
.LBB638_224:
	s_or_b32 exec_lo, exec_lo, s2
	v_cmp_lt_u64_e32 vcc_lo, v[77:78], v[79:80]
	s_or_b32 s3, s13, vcc_lo
	s_delay_alu instid0(SALU_CYCLE_1)
	s_and_saveexec_b32 s2, s3
	s_cbranch_execz .LBB638_227
; %bb.225:
	v_and_b32_e32 v3, 1, v97
	s_delay_alu instid0(VALU_DEP_1)
	v_cmp_eq_u32_e32 vcc_lo, 1, v3
	s_and_b32 exec_lo, exec_lo, vcc_lo
	s_cbranch_execz .LBB638_227
; %bb.226:
	v_lshlrev_b64 v[126:127], 1, v[77:78]
	s_delay_alu instid0(VALU_DEP_1) | instskip(NEXT) | instid1(VALU_DEP_2)
	v_add_co_u32 v126, vcc_lo, s0, v126
	v_add_co_ci_u32_e32 v127, vcc_lo, s1, v127, vcc_lo
	global_store_b16 v[126:127], v96, off
.LBB638_227:
	s_or_b32 exec_lo, exec_lo, s2
	v_cmp_lt_u64_e32 vcc_lo, v[75:76], v[79:80]
	s_or_b32 s3, s13, vcc_lo
	s_delay_alu instid0(SALU_CYCLE_1)
	;; [unrolled: 19-line block ×28, first 2 shown]
	s_and_saveexec_b32 s2, s3
	s_cbranch_execz .LBB638_308
; %bb.306:
	v_and_b32_e32 v3, 1, v125
	s_delay_alu instid0(VALU_DEP_1)
	v_cmp_eq_u32_e32 vcc_lo, 1, v3
	s_and_b32 exec_lo, exec_lo, vcc_lo
	s_cbranch_execz .LBB638_308
; %bb.307:
	v_lshlrev_b64 v[7:8], 1, v[23:24]
	s_delay_alu instid0(VALU_DEP_1) | instskip(NEXT) | instid1(VALU_DEP_2)
	v_add_co_u32 v7, vcc_lo, s0, v7
	v_add_co_ci_u32_e32 v8, vcc_lo, s1, v8, vcc_lo
	global_store_b16 v[7:8], v81, off
.LBB638_308:
	s_or_b32 exec_lo, exec_lo, s2
	v_cmp_ge_u64_e32 vcc_lo, v[1:2], v[79:80]
	s_xor_b32 s3, s16, -1
	s_and_b32 s2, s12, vcc_lo
	s_delay_alu instid0(SALU_CYCLE_1) | instskip(NEXT) | instid1(SALU_CYCLE_1)
	s_or_b32 s2, s2, s3
	s_xor_b32 s3, s2, -1
	s_delay_alu instid0(SALU_CYCLE_1)
	s_and_saveexec_b32 s2, s3
	s_cbranch_execz .LBB638_310
; %bb.309:
	v_lshlrev_b64 v[2:3], 1, v[1:2]
	s_delay_alu instid0(VALU_DEP_1) | instskip(NEXT) | instid1(VALU_DEP_2)
	v_add_co_u32 v2, vcc_lo, s0, v2
	v_add_co_ci_u32_e32 v3, vcc_lo, s1, v3, vcc_lo
	global_store_b16 v[2:3], v82, off
.LBB638_310:
	s_or_b32 exec_lo, exec_lo, s2
	s_branch .LBB638_219
.LBB638_311:
	v_and_b32_e32 v2, 1, v98
	s_mov_b32 s0, exec_lo
	s_delay_alu instid0(VALU_DEP_1)
	v_cmpx_eq_u32_e32 1, v2
	s_cbranch_execz .LBB638_313
; %bb.312:
	v_subrev_nc_u32_e32 v2, s10, v67
	s_delay_alu instid0(VALU_DEP_1)
	v_lshlrev_b32_e32 v2, 1, v2
	ds_store_b16 v2, v21
.LBB638_313:
	s_or_b32 exec_lo, exec_lo, s0
	v_and_b32_e32 v2, 1, v97
	s_mov_b32 s0, exec_lo
	s_delay_alu instid0(VALU_DEP_1)
	v_cmpx_eq_u32_e32 1, v2
	s_cbranch_execz .LBB638_315
; %bb.314:
	v_subrev_nc_u32_e32 v2, s10, v77
	s_delay_alu instid0(VALU_DEP_1)
	v_lshlrev_b32_e32 v2, 1, v2
	ds_store_b16 v2, v96
.LBB638_315:
	s_or_b32 exec_lo, exec_lo, s0
	;; [unrolled: 12-line block ×29, first 2 shown]
	s_and_saveexec_b32 s0, s16
	s_cbranch_execz .LBB638_371
; %bb.370:
	v_subrev_nc_u32_e32 v1, s10, v1
	s_delay_alu instid0(VALU_DEP_1)
	v_lshlrev_b32_e32 v1, 1, v1
	ds_store_b16 v1, v82
.LBB638_371:
	s_or_b32 exec_lo, exec_lo, s0
	v_mov_b32_e32 v1, 0
	s_mov_b32 s15, exec_lo
	s_waitcnt lgkmcnt(0)
	s_waitcnt_vscnt null, 0x0
	s_barrier
	buffer_gl0_inv
	v_cmpx_gt_u64_e64 v[4:5], v[0:1]
	s_cbranch_execz .LBB638_381
; %bb.372:
	v_not_b32_e32 v2, v0
	v_not_b32_e32 v3, 0
	v_mov_b32_e32 v8, v0
	s_mov_b32 s16, exec_lo
	s_delay_alu instid0(VALU_DEP_3) | instskip(NEXT) | instid1(VALU_DEP_3)
	v_add_co_u32 v6, vcc_lo, v4, v2
	v_add_co_ci_u32_e32 v7, vcc_lo, v5, v3, vcc_lo
	v_dual_mov_b32 v3, v1 :: v_dual_mov_b32 v2, v0
	s_delay_alu instid0(VALU_DEP_2)
	v_cmp_gt_u64_e32 vcc_lo, 0x1a80, v[6:7]
	v_cmpx_lt_u64_e32 0x1a7f, v[6:7]
	s_cbranch_execz .LBB638_378
; %bb.373:
	v_alignbit_b32 v2, v7, v6, 7
	v_not_b32_e32 v3, v0
	v_xor_b32_e32 v8, 0xffffff7f, v0
	s_movk_i32 s13, 0x7f
	s_mov_b32 s12, -1
	v_lshlrev_b32_e32 v9, 7, v2
	v_cmp_lt_u64_e64 s0, s[12:13], v[6:7]
	v_cmp_lt_u32_e64 s1, 0x1ffffff, v2
	s_delay_alu instid0(VALU_DEP_3) | instskip(SKIP_2) | instid1(VALU_DEP_4)
	v_cmp_lt_u32_e64 s3, v8, v9
	v_mov_b32_e32 v8, v0
	v_cmp_gt_u32_e64 s2, v9, v3
	s_or_b32 s0, s1, s0
	v_dual_mov_b32 v3, v1 :: v_dual_mov_b32 v2, v0
	s_or_b32 s0, s0, s3
	s_delay_alu instid0(VALU_DEP_2) | instskip(NEXT) | instid1(SALU_CYCLE_1)
	s_or_b32 s1, s2, s1
	s_or_b32 s0, s1, s0
	s_delay_alu instid0(SALU_CYCLE_1) | instskip(NEXT) | instid1(SALU_CYCLE_1)
	s_xor_b32 s0, s0, -1
	s_and_saveexec_b32 s2, s0
	s_cbranch_execz .LBB638_377
; %bb.374:
	v_lshrrev_b64 v[6:7], 7, v[6:7]
	s_lshl_b64 s[12:13], s[10:11], 1
	v_or_b32_e32 v2, 0x80, v0
	s_mov_b32 s3, 0
	s_delay_alu instid0(VALU_DEP_2) | instskip(NEXT) | instid1(VALU_DEP_1)
	v_add_co_u32 v10, s0, v6, 1
	v_add_co_ci_u32_e64 v11, s0, 0, v7, s0
	s_lshl_b64 s[0:1], s[6:7], 1
	s_delay_alu instid0(VALU_DEP_2) | instskip(SKIP_1) | instid1(VALU_DEP_2)
	v_and_b32_e32 v12, -2, v10
	s_add_u32 s0, s12, s0
	v_mov_b32_e32 v13, v11
	v_lshlrev_b32_e32 v3, 1, v0
	s_addc_u32 s1, s13, s1
	s_add_u32 s0, s8, s0
	s_addc_u32 s1, s9, s1
	v_dual_mov_b32 v17, v13 :: v_dual_mov_b32 v16, v12
	v_add_co_u32 v6, s0, s0, v3
	s_delay_alu instid0(VALU_DEP_1) | instskip(SKIP_1) | instid1(VALU_DEP_3)
	v_add_co_ci_u32_e64 v7, null, s1, 0, s0
	v_mov_b32_e32 v3, v1
	v_add_co_u32 v14, s0, 0x100, v6
	s_delay_alu instid0(VALU_DEP_1) | instskip(NEXT) | instid1(VALU_DEP_3)
	v_add_co_ci_u32_e64 v15, s0, 0, v7, s0
	v_dual_mov_b32 v9, v3 :: v_dual_mov_b32 v6, v0
	v_dual_mov_b32 v8, v2 :: v_dual_mov_b32 v7, v1
	s_set_inst_prefetch_distance 0x1
	.p2align	6
.LBB638_375:                            ; =>This Inner Loop Header: Depth=1
	s_delay_alu instid0(VALU_DEP_2) | instskip(NEXT) | instid1(VALU_DEP_2)
	v_lshlrev_b32_e32 v1, 1, v6
	v_lshlrev_b32_e32 v2, 1, v8
	v_add_co_u32 v8, s0, 0x100, v8
	s_delay_alu instid0(VALU_DEP_1) | instskip(SKIP_3) | instid1(VALU_DEP_1)
	v_add_co_ci_u32_e64 v9, s0, 0, v9, s0
	ds_load_u16 v1, v1
	ds_load_u16 v2, v2
	v_add_co_u32 v16, s0, v16, -2
	v_add_co_ci_u32_e64 v17, s0, -1, v17, s0
	v_add_co_u32 v6, s0, 0x100, v6
	s_delay_alu instid0(VALU_DEP_1) | instskip(NEXT) | instid1(VALU_DEP_3)
	v_add_co_ci_u32_e64 v7, s0, 0, v7, s0
	v_cmp_eq_u64_e64 s0, 0, v[16:17]
	s_waitcnt lgkmcnt(1)
	global_store_b16 v[14:15], v1, off offset:-256
	s_waitcnt lgkmcnt(0)
	global_store_b16 v[14:15], v2, off
	v_add_co_u32 v14, s1, 0x200, v14
	s_delay_alu instid0(VALU_DEP_1) | instskip(SKIP_1) | instid1(SALU_CYCLE_1)
	v_add_co_ci_u32_e64 v15, s1, 0, v15, s1
	s_or_b32 s3, s0, s3
	s_and_not1_b32 exec_lo, exec_lo, s3
	s_cbranch_execnz .LBB638_375
; %bb.376:
	s_set_inst_prefetch_distance 0x2
	s_or_b32 exec_lo, exec_lo, s3
	v_lshlrev_b64 v[1:2], 7, v[12:13]
	v_cmp_ne_u64_e64 s0, v[10:11], v[12:13]
	v_lshl_or_b32 v8, v12, 7, v0
	s_delay_alu instid0(VALU_DEP_3) | instskip(NEXT) | instid1(VALU_DEP_4)
	v_or_b32_e32 v3, 0, v2
	v_or_b32_e32 v2, v1, v0
	s_delay_alu instid0(VALU_DEP_4)
	s_or_not1_b32 s12, s0, exec_lo
.LBB638_377:
	s_or_b32 exec_lo, exec_lo, s2
	s_delay_alu instid0(SALU_CYCLE_1) | instskip(SKIP_1) | instid1(SALU_CYCLE_1)
	s_and_not1_b32 s0, vcc_lo, exec_lo
	s_and_b32 s1, s12, exec_lo
	s_or_b32 vcc_lo, s0, s1
.LBB638_378:
	s_or_b32 exec_lo, exec_lo, s16
	s_delay_alu instid0(SALU_CYCLE_1)
	s_and_b32 exec_lo, exec_lo, vcc_lo
	s_cbranch_execz .LBB638_381
; %bb.379:
	s_lshl_b64 s[0:1], s[10:11], 1
	v_dual_mov_b32 v7, 0 :: v_dual_add_nc_u32 v6, 0x80, v8
	s_add_u32 s0, s8, s0
	s_addc_u32 s8, s9, s1
	s_lshl_b64 s[2:3], s[6:7], 1
	s_delay_alu instid0(SALU_CYCLE_1)
	s_add_u32 s1, s0, s2
	s_addc_u32 s2, s8, s3
	s_mov_b32 s3, 0
	.p2align	6
.LBB638_380:                            ; =>This Inner Loop Header: Depth=1
	v_lshlrev_b32_e32 v1, 1, v2
	v_lshlrev_b64 v[8:9], 1, v[2:3]
	v_mov_b32_e32 v2, v6
	v_cmp_le_u64_e32 vcc_lo, v[4:5], v[6:7]
	v_dual_mov_b32 v3, v7 :: v_dual_add_nc_u32 v6, 0x80, v6
	ds_load_u16 v1, v1
	v_add_co_u32 v8, s0, s1, v8
	s_delay_alu instid0(VALU_DEP_1)
	v_add_co_ci_u32_e64 v9, s0, s2, v9, s0
	s_or_b32 s3, vcc_lo, s3
	s_waitcnt lgkmcnt(0)
	global_store_b16 v[8:9], v1, off
	s_and_not1_b32 exec_lo, exec_lo, s3
	s_cbranch_execnz .LBB638_380
.LBB638_381:
	s_or_b32 exec_lo, exec_lo, s15
	v_cmp_eq_u32_e32 vcc_lo, 0, v0
	s_and_b32 s0, vcc_lo, s14
	s_delay_alu instid0(SALU_CYCLE_1)
	s_and_saveexec_b32 s1, s0
	s_cbranch_execz .LBB638_220
.LBB638_382:
	v_add_co_u32 v0, vcc_lo, s10, v4
	v_add_co_ci_u32_e32 v1, vcc_lo, s11, v5, vcc_lo
	v_mov_b32_e32 v2, 0
	s_delay_alu instid0(VALU_DEP_3) | instskip(NEXT) | instid1(VALU_DEP_3)
	v_add_co_u32 v0, vcc_lo, v0, s6
	v_add_co_ci_u32_e32 v1, vcc_lo, s7, v1, vcc_lo
	global_store_b64 v2, v[0:1], s[4:5]
	s_nop 0
	s_sendmsg sendmsg(MSG_DEALLOC_VGPRS)
	s_endpgm
	.section	.rodata,"a",@progbits
	.p2align	6, 0x0
	.amdhsa_kernel _ZN7rocprim17ROCPRIM_400000_NS6detail17trampoline_kernelINS0_14default_configENS1_25partition_config_selectorILNS1_17partition_subalgoE6EsNS0_10empty_typeEbEEZZNS1_14partition_implILS5_6ELb0ES3_mN6thrust23THRUST_200600_302600_NS6detail15normal_iteratorINSA_10device_ptrIsEEEEPS6_SG_NS0_5tupleIJSF_S6_EEENSH_IJSG_SG_EEES6_PlJ5mod_3IsEEEE10hipError_tPvRmT3_T4_T5_T6_T7_T9_mT8_P12ihipStream_tbDpT10_ENKUlT_T0_E_clISt17integral_constantIbLb1EES15_IbLb0EEEEDaS11_S12_EUlS11_E_NS1_11comp_targetILNS1_3genE9ELNS1_11target_archE1100ELNS1_3gpuE3ELNS1_3repE0EEENS1_30default_config_static_selectorELNS0_4arch9wavefront6targetE0EEEvT1_
		.amdhsa_group_segment_fixed_size 7696
		.amdhsa_private_segment_fixed_size 0
		.amdhsa_kernarg_size 112
		.amdhsa_user_sgpr_count 15
		.amdhsa_user_sgpr_dispatch_ptr 0
		.amdhsa_user_sgpr_queue_ptr 0
		.amdhsa_user_sgpr_kernarg_segment_ptr 1
		.amdhsa_user_sgpr_dispatch_id 0
		.amdhsa_user_sgpr_private_segment_size 0
		.amdhsa_wavefront_size32 1
		.amdhsa_uses_dynamic_stack 0
		.amdhsa_enable_private_segment 0
		.amdhsa_system_sgpr_workgroup_id_x 1
		.amdhsa_system_sgpr_workgroup_id_y 0
		.amdhsa_system_sgpr_workgroup_id_z 0
		.amdhsa_system_sgpr_workgroup_info 0
		.amdhsa_system_vgpr_workitem_id 0
		.amdhsa_next_free_vgpr 130
		.amdhsa_next_free_sgpr 20
		.amdhsa_reserve_vcc 1
		.amdhsa_float_round_mode_32 0
		.amdhsa_float_round_mode_16_64 0
		.amdhsa_float_denorm_mode_32 3
		.amdhsa_float_denorm_mode_16_64 3
		.amdhsa_dx10_clamp 1
		.amdhsa_ieee_mode 1
		.amdhsa_fp16_overflow 0
		.amdhsa_workgroup_processor_mode 1
		.amdhsa_memory_ordered 1
		.amdhsa_forward_progress 0
		.amdhsa_shared_vgpr_count 0
		.amdhsa_exception_fp_ieee_invalid_op 0
		.amdhsa_exception_fp_denorm_src 0
		.amdhsa_exception_fp_ieee_div_zero 0
		.amdhsa_exception_fp_ieee_overflow 0
		.amdhsa_exception_fp_ieee_underflow 0
		.amdhsa_exception_fp_ieee_inexact 0
		.amdhsa_exception_int_div_zero 0
	.end_amdhsa_kernel
	.section	.text._ZN7rocprim17ROCPRIM_400000_NS6detail17trampoline_kernelINS0_14default_configENS1_25partition_config_selectorILNS1_17partition_subalgoE6EsNS0_10empty_typeEbEEZZNS1_14partition_implILS5_6ELb0ES3_mN6thrust23THRUST_200600_302600_NS6detail15normal_iteratorINSA_10device_ptrIsEEEEPS6_SG_NS0_5tupleIJSF_S6_EEENSH_IJSG_SG_EEES6_PlJ5mod_3IsEEEE10hipError_tPvRmT3_T4_T5_T6_T7_T9_mT8_P12ihipStream_tbDpT10_ENKUlT_T0_E_clISt17integral_constantIbLb1EES15_IbLb0EEEEDaS11_S12_EUlS11_E_NS1_11comp_targetILNS1_3genE9ELNS1_11target_archE1100ELNS1_3gpuE3ELNS1_3repE0EEENS1_30default_config_static_selectorELNS0_4arch9wavefront6targetE0EEEvT1_,"axG",@progbits,_ZN7rocprim17ROCPRIM_400000_NS6detail17trampoline_kernelINS0_14default_configENS1_25partition_config_selectorILNS1_17partition_subalgoE6EsNS0_10empty_typeEbEEZZNS1_14partition_implILS5_6ELb0ES3_mN6thrust23THRUST_200600_302600_NS6detail15normal_iteratorINSA_10device_ptrIsEEEEPS6_SG_NS0_5tupleIJSF_S6_EEENSH_IJSG_SG_EEES6_PlJ5mod_3IsEEEE10hipError_tPvRmT3_T4_T5_T6_T7_T9_mT8_P12ihipStream_tbDpT10_ENKUlT_T0_E_clISt17integral_constantIbLb1EES15_IbLb0EEEEDaS11_S12_EUlS11_E_NS1_11comp_targetILNS1_3genE9ELNS1_11target_archE1100ELNS1_3gpuE3ELNS1_3repE0EEENS1_30default_config_static_selectorELNS0_4arch9wavefront6targetE0EEEvT1_,comdat
.Lfunc_end638:
	.size	_ZN7rocprim17ROCPRIM_400000_NS6detail17trampoline_kernelINS0_14default_configENS1_25partition_config_selectorILNS1_17partition_subalgoE6EsNS0_10empty_typeEbEEZZNS1_14partition_implILS5_6ELb0ES3_mN6thrust23THRUST_200600_302600_NS6detail15normal_iteratorINSA_10device_ptrIsEEEEPS6_SG_NS0_5tupleIJSF_S6_EEENSH_IJSG_SG_EEES6_PlJ5mod_3IsEEEE10hipError_tPvRmT3_T4_T5_T6_T7_T9_mT8_P12ihipStream_tbDpT10_ENKUlT_T0_E_clISt17integral_constantIbLb1EES15_IbLb0EEEEDaS11_S12_EUlS11_E_NS1_11comp_targetILNS1_3genE9ELNS1_11target_archE1100ELNS1_3gpuE3ELNS1_3repE0EEENS1_30default_config_static_selectorELNS0_4arch9wavefront6targetE0EEEvT1_, .Lfunc_end638-_ZN7rocprim17ROCPRIM_400000_NS6detail17trampoline_kernelINS0_14default_configENS1_25partition_config_selectorILNS1_17partition_subalgoE6EsNS0_10empty_typeEbEEZZNS1_14partition_implILS5_6ELb0ES3_mN6thrust23THRUST_200600_302600_NS6detail15normal_iteratorINSA_10device_ptrIsEEEEPS6_SG_NS0_5tupleIJSF_S6_EEENSH_IJSG_SG_EEES6_PlJ5mod_3IsEEEE10hipError_tPvRmT3_T4_T5_T6_T7_T9_mT8_P12ihipStream_tbDpT10_ENKUlT_T0_E_clISt17integral_constantIbLb1EES15_IbLb0EEEEDaS11_S12_EUlS11_E_NS1_11comp_targetILNS1_3genE9ELNS1_11target_archE1100ELNS1_3gpuE3ELNS1_3repE0EEENS1_30default_config_static_selectorELNS0_4arch9wavefront6targetE0EEEvT1_
                                        ; -- End function
	.section	.AMDGPU.csdata,"",@progbits
; Kernel info:
; codeLenInByte = 15548
; NumSgprs: 22
; NumVgprs: 130
; ScratchSize: 0
; MemoryBound: 0
; FloatMode: 240
; IeeeMode: 1
; LDSByteSize: 7696 bytes/workgroup (compile time only)
; SGPRBlocks: 2
; VGPRBlocks: 16
; NumSGPRsForWavesPerEU: 22
; NumVGPRsForWavesPerEU: 130
; Occupancy: 10
; WaveLimiterHint : 1
; COMPUTE_PGM_RSRC2:SCRATCH_EN: 0
; COMPUTE_PGM_RSRC2:USER_SGPR: 15
; COMPUTE_PGM_RSRC2:TRAP_HANDLER: 0
; COMPUTE_PGM_RSRC2:TGID_X_EN: 1
; COMPUTE_PGM_RSRC2:TGID_Y_EN: 0
; COMPUTE_PGM_RSRC2:TGID_Z_EN: 0
; COMPUTE_PGM_RSRC2:TIDIG_COMP_CNT: 0
	.section	.text._ZN7rocprim17ROCPRIM_400000_NS6detail17trampoline_kernelINS0_14default_configENS1_25partition_config_selectorILNS1_17partition_subalgoE6EsNS0_10empty_typeEbEEZZNS1_14partition_implILS5_6ELb0ES3_mN6thrust23THRUST_200600_302600_NS6detail15normal_iteratorINSA_10device_ptrIsEEEEPS6_SG_NS0_5tupleIJSF_S6_EEENSH_IJSG_SG_EEES6_PlJ5mod_3IsEEEE10hipError_tPvRmT3_T4_T5_T6_T7_T9_mT8_P12ihipStream_tbDpT10_ENKUlT_T0_E_clISt17integral_constantIbLb1EES15_IbLb0EEEEDaS11_S12_EUlS11_E_NS1_11comp_targetILNS1_3genE8ELNS1_11target_archE1030ELNS1_3gpuE2ELNS1_3repE0EEENS1_30default_config_static_selectorELNS0_4arch9wavefront6targetE0EEEvT1_,"axG",@progbits,_ZN7rocprim17ROCPRIM_400000_NS6detail17trampoline_kernelINS0_14default_configENS1_25partition_config_selectorILNS1_17partition_subalgoE6EsNS0_10empty_typeEbEEZZNS1_14partition_implILS5_6ELb0ES3_mN6thrust23THRUST_200600_302600_NS6detail15normal_iteratorINSA_10device_ptrIsEEEEPS6_SG_NS0_5tupleIJSF_S6_EEENSH_IJSG_SG_EEES6_PlJ5mod_3IsEEEE10hipError_tPvRmT3_T4_T5_T6_T7_T9_mT8_P12ihipStream_tbDpT10_ENKUlT_T0_E_clISt17integral_constantIbLb1EES15_IbLb0EEEEDaS11_S12_EUlS11_E_NS1_11comp_targetILNS1_3genE8ELNS1_11target_archE1030ELNS1_3gpuE2ELNS1_3repE0EEENS1_30default_config_static_selectorELNS0_4arch9wavefront6targetE0EEEvT1_,comdat
	.protected	_ZN7rocprim17ROCPRIM_400000_NS6detail17trampoline_kernelINS0_14default_configENS1_25partition_config_selectorILNS1_17partition_subalgoE6EsNS0_10empty_typeEbEEZZNS1_14partition_implILS5_6ELb0ES3_mN6thrust23THRUST_200600_302600_NS6detail15normal_iteratorINSA_10device_ptrIsEEEEPS6_SG_NS0_5tupleIJSF_S6_EEENSH_IJSG_SG_EEES6_PlJ5mod_3IsEEEE10hipError_tPvRmT3_T4_T5_T6_T7_T9_mT8_P12ihipStream_tbDpT10_ENKUlT_T0_E_clISt17integral_constantIbLb1EES15_IbLb0EEEEDaS11_S12_EUlS11_E_NS1_11comp_targetILNS1_3genE8ELNS1_11target_archE1030ELNS1_3gpuE2ELNS1_3repE0EEENS1_30default_config_static_selectorELNS0_4arch9wavefront6targetE0EEEvT1_ ; -- Begin function _ZN7rocprim17ROCPRIM_400000_NS6detail17trampoline_kernelINS0_14default_configENS1_25partition_config_selectorILNS1_17partition_subalgoE6EsNS0_10empty_typeEbEEZZNS1_14partition_implILS5_6ELb0ES3_mN6thrust23THRUST_200600_302600_NS6detail15normal_iteratorINSA_10device_ptrIsEEEEPS6_SG_NS0_5tupleIJSF_S6_EEENSH_IJSG_SG_EEES6_PlJ5mod_3IsEEEE10hipError_tPvRmT3_T4_T5_T6_T7_T9_mT8_P12ihipStream_tbDpT10_ENKUlT_T0_E_clISt17integral_constantIbLb1EES15_IbLb0EEEEDaS11_S12_EUlS11_E_NS1_11comp_targetILNS1_3genE8ELNS1_11target_archE1030ELNS1_3gpuE2ELNS1_3repE0EEENS1_30default_config_static_selectorELNS0_4arch9wavefront6targetE0EEEvT1_
	.globl	_ZN7rocprim17ROCPRIM_400000_NS6detail17trampoline_kernelINS0_14default_configENS1_25partition_config_selectorILNS1_17partition_subalgoE6EsNS0_10empty_typeEbEEZZNS1_14partition_implILS5_6ELb0ES3_mN6thrust23THRUST_200600_302600_NS6detail15normal_iteratorINSA_10device_ptrIsEEEEPS6_SG_NS0_5tupleIJSF_S6_EEENSH_IJSG_SG_EEES6_PlJ5mod_3IsEEEE10hipError_tPvRmT3_T4_T5_T6_T7_T9_mT8_P12ihipStream_tbDpT10_ENKUlT_T0_E_clISt17integral_constantIbLb1EES15_IbLb0EEEEDaS11_S12_EUlS11_E_NS1_11comp_targetILNS1_3genE8ELNS1_11target_archE1030ELNS1_3gpuE2ELNS1_3repE0EEENS1_30default_config_static_selectorELNS0_4arch9wavefront6targetE0EEEvT1_
	.p2align	8
	.type	_ZN7rocprim17ROCPRIM_400000_NS6detail17trampoline_kernelINS0_14default_configENS1_25partition_config_selectorILNS1_17partition_subalgoE6EsNS0_10empty_typeEbEEZZNS1_14partition_implILS5_6ELb0ES3_mN6thrust23THRUST_200600_302600_NS6detail15normal_iteratorINSA_10device_ptrIsEEEEPS6_SG_NS0_5tupleIJSF_S6_EEENSH_IJSG_SG_EEES6_PlJ5mod_3IsEEEE10hipError_tPvRmT3_T4_T5_T6_T7_T9_mT8_P12ihipStream_tbDpT10_ENKUlT_T0_E_clISt17integral_constantIbLb1EES15_IbLb0EEEEDaS11_S12_EUlS11_E_NS1_11comp_targetILNS1_3genE8ELNS1_11target_archE1030ELNS1_3gpuE2ELNS1_3repE0EEENS1_30default_config_static_selectorELNS0_4arch9wavefront6targetE0EEEvT1_,@function
_ZN7rocprim17ROCPRIM_400000_NS6detail17trampoline_kernelINS0_14default_configENS1_25partition_config_selectorILNS1_17partition_subalgoE6EsNS0_10empty_typeEbEEZZNS1_14partition_implILS5_6ELb0ES3_mN6thrust23THRUST_200600_302600_NS6detail15normal_iteratorINSA_10device_ptrIsEEEEPS6_SG_NS0_5tupleIJSF_S6_EEENSH_IJSG_SG_EEES6_PlJ5mod_3IsEEEE10hipError_tPvRmT3_T4_T5_T6_T7_T9_mT8_P12ihipStream_tbDpT10_ENKUlT_T0_E_clISt17integral_constantIbLb1EES15_IbLb0EEEEDaS11_S12_EUlS11_E_NS1_11comp_targetILNS1_3genE8ELNS1_11target_archE1030ELNS1_3gpuE2ELNS1_3repE0EEENS1_30default_config_static_selectorELNS0_4arch9wavefront6targetE0EEEvT1_: ; @_ZN7rocprim17ROCPRIM_400000_NS6detail17trampoline_kernelINS0_14default_configENS1_25partition_config_selectorILNS1_17partition_subalgoE6EsNS0_10empty_typeEbEEZZNS1_14partition_implILS5_6ELb0ES3_mN6thrust23THRUST_200600_302600_NS6detail15normal_iteratorINSA_10device_ptrIsEEEEPS6_SG_NS0_5tupleIJSF_S6_EEENSH_IJSG_SG_EEES6_PlJ5mod_3IsEEEE10hipError_tPvRmT3_T4_T5_T6_T7_T9_mT8_P12ihipStream_tbDpT10_ENKUlT_T0_E_clISt17integral_constantIbLb1EES15_IbLb0EEEEDaS11_S12_EUlS11_E_NS1_11comp_targetILNS1_3genE8ELNS1_11target_archE1030ELNS1_3gpuE2ELNS1_3repE0EEENS1_30default_config_static_selectorELNS0_4arch9wavefront6targetE0EEEvT1_
; %bb.0:
	.section	.rodata,"a",@progbits
	.p2align	6, 0x0
	.amdhsa_kernel _ZN7rocprim17ROCPRIM_400000_NS6detail17trampoline_kernelINS0_14default_configENS1_25partition_config_selectorILNS1_17partition_subalgoE6EsNS0_10empty_typeEbEEZZNS1_14partition_implILS5_6ELb0ES3_mN6thrust23THRUST_200600_302600_NS6detail15normal_iteratorINSA_10device_ptrIsEEEEPS6_SG_NS0_5tupleIJSF_S6_EEENSH_IJSG_SG_EEES6_PlJ5mod_3IsEEEE10hipError_tPvRmT3_T4_T5_T6_T7_T9_mT8_P12ihipStream_tbDpT10_ENKUlT_T0_E_clISt17integral_constantIbLb1EES15_IbLb0EEEEDaS11_S12_EUlS11_E_NS1_11comp_targetILNS1_3genE8ELNS1_11target_archE1030ELNS1_3gpuE2ELNS1_3repE0EEENS1_30default_config_static_selectorELNS0_4arch9wavefront6targetE0EEEvT1_
		.amdhsa_group_segment_fixed_size 0
		.amdhsa_private_segment_fixed_size 0
		.amdhsa_kernarg_size 112
		.amdhsa_user_sgpr_count 15
		.amdhsa_user_sgpr_dispatch_ptr 0
		.amdhsa_user_sgpr_queue_ptr 0
		.amdhsa_user_sgpr_kernarg_segment_ptr 1
		.amdhsa_user_sgpr_dispatch_id 0
		.amdhsa_user_sgpr_private_segment_size 0
		.amdhsa_wavefront_size32 1
		.amdhsa_uses_dynamic_stack 0
		.amdhsa_enable_private_segment 0
		.amdhsa_system_sgpr_workgroup_id_x 1
		.amdhsa_system_sgpr_workgroup_id_y 0
		.amdhsa_system_sgpr_workgroup_id_z 0
		.amdhsa_system_sgpr_workgroup_info 0
		.amdhsa_system_vgpr_workitem_id 0
		.amdhsa_next_free_vgpr 1
		.amdhsa_next_free_sgpr 1
		.amdhsa_reserve_vcc 0
		.amdhsa_float_round_mode_32 0
		.amdhsa_float_round_mode_16_64 0
		.amdhsa_float_denorm_mode_32 3
		.amdhsa_float_denorm_mode_16_64 3
		.amdhsa_dx10_clamp 1
		.amdhsa_ieee_mode 1
		.amdhsa_fp16_overflow 0
		.amdhsa_workgroup_processor_mode 1
		.amdhsa_memory_ordered 1
		.amdhsa_forward_progress 0
		.amdhsa_shared_vgpr_count 0
		.amdhsa_exception_fp_ieee_invalid_op 0
		.amdhsa_exception_fp_denorm_src 0
		.amdhsa_exception_fp_ieee_div_zero 0
		.amdhsa_exception_fp_ieee_overflow 0
		.amdhsa_exception_fp_ieee_underflow 0
		.amdhsa_exception_fp_ieee_inexact 0
		.amdhsa_exception_int_div_zero 0
	.end_amdhsa_kernel
	.section	.text._ZN7rocprim17ROCPRIM_400000_NS6detail17trampoline_kernelINS0_14default_configENS1_25partition_config_selectorILNS1_17partition_subalgoE6EsNS0_10empty_typeEbEEZZNS1_14partition_implILS5_6ELb0ES3_mN6thrust23THRUST_200600_302600_NS6detail15normal_iteratorINSA_10device_ptrIsEEEEPS6_SG_NS0_5tupleIJSF_S6_EEENSH_IJSG_SG_EEES6_PlJ5mod_3IsEEEE10hipError_tPvRmT3_T4_T5_T6_T7_T9_mT8_P12ihipStream_tbDpT10_ENKUlT_T0_E_clISt17integral_constantIbLb1EES15_IbLb0EEEEDaS11_S12_EUlS11_E_NS1_11comp_targetILNS1_3genE8ELNS1_11target_archE1030ELNS1_3gpuE2ELNS1_3repE0EEENS1_30default_config_static_selectorELNS0_4arch9wavefront6targetE0EEEvT1_,"axG",@progbits,_ZN7rocprim17ROCPRIM_400000_NS6detail17trampoline_kernelINS0_14default_configENS1_25partition_config_selectorILNS1_17partition_subalgoE6EsNS0_10empty_typeEbEEZZNS1_14partition_implILS5_6ELb0ES3_mN6thrust23THRUST_200600_302600_NS6detail15normal_iteratorINSA_10device_ptrIsEEEEPS6_SG_NS0_5tupleIJSF_S6_EEENSH_IJSG_SG_EEES6_PlJ5mod_3IsEEEE10hipError_tPvRmT3_T4_T5_T6_T7_T9_mT8_P12ihipStream_tbDpT10_ENKUlT_T0_E_clISt17integral_constantIbLb1EES15_IbLb0EEEEDaS11_S12_EUlS11_E_NS1_11comp_targetILNS1_3genE8ELNS1_11target_archE1030ELNS1_3gpuE2ELNS1_3repE0EEENS1_30default_config_static_selectorELNS0_4arch9wavefront6targetE0EEEvT1_,comdat
.Lfunc_end639:
	.size	_ZN7rocprim17ROCPRIM_400000_NS6detail17trampoline_kernelINS0_14default_configENS1_25partition_config_selectorILNS1_17partition_subalgoE6EsNS0_10empty_typeEbEEZZNS1_14partition_implILS5_6ELb0ES3_mN6thrust23THRUST_200600_302600_NS6detail15normal_iteratorINSA_10device_ptrIsEEEEPS6_SG_NS0_5tupleIJSF_S6_EEENSH_IJSG_SG_EEES6_PlJ5mod_3IsEEEE10hipError_tPvRmT3_T4_T5_T6_T7_T9_mT8_P12ihipStream_tbDpT10_ENKUlT_T0_E_clISt17integral_constantIbLb1EES15_IbLb0EEEEDaS11_S12_EUlS11_E_NS1_11comp_targetILNS1_3genE8ELNS1_11target_archE1030ELNS1_3gpuE2ELNS1_3repE0EEENS1_30default_config_static_selectorELNS0_4arch9wavefront6targetE0EEEvT1_, .Lfunc_end639-_ZN7rocprim17ROCPRIM_400000_NS6detail17trampoline_kernelINS0_14default_configENS1_25partition_config_selectorILNS1_17partition_subalgoE6EsNS0_10empty_typeEbEEZZNS1_14partition_implILS5_6ELb0ES3_mN6thrust23THRUST_200600_302600_NS6detail15normal_iteratorINSA_10device_ptrIsEEEEPS6_SG_NS0_5tupleIJSF_S6_EEENSH_IJSG_SG_EEES6_PlJ5mod_3IsEEEE10hipError_tPvRmT3_T4_T5_T6_T7_T9_mT8_P12ihipStream_tbDpT10_ENKUlT_T0_E_clISt17integral_constantIbLb1EES15_IbLb0EEEEDaS11_S12_EUlS11_E_NS1_11comp_targetILNS1_3genE8ELNS1_11target_archE1030ELNS1_3gpuE2ELNS1_3repE0EEENS1_30default_config_static_selectorELNS0_4arch9wavefront6targetE0EEEvT1_
                                        ; -- End function
	.section	.AMDGPU.csdata,"",@progbits
; Kernel info:
; codeLenInByte = 0
; NumSgprs: 0
; NumVgprs: 0
; ScratchSize: 0
; MemoryBound: 0
; FloatMode: 240
; IeeeMode: 1
; LDSByteSize: 0 bytes/workgroup (compile time only)
; SGPRBlocks: 0
; VGPRBlocks: 0
; NumSGPRsForWavesPerEU: 1
; NumVGPRsForWavesPerEU: 1
; Occupancy: 16
; WaveLimiterHint : 0
; COMPUTE_PGM_RSRC2:SCRATCH_EN: 0
; COMPUTE_PGM_RSRC2:USER_SGPR: 15
; COMPUTE_PGM_RSRC2:TRAP_HANDLER: 0
; COMPUTE_PGM_RSRC2:TGID_X_EN: 1
; COMPUTE_PGM_RSRC2:TGID_Y_EN: 0
; COMPUTE_PGM_RSRC2:TGID_Z_EN: 0
; COMPUTE_PGM_RSRC2:TIDIG_COMP_CNT: 0
	.section	.text._ZN7rocprim17ROCPRIM_400000_NS6detail17trampoline_kernelINS0_14default_configENS1_25partition_config_selectorILNS1_17partition_subalgoE6EsNS0_10empty_typeEbEEZZNS1_14partition_implILS5_6ELb0ES3_mN6thrust23THRUST_200600_302600_NS6detail15normal_iteratorINSA_10device_ptrIsEEEEPS6_SG_NS0_5tupleIJSF_S6_EEENSH_IJSG_SG_EEES6_PlJ5mod_3IsEEEE10hipError_tPvRmT3_T4_T5_T6_T7_T9_mT8_P12ihipStream_tbDpT10_ENKUlT_T0_E_clISt17integral_constantIbLb0EES15_IbLb1EEEEDaS11_S12_EUlS11_E_NS1_11comp_targetILNS1_3genE0ELNS1_11target_archE4294967295ELNS1_3gpuE0ELNS1_3repE0EEENS1_30default_config_static_selectorELNS0_4arch9wavefront6targetE0EEEvT1_,"axG",@progbits,_ZN7rocprim17ROCPRIM_400000_NS6detail17trampoline_kernelINS0_14default_configENS1_25partition_config_selectorILNS1_17partition_subalgoE6EsNS0_10empty_typeEbEEZZNS1_14partition_implILS5_6ELb0ES3_mN6thrust23THRUST_200600_302600_NS6detail15normal_iteratorINSA_10device_ptrIsEEEEPS6_SG_NS0_5tupleIJSF_S6_EEENSH_IJSG_SG_EEES6_PlJ5mod_3IsEEEE10hipError_tPvRmT3_T4_T5_T6_T7_T9_mT8_P12ihipStream_tbDpT10_ENKUlT_T0_E_clISt17integral_constantIbLb0EES15_IbLb1EEEEDaS11_S12_EUlS11_E_NS1_11comp_targetILNS1_3genE0ELNS1_11target_archE4294967295ELNS1_3gpuE0ELNS1_3repE0EEENS1_30default_config_static_selectorELNS0_4arch9wavefront6targetE0EEEvT1_,comdat
	.protected	_ZN7rocprim17ROCPRIM_400000_NS6detail17trampoline_kernelINS0_14default_configENS1_25partition_config_selectorILNS1_17partition_subalgoE6EsNS0_10empty_typeEbEEZZNS1_14partition_implILS5_6ELb0ES3_mN6thrust23THRUST_200600_302600_NS6detail15normal_iteratorINSA_10device_ptrIsEEEEPS6_SG_NS0_5tupleIJSF_S6_EEENSH_IJSG_SG_EEES6_PlJ5mod_3IsEEEE10hipError_tPvRmT3_T4_T5_T6_T7_T9_mT8_P12ihipStream_tbDpT10_ENKUlT_T0_E_clISt17integral_constantIbLb0EES15_IbLb1EEEEDaS11_S12_EUlS11_E_NS1_11comp_targetILNS1_3genE0ELNS1_11target_archE4294967295ELNS1_3gpuE0ELNS1_3repE0EEENS1_30default_config_static_selectorELNS0_4arch9wavefront6targetE0EEEvT1_ ; -- Begin function _ZN7rocprim17ROCPRIM_400000_NS6detail17trampoline_kernelINS0_14default_configENS1_25partition_config_selectorILNS1_17partition_subalgoE6EsNS0_10empty_typeEbEEZZNS1_14partition_implILS5_6ELb0ES3_mN6thrust23THRUST_200600_302600_NS6detail15normal_iteratorINSA_10device_ptrIsEEEEPS6_SG_NS0_5tupleIJSF_S6_EEENSH_IJSG_SG_EEES6_PlJ5mod_3IsEEEE10hipError_tPvRmT3_T4_T5_T6_T7_T9_mT8_P12ihipStream_tbDpT10_ENKUlT_T0_E_clISt17integral_constantIbLb0EES15_IbLb1EEEEDaS11_S12_EUlS11_E_NS1_11comp_targetILNS1_3genE0ELNS1_11target_archE4294967295ELNS1_3gpuE0ELNS1_3repE0EEENS1_30default_config_static_selectorELNS0_4arch9wavefront6targetE0EEEvT1_
	.globl	_ZN7rocprim17ROCPRIM_400000_NS6detail17trampoline_kernelINS0_14default_configENS1_25partition_config_selectorILNS1_17partition_subalgoE6EsNS0_10empty_typeEbEEZZNS1_14partition_implILS5_6ELb0ES3_mN6thrust23THRUST_200600_302600_NS6detail15normal_iteratorINSA_10device_ptrIsEEEEPS6_SG_NS0_5tupleIJSF_S6_EEENSH_IJSG_SG_EEES6_PlJ5mod_3IsEEEE10hipError_tPvRmT3_T4_T5_T6_T7_T9_mT8_P12ihipStream_tbDpT10_ENKUlT_T0_E_clISt17integral_constantIbLb0EES15_IbLb1EEEEDaS11_S12_EUlS11_E_NS1_11comp_targetILNS1_3genE0ELNS1_11target_archE4294967295ELNS1_3gpuE0ELNS1_3repE0EEENS1_30default_config_static_selectorELNS0_4arch9wavefront6targetE0EEEvT1_
	.p2align	8
	.type	_ZN7rocprim17ROCPRIM_400000_NS6detail17trampoline_kernelINS0_14default_configENS1_25partition_config_selectorILNS1_17partition_subalgoE6EsNS0_10empty_typeEbEEZZNS1_14partition_implILS5_6ELb0ES3_mN6thrust23THRUST_200600_302600_NS6detail15normal_iteratorINSA_10device_ptrIsEEEEPS6_SG_NS0_5tupleIJSF_S6_EEENSH_IJSG_SG_EEES6_PlJ5mod_3IsEEEE10hipError_tPvRmT3_T4_T5_T6_T7_T9_mT8_P12ihipStream_tbDpT10_ENKUlT_T0_E_clISt17integral_constantIbLb0EES15_IbLb1EEEEDaS11_S12_EUlS11_E_NS1_11comp_targetILNS1_3genE0ELNS1_11target_archE4294967295ELNS1_3gpuE0ELNS1_3repE0EEENS1_30default_config_static_selectorELNS0_4arch9wavefront6targetE0EEEvT1_,@function
_ZN7rocprim17ROCPRIM_400000_NS6detail17trampoline_kernelINS0_14default_configENS1_25partition_config_selectorILNS1_17partition_subalgoE6EsNS0_10empty_typeEbEEZZNS1_14partition_implILS5_6ELb0ES3_mN6thrust23THRUST_200600_302600_NS6detail15normal_iteratorINSA_10device_ptrIsEEEEPS6_SG_NS0_5tupleIJSF_S6_EEENSH_IJSG_SG_EEES6_PlJ5mod_3IsEEEE10hipError_tPvRmT3_T4_T5_T6_T7_T9_mT8_P12ihipStream_tbDpT10_ENKUlT_T0_E_clISt17integral_constantIbLb0EES15_IbLb1EEEEDaS11_S12_EUlS11_E_NS1_11comp_targetILNS1_3genE0ELNS1_11target_archE4294967295ELNS1_3gpuE0ELNS1_3repE0EEENS1_30default_config_static_selectorELNS0_4arch9wavefront6targetE0EEEvT1_: ; @_ZN7rocprim17ROCPRIM_400000_NS6detail17trampoline_kernelINS0_14default_configENS1_25partition_config_selectorILNS1_17partition_subalgoE6EsNS0_10empty_typeEbEEZZNS1_14partition_implILS5_6ELb0ES3_mN6thrust23THRUST_200600_302600_NS6detail15normal_iteratorINSA_10device_ptrIsEEEEPS6_SG_NS0_5tupleIJSF_S6_EEENSH_IJSG_SG_EEES6_PlJ5mod_3IsEEEE10hipError_tPvRmT3_T4_T5_T6_T7_T9_mT8_P12ihipStream_tbDpT10_ENKUlT_T0_E_clISt17integral_constantIbLb0EES15_IbLb1EEEEDaS11_S12_EUlS11_E_NS1_11comp_targetILNS1_3genE0ELNS1_11target_archE4294967295ELNS1_3gpuE0ELNS1_3repE0EEENS1_30default_config_static_selectorELNS0_4arch9wavefront6targetE0EEEvT1_
; %bb.0:
	.section	.rodata,"a",@progbits
	.p2align	6, 0x0
	.amdhsa_kernel _ZN7rocprim17ROCPRIM_400000_NS6detail17trampoline_kernelINS0_14default_configENS1_25partition_config_selectorILNS1_17partition_subalgoE6EsNS0_10empty_typeEbEEZZNS1_14partition_implILS5_6ELb0ES3_mN6thrust23THRUST_200600_302600_NS6detail15normal_iteratorINSA_10device_ptrIsEEEEPS6_SG_NS0_5tupleIJSF_S6_EEENSH_IJSG_SG_EEES6_PlJ5mod_3IsEEEE10hipError_tPvRmT3_T4_T5_T6_T7_T9_mT8_P12ihipStream_tbDpT10_ENKUlT_T0_E_clISt17integral_constantIbLb0EES15_IbLb1EEEEDaS11_S12_EUlS11_E_NS1_11comp_targetILNS1_3genE0ELNS1_11target_archE4294967295ELNS1_3gpuE0ELNS1_3repE0EEENS1_30default_config_static_selectorELNS0_4arch9wavefront6targetE0EEEvT1_
		.amdhsa_group_segment_fixed_size 0
		.amdhsa_private_segment_fixed_size 0
		.amdhsa_kernarg_size 128
		.amdhsa_user_sgpr_count 15
		.amdhsa_user_sgpr_dispatch_ptr 0
		.amdhsa_user_sgpr_queue_ptr 0
		.amdhsa_user_sgpr_kernarg_segment_ptr 1
		.amdhsa_user_sgpr_dispatch_id 0
		.amdhsa_user_sgpr_private_segment_size 0
		.amdhsa_wavefront_size32 1
		.amdhsa_uses_dynamic_stack 0
		.amdhsa_enable_private_segment 0
		.amdhsa_system_sgpr_workgroup_id_x 1
		.amdhsa_system_sgpr_workgroup_id_y 0
		.amdhsa_system_sgpr_workgroup_id_z 0
		.amdhsa_system_sgpr_workgroup_info 0
		.amdhsa_system_vgpr_workitem_id 0
		.amdhsa_next_free_vgpr 1
		.amdhsa_next_free_sgpr 1
		.amdhsa_reserve_vcc 0
		.amdhsa_float_round_mode_32 0
		.amdhsa_float_round_mode_16_64 0
		.amdhsa_float_denorm_mode_32 3
		.amdhsa_float_denorm_mode_16_64 3
		.amdhsa_dx10_clamp 1
		.amdhsa_ieee_mode 1
		.amdhsa_fp16_overflow 0
		.amdhsa_workgroup_processor_mode 1
		.amdhsa_memory_ordered 1
		.amdhsa_forward_progress 0
		.amdhsa_shared_vgpr_count 0
		.amdhsa_exception_fp_ieee_invalid_op 0
		.amdhsa_exception_fp_denorm_src 0
		.amdhsa_exception_fp_ieee_div_zero 0
		.amdhsa_exception_fp_ieee_overflow 0
		.amdhsa_exception_fp_ieee_underflow 0
		.amdhsa_exception_fp_ieee_inexact 0
		.amdhsa_exception_int_div_zero 0
	.end_amdhsa_kernel
	.section	.text._ZN7rocprim17ROCPRIM_400000_NS6detail17trampoline_kernelINS0_14default_configENS1_25partition_config_selectorILNS1_17partition_subalgoE6EsNS0_10empty_typeEbEEZZNS1_14partition_implILS5_6ELb0ES3_mN6thrust23THRUST_200600_302600_NS6detail15normal_iteratorINSA_10device_ptrIsEEEEPS6_SG_NS0_5tupleIJSF_S6_EEENSH_IJSG_SG_EEES6_PlJ5mod_3IsEEEE10hipError_tPvRmT3_T4_T5_T6_T7_T9_mT8_P12ihipStream_tbDpT10_ENKUlT_T0_E_clISt17integral_constantIbLb0EES15_IbLb1EEEEDaS11_S12_EUlS11_E_NS1_11comp_targetILNS1_3genE0ELNS1_11target_archE4294967295ELNS1_3gpuE0ELNS1_3repE0EEENS1_30default_config_static_selectorELNS0_4arch9wavefront6targetE0EEEvT1_,"axG",@progbits,_ZN7rocprim17ROCPRIM_400000_NS6detail17trampoline_kernelINS0_14default_configENS1_25partition_config_selectorILNS1_17partition_subalgoE6EsNS0_10empty_typeEbEEZZNS1_14partition_implILS5_6ELb0ES3_mN6thrust23THRUST_200600_302600_NS6detail15normal_iteratorINSA_10device_ptrIsEEEEPS6_SG_NS0_5tupleIJSF_S6_EEENSH_IJSG_SG_EEES6_PlJ5mod_3IsEEEE10hipError_tPvRmT3_T4_T5_T6_T7_T9_mT8_P12ihipStream_tbDpT10_ENKUlT_T0_E_clISt17integral_constantIbLb0EES15_IbLb1EEEEDaS11_S12_EUlS11_E_NS1_11comp_targetILNS1_3genE0ELNS1_11target_archE4294967295ELNS1_3gpuE0ELNS1_3repE0EEENS1_30default_config_static_selectorELNS0_4arch9wavefront6targetE0EEEvT1_,comdat
.Lfunc_end640:
	.size	_ZN7rocprim17ROCPRIM_400000_NS6detail17trampoline_kernelINS0_14default_configENS1_25partition_config_selectorILNS1_17partition_subalgoE6EsNS0_10empty_typeEbEEZZNS1_14partition_implILS5_6ELb0ES3_mN6thrust23THRUST_200600_302600_NS6detail15normal_iteratorINSA_10device_ptrIsEEEEPS6_SG_NS0_5tupleIJSF_S6_EEENSH_IJSG_SG_EEES6_PlJ5mod_3IsEEEE10hipError_tPvRmT3_T4_T5_T6_T7_T9_mT8_P12ihipStream_tbDpT10_ENKUlT_T0_E_clISt17integral_constantIbLb0EES15_IbLb1EEEEDaS11_S12_EUlS11_E_NS1_11comp_targetILNS1_3genE0ELNS1_11target_archE4294967295ELNS1_3gpuE0ELNS1_3repE0EEENS1_30default_config_static_selectorELNS0_4arch9wavefront6targetE0EEEvT1_, .Lfunc_end640-_ZN7rocprim17ROCPRIM_400000_NS6detail17trampoline_kernelINS0_14default_configENS1_25partition_config_selectorILNS1_17partition_subalgoE6EsNS0_10empty_typeEbEEZZNS1_14partition_implILS5_6ELb0ES3_mN6thrust23THRUST_200600_302600_NS6detail15normal_iteratorINSA_10device_ptrIsEEEEPS6_SG_NS0_5tupleIJSF_S6_EEENSH_IJSG_SG_EEES6_PlJ5mod_3IsEEEE10hipError_tPvRmT3_T4_T5_T6_T7_T9_mT8_P12ihipStream_tbDpT10_ENKUlT_T0_E_clISt17integral_constantIbLb0EES15_IbLb1EEEEDaS11_S12_EUlS11_E_NS1_11comp_targetILNS1_3genE0ELNS1_11target_archE4294967295ELNS1_3gpuE0ELNS1_3repE0EEENS1_30default_config_static_selectorELNS0_4arch9wavefront6targetE0EEEvT1_
                                        ; -- End function
	.section	.AMDGPU.csdata,"",@progbits
; Kernel info:
; codeLenInByte = 0
; NumSgprs: 0
; NumVgprs: 0
; ScratchSize: 0
; MemoryBound: 0
; FloatMode: 240
; IeeeMode: 1
; LDSByteSize: 0 bytes/workgroup (compile time only)
; SGPRBlocks: 0
; VGPRBlocks: 0
; NumSGPRsForWavesPerEU: 1
; NumVGPRsForWavesPerEU: 1
; Occupancy: 16
; WaveLimiterHint : 0
; COMPUTE_PGM_RSRC2:SCRATCH_EN: 0
; COMPUTE_PGM_RSRC2:USER_SGPR: 15
; COMPUTE_PGM_RSRC2:TRAP_HANDLER: 0
; COMPUTE_PGM_RSRC2:TGID_X_EN: 1
; COMPUTE_PGM_RSRC2:TGID_Y_EN: 0
; COMPUTE_PGM_RSRC2:TGID_Z_EN: 0
; COMPUTE_PGM_RSRC2:TIDIG_COMP_CNT: 0
	.section	.text._ZN7rocprim17ROCPRIM_400000_NS6detail17trampoline_kernelINS0_14default_configENS1_25partition_config_selectorILNS1_17partition_subalgoE6EsNS0_10empty_typeEbEEZZNS1_14partition_implILS5_6ELb0ES3_mN6thrust23THRUST_200600_302600_NS6detail15normal_iteratorINSA_10device_ptrIsEEEEPS6_SG_NS0_5tupleIJSF_S6_EEENSH_IJSG_SG_EEES6_PlJ5mod_3IsEEEE10hipError_tPvRmT3_T4_T5_T6_T7_T9_mT8_P12ihipStream_tbDpT10_ENKUlT_T0_E_clISt17integral_constantIbLb0EES15_IbLb1EEEEDaS11_S12_EUlS11_E_NS1_11comp_targetILNS1_3genE5ELNS1_11target_archE942ELNS1_3gpuE9ELNS1_3repE0EEENS1_30default_config_static_selectorELNS0_4arch9wavefront6targetE0EEEvT1_,"axG",@progbits,_ZN7rocprim17ROCPRIM_400000_NS6detail17trampoline_kernelINS0_14default_configENS1_25partition_config_selectorILNS1_17partition_subalgoE6EsNS0_10empty_typeEbEEZZNS1_14partition_implILS5_6ELb0ES3_mN6thrust23THRUST_200600_302600_NS6detail15normal_iteratorINSA_10device_ptrIsEEEEPS6_SG_NS0_5tupleIJSF_S6_EEENSH_IJSG_SG_EEES6_PlJ5mod_3IsEEEE10hipError_tPvRmT3_T4_T5_T6_T7_T9_mT8_P12ihipStream_tbDpT10_ENKUlT_T0_E_clISt17integral_constantIbLb0EES15_IbLb1EEEEDaS11_S12_EUlS11_E_NS1_11comp_targetILNS1_3genE5ELNS1_11target_archE942ELNS1_3gpuE9ELNS1_3repE0EEENS1_30default_config_static_selectorELNS0_4arch9wavefront6targetE0EEEvT1_,comdat
	.protected	_ZN7rocprim17ROCPRIM_400000_NS6detail17trampoline_kernelINS0_14default_configENS1_25partition_config_selectorILNS1_17partition_subalgoE6EsNS0_10empty_typeEbEEZZNS1_14partition_implILS5_6ELb0ES3_mN6thrust23THRUST_200600_302600_NS6detail15normal_iteratorINSA_10device_ptrIsEEEEPS6_SG_NS0_5tupleIJSF_S6_EEENSH_IJSG_SG_EEES6_PlJ5mod_3IsEEEE10hipError_tPvRmT3_T4_T5_T6_T7_T9_mT8_P12ihipStream_tbDpT10_ENKUlT_T0_E_clISt17integral_constantIbLb0EES15_IbLb1EEEEDaS11_S12_EUlS11_E_NS1_11comp_targetILNS1_3genE5ELNS1_11target_archE942ELNS1_3gpuE9ELNS1_3repE0EEENS1_30default_config_static_selectorELNS0_4arch9wavefront6targetE0EEEvT1_ ; -- Begin function _ZN7rocprim17ROCPRIM_400000_NS6detail17trampoline_kernelINS0_14default_configENS1_25partition_config_selectorILNS1_17partition_subalgoE6EsNS0_10empty_typeEbEEZZNS1_14partition_implILS5_6ELb0ES3_mN6thrust23THRUST_200600_302600_NS6detail15normal_iteratorINSA_10device_ptrIsEEEEPS6_SG_NS0_5tupleIJSF_S6_EEENSH_IJSG_SG_EEES6_PlJ5mod_3IsEEEE10hipError_tPvRmT3_T4_T5_T6_T7_T9_mT8_P12ihipStream_tbDpT10_ENKUlT_T0_E_clISt17integral_constantIbLb0EES15_IbLb1EEEEDaS11_S12_EUlS11_E_NS1_11comp_targetILNS1_3genE5ELNS1_11target_archE942ELNS1_3gpuE9ELNS1_3repE0EEENS1_30default_config_static_selectorELNS0_4arch9wavefront6targetE0EEEvT1_
	.globl	_ZN7rocprim17ROCPRIM_400000_NS6detail17trampoline_kernelINS0_14default_configENS1_25partition_config_selectorILNS1_17partition_subalgoE6EsNS0_10empty_typeEbEEZZNS1_14partition_implILS5_6ELb0ES3_mN6thrust23THRUST_200600_302600_NS6detail15normal_iteratorINSA_10device_ptrIsEEEEPS6_SG_NS0_5tupleIJSF_S6_EEENSH_IJSG_SG_EEES6_PlJ5mod_3IsEEEE10hipError_tPvRmT3_T4_T5_T6_T7_T9_mT8_P12ihipStream_tbDpT10_ENKUlT_T0_E_clISt17integral_constantIbLb0EES15_IbLb1EEEEDaS11_S12_EUlS11_E_NS1_11comp_targetILNS1_3genE5ELNS1_11target_archE942ELNS1_3gpuE9ELNS1_3repE0EEENS1_30default_config_static_selectorELNS0_4arch9wavefront6targetE0EEEvT1_
	.p2align	8
	.type	_ZN7rocprim17ROCPRIM_400000_NS6detail17trampoline_kernelINS0_14default_configENS1_25partition_config_selectorILNS1_17partition_subalgoE6EsNS0_10empty_typeEbEEZZNS1_14partition_implILS5_6ELb0ES3_mN6thrust23THRUST_200600_302600_NS6detail15normal_iteratorINSA_10device_ptrIsEEEEPS6_SG_NS0_5tupleIJSF_S6_EEENSH_IJSG_SG_EEES6_PlJ5mod_3IsEEEE10hipError_tPvRmT3_T4_T5_T6_T7_T9_mT8_P12ihipStream_tbDpT10_ENKUlT_T0_E_clISt17integral_constantIbLb0EES15_IbLb1EEEEDaS11_S12_EUlS11_E_NS1_11comp_targetILNS1_3genE5ELNS1_11target_archE942ELNS1_3gpuE9ELNS1_3repE0EEENS1_30default_config_static_selectorELNS0_4arch9wavefront6targetE0EEEvT1_,@function
_ZN7rocprim17ROCPRIM_400000_NS6detail17trampoline_kernelINS0_14default_configENS1_25partition_config_selectorILNS1_17partition_subalgoE6EsNS0_10empty_typeEbEEZZNS1_14partition_implILS5_6ELb0ES3_mN6thrust23THRUST_200600_302600_NS6detail15normal_iteratorINSA_10device_ptrIsEEEEPS6_SG_NS0_5tupleIJSF_S6_EEENSH_IJSG_SG_EEES6_PlJ5mod_3IsEEEE10hipError_tPvRmT3_T4_T5_T6_T7_T9_mT8_P12ihipStream_tbDpT10_ENKUlT_T0_E_clISt17integral_constantIbLb0EES15_IbLb1EEEEDaS11_S12_EUlS11_E_NS1_11comp_targetILNS1_3genE5ELNS1_11target_archE942ELNS1_3gpuE9ELNS1_3repE0EEENS1_30default_config_static_selectorELNS0_4arch9wavefront6targetE0EEEvT1_: ; @_ZN7rocprim17ROCPRIM_400000_NS6detail17trampoline_kernelINS0_14default_configENS1_25partition_config_selectorILNS1_17partition_subalgoE6EsNS0_10empty_typeEbEEZZNS1_14partition_implILS5_6ELb0ES3_mN6thrust23THRUST_200600_302600_NS6detail15normal_iteratorINSA_10device_ptrIsEEEEPS6_SG_NS0_5tupleIJSF_S6_EEENSH_IJSG_SG_EEES6_PlJ5mod_3IsEEEE10hipError_tPvRmT3_T4_T5_T6_T7_T9_mT8_P12ihipStream_tbDpT10_ENKUlT_T0_E_clISt17integral_constantIbLb0EES15_IbLb1EEEEDaS11_S12_EUlS11_E_NS1_11comp_targetILNS1_3genE5ELNS1_11target_archE942ELNS1_3gpuE9ELNS1_3repE0EEENS1_30default_config_static_selectorELNS0_4arch9wavefront6targetE0EEEvT1_
; %bb.0:
	.section	.rodata,"a",@progbits
	.p2align	6, 0x0
	.amdhsa_kernel _ZN7rocprim17ROCPRIM_400000_NS6detail17trampoline_kernelINS0_14default_configENS1_25partition_config_selectorILNS1_17partition_subalgoE6EsNS0_10empty_typeEbEEZZNS1_14partition_implILS5_6ELb0ES3_mN6thrust23THRUST_200600_302600_NS6detail15normal_iteratorINSA_10device_ptrIsEEEEPS6_SG_NS0_5tupleIJSF_S6_EEENSH_IJSG_SG_EEES6_PlJ5mod_3IsEEEE10hipError_tPvRmT3_T4_T5_T6_T7_T9_mT8_P12ihipStream_tbDpT10_ENKUlT_T0_E_clISt17integral_constantIbLb0EES15_IbLb1EEEEDaS11_S12_EUlS11_E_NS1_11comp_targetILNS1_3genE5ELNS1_11target_archE942ELNS1_3gpuE9ELNS1_3repE0EEENS1_30default_config_static_selectorELNS0_4arch9wavefront6targetE0EEEvT1_
		.amdhsa_group_segment_fixed_size 0
		.amdhsa_private_segment_fixed_size 0
		.amdhsa_kernarg_size 128
		.amdhsa_user_sgpr_count 15
		.amdhsa_user_sgpr_dispatch_ptr 0
		.amdhsa_user_sgpr_queue_ptr 0
		.amdhsa_user_sgpr_kernarg_segment_ptr 1
		.amdhsa_user_sgpr_dispatch_id 0
		.amdhsa_user_sgpr_private_segment_size 0
		.amdhsa_wavefront_size32 1
		.amdhsa_uses_dynamic_stack 0
		.amdhsa_enable_private_segment 0
		.amdhsa_system_sgpr_workgroup_id_x 1
		.amdhsa_system_sgpr_workgroup_id_y 0
		.amdhsa_system_sgpr_workgroup_id_z 0
		.amdhsa_system_sgpr_workgroup_info 0
		.amdhsa_system_vgpr_workitem_id 0
		.amdhsa_next_free_vgpr 1
		.amdhsa_next_free_sgpr 1
		.amdhsa_reserve_vcc 0
		.amdhsa_float_round_mode_32 0
		.amdhsa_float_round_mode_16_64 0
		.amdhsa_float_denorm_mode_32 3
		.amdhsa_float_denorm_mode_16_64 3
		.amdhsa_dx10_clamp 1
		.amdhsa_ieee_mode 1
		.amdhsa_fp16_overflow 0
		.amdhsa_workgroup_processor_mode 1
		.amdhsa_memory_ordered 1
		.amdhsa_forward_progress 0
		.amdhsa_shared_vgpr_count 0
		.amdhsa_exception_fp_ieee_invalid_op 0
		.amdhsa_exception_fp_denorm_src 0
		.amdhsa_exception_fp_ieee_div_zero 0
		.amdhsa_exception_fp_ieee_overflow 0
		.amdhsa_exception_fp_ieee_underflow 0
		.amdhsa_exception_fp_ieee_inexact 0
		.amdhsa_exception_int_div_zero 0
	.end_amdhsa_kernel
	.section	.text._ZN7rocprim17ROCPRIM_400000_NS6detail17trampoline_kernelINS0_14default_configENS1_25partition_config_selectorILNS1_17partition_subalgoE6EsNS0_10empty_typeEbEEZZNS1_14partition_implILS5_6ELb0ES3_mN6thrust23THRUST_200600_302600_NS6detail15normal_iteratorINSA_10device_ptrIsEEEEPS6_SG_NS0_5tupleIJSF_S6_EEENSH_IJSG_SG_EEES6_PlJ5mod_3IsEEEE10hipError_tPvRmT3_T4_T5_T6_T7_T9_mT8_P12ihipStream_tbDpT10_ENKUlT_T0_E_clISt17integral_constantIbLb0EES15_IbLb1EEEEDaS11_S12_EUlS11_E_NS1_11comp_targetILNS1_3genE5ELNS1_11target_archE942ELNS1_3gpuE9ELNS1_3repE0EEENS1_30default_config_static_selectorELNS0_4arch9wavefront6targetE0EEEvT1_,"axG",@progbits,_ZN7rocprim17ROCPRIM_400000_NS6detail17trampoline_kernelINS0_14default_configENS1_25partition_config_selectorILNS1_17partition_subalgoE6EsNS0_10empty_typeEbEEZZNS1_14partition_implILS5_6ELb0ES3_mN6thrust23THRUST_200600_302600_NS6detail15normal_iteratorINSA_10device_ptrIsEEEEPS6_SG_NS0_5tupleIJSF_S6_EEENSH_IJSG_SG_EEES6_PlJ5mod_3IsEEEE10hipError_tPvRmT3_T4_T5_T6_T7_T9_mT8_P12ihipStream_tbDpT10_ENKUlT_T0_E_clISt17integral_constantIbLb0EES15_IbLb1EEEEDaS11_S12_EUlS11_E_NS1_11comp_targetILNS1_3genE5ELNS1_11target_archE942ELNS1_3gpuE9ELNS1_3repE0EEENS1_30default_config_static_selectorELNS0_4arch9wavefront6targetE0EEEvT1_,comdat
.Lfunc_end641:
	.size	_ZN7rocprim17ROCPRIM_400000_NS6detail17trampoline_kernelINS0_14default_configENS1_25partition_config_selectorILNS1_17partition_subalgoE6EsNS0_10empty_typeEbEEZZNS1_14partition_implILS5_6ELb0ES3_mN6thrust23THRUST_200600_302600_NS6detail15normal_iteratorINSA_10device_ptrIsEEEEPS6_SG_NS0_5tupleIJSF_S6_EEENSH_IJSG_SG_EEES6_PlJ5mod_3IsEEEE10hipError_tPvRmT3_T4_T5_T6_T7_T9_mT8_P12ihipStream_tbDpT10_ENKUlT_T0_E_clISt17integral_constantIbLb0EES15_IbLb1EEEEDaS11_S12_EUlS11_E_NS1_11comp_targetILNS1_3genE5ELNS1_11target_archE942ELNS1_3gpuE9ELNS1_3repE0EEENS1_30default_config_static_selectorELNS0_4arch9wavefront6targetE0EEEvT1_, .Lfunc_end641-_ZN7rocprim17ROCPRIM_400000_NS6detail17trampoline_kernelINS0_14default_configENS1_25partition_config_selectorILNS1_17partition_subalgoE6EsNS0_10empty_typeEbEEZZNS1_14partition_implILS5_6ELb0ES3_mN6thrust23THRUST_200600_302600_NS6detail15normal_iteratorINSA_10device_ptrIsEEEEPS6_SG_NS0_5tupleIJSF_S6_EEENSH_IJSG_SG_EEES6_PlJ5mod_3IsEEEE10hipError_tPvRmT3_T4_T5_T6_T7_T9_mT8_P12ihipStream_tbDpT10_ENKUlT_T0_E_clISt17integral_constantIbLb0EES15_IbLb1EEEEDaS11_S12_EUlS11_E_NS1_11comp_targetILNS1_3genE5ELNS1_11target_archE942ELNS1_3gpuE9ELNS1_3repE0EEENS1_30default_config_static_selectorELNS0_4arch9wavefront6targetE0EEEvT1_
                                        ; -- End function
	.section	.AMDGPU.csdata,"",@progbits
; Kernel info:
; codeLenInByte = 0
; NumSgprs: 0
; NumVgprs: 0
; ScratchSize: 0
; MemoryBound: 0
; FloatMode: 240
; IeeeMode: 1
; LDSByteSize: 0 bytes/workgroup (compile time only)
; SGPRBlocks: 0
; VGPRBlocks: 0
; NumSGPRsForWavesPerEU: 1
; NumVGPRsForWavesPerEU: 1
; Occupancy: 16
; WaveLimiterHint : 0
; COMPUTE_PGM_RSRC2:SCRATCH_EN: 0
; COMPUTE_PGM_RSRC2:USER_SGPR: 15
; COMPUTE_PGM_RSRC2:TRAP_HANDLER: 0
; COMPUTE_PGM_RSRC2:TGID_X_EN: 1
; COMPUTE_PGM_RSRC2:TGID_Y_EN: 0
; COMPUTE_PGM_RSRC2:TGID_Z_EN: 0
; COMPUTE_PGM_RSRC2:TIDIG_COMP_CNT: 0
	.section	.text._ZN7rocprim17ROCPRIM_400000_NS6detail17trampoline_kernelINS0_14default_configENS1_25partition_config_selectorILNS1_17partition_subalgoE6EsNS0_10empty_typeEbEEZZNS1_14partition_implILS5_6ELb0ES3_mN6thrust23THRUST_200600_302600_NS6detail15normal_iteratorINSA_10device_ptrIsEEEEPS6_SG_NS0_5tupleIJSF_S6_EEENSH_IJSG_SG_EEES6_PlJ5mod_3IsEEEE10hipError_tPvRmT3_T4_T5_T6_T7_T9_mT8_P12ihipStream_tbDpT10_ENKUlT_T0_E_clISt17integral_constantIbLb0EES15_IbLb1EEEEDaS11_S12_EUlS11_E_NS1_11comp_targetILNS1_3genE4ELNS1_11target_archE910ELNS1_3gpuE8ELNS1_3repE0EEENS1_30default_config_static_selectorELNS0_4arch9wavefront6targetE0EEEvT1_,"axG",@progbits,_ZN7rocprim17ROCPRIM_400000_NS6detail17trampoline_kernelINS0_14default_configENS1_25partition_config_selectorILNS1_17partition_subalgoE6EsNS0_10empty_typeEbEEZZNS1_14partition_implILS5_6ELb0ES3_mN6thrust23THRUST_200600_302600_NS6detail15normal_iteratorINSA_10device_ptrIsEEEEPS6_SG_NS0_5tupleIJSF_S6_EEENSH_IJSG_SG_EEES6_PlJ5mod_3IsEEEE10hipError_tPvRmT3_T4_T5_T6_T7_T9_mT8_P12ihipStream_tbDpT10_ENKUlT_T0_E_clISt17integral_constantIbLb0EES15_IbLb1EEEEDaS11_S12_EUlS11_E_NS1_11comp_targetILNS1_3genE4ELNS1_11target_archE910ELNS1_3gpuE8ELNS1_3repE0EEENS1_30default_config_static_selectorELNS0_4arch9wavefront6targetE0EEEvT1_,comdat
	.protected	_ZN7rocprim17ROCPRIM_400000_NS6detail17trampoline_kernelINS0_14default_configENS1_25partition_config_selectorILNS1_17partition_subalgoE6EsNS0_10empty_typeEbEEZZNS1_14partition_implILS5_6ELb0ES3_mN6thrust23THRUST_200600_302600_NS6detail15normal_iteratorINSA_10device_ptrIsEEEEPS6_SG_NS0_5tupleIJSF_S6_EEENSH_IJSG_SG_EEES6_PlJ5mod_3IsEEEE10hipError_tPvRmT3_T4_T5_T6_T7_T9_mT8_P12ihipStream_tbDpT10_ENKUlT_T0_E_clISt17integral_constantIbLb0EES15_IbLb1EEEEDaS11_S12_EUlS11_E_NS1_11comp_targetILNS1_3genE4ELNS1_11target_archE910ELNS1_3gpuE8ELNS1_3repE0EEENS1_30default_config_static_selectorELNS0_4arch9wavefront6targetE0EEEvT1_ ; -- Begin function _ZN7rocprim17ROCPRIM_400000_NS6detail17trampoline_kernelINS0_14default_configENS1_25partition_config_selectorILNS1_17partition_subalgoE6EsNS0_10empty_typeEbEEZZNS1_14partition_implILS5_6ELb0ES3_mN6thrust23THRUST_200600_302600_NS6detail15normal_iteratorINSA_10device_ptrIsEEEEPS6_SG_NS0_5tupleIJSF_S6_EEENSH_IJSG_SG_EEES6_PlJ5mod_3IsEEEE10hipError_tPvRmT3_T4_T5_T6_T7_T9_mT8_P12ihipStream_tbDpT10_ENKUlT_T0_E_clISt17integral_constantIbLb0EES15_IbLb1EEEEDaS11_S12_EUlS11_E_NS1_11comp_targetILNS1_3genE4ELNS1_11target_archE910ELNS1_3gpuE8ELNS1_3repE0EEENS1_30default_config_static_selectorELNS0_4arch9wavefront6targetE0EEEvT1_
	.globl	_ZN7rocprim17ROCPRIM_400000_NS6detail17trampoline_kernelINS0_14default_configENS1_25partition_config_selectorILNS1_17partition_subalgoE6EsNS0_10empty_typeEbEEZZNS1_14partition_implILS5_6ELb0ES3_mN6thrust23THRUST_200600_302600_NS6detail15normal_iteratorINSA_10device_ptrIsEEEEPS6_SG_NS0_5tupleIJSF_S6_EEENSH_IJSG_SG_EEES6_PlJ5mod_3IsEEEE10hipError_tPvRmT3_T4_T5_T6_T7_T9_mT8_P12ihipStream_tbDpT10_ENKUlT_T0_E_clISt17integral_constantIbLb0EES15_IbLb1EEEEDaS11_S12_EUlS11_E_NS1_11comp_targetILNS1_3genE4ELNS1_11target_archE910ELNS1_3gpuE8ELNS1_3repE0EEENS1_30default_config_static_selectorELNS0_4arch9wavefront6targetE0EEEvT1_
	.p2align	8
	.type	_ZN7rocprim17ROCPRIM_400000_NS6detail17trampoline_kernelINS0_14default_configENS1_25partition_config_selectorILNS1_17partition_subalgoE6EsNS0_10empty_typeEbEEZZNS1_14partition_implILS5_6ELb0ES3_mN6thrust23THRUST_200600_302600_NS6detail15normal_iteratorINSA_10device_ptrIsEEEEPS6_SG_NS0_5tupleIJSF_S6_EEENSH_IJSG_SG_EEES6_PlJ5mod_3IsEEEE10hipError_tPvRmT3_T4_T5_T6_T7_T9_mT8_P12ihipStream_tbDpT10_ENKUlT_T0_E_clISt17integral_constantIbLb0EES15_IbLb1EEEEDaS11_S12_EUlS11_E_NS1_11comp_targetILNS1_3genE4ELNS1_11target_archE910ELNS1_3gpuE8ELNS1_3repE0EEENS1_30default_config_static_selectorELNS0_4arch9wavefront6targetE0EEEvT1_,@function
_ZN7rocprim17ROCPRIM_400000_NS6detail17trampoline_kernelINS0_14default_configENS1_25partition_config_selectorILNS1_17partition_subalgoE6EsNS0_10empty_typeEbEEZZNS1_14partition_implILS5_6ELb0ES3_mN6thrust23THRUST_200600_302600_NS6detail15normal_iteratorINSA_10device_ptrIsEEEEPS6_SG_NS0_5tupleIJSF_S6_EEENSH_IJSG_SG_EEES6_PlJ5mod_3IsEEEE10hipError_tPvRmT3_T4_T5_T6_T7_T9_mT8_P12ihipStream_tbDpT10_ENKUlT_T0_E_clISt17integral_constantIbLb0EES15_IbLb1EEEEDaS11_S12_EUlS11_E_NS1_11comp_targetILNS1_3genE4ELNS1_11target_archE910ELNS1_3gpuE8ELNS1_3repE0EEENS1_30default_config_static_selectorELNS0_4arch9wavefront6targetE0EEEvT1_: ; @_ZN7rocprim17ROCPRIM_400000_NS6detail17trampoline_kernelINS0_14default_configENS1_25partition_config_selectorILNS1_17partition_subalgoE6EsNS0_10empty_typeEbEEZZNS1_14partition_implILS5_6ELb0ES3_mN6thrust23THRUST_200600_302600_NS6detail15normal_iteratorINSA_10device_ptrIsEEEEPS6_SG_NS0_5tupleIJSF_S6_EEENSH_IJSG_SG_EEES6_PlJ5mod_3IsEEEE10hipError_tPvRmT3_T4_T5_T6_T7_T9_mT8_P12ihipStream_tbDpT10_ENKUlT_T0_E_clISt17integral_constantIbLb0EES15_IbLb1EEEEDaS11_S12_EUlS11_E_NS1_11comp_targetILNS1_3genE4ELNS1_11target_archE910ELNS1_3gpuE8ELNS1_3repE0EEENS1_30default_config_static_selectorELNS0_4arch9wavefront6targetE0EEEvT1_
; %bb.0:
	.section	.rodata,"a",@progbits
	.p2align	6, 0x0
	.amdhsa_kernel _ZN7rocprim17ROCPRIM_400000_NS6detail17trampoline_kernelINS0_14default_configENS1_25partition_config_selectorILNS1_17partition_subalgoE6EsNS0_10empty_typeEbEEZZNS1_14partition_implILS5_6ELb0ES3_mN6thrust23THRUST_200600_302600_NS6detail15normal_iteratorINSA_10device_ptrIsEEEEPS6_SG_NS0_5tupleIJSF_S6_EEENSH_IJSG_SG_EEES6_PlJ5mod_3IsEEEE10hipError_tPvRmT3_T4_T5_T6_T7_T9_mT8_P12ihipStream_tbDpT10_ENKUlT_T0_E_clISt17integral_constantIbLb0EES15_IbLb1EEEEDaS11_S12_EUlS11_E_NS1_11comp_targetILNS1_3genE4ELNS1_11target_archE910ELNS1_3gpuE8ELNS1_3repE0EEENS1_30default_config_static_selectorELNS0_4arch9wavefront6targetE0EEEvT1_
		.amdhsa_group_segment_fixed_size 0
		.amdhsa_private_segment_fixed_size 0
		.amdhsa_kernarg_size 128
		.amdhsa_user_sgpr_count 15
		.amdhsa_user_sgpr_dispatch_ptr 0
		.amdhsa_user_sgpr_queue_ptr 0
		.amdhsa_user_sgpr_kernarg_segment_ptr 1
		.amdhsa_user_sgpr_dispatch_id 0
		.amdhsa_user_sgpr_private_segment_size 0
		.amdhsa_wavefront_size32 1
		.amdhsa_uses_dynamic_stack 0
		.amdhsa_enable_private_segment 0
		.amdhsa_system_sgpr_workgroup_id_x 1
		.amdhsa_system_sgpr_workgroup_id_y 0
		.amdhsa_system_sgpr_workgroup_id_z 0
		.amdhsa_system_sgpr_workgroup_info 0
		.amdhsa_system_vgpr_workitem_id 0
		.amdhsa_next_free_vgpr 1
		.amdhsa_next_free_sgpr 1
		.amdhsa_reserve_vcc 0
		.amdhsa_float_round_mode_32 0
		.amdhsa_float_round_mode_16_64 0
		.amdhsa_float_denorm_mode_32 3
		.amdhsa_float_denorm_mode_16_64 3
		.amdhsa_dx10_clamp 1
		.amdhsa_ieee_mode 1
		.amdhsa_fp16_overflow 0
		.amdhsa_workgroup_processor_mode 1
		.amdhsa_memory_ordered 1
		.amdhsa_forward_progress 0
		.amdhsa_shared_vgpr_count 0
		.amdhsa_exception_fp_ieee_invalid_op 0
		.amdhsa_exception_fp_denorm_src 0
		.amdhsa_exception_fp_ieee_div_zero 0
		.amdhsa_exception_fp_ieee_overflow 0
		.amdhsa_exception_fp_ieee_underflow 0
		.amdhsa_exception_fp_ieee_inexact 0
		.amdhsa_exception_int_div_zero 0
	.end_amdhsa_kernel
	.section	.text._ZN7rocprim17ROCPRIM_400000_NS6detail17trampoline_kernelINS0_14default_configENS1_25partition_config_selectorILNS1_17partition_subalgoE6EsNS0_10empty_typeEbEEZZNS1_14partition_implILS5_6ELb0ES3_mN6thrust23THRUST_200600_302600_NS6detail15normal_iteratorINSA_10device_ptrIsEEEEPS6_SG_NS0_5tupleIJSF_S6_EEENSH_IJSG_SG_EEES6_PlJ5mod_3IsEEEE10hipError_tPvRmT3_T4_T5_T6_T7_T9_mT8_P12ihipStream_tbDpT10_ENKUlT_T0_E_clISt17integral_constantIbLb0EES15_IbLb1EEEEDaS11_S12_EUlS11_E_NS1_11comp_targetILNS1_3genE4ELNS1_11target_archE910ELNS1_3gpuE8ELNS1_3repE0EEENS1_30default_config_static_selectorELNS0_4arch9wavefront6targetE0EEEvT1_,"axG",@progbits,_ZN7rocprim17ROCPRIM_400000_NS6detail17trampoline_kernelINS0_14default_configENS1_25partition_config_selectorILNS1_17partition_subalgoE6EsNS0_10empty_typeEbEEZZNS1_14partition_implILS5_6ELb0ES3_mN6thrust23THRUST_200600_302600_NS6detail15normal_iteratorINSA_10device_ptrIsEEEEPS6_SG_NS0_5tupleIJSF_S6_EEENSH_IJSG_SG_EEES6_PlJ5mod_3IsEEEE10hipError_tPvRmT3_T4_T5_T6_T7_T9_mT8_P12ihipStream_tbDpT10_ENKUlT_T0_E_clISt17integral_constantIbLb0EES15_IbLb1EEEEDaS11_S12_EUlS11_E_NS1_11comp_targetILNS1_3genE4ELNS1_11target_archE910ELNS1_3gpuE8ELNS1_3repE0EEENS1_30default_config_static_selectorELNS0_4arch9wavefront6targetE0EEEvT1_,comdat
.Lfunc_end642:
	.size	_ZN7rocprim17ROCPRIM_400000_NS6detail17trampoline_kernelINS0_14default_configENS1_25partition_config_selectorILNS1_17partition_subalgoE6EsNS0_10empty_typeEbEEZZNS1_14partition_implILS5_6ELb0ES3_mN6thrust23THRUST_200600_302600_NS6detail15normal_iteratorINSA_10device_ptrIsEEEEPS6_SG_NS0_5tupleIJSF_S6_EEENSH_IJSG_SG_EEES6_PlJ5mod_3IsEEEE10hipError_tPvRmT3_T4_T5_T6_T7_T9_mT8_P12ihipStream_tbDpT10_ENKUlT_T0_E_clISt17integral_constantIbLb0EES15_IbLb1EEEEDaS11_S12_EUlS11_E_NS1_11comp_targetILNS1_3genE4ELNS1_11target_archE910ELNS1_3gpuE8ELNS1_3repE0EEENS1_30default_config_static_selectorELNS0_4arch9wavefront6targetE0EEEvT1_, .Lfunc_end642-_ZN7rocprim17ROCPRIM_400000_NS6detail17trampoline_kernelINS0_14default_configENS1_25partition_config_selectorILNS1_17partition_subalgoE6EsNS0_10empty_typeEbEEZZNS1_14partition_implILS5_6ELb0ES3_mN6thrust23THRUST_200600_302600_NS6detail15normal_iteratorINSA_10device_ptrIsEEEEPS6_SG_NS0_5tupleIJSF_S6_EEENSH_IJSG_SG_EEES6_PlJ5mod_3IsEEEE10hipError_tPvRmT3_T4_T5_T6_T7_T9_mT8_P12ihipStream_tbDpT10_ENKUlT_T0_E_clISt17integral_constantIbLb0EES15_IbLb1EEEEDaS11_S12_EUlS11_E_NS1_11comp_targetILNS1_3genE4ELNS1_11target_archE910ELNS1_3gpuE8ELNS1_3repE0EEENS1_30default_config_static_selectorELNS0_4arch9wavefront6targetE0EEEvT1_
                                        ; -- End function
	.section	.AMDGPU.csdata,"",@progbits
; Kernel info:
; codeLenInByte = 0
; NumSgprs: 0
; NumVgprs: 0
; ScratchSize: 0
; MemoryBound: 0
; FloatMode: 240
; IeeeMode: 1
; LDSByteSize: 0 bytes/workgroup (compile time only)
; SGPRBlocks: 0
; VGPRBlocks: 0
; NumSGPRsForWavesPerEU: 1
; NumVGPRsForWavesPerEU: 1
; Occupancy: 16
; WaveLimiterHint : 0
; COMPUTE_PGM_RSRC2:SCRATCH_EN: 0
; COMPUTE_PGM_RSRC2:USER_SGPR: 15
; COMPUTE_PGM_RSRC2:TRAP_HANDLER: 0
; COMPUTE_PGM_RSRC2:TGID_X_EN: 1
; COMPUTE_PGM_RSRC2:TGID_Y_EN: 0
; COMPUTE_PGM_RSRC2:TGID_Z_EN: 0
; COMPUTE_PGM_RSRC2:TIDIG_COMP_CNT: 0
	.section	.text._ZN7rocprim17ROCPRIM_400000_NS6detail17trampoline_kernelINS0_14default_configENS1_25partition_config_selectorILNS1_17partition_subalgoE6EsNS0_10empty_typeEbEEZZNS1_14partition_implILS5_6ELb0ES3_mN6thrust23THRUST_200600_302600_NS6detail15normal_iteratorINSA_10device_ptrIsEEEEPS6_SG_NS0_5tupleIJSF_S6_EEENSH_IJSG_SG_EEES6_PlJ5mod_3IsEEEE10hipError_tPvRmT3_T4_T5_T6_T7_T9_mT8_P12ihipStream_tbDpT10_ENKUlT_T0_E_clISt17integral_constantIbLb0EES15_IbLb1EEEEDaS11_S12_EUlS11_E_NS1_11comp_targetILNS1_3genE3ELNS1_11target_archE908ELNS1_3gpuE7ELNS1_3repE0EEENS1_30default_config_static_selectorELNS0_4arch9wavefront6targetE0EEEvT1_,"axG",@progbits,_ZN7rocprim17ROCPRIM_400000_NS6detail17trampoline_kernelINS0_14default_configENS1_25partition_config_selectorILNS1_17partition_subalgoE6EsNS0_10empty_typeEbEEZZNS1_14partition_implILS5_6ELb0ES3_mN6thrust23THRUST_200600_302600_NS6detail15normal_iteratorINSA_10device_ptrIsEEEEPS6_SG_NS0_5tupleIJSF_S6_EEENSH_IJSG_SG_EEES6_PlJ5mod_3IsEEEE10hipError_tPvRmT3_T4_T5_T6_T7_T9_mT8_P12ihipStream_tbDpT10_ENKUlT_T0_E_clISt17integral_constantIbLb0EES15_IbLb1EEEEDaS11_S12_EUlS11_E_NS1_11comp_targetILNS1_3genE3ELNS1_11target_archE908ELNS1_3gpuE7ELNS1_3repE0EEENS1_30default_config_static_selectorELNS0_4arch9wavefront6targetE0EEEvT1_,comdat
	.protected	_ZN7rocprim17ROCPRIM_400000_NS6detail17trampoline_kernelINS0_14default_configENS1_25partition_config_selectorILNS1_17partition_subalgoE6EsNS0_10empty_typeEbEEZZNS1_14partition_implILS5_6ELb0ES3_mN6thrust23THRUST_200600_302600_NS6detail15normal_iteratorINSA_10device_ptrIsEEEEPS6_SG_NS0_5tupleIJSF_S6_EEENSH_IJSG_SG_EEES6_PlJ5mod_3IsEEEE10hipError_tPvRmT3_T4_T5_T6_T7_T9_mT8_P12ihipStream_tbDpT10_ENKUlT_T0_E_clISt17integral_constantIbLb0EES15_IbLb1EEEEDaS11_S12_EUlS11_E_NS1_11comp_targetILNS1_3genE3ELNS1_11target_archE908ELNS1_3gpuE7ELNS1_3repE0EEENS1_30default_config_static_selectorELNS0_4arch9wavefront6targetE0EEEvT1_ ; -- Begin function _ZN7rocprim17ROCPRIM_400000_NS6detail17trampoline_kernelINS0_14default_configENS1_25partition_config_selectorILNS1_17partition_subalgoE6EsNS0_10empty_typeEbEEZZNS1_14partition_implILS5_6ELb0ES3_mN6thrust23THRUST_200600_302600_NS6detail15normal_iteratorINSA_10device_ptrIsEEEEPS6_SG_NS0_5tupleIJSF_S6_EEENSH_IJSG_SG_EEES6_PlJ5mod_3IsEEEE10hipError_tPvRmT3_T4_T5_T6_T7_T9_mT8_P12ihipStream_tbDpT10_ENKUlT_T0_E_clISt17integral_constantIbLb0EES15_IbLb1EEEEDaS11_S12_EUlS11_E_NS1_11comp_targetILNS1_3genE3ELNS1_11target_archE908ELNS1_3gpuE7ELNS1_3repE0EEENS1_30default_config_static_selectorELNS0_4arch9wavefront6targetE0EEEvT1_
	.globl	_ZN7rocprim17ROCPRIM_400000_NS6detail17trampoline_kernelINS0_14default_configENS1_25partition_config_selectorILNS1_17partition_subalgoE6EsNS0_10empty_typeEbEEZZNS1_14partition_implILS5_6ELb0ES3_mN6thrust23THRUST_200600_302600_NS6detail15normal_iteratorINSA_10device_ptrIsEEEEPS6_SG_NS0_5tupleIJSF_S6_EEENSH_IJSG_SG_EEES6_PlJ5mod_3IsEEEE10hipError_tPvRmT3_T4_T5_T6_T7_T9_mT8_P12ihipStream_tbDpT10_ENKUlT_T0_E_clISt17integral_constantIbLb0EES15_IbLb1EEEEDaS11_S12_EUlS11_E_NS1_11comp_targetILNS1_3genE3ELNS1_11target_archE908ELNS1_3gpuE7ELNS1_3repE0EEENS1_30default_config_static_selectorELNS0_4arch9wavefront6targetE0EEEvT1_
	.p2align	8
	.type	_ZN7rocprim17ROCPRIM_400000_NS6detail17trampoline_kernelINS0_14default_configENS1_25partition_config_selectorILNS1_17partition_subalgoE6EsNS0_10empty_typeEbEEZZNS1_14partition_implILS5_6ELb0ES3_mN6thrust23THRUST_200600_302600_NS6detail15normal_iteratorINSA_10device_ptrIsEEEEPS6_SG_NS0_5tupleIJSF_S6_EEENSH_IJSG_SG_EEES6_PlJ5mod_3IsEEEE10hipError_tPvRmT3_T4_T5_T6_T7_T9_mT8_P12ihipStream_tbDpT10_ENKUlT_T0_E_clISt17integral_constantIbLb0EES15_IbLb1EEEEDaS11_S12_EUlS11_E_NS1_11comp_targetILNS1_3genE3ELNS1_11target_archE908ELNS1_3gpuE7ELNS1_3repE0EEENS1_30default_config_static_selectorELNS0_4arch9wavefront6targetE0EEEvT1_,@function
_ZN7rocprim17ROCPRIM_400000_NS6detail17trampoline_kernelINS0_14default_configENS1_25partition_config_selectorILNS1_17partition_subalgoE6EsNS0_10empty_typeEbEEZZNS1_14partition_implILS5_6ELb0ES3_mN6thrust23THRUST_200600_302600_NS6detail15normal_iteratorINSA_10device_ptrIsEEEEPS6_SG_NS0_5tupleIJSF_S6_EEENSH_IJSG_SG_EEES6_PlJ5mod_3IsEEEE10hipError_tPvRmT3_T4_T5_T6_T7_T9_mT8_P12ihipStream_tbDpT10_ENKUlT_T0_E_clISt17integral_constantIbLb0EES15_IbLb1EEEEDaS11_S12_EUlS11_E_NS1_11comp_targetILNS1_3genE3ELNS1_11target_archE908ELNS1_3gpuE7ELNS1_3repE0EEENS1_30default_config_static_selectorELNS0_4arch9wavefront6targetE0EEEvT1_: ; @_ZN7rocprim17ROCPRIM_400000_NS6detail17trampoline_kernelINS0_14default_configENS1_25partition_config_selectorILNS1_17partition_subalgoE6EsNS0_10empty_typeEbEEZZNS1_14partition_implILS5_6ELb0ES3_mN6thrust23THRUST_200600_302600_NS6detail15normal_iteratorINSA_10device_ptrIsEEEEPS6_SG_NS0_5tupleIJSF_S6_EEENSH_IJSG_SG_EEES6_PlJ5mod_3IsEEEE10hipError_tPvRmT3_T4_T5_T6_T7_T9_mT8_P12ihipStream_tbDpT10_ENKUlT_T0_E_clISt17integral_constantIbLb0EES15_IbLb1EEEEDaS11_S12_EUlS11_E_NS1_11comp_targetILNS1_3genE3ELNS1_11target_archE908ELNS1_3gpuE7ELNS1_3repE0EEENS1_30default_config_static_selectorELNS0_4arch9wavefront6targetE0EEEvT1_
; %bb.0:
	.section	.rodata,"a",@progbits
	.p2align	6, 0x0
	.amdhsa_kernel _ZN7rocprim17ROCPRIM_400000_NS6detail17trampoline_kernelINS0_14default_configENS1_25partition_config_selectorILNS1_17partition_subalgoE6EsNS0_10empty_typeEbEEZZNS1_14partition_implILS5_6ELb0ES3_mN6thrust23THRUST_200600_302600_NS6detail15normal_iteratorINSA_10device_ptrIsEEEEPS6_SG_NS0_5tupleIJSF_S6_EEENSH_IJSG_SG_EEES6_PlJ5mod_3IsEEEE10hipError_tPvRmT3_T4_T5_T6_T7_T9_mT8_P12ihipStream_tbDpT10_ENKUlT_T0_E_clISt17integral_constantIbLb0EES15_IbLb1EEEEDaS11_S12_EUlS11_E_NS1_11comp_targetILNS1_3genE3ELNS1_11target_archE908ELNS1_3gpuE7ELNS1_3repE0EEENS1_30default_config_static_selectorELNS0_4arch9wavefront6targetE0EEEvT1_
		.amdhsa_group_segment_fixed_size 0
		.amdhsa_private_segment_fixed_size 0
		.amdhsa_kernarg_size 128
		.amdhsa_user_sgpr_count 15
		.amdhsa_user_sgpr_dispatch_ptr 0
		.amdhsa_user_sgpr_queue_ptr 0
		.amdhsa_user_sgpr_kernarg_segment_ptr 1
		.amdhsa_user_sgpr_dispatch_id 0
		.amdhsa_user_sgpr_private_segment_size 0
		.amdhsa_wavefront_size32 1
		.amdhsa_uses_dynamic_stack 0
		.amdhsa_enable_private_segment 0
		.amdhsa_system_sgpr_workgroup_id_x 1
		.amdhsa_system_sgpr_workgroup_id_y 0
		.amdhsa_system_sgpr_workgroup_id_z 0
		.amdhsa_system_sgpr_workgroup_info 0
		.amdhsa_system_vgpr_workitem_id 0
		.amdhsa_next_free_vgpr 1
		.amdhsa_next_free_sgpr 1
		.amdhsa_reserve_vcc 0
		.amdhsa_float_round_mode_32 0
		.amdhsa_float_round_mode_16_64 0
		.amdhsa_float_denorm_mode_32 3
		.amdhsa_float_denorm_mode_16_64 3
		.amdhsa_dx10_clamp 1
		.amdhsa_ieee_mode 1
		.amdhsa_fp16_overflow 0
		.amdhsa_workgroup_processor_mode 1
		.amdhsa_memory_ordered 1
		.amdhsa_forward_progress 0
		.amdhsa_shared_vgpr_count 0
		.amdhsa_exception_fp_ieee_invalid_op 0
		.amdhsa_exception_fp_denorm_src 0
		.amdhsa_exception_fp_ieee_div_zero 0
		.amdhsa_exception_fp_ieee_overflow 0
		.amdhsa_exception_fp_ieee_underflow 0
		.amdhsa_exception_fp_ieee_inexact 0
		.amdhsa_exception_int_div_zero 0
	.end_amdhsa_kernel
	.section	.text._ZN7rocprim17ROCPRIM_400000_NS6detail17trampoline_kernelINS0_14default_configENS1_25partition_config_selectorILNS1_17partition_subalgoE6EsNS0_10empty_typeEbEEZZNS1_14partition_implILS5_6ELb0ES3_mN6thrust23THRUST_200600_302600_NS6detail15normal_iteratorINSA_10device_ptrIsEEEEPS6_SG_NS0_5tupleIJSF_S6_EEENSH_IJSG_SG_EEES6_PlJ5mod_3IsEEEE10hipError_tPvRmT3_T4_T5_T6_T7_T9_mT8_P12ihipStream_tbDpT10_ENKUlT_T0_E_clISt17integral_constantIbLb0EES15_IbLb1EEEEDaS11_S12_EUlS11_E_NS1_11comp_targetILNS1_3genE3ELNS1_11target_archE908ELNS1_3gpuE7ELNS1_3repE0EEENS1_30default_config_static_selectorELNS0_4arch9wavefront6targetE0EEEvT1_,"axG",@progbits,_ZN7rocprim17ROCPRIM_400000_NS6detail17trampoline_kernelINS0_14default_configENS1_25partition_config_selectorILNS1_17partition_subalgoE6EsNS0_10empty_typeEbEEZZNS1_14partition_implILS5_6ELb0ES3_mN6thrust23THRUST_200600_302600_NS6detail15normal_iteratorINSA_10device_ptrIsEEEEPS6_SG_NS0_5tupleIJSF_S6_EEENSH_IJSG_SG_EEES6_PlJ5mod_3IsEEEE10hipError_tPvRmT3_T4_T5_T6_T7_T9_mT8_P12ihipStream_tbDpT10_ENKUlT_T0_E_clISt17integral_constantIbLb0EES15_IbLb1EEEEDaS11_S12_EUlS11_E_NS1_11comp_targetILNS1_3genE3ELNS1_11target_archE908ELNS1_3gpuE7ELNS1_3repE0EEENS1_30default_config_static_selectorELNS0_4arch9wavefront6targetE0EEEvT1_,comdat
.Lfunc_end643:
	.size	_ZN7rocprim17ROCPRIM_400000_NS6detail17trampoline_kernelINS0_14default_configENS1_25partition_config_selectorILNS1_17partition_subalgoE6EsNS0_10empty_typeEbEEZZNS1_14partition_implILS5_6ELb0ES3_mN6thrust23THRUST_200600_302600_NS6detail15normal_iteratorINSA_10device_ptrIsEEEEPS6_SG_NS0_5tupleIJSF_S6_EEENSH_IJSG_SG_EEES6_PlJ5mod_3IsEEEE10hipError_tPvRmT3_T4_T5_T6_T7_T9_mT8_P12ihipStream_tbDpT10_ENKUlT_T0_E_clISt17integral_constantIbLb0EES15_IbLb1EEEEDaS11_S12_EUlS11_E_NS1_11comp_targetILNS1_3genE3ELNS1_11target_archE908ELNS1_3gpuE7ELNS1_3repE0EEENS1_30default_config_static_selectorELNS0_4arch9wavefront6targetE0EEEvT1_, .Lfunc_end643-_ZN7rocprim17ROCPRIM_400000_NS6detail17trampoline_kernelINS0_14default_configENS1_25partition_config_selectorILNS1_17partition_subalgoE6EsNS0_10empty_typeEbEEZZNS1_14partition_implILS5_6ELb0ES3_mN6thrust23THRUST_200600_302600_NS6detail15normal_iteratorINSA_10device_ptrIsEEEEPS6_SG_NS0_5tupleIJSF_S6_EEENSH_IJSG_SG_EEES6_PlJ5mod_3IsEEEE10hipError_tPvRmT3_T4_T5_T6_T7_T9_mT8_P12ihipStream_tbDpT10_ENKUlT_T0_E_clISt17integral_constantIbLb0EES15_IbLb1EEEEDaS11_S12_EUlS11_E_NS1_11comp_targetILNS1_3genE3ELNS1_11target_archE908ELNS1_3gpuE7ELNS1_3repE0EEENS1_30default_config_static_selectorELNS0_4arch9wavefront6targetE0EEEvT1_
                                        ; -- End function
	.section	.AMDGPU.csdata,"",@progbits
; Kernel info:
; codeLenInByte = 0
; NumSgprs: 0
; NumVgprs: 0
; ScratchSize: 0
; MemoryBound: 0
; FloatMode: 240
; IeeeMode: 1
; LDSByteSize: 0 bytes/workgroup (compile time only)
; SGPRBlocks: 0
; VGPRBlocks: 0
; NumSGPRsForWavesPerEU: 1
; NumVGPRsForWavesPerEU: 1
; Occupancy: 16
; WaveLimiterHint : 0
; COMPUTE_PGM_RSRC2:SCRATCH_EN: 0
; COMPUTE_PGM_RSRC2:USER_SGPR: 15
; COMPUTE_PGM_RSRC2:TRAP_HANDLER: 0
; COMPUTE_PGM_RSRC2:TGID_X_EN: 1
; COMPUTE_PGM_RSRC2:TGID_Y_EN: 0
; COMPUTE_PGM_RSRC2:TGID_Z_EN: 0
; COMPUTE_PGM_RSRC2:TIDIG_COMP_CNT: 0
	.section	.text._ZN7rocprim17ROCPRIM_400000_NS6detail17trampoline_kernelINS0_14default_configENS1_25partition_config_selectorILNS1_17partition_subalgoE6EsNS0_10empty_typeEbEEZZNS1_14partition_implILS5_6ELb0ES3_mN6thrust23THRUST_200600_302600_NS6detail15normal_iteratorINSA_10device_ptrIsEEEEPS6_SG_NS0_5tupleIJSF_S6_EEENSH_IJSG_SG_EEES6_PlJ5mod_3IsEEEE10hipError_tPvRmT3_T4_T5_T6_T7_T9_mT8_P12ihipStream_tbDpT10_ENKUlT_T0_E_clISt17integral_constantIbLb0EES15_IbLb1EEEEDaS11_S12_EUlS11_E_NS1_11comp_targetILNS1_3genE2ELNS1_11target_archE906ELNS1_3gpuE6ELNS1_3repE0EEENS1_30default_config_static_selectorELNS0_4arch9wavefront6targetE0EEEvT1_,"axG",@progbits,_ZN7rocprim17ROCPRIM_400000_NS6detail17trampoline_kernelINS0_14default_configENS1_25partition_config_selectorILNS1_17partition_subalgoE6EsNS0_10empty_typeEbEEZZNS1_14partition_implILS5_6ELb0ES3_mN6thrust23THRUST_200600_302600_NS6detail15normal_iteratorINSA_10device_ptrIsEEEEPS6_SG_NS0_5tupleIJSF_S6_EEENSH_IJSG_SG_EEES6_PlJ5mod_3IsEEEE10hipError_tPvRmT3_T4_T5_T6_T7_T9_mT8_P12ihipStream_tbDpT10_ENKUlT_T0_E_clISt17integral_constantIbLb0EES15_IbLb1EEEEDaS11_S12_EUlS11_E_NS1_11comp_targetILNS1_3genE2ELNS1_11target_archE906ELNS1_3gpuE6ELNS1_3repE0EEENS1_30default_config_static_selectorELNS0_4arch9wavefront6targetE0EEEvT1_,comdat
	.protected	_ZN7rocprim17ROCPRIM_400000_NS6detail17trampoline_kernelINS0_14default_configENS1_25partition_config_selectorILNS1_17partition_subalgoE6EsNS0_10empty_typeEbEEZZNS1_14partition_implILS5_6ELb0ES3_mN6thrust23THRUST_200600_302600_NS6detail15normal_iteratorINSA_10device_ptrIsEEEEPS6_SG_NS0_5tupleIJSF_S6_EEENSH_IJSG_SG_EEES6_PlJ5mod_3IsEEEE10hipError_tPvRmT3_T4_T5_T6_T7_T9_mT8_P12ihipStream_tbDpT10_ENKUlT_T0_E_clISt17integral_constantIbLb0EES15_IbLb1EEEEDaS11_S12_EUlS11_E_NS1_11comp_targetILNS1_3genE2ELNS1_11target_archE906ELNS1_3gpuE6ELNS1_3repE0EEENS1_30default_config_static_selectorELNS0_4arch9wavefront6targetE0EEEvT1_ ; -- Begin function _ZN7rocprim17ROCPRIM_400000_NS6detail17trampoline_kernelINS0_14default_configENS1_25partition_config_selectorILNS1_17partition_subalgoE6EsNS0_10empty_typeEbEEZZNS1_14partition_implILS5_6ELb0ES3_mN6thrust23THRUST_200600_302600_NS6detail15normal_iteratorINSA_10device_ptrIsEEEEPS6_SG_NS0_5tupleIJSF_S6_EEENSH_IJSG_SG_EEES6_PlJ5mod_3IsEEEE10hipError_tPvRmT3_T4_T5_T6_T7_T9_mT8_P12ihipStream_tbDpT10_ENKUlT_T0_E_clISt17integral_constantIbLb0EES15_IbLb1EEEEDaS11_S12_EUlS11_E_NS1_11comp_targetILNS1_3genE2ELNS1_11target_archE906ELNS1_3gpuE6ELNS1_3repE0EEENS1_30default_config_static_selectorELNS0_4arch9wavefront6targetE0EEEvT1_
	.globl	_ZN7rocprim17ROCPRIM_400000_NS6detail17trampoline_kernelINS0_14default_configENS1_25partition_config_selectorILNS1_17partition_subalgoE6EsNS0_10empty_typeEbEEZZNS1_14partition_implILS5_6ELb0ES3_mN6thrust23THRUST_200600_302600_NS6detail15normal_iteratorINSA_10device_ptrIsEEEEPS6_SG_NS0_5tupleIJSF_S6_EEENSH_IJSG_SG_EEES6_PlJ5mod_3IsEEEE10hipError_tPvRmT3_T4_T5_T6_T7_T9_mT8_P12ihipStream_tbDpT10_ENKUlT_T0_E_clISt17integral_constantIbLb0EES15_IbLb1EEEEDaS11_S12_EUlS11_E_NS1_11comp_targetILNS1_3genE2ELNS1_11target_archE906ELNS1_3gpuE6ELNS1_3repE0EEENS1_30default_config_static_selectorELNS0_4arch9wavefront6targetE0EEEvT1_
	.p2align	8
	.type	_ZN7rocprim17ROCPRIM_400000_NS6detail17trampoline_kernelINS0_14default_configENS1_25partition_config_selectorILNS1_17partition_subalgoE6EsNS0_10empty_typeEbEEZZNS1_14partition_implILS5_6ELb0ES3_mN6thrust23THRUST_200600_302600_NS6detail15normal_iteratorINSA_10device_ptrIsEEEEPS6_SG_NS0_5tupleIJSF_S6_EEENSH_IJSG_SG_EEES6_PlJ5mod_3IsEEEE10hipError_tPvRmT3_T4_T5_T6_T7_T9_mT8_P12ihipStream_tbDpT10_ENKUlT_T0_E_clISt17integral_constantIbLb0EES15_IbLb1EEEEDaS11_S12_EUlS11_E_NS1_11comp_targetILNS1_3genE2ELNS1_11target_archE906ELNS1_3gpuE6ELNS1_3repE0EEENS1_30default_config_static_selectorELNS0_4arch9wavefront6targetE0EEEvT1_,@function
_ZN7rocprim17ROCPRIM_400000_NS6detail17trampoline_kernelINS0_14default_configENS1_25partition_config_selectorILNS1_17partition_subalgoE6EsNS0_10empty_typeEbEEZZNS1_14partition_implILS5_6ELb0ES3_mN6thrust23THRUST_200600_302600_NS6detail15normal_iteratorINSA_10device_ptrIsEEEEPS6_SG_NS0_5tupleIJSF_S6_EEENSH_IJSG_SG_EEES6_PlJ5mod_3IsEEEE10hipError_tPvRmT3_T4_T5_T6_T7_T9_mT8_P12ihipStream_tbDpT10_ENKUlT_T0_E_clISt17integral_constantIbLb0EES15_IbLb1EEEEDaS11_S12_EUlS11_E_NS1_11comp_targetILNS1_3genE2ELNS1_11target_archE906ELNS1_3gpuE6ELNS1_3repE0EEENS1_30default_config_static_selectorELNS0_4arch9wavefront6targetE0EEEvT1_: ; @_ZN7rocprim17ROCPRIM_400000_NS6detail17trampoline_kernelINS0_14default_configENS1_25partition_config_selectorILNS1_17partition_subalgoE6EsNS0_10empty_typeEbEEZZNS1_14partition_implILS5_6ELb0ES3_mN6thrust23THRUST_200600_302600_NS6detail15normal_iteratorINSA_10device_ptrIsEEEEPS6_SG_NS0_5tupleIJSF_S6_EEENSH_IJSG_SG_EEES6_PlJ5mod_3IsEEEE10hipError_tPvRmT3_T4_T5_T6_T7_T9_mT8_P12ihipStream_tbDpT10_ENKUlT_T0_E_clISt17integral_constantIbLb0EES15_IbLb1EEEEDaS11_S12_EUlS11_E_NS1_11comp_targetILNS1_3genE2ELNS1_11target_archE906ELNS1_3gpuE6ELNS1_3repE0EEENS1_30default_config_static_selectorELNS0_4arch9wavefront6targetE0EEEvT1_
; %bb.0:
	.section	.rodata,"a",@progbits
	.p2align	6, 0x0
	.amdhsa_kernel _ZN7rocprim17ROCPRIM_400000_NS6detail17trampoline_kernelINS0_14default_configENS1_25partition_config_selectorILNS1_17partition_subalgoE6EsNS0_10empty_typeEbEEZZNS1_14partition_implILS5_6ELb0ES3_mN6thrust23THRUST_200600_302600_NS6detail15normal_iteratorINSA_10device_ptrIsEEEEPS6_SG_NS0_5tupleIJSF_S6_EEENSH_IJSG_SG_EEES6_PlJ5mod_3IsEEEE10hipError_tPvRmT3_T4_T5_T6_T7_T9_mT8_P12ihipStream_tbDpT10_ENKUlT_T0_E_clISt17integral_constantIbLb0EES15_IbLb1EEEEDaS11_S12_EUlS11_E_NS1_11comp_targetILNS1_3genE2ELNS1_11target_archE906ELNS1_3gpuE6ELNS1_3repE0EEENS1_30default_config_static_selectorELNS0_4arch9wavefront6targetE0EEEvT1_
		.amdhsa_group_segment_fixed_size 0
		.amdhsa_private_segment_fixed_size 0
		.amdhsa_kernarg_size 128
		.amdhsa_user_sgpr_count 15
		.amdhsa_user_sgpr_dispatch_ptr 0
		.amdhsa_user_sgpr_queue_ptr 0
		.amdhsa_user_sgpr_kernarg_segment_ptr 1
		.amdhsa_user_sgpr_dispatch_id 0
		.amdhsa_user_sgpr_private_segment_size 0
		.amdhsa_wavefront_size32 1
		.amdhsa_uses_dynamic_stack 0
		.amdhsa_enable_private_segment 0
		.amdhsa_system_sgpr_workgroup_id_x 1
		.amdhsa_system_sgpr_workgroup_id_y 0
		.amdhsa_system_sgpr_workgroup_id_z 0
		.amdhsa_system_sgpr_workgroup_info 0
		.amdhsa_system_vgpr_workitem_id 0
		.amdhsa_next_free_vgpr 1
		.amdhsa_next_free_sgpr 1
		.amdhsa_reserve_vcc 0
		.amdhsa_float_round_mode_32 0
		.amdhsa_float_round_mode_16_64 0
		.amdhsa_float_denorm_mode_32 3
		.amdhsa_float_denorm_mode_16_64 3
		.amdhsa_dx10_clamp 1
		.amdhsa_ieee_mode 1
		.amdhsa_fp16_overflow 0
		.amdhsa_workgroup_processor_mode 1
		.amdhsa_memory_ordered 1
		.amdhsa_forward_progress 0
		.amdhsa_shared_vgpr_count 0
		.amdhsa_exception_fp_ieee_invalid_op 0
		.amdhsa_exception_fp_denorm_src 0
		.amdhsa_exception_fp_ieee_div_zero 0
		.amdhsa_exception_fp_ieee_overflow 0
		.amdhsa_exception_fp_ieee_underflow 0
		.amdhsa_exception_fp_ieee_inexact 0
		.amdhsa_exception_int_div_zero 0
	.end_amdhsa_kernel
	.section	.text._ZN7rocprim17ROCPRIM_400000_NS6detail17trampoline_kernelINS0_14default_configENS1_25partition_config_selectorILNS1_17partition_subalgoE6EsNS0_10empty_typeEbEEZZNS1_14partition_implILS5_6ELb0ES3_mN6thrust23THRUST_200600_302600_NS6detail15normal_iteratorINSA_10device_ptrIsEEEEPS6_SG_NS0_5tupleIJSF_S6_EEENSH_IJSG_SG_EEES6_PlJ5mod_3IsEEEE10hipError_tPvRmT3_T4_T5_T6_T7_T9_mT8_P12ihipStream_tbDpT10_ENKUlT_T0_E_clISt17integral_constantIbLb0EES15_IbLb1EEEEDaS11_S12_EUlS11_E_NS1_11comp_targetILNS1_3genE2ELNS1_11target_archE906ELNS1_3gpuE6ELNS1_3repE0EEENS1_30default_config_static_selectorELNS0_4arch9wavefront6targetE0EEEvT1_,"axG",@progbits,_ZN7rocprim17ROCPRIM_400000_NS6detail17trampoline_kernelINS0_14default_configENS1_25partition_config_selectorILNS1_17partition_subalgoE6EsNS0_10empty_typeEbEEZZNS1_14partition_implILS5_6ELb0ES3_mN6thrust23THRUST_200600_302600_NS6detail15normal_iteratorINSA_10device_ptrIsEEEEPS6_SG_NS0_5tupleIJSF_S6_EEENSH_IJSG_SG_EEES6_PlJ5mod_3IsEEEE10hipError_tPvRmT3_T4_T5_T6_T7_T9_mT8_P12ihipStream_tbDpT10_ENKUlT_T0_E_clISt17integral_constantIbLb0EES15_IbLb1EEEEDaS11_S12_EUlS11_E_NS1_11comp_targetILNS1_3genE2ELNS1_11target_archE906ELNS1_3gpuE6ELNS1_3repE0EEENS1_30default_config_static_selectorELNS0_4arch9wavefront6targetE0EEEvT1_,comdat
.Lfunc_end644:
	.size	_ZN7rocprim17ROCPRIM_400000_NS6detail17trampoline_kernelINS0_14default_configENS1_25partition_config_selectorILNS1_17partition_subalgoE6EsNS0_10empty_typeEbEEZZNS1_14partition_implILS5_6ELb0ES3_mN6thrust23THRUST_200600_302600_NS6detail15normal_iteratorINSA_10device_ptrIsEEEEPS6_SG_NS0_5tupleIJSF_S6_EEENSH_IJSG_SG_EEES6_PlJ5mod_3IsEEEE10hipError_tPvRmT3_T4_T5_T6_T7_T9_mT8_P12ihipStream_tbDpT10_ENKUlT_T0_E_clISt17integral_constantIbLb0EES15_IbLb1EEEEDaS11_S12_EUlS11_E_NS1_11comp_targetILNS1_3genE2ELNS1_11target_archE906ELNS1_3gpuE6ELNS1_3repE0EEENS1_30default_config_static_selectorELNS0_4arch9wavefront6targetE0EEEvT1_, .Lfunc_end644-_ZN7rocprim17ROCPRIM_400000_NS6detail17trampoline_kernelINS0_14default_configENS1_25partition_config_selectorILNS1_17partition_subalgoE6EsNS0_10empty_typeEbEEZZNS1_14partition_implILS5_6ELb0ES3_mN6thrust23THRUST_200600_302600_NS6detail15normal_iteratorINSA_10device_ptrIsEEEEPS6_SG_NS0_5tupleIJSF_S6_EEENSH_IJSG_SG_EEES6_PlJ5mod_3IsEEEE10hipError_tPvRmT3_T4_T5_T6_T7_T9_mT8_P12ihipStream_tbDpT10_ENKUlT_T0_E_clISt17integral_constantIbLb0EES15_IbLb1EEEEDaS11_S12_EUlS11_E_NS1_11comp_targetILNS1_3genE2ELNS1_11target_archE906ELNS1_3gpuE6ELNS1_3repE0EEENS1_30default_config_static_selectorELNS0_4arch9wavefront6targetE0EEEvT1_
                                        ; -- End function
	.section	.AMDGPU.csdata,"",@progbits
; Kernel info:
; codeLenInByte = 0
; NumSgprs: 0
; NumVgprs: 0
; ScratchSize: 0
; MemoryBound: 0
; FloatMode: 240
; IeeeMode: 1
; LDSByteSize: 0 bytes/workgroup (compile time only)
; SGPRBlocks: 0
; VGPRBlocks: 0
; NumSGPRsForWavesPerEU: 1
; NumVGPRsForWavesPerEU: 1
; Occupancy: 16
; WaveLimiterHint : 0
; COMPUTE_PGM_RSRC2:SCRATCH_EN: 0
; COMPUTE_PGM_RSRC2:USER_SGPR: 15
; COMPUTE_PGM_RSRC2:TRAP_HANDLER: 0
; COMPUTE_PGM_RSRC2:TGID_X_EN: 1
; COMPUTE_PGM_RSRC2:TGID_Y_EN: 0
; COMPUTE_PGM_RSRC2:TGID_Z_EN: 0
; COMPUTE_PGM_RSRC2:TIDIG_COMP_CNT: 0
	.section	.text._ZN7rocprim17ROCPRIM_400000_NS6detail17trampoline_kernelINS0_14default_configENS1_25partition_config_selectorILNS1_17partition_subalgoE6EsNS0_10empty_typeEbEEZZNS1_14partition_implILS5_6ELb0ES3_mN6thrust23THRUST_200600_302600_NS6detail15normal_iteratorINSA_10device_ptrIsEEEEPS6_SG_NS0_5tupleIJSF_S6_EEENSH_IJSG_SG_EEES6_PlJ5mod_3IsEEEE10hipError_tPvRmT3_T4_T5_T6_T7_T9_mT8_P12ihipStream_tbDpT10_ENKUlT_T0_E_clISt17integral_constantIbLb0EES15_IbLb1EEEEDaS11_S12_EUlS11_E_NS1_11comp_targetILNS1_3genE10ELNS1_11target_archE1200ELNS1_3gpuE4ELNS1_3repE0EEENS1_30default_config_static_selectorELNS0_4arch9wavefront6targetE0EEEvT1_,"axG",@progbits,_ZN7rocprim17ROCPRIM_400000_NS6detail17trampoline_kernelINS0_14default_configENS1_25partition_config_selectorILNS1_17partition_subalgoE6EsNS0_10empty_typeEbEEZZNS1_14partition_implILS5_6ELb0ES3_mN6thrust23THRUST_200600_302600_NS6detail15normal_iteratorINSA_10device_ptrIsEEEEPS6_SG_NS0_5tupleIJSF_S6_EEENSH_IJSG_SG_EEES6_PlJ5mod_3IsEEEE10hipError_tPvRmT3_T4_T5_T6_T7_T9_mT8_P12ihipStream_tbDpT10_ENKUlT_T0_E_clISt17integral_constantIbLb0EES15_IbLb1EEEEDaS11_S12_EUlS11_E_NS1_11comp_targetILNS1_3genE10ELNS1_11target_archE1200ELNS1_3gpuE4ELNS1_3repE0EEENS1_30default_config_static_selectorELNS0_4arch9wavefront6targetE0EEEvT1_,comdat
	.protected	_ZN7rocprim17ROCPRIM_400000_NS6detail17trampoline_kernelINS0_14default_configENS1_25partition_config_selectorILNS1_17partition_subalgoE6EsNS0_10empty_typeEbEEZZNS1_14partition_implILS5_6ELb0ES3_mN6thrust23THRUST_200600_302600_NS6detail15normal_iteratorINSA_10device_ptrIsEEEEPS6_SG_NS0_5tupleIJSF_S6_EEENSH_IJSG_SG_EEES6_PlJ5mod_3IsEEEE10hipError_tPvRmT3_T4_T5_T6_T7_T9_mT8_P12ihipStream_tbDpT10_ENKUlT_T0_E_clISt17integral_constantIbLb0EES15_IbLb1EEEEDaS11_S12_EUlS11_E_NS1_11comp_targetILNS1_3genE10ELNS1_11target_archE1200ELNS1_3gpuE4ELNS1_3repE0EEENS1_30default_config_static_selectorELNS0_4arch9wavefront6targetE0EEEvT1_ ; -- Begin function _ZN7rocprim17ROCPRIM_400000_NS6detail17trampoline_kernelINS0_14default_configENS1_25partition_config_selectorILNS1_17partition_subalgoE6EsNS0_10empty_typeEbEEZZNS1_14partition_implILS5_6ELb0ES3_mN6thrust23THRUST_200600_302600_NS6detail15normal_iteratorINSA_10device_ptrIsEEEEPS6_SG_NS0_5tupleIJSF_S6_EEENSH_IJSG_SG_EEES6_PlJ5mod_3IsEEEE10hipError_tPvRmT3_T4_T5_T6_T7_T9_mT8_P12ihipStream_tbDpT10_ENKUlT_T0_E_clISt17integral_constantIbLb0EES15_IbLb1EEEEDaS11_S12_EUlS11_E_NS1_11comp_targetILNS1_3genE10ELNS1_11target_archE1200ELNS1_3gpuE4ELNS1_3repE0EEENS1_30default_config_static_selectorELNS0_4arch9wavefront6targetE0EEEvT1_
	.globl	_ZN7rocprim17ROCPRIM_400000_NS6detail17trampoline_kernelINS0_14default_configENS1_25partition_config_selectorILNS1_17partition_subalgoE6EsNS0_10empty_typeEbEEZZNS1_14partition_implILS5_6ELb0ES3_mN6thrust23THRUST_200600_302600_NS6detail15normal_iteratorINSA_10device_ptrIsEEEEPS6_SG_NS0_5tupleIJSF_S6_EEENSH_IJSG_SG_EEES6_PlJ5mod_3IsEEEE10hipError_tPvRmT3_T4_T5_T6_T7_T9_mT8_P12ihipStream_tbDpT10_ENKUlT_T0_E_clISt17integral_constantIbLb0EES15_IbLb1EEEEDaS11_S12_EUlS11_E_NS1_11comp_targetILNS1_3genE10ELNS1_11target_archE1200ELNS1_3gpuE4ELNS1_3repE0EEENS1_30default_config_static_selectorELNS0_4arch9wavefront6targetE0EEEvT1_
	.p2align	8
	.type	_ZN7rocprim17ROCPRIM_400000_NS6detail17trampoline_kernelINS0_14default_configENS1_25partition_config_selectorILNS1_17partition_subalgoE6EsNS0_10empty_typeEbEEZZNS1_14partition_implILS5_6ELb0ES3_mN6thrust23THRUST_200600_302600_NS6detail15normal_iteratorINSA_10device_ptrIsEEEEPS6_SG_NS0_5tupleIJSF_S6_EEENSH_IJSG_SG_EEES6_PlJ5mod_3IsEEEE10hipError_tPvRmT3_T4_T5_T6_T7_T9_mT8_P12ihipStream_tbDpT10_ENKUlT_T0_E_clISt17integral_constantIbLb0EES15_IbLb1EEEEDaS11_S12_EUlS11_E_NS1_11comp_targetILNS1_3genE10ELNS1_11target_archE1200ELNS1_3gpuE4ELNS1_3repE0EEENS1_30default_config_static_selectorELNS0_4arch9wavefront6targetE0EEEvT1_,@function
_ZN7rocprim17ROCPRIM_400000_NS6detail17trampoline_kernelINS0_14default_configENS1_25partition_config_selectorILNS1_17partition_subalgoE6EsNS0_10empty_typeEbEEZZNS1_14partition_implILS5_6ELb0ES3_mN6thrust23THRUST_200600_302600_NS6detail15normal_iteratorINSA_10device_ptrIsEEEEPS6_SG_NS0_5tupleIJSF_S6_EEENSH_IJSG_SG_EEES6_PlJ5mod_3IsEEEE10hipError_tPvRmT3_T4_T5_T6_T7_T9_mT8_P12ihipStream_tbDpT10_ENKUlT_T0_E_clISt17integral_constantIbLb0EES15_IbLb1EEEEDaS11_S12_EUlS11_E_NS1_11comp_targetILNS1_3genE10ELNS1_11target_archE1200ELNS1_3gpuE4ELNS1_3repE0EEENS1_30default_config_static_selectorELNS0_4arch9wavefront6targetE0EEEvT1_: ; @_ZN7rocprim17ROCPRIM_400000_NS6detail17trampoline_kernelINS0_14default_configENS1_25partition_config_selectorILNS1_17partition_subalgoE6EsNS0_10empty_typeEbEEZZNS1_14partition_implILS5_6ELb0ES3_mN6thrust23THRUST_200600_302600_NS6detail15normal_iteratorINSA_10device_ptrIsEEEEPS6_SG_NS0_5tupleIJSF_S6_EEENSH_IJSG_SG_EEES6_PlJ5mod_3IsEEEE10hipError_tPvRmT3_T4_T5_T6_T7_T9_mT8_P12ihipStream_tbDpT10_ENKUlT_T0_E_clISt17integral_constantIbLb0EES15_IbLb1EEEEDaS11_S12_EUlS11_E_NS1_11comp_targetILNS1_3genE10ELNS1_11target_archE1200ELNS1_3gpuE4ELNS1_3repE0EEENS1_30default_config_static_selectorELNS0_4arch9wavefront6targetE0EEEvT1_
; %bb.0:
	.section	.rodata,"a",@progbits
	.p2align	6, 0x0
	.amdhsa_kernel _ZN7rocprim17ROCPRIM_400000_NS6detail17trampoline_kernelINS0_14default_configENS1_25partition_config_selectorILNS1_17partition_subalgoE6EsNS0_10empty_typeEbEEZZNS1_14partition_implILS5_6ELb0ES3_mN6thrust23THRUST_200600_302600_NS6detail15normal_iteratorINSA_10device_ptrIsEEEEPS6_SG_NS0_5tupleIJSF_S6_EEENSH_IJSG_SG_EEES6_PlJ5mod_3IsEEEE10hipError_tPvRmT3_T4_T5_T6_T7_T9_mT8_P12ihipStream_tbDpT10_ENKUlT_T0_E_clISt17integral_constantIbLb0EES15_IbLb1EEEEDaS11_S12_EUlS11_E_NS1_11comp_targetILNS1_3genE10ELNS1_11target_archE1200ELNS1_3gpuE4ELNS1_3repE0EEENS1_30default_config_static_selectorELNS0_4arch9wavefront6targetE0EEEvT1_
		.amdhsa_group_segment_fixed_size 0
		.amdhsa_private_segment_fixed_size 0
		.amdhsa_kernarg_size 128
		.amdhsa_user_sgpr_count 15
		.amdhsa_user_sgpr_dispatch_ptr 0
		.amdhsa_user_sgpr_queue_ptr 0
		.amdhsa_user_sgpr_kernarg_segment_ptr 1
		.amdhsa_user_sgpr_dispatch_id 0
		.amdhsa_user_sgpr_private_segment_size 0
		.amdhsa_wavefront_size32 1
		.amdhsa_uses_dynamic_stack 0
		.amdhsa_enable_private_segment 0
		.amdhsa_system_sgpr_workgroup_id_x 1
		.amdhsa_system_sgpr_workgroup_id_y 0
		.amdhsa_system_sgpr_workgroup_id_z 0
		.amdhsa_system_sgpr_workgroup_info 0
		.amdhsa_system_vgpr_workitem_id 0
		.amdhsa_next_free_vgpr 1
		.amdhsa_next_free_sgpr 1
		.amdhsa_reserve_vcc 0
		.amdhsa_float_round_mode_32 0
		.amdhsa_float_round_mode_16_64 0
		.amdhsa_float_denorm_mode_32 3
		.amdhsa_float_denorm_mode_16_64 3
		.amdhsa_dx10_clamp 1
		.amdhsa_ieee_mode 1
		.amdhsa_fp16_overflow 0
		.amdhsa_workgroup_processor_mode 1
		.amdhsa_memory_ordered 1
		.amdhsa_forward_progress 0
		.amdhsa_shared_vgpr_count 0
		.amdhsa_exception_fp_ieee_invalid_op 0
		.amdhsa_exception_fp_denorm_src 0
		.amdhsa_exception_fp_ieee_div_zero 0
		.amdhsa_exception_fp_ieee_overflow 0
		.amdhsa_exception_fp_ieee_underflow 0
		.amdhsa_exception_fp_ieee_inexact 0
		.amdhsa_exception_int_div_zero 0
	.end_amdhsa_kernel
	.section	.text._ZN7rocprim17ROCPRIM_400000_NS6detail17trampoline_kernelINS0_14default_configENS1_25partition_config_selectorILNS1_17partition_subalgoE6EsNS0_10empty_typeEbEEZZNS1_14partition_implILS5_6ELb0ES3_mN6thrust23THRUST_200600_302600_NS6detail15normal_iteratorINSA_10device_ptrIsEEEEPS6_SG_NS0_5tupleIJSF_S6_EEENSH_IJSG_SG_EEES6_PlJ5mod_3IsEEEE10hipError_tPvRmT3_T4_T5_T6_T7_T9_mT8_P12ihipStream_tbDpT10_ENKUlT_T0_E_clISt17integral_constantIbLb0EES15_IbLb1EEEEDaS11_S12_EUlS11_E_NS1_11comp_targetILNS1_3genE10ELNS1_11target_archE1200ELNS1_3gpuE4ELNS1_3repE0EEENS1_30default_config_static_selectorELNS0_4arch9wavefront6targetE0EEEvT1_,"axG",@progbits,_ZN7rocprim17ROCPRIM_400000_NS6detail17trampoline_kernelINS0_14default_configENS1_25partition_config_selectorILNS1_17partition_subalgoE6EsNS0_10empty_typeEbEEZZNS1_14partition_implILS5_6ELb0ES3_mN6thrust23THRUST_200600_302600_NS6detail15normal_iteratorINSA_10device_ptrIsEEEEPS6_SG_NS0_5tupleIJSF_S6_EEENSH_IJSG_SG_EEES6_PlJ5mod_3IsEEEE10hipError_tPvRmT3_T4_T5_T6_T7_T9_mT8_P12ihipStream_tbDpT10_ENKUlT_T0_E_clISt17integral_constantIbLb0EES15_IbLb1EEEEDaS11_S12_EUlS11_E_NS1_11comp_targetILNS1_3genE10ELNS1_11target_archE1200ELNS1_3gpuE4ELNS1_3repE0EEENS1_30default_config_static_selectorELNS0_4arch9wavefront6targetE0EEEvT1_,comdat
.Lfunc_end645:
	.size	_ZN7rocprim17ROCPRIM_400000_NS6detail17trampoline_kernelINS0_14default_configENS1_25partition_config_selectorILNS1_17partition_subalgoE6EsNS0_10empty_typeEbEEZZNS1_14partition_implILS5_6ELb0ES3_mN6thrust23THRUST_200600_302600_NS6detail15normal_iteratorINSA_10device_ptrIsEEEEPS6_SG_NS0_5tupleIJSF_S6_EEENSH_IJSG_SG_EEES6_PlJ5mod_3IsEEEE10hipError_tPvRmT3_T4_T5_T6_T7_T9_mT8_P12ihipStream_tbDpT10_ENKUlT_T0_E_clISt17integral_constantIbLb0EES15_IbLb1EEEEDaS11_S12_EUlS11_E_NS1_11comp_targetILNS1_3genE10ELNS1_11target_archE1200ELNS1_3gpuE4ELNS1_3repE0EEENS1_30default_config_static_selectorELNS0_4arch9wavefront6targetE0EEEvT1_, .Lfunc_end645-_ZN7rocprim17ROCPRIM_400000_NS6detail17trampoline_kernelINS0_14default_configENS1_25partition_config_selectorILNS1_17partition_subalgoE6EsNS0_10empty_typeEbEEZZNS1_14partition_implILS5_6ELb0ES3_mN6thrust23THRUST_200600_302600_NS6detail15normal_iteratorINSA_10device_ptrIsEEEEPS6_SG_NS0_5tupleIJSF_S6_EEENSH_IJSG_SG_EEES6_PlJ5mod_3IsEEEE10hipError_tPvRmT3_T4_T5_T6_T7_T9_mT8_P12ihipStream_tbDpT10_ENKUlT_T0_E_clISt17integral_constantIbLb0EES15_IbLb1EEEEDaS11_S12_EUlS11_E_NS1_11comp_targetILNS1_3genE10ELNS1_11target_archE1200ELNS1_3gpuE4ELNS1_3repE0EEENS1_30default_config_static_selectorELNS0_4arch9wavefront6targetE0EEEvT1_
                                        ; -- End function
	.section	.AMDGPU.csdata,"",@progbits
; Kernel info:
; codeLenInByte = 0
; NumSgprs: 0
; NumVgprs: 0
; ScratchSize: 0
; MemoryBound: 0
; FloatMode: 240
; IeeeMode: 1
; LDSByteSize: 0 bytes/workgroup (compile time only)
; SGPRBlocks: 0
; VGPRBlocks: 0
; NumSGPRsForWavesPerEU: 1
; NumVGPRsForWavesPerEU: 1
; Occupancy: 15
; WaveLimiterHint : 0
; COMPUTE_PGM_RSRC2:SCRATCH_EN: 0
; COMPUTE_PGM_RSRC2:USER_SGPR: 15
; COMPUTE_PGM_RSRC2:TRAP_HANDLER: 0
; COMPUTE_PGM_RSRC2:TGID_X_EN: 1
; COMPUTE_PGM_RSRC2:TGID_Y_EN: 0
; COMPUTE_PGM_RSRC2:TGID_Z_EN: 0
; COMPUTE_PGM_RSRC2:TIDIG_COMP_CNT: 0
	.section	.text._ZN7rocprim17ROCPRIM_400000_NS6detail17trampoline_kernelINS0_14default_configENS1_25partition_config_selectorILNS1_17partition_subalgoE6EsNS0_10empty_typeEbEEZZNS1_14partition_implILS5_6ELb0ES3_mN6thrust23THRUST_200600_302600_NS6detail15normal_iteratorINSA_10device_ptrIsEEEEPS6_SG_NS0_5tupleIJSF_S6_EEENSH_IJSG_SG_EEES6_PlJ5mod_3IsEEEE10hipError_tPvRmT3_T4_T5_T6_T7_T9_mT8_P12ihipStream_tbDpT10_ENKUlT_T0_E_clISt17integral_constantIbLb0EES15_IbLb1EEEEDaS11_S12_EUlS11_E_NS1_11comp_targetILNS1_3genE9ELNS1_11target_archE1100ELNS1_3gpuE3ELNS1_3repE0EEENS1_30default_config_static_selectorELNS0_4arch9wavefront6targetE0EEEvT1_,"axG",@progbits,_ZN7rocprim17ROCPRIM_400000_NS6detail17trampoline_kernelINS0_14default_configENS1_25partition_config_selectorILNS1_17partition_subalgoE6EsNS0_10empty_typeEbEEZZNS1_14partition_implILS5_6ELb0ES3_mN6thrust23THRUST_200600_302600_NS6detail15normal_iteratorINSA_10device_ptrIsEEEEPS6_SG_NS0_5tupleIJSF_S6_EEENSH_IJSG_SG_EEES6_PlJ5mod_3IsEEEE10hipError_tPvRmT3_T4_T5_T6_T7_T9_mT8_P12ihipStream_tbDpT10_ENKUlT_T0_E_clISt17integral_constantIbLb0EES15_IbLb1EEEEDaS11_S12_EUlS11_E_NS1_11comp_targetILNS1_3genE9ELNS1_11target_archE1100ELNS1_3gpuE3ELNS1_3repE0EEENS1_30default_config_static_selectorELNS0_4arch9wavefront6targetE0EEEvT1_,comdat
	.protected	_ZN7rocprim17ROCPRIM_400000_NS6detail17trampoline_kernelINS0_14default_configENS1_25partition_config_selectorILNS1_17partition_subalgoE6EsNS0_10empty_typeEbEEZZNS1_14partition_implILS5_6ELb0ES3_mN6thrust23THRUST_200600_302600_NS6detail15normal_iteratorINSA_10device_ptrIsEEEEPS6_SG_NS0_5tupleIJSF_S6_EEENSH_IJSG_SG_EEES6_PlJ5mod_3IsEEEE10hipError_tPvRmT3_T4_T5_T6_T7_T9_mT8_P12ihipStream_tbDpT10_ENKUlT_T0_E_clISt17integral_constantIbLb0EES15_IbLb1EEEEDaS11_S12_EUlS11_E_NS1_11comp_targetILNS1_3genE9ELNS1_11target_archE1100ELNS1_3gpuE3ELNS1_3repE0EEENS1_30default_config_static_selectorELNS0_4arch9wavefront6targetE0EEEvT1_ ; -- Begin function _ZN7rocprim17ROCPRIM_400000_NS6detail17trampoline_kernelINS0_14default_configENS1_25partition_config_selectorILNS1_17partition_subalgoE6EsNS0_10empty_typeEbEEZZNS1_14partition_implILS5_6ELb0ES3_mN6thrust23THRUST_200600_302600_NS6detail15normal_iteratorINSA_10device_ptrIsEEEEPS6_SG_NS0_5tupleIJSF_S6_EEENSH_IJSG_SG_EEES6_PlJ5mod_3IsEEEE10hipError_tPvRmT3_T4_T5_T6_T7_T9_mT8_P12ihipStream_tbDpT10_ENKUlT_T0_E_clISt17integral_constantIbLb0EES15_IbLb1EEEEDaS11_S12_EUlS11_E_NS1_11comp_targetILNS1_3genE9ELNS1_11target_archE1100ELNS1_3gpuE3ELNS1_3repE0EEENS1_30default_config_static_selectorELNS0_4arch9wavefront6targetE0EEEvT1_
	.globl	_ZN7rocprim17ROCPRIM_400000_NS6detail17trampoline_kernelINS0_14default_configENS1_25partition_config_selectorILNS1_17partition_subalgoE6EsNS0_10empty_typeEbEEZZNS1_14partition_implILS5_6ELb0ES3_mN6thrust23THRUST_200600_302600_NS6detail15normal_iteratorINSA_10device_ptrIsEEEEPS6_SG_NS0_5tupleIJSF_S6_EEENSH_IJSG_SG_EEES6_PlJ5mod_3IsEEEE10hipError_tPvRmT3_T4_T5_T6_T7_T9_mT8_P12ihipStream_tbDpT10_ENKUlT_T0_E_clISt17integral_constantIbLb0EES15_IbLb1EEEEDaS11_S12_EUlS11_E_NS1_11comp_targetILNS1_3genE9ELNS1_11target_archE1100ELNS1_3gpuE3ELNS1_3repE0EEENS1_30default_config_static_selectorELNS0_4arch9wavefront6targetE0EEEvT1_
	.p2align	8
	.type	_ZN7rocprim17ROCPRIM_400000_NS6detail17trampoline_kernelINS0_14default_configENS1_25partition_config_selectorILNS1_17partition_subalgoE6EsNS0_10empty_typeEbEEZZNS1_14partition_implILS5_6ELb0ES3_mN6thrust23THRUST_200600_302600_NS6detail15normal_iteratorINSA_10device_ptrIsEEEEPS6_SG_NS0_5tupleIJSF_S6_EEENSH_IJSG_SG_EEES6_PlJ5mod_3IsEEEE10hipError_tPvRmT3_T4_T5_T6_T7_T9_mT8_P12ihipStream_tbDpT10_ENKUlT_T0_E_clISt17integral_constantIbLb0EES15_IbLb1EEEEDaS11_S12_EUlS11_E_NS1_11comp_targetILNS1_3genE9ELNS1_11target_archE1100ELNS1_3gpuE3ELNS1_3repE0EEENS1_30default_config_static_selectorELNS0_4arch9wavefront6targetE0EEEvT1_,@function
_ZN7rocprim17ROCPRIM_400000_NS6detail17trampoline_kernelINS0_14default_configENS1_25partition_config_selectorILNS1_17partition_subalgoE6EsNS0_10empty_typeEbEEZZNS1_14partition_implILS5_6ELb0ES3_mN6thrust23THRUST_200600_302600_NS6detail15normal_iteratorINSA_10device_ptrIsEEEEPS6_SG_NS0_5tupleIJSF_S6_EEENSH_IJSG_SG_EEES6_PlJ5mod_3IsEEEE10hipError_tPvRmT3_T4_T5_T6_T7_T9_mT8_P12ihipStream_tbDpT10_ENKUlT_T0_E_clISt17integral_constantIbLb0EES15_IbLb1EEEEDaS11_S12_EUlS11_E_NS1_11comp_targetILNS1_3genE9ELNS1_11target_archE1100ELNS1_3gpuE3ELNS1_3repE0EEENS1_30default_config_static_selectorELNS0_4arch9wavefront6targetE0EEEvT1_: ; @_ZN7rocprim17ROCPRIM_400000_NS6detail17trampoline_kernelINS0_14default_configENS1_25partition_config_selectorILNS1_17partition_subalgoE6EsNS0_10empty_typeEbEEZZNS1_14partition_implILS5_6ELb0ES3_mN6thrust23THRUST_200600_302600_NS6detail15normal_iteratorINSA_10device_ptrIsEEEEPS6_SG_NS0_5tupleIJSF_S6_EEENSH_IJSG_SG_EEES6_PlJ5mod_3IsEEEE10hipError_tPvRmT3_T4_T5_T6_T7_T9_mT8_P12ihipStream_tbDpT10_ENKUlT_T0_E_clISt17integral_constantIbLb0EES15_IbLb1EEEEDaS11_S12_EUlS11_E_NS1_11comp_targetILNS1_3genE9ELNS1_11target_archE1100ELNS1_3gpuE3ELNS1_3repE0EEENS1_30default_config_static_selectorELNS0_4arch9wavefront6targetE0EEEvT1_
; %bb.0:
	s_clause 0x3
	s_load_b64 s[12:13], s[0:1], 0x28
	s_load_b128 s[8:11], s[0:1], 0x40
	s_load_b64 s[16:17], s[0:1], 0x50
	s_load_b64 s[14:15], s[0:1], 0x60
	v_cmp_eq_u32_e64 s2, 0, v0
	s_delay_alu instid0(VALU_DEP_1)
	s_and_saveexec_b32 s3, s2
	s_cbranch_execz .LBB646_4
; %bb.1:
	s_mov_b32 s5, exec_lo
	s_mov_b32 s4, exec_lo
	v_mbcnt_lo_u32_b32 v1, s5, 0
                                        ; implicit-def: $vgpr2
	s_delay_alu instid0(VALU_DEP_1)
	v_cmpx_eq_u32_e32 0, v1
	s_cbranch_execz .LBB646_3
; %bb.2:
	s_load_b64 s[6:7], s[0:1], 0x70
	s_bcnt1_i32_b32 s5, s5
	s_delay_alu instid0(SALU_CYCLE_1)
	v_dual_mov_b32 v2, 0 :: v_dual_mov_b32 v3, s5
	s_waitcnt lgkmcnt(0)
	global_atomic_add_u32 v2, v2, v3, s[6:7] glc
.LBB646_3:
	s_or_b32 exec_lo, exec_lo, s4
	s_waitcnt vmcnt(0)
	v_readfirstlane_b32 s4, v2
	s_delay_alu instid0(VALU_DEP_1)
	v_dual_mov_b32 v2, 0 :: v_dual_add_nc_u32 v1, s4, v1
	ds_store_b32 v2, v1
.LBB646_4:
	s_or_b32 exec_lo, exec_lo, s3
	v_mov_b32_e32 v2, 0
	s_clause 0x1
	s_load_b128 s[4:7], s[0:1], 0x8
	s_load_b32 s0, s[0:1], 0x68
	s_waitcnt lgkmcnt(0)
	s_barrier
	buffer_gl0_inv
	ds_load_b32 v1, v2
	s_waitcnt lgkmcnt(0)
	s_barrier
	buffer_gl0_inv
	global_load_b64 v[12:13], v2, s[10:11]
	s_lshl_b64 s[10:11], s[6:7], 1
	s_mul_i32 s3, s0, 0xf00
	s_add_u32 s18, s4, s10
	s_addc_u32 s11, s5, s11
	s_add_i32 s1, s3, s6
	v_readfirstlane_b32 s10, v1
	v_mul_lo_u32 v1, 0xf00, v1
	s_add_i32 s0, s0, -1
	s_sub_i32 s1, s16, s1
	s_add_u32 s4, s6, s3
	s_addc_u32 s5, s7, 0
	s_cmp_eq_u32 s10, s0
	v_cmp_ge_u64_e64 s3, s[4:5], s[16:17]
	s_cselect_b32 s5, -1, 0
	v_lshlrev_b64 v[2:3], 1, v[1:2]
	v_lshlrev_b32_e32 v1, 1, v0
	s_mov_b32 s0, -1
	s_delay_alu instid0(VALU_DEP_3) | instskip(NEXT) | instid1(VALU_DEP_2)
	s_and_b32 s3, s3, s5
	v_add_co_u32 v2, vcc_lo, s18, v2
	s_delay_alu instid0(VALU_DEP_3) | instskip(SKIP_1) | instid1(SALU_CYCLE_1)
	v_add_co_ci_u32_e32 v3, vcc_lo, s11, v3, vcc_lo
	s_xor_b32 s4, s3, -1
	s_and_b32 vcc_lo, exec_lo, s4
	s_cbranch_vccz .LBB646_6
; %bb.5:
	v_add_co_u32 v4, vcc_lo, v2, v1
	v_add_co_ci_u32_e32 v5, vcc_lo, 0, v3, vcc_lo
	s_mov_b32 s0, 0
	s_delay_alu instid0(VALU_DEP_2)
	v_add_co_u32 v6, vcc_lo, 0x1000, v4
	s_clause 0x7
	flat_load_u16 v8, v[4:5]
	flat_load_u16 v9, v[4:5] offset:256
	flat_load_u16 v10, v[4:5] offset:512
	;; [unrolled: 1-line block ×7, first 2 shown]
	v_add_co_ci_u32_e32 v7, vcc_lo, 0, v5, vcc_lo
	s_clause 0x15
	flat_load_u16 v18, v[4:5] offset:2048
	flat_load_u16 v19, v[4:5] offset:2304
	;; [unrolled: 1-line block ×8, first 2 shown]
	flat_load_u16 v5, v[6:7]
	flat_load_u16 v25, v[6:7] offset:256
	flat_load_u16 v26, v[6:7] offset:512
	flat_load_u16 v27, v[6:7] offset:768
	flat_load_u16 v28, v[6:7] offset:1024
	flat_load_u16 v29, v[6:7] offset:1280
	flat_load_u16 v30, v[6:7] offset:1536
	flat_load_u16 v31, v[6:7] offset:1792
	flat_load_u16 v32, v[6:7] offset:2048
	flat_load_u16 v33, v[6:7] offset:2304
	flat_load_u16 v34, v[6:7] offset:2560
	flat_load_u16 v35, v[6:7] offset:2816
	flat_load_u16 v36, v[6:7] offset:3072
	flat_load_u16 v6, v[6:7] offset:3328
	s_waitcnt vmcnt(29) lgkmcnt(29)
	ds_store_b16 v1, v8
	s_waitcnt vmcnt(28) lgkmcnt(29)
	ds_store_b16 v1, v9 offset:256
	s_waitcnt vmcnt(27) lgkmcnt(29)
	ds_store_b16 v1, v10 offset:512
	;; [unrolled: 2-line block ×29, first 2 shown]
	s_waitcnt lgkmcnt(0)
	s_barrier
.LBB646_6:
	s_and_not1_b32 vcc_lo, exec_lo, s0
	s_addk_i32 s1, 0xf00
	s_cbranch_vccnz .LBB646_68
; %bb.7:
	s_mov_b32 s0, exec_lo
                                        ; implicit-def: $vgpr4
	v_cmpx_gt_u32_e64 s1, v0
	s_cbranch_execz .LBB646_9
; %bb.8:
	v_add_co_u32 v4, vcc_lo, v2, v1
	v_add_co_ci_u32_e32 v5, vcc_lo, 0, v3, vcc_lo
	flat_load_u16 v4, v[4:5]
.LBB646_9:
	s_or_b32 exec_lo, exec_lo, s0
	v_or_b32_e32 v5, 0x80, v0
	s_delay_alu instid0(VALU_DEP_1)
	v_cmp_gt_u32_e32 vcc_lo, s1, v5
                                        ; implicit-def: $vgpr5
	s_and_saveexec_b32 s0, vcc_lo
	s_cbranch_execz .LBB646_11
; %bb.10:
	v_add_co_u32 v5, vcc_lo, v2, v1
	v_add_co_ci_u32_e32 v6, vcc_lo, 0, v3, vcc_lo
	flat_load_u16 v5, v[5:6] offset:256
.LBB646_11:
	s_or_b32 exec_lo, exec_lo, s0
	v_or_b32_e32 v6, 0x100, v0
	s_delay_alu instid0(VALU_DEP_1)
	v_cmp_gt_u32_e32 vcc_lo, s1, v6
                                        ; implicit-def: $vgpr6
	s_and_saveexec_b32 s0, vcc_lo
	s_cbranch_execz .LBB646_13
; %bb.12:
	v_add_co_u32 v6, vcc_lo, v2, v1
	v_add_co_ci_u32_e32 v7, vcc_lo, 0, v3, vcc_lo
	flat_load_u16 v6, v[6:7] offset:512
.LBB646_13:
	s_or_b32 exec_lo, exec_lo, s0
	v_or_b32_e32 v7, 0x180, v0
	s_delay_alu instid0(VALU_DEP_1)
	v_cmp_gt_u32_e32 vcc_lo, s1, v7
                                        ; implicit-def: $vgpr7
	s_and_saveexec_b32 s0, vcc_lo
	s_cbranch_execz .LBB646_15
; %bb.14:
	v_add_co_u32 v7, vcc_lo, v2, v1
	v_add_co_ci_u32_e32 v8, vcc_lo, 0, v3, vcc_lo
	flat_load_u16 v7, v[7:8] offset:768
.LBB646_15:
	s_or_b32 exec_lo, exec_lo, s0
	v_or_b32_e32 v8, 0x200, v0
	s_delay_alu instid0(VALU_DEP_1)
	v_cmp_gt_u32_e32 vcc_lo, s1, v8
                                        ; implicit-def: $vgpr8
	s_and_saveexec_b32 s0, vcc_lo
	s_cbranch_execz .LBB646_17
; %bb.16:
	v_add_co_u32 v8, vcc_lo, v2, v1
	v_add_co_ci_u32_e32 v9, vcc_lo, 0, v3, vcc_lo
	flat_load_u16 v8, v[8:9] offset:1024
.LBB646_17:
	s_or_b32 exec_lo, exec_lo, s0
	v_or_b32_e32 v9, 0x280, v0
	s_delay_alu instid0(VALU_DEP_1)
	v_cmp_gt_u32_e32 vcc_lo, s1, v9
                                        ; implicit-def: $vgpr9
	s_and_saveexec_b32 s0, vcc_lo
	s_cbranch_execz .LBB646_19
; %bb.18:
	v_add_co_u32 v9, vcc_lo, v2, v1
	v_add_co_ci_u32_e32 v10, vcc_lo, 0, v3, vcc_lo
	flat_load_u16 v9, v[9:10] offset:1280
.LBB646_19:
	s_or_b32 exec_lo, exec_lo, s0
	v_or_b32_e32 v10, 0x300, v0
	s_delay_alu instid0(VALU_DEP_1)
	v_cmp_gt_u32_e32 vcc_lo, s1, v10
                                        ; implicit-def: $vgpr10
	s_and_saveexec_b32 s0, vcc_lo
	s_cbranch_execz .LBB646_21
; %bb.20:
	v_add_co_u32 v10, vcc_lo, v2, v1
	v_add_co_ci_u32_e32 v11, vcc_lo, 0, v3, vcc_lo
	flat_load_u16 v10, v[10:11] offset:1536
.LBB646_21:
	s_or_b32 exec_lo, exec_lo, s0
	v_or_b32_e32 v11, 0x380, v0
	s_delay_alu instid0(VALU_DEP_1)
	v_cmp_gt_u32_e32 vcc_lo, s1, v11
                                        ; implicit-def: $vgpr11
	s_and_saveexec_b32 s0, vcc_lo
	s_cbranch_execz .LBB646_23
; %bb.22:
	v_add_co_u32 v14, vcc_lo, v2, v1
	v_add_co_ci_u32_e32 v15, vcc_lo, 0, v3, vcc_lo
	flat_load_u16 v11, v[14:15] offset:1792
.LBB646_23:
	s_or_b32 exec_lo, exec_lo, s0
	v_or_b32_e32 v14, 0x400, v0
	s_delay_alu instid0(VALU_DEP_1)
	v_cmp_gt_u32_e32 vcc_lo, s1, v14
                                        ; implicit-def: $vgpr14
	s_and_saveexec_b32 s0, vcc_lo
	s_cbranch_execz .LBB646_25
; %bb.24:
	v_add_co_u32 v14, vcc_lo, v2, v1
	v_add_co_ci_u32_e32 v15, vcc_lo, 0, v3, vcc_lo
	flat_load_u16 v14, v[14:15] offset:2048
.LBB646_25:
	s_or_b32 exec_lo, exec_lo, s0
	v_or_b32_e32 v15, 0x480, v0
	s_delay_alu instid0(VALU_DEP_1)
	v_cmp_gt_u32_e32 vcc_lo, s1, v15
                                        ; implicit-def: $vgpr15
	s_and_saveexec_b32 s0, vcc_lo
	s_cbranch_execz .LBB646_27
; %bb.26:
	v_add_co_u32 v15, vcc_lo, v2, v1
	v_add_co_ci_u32_e32 v16, vcc_lo, 0, v3, vcc_lo
	flat_load_u16 v15, v[15:16] offset:2304
.LBB646_27:
	s_or_b32 exec_lo, exec_lo, s0
	v_or_b32_e32 v16, 0x500, v0
	s_delay_alu instid0(VALU_DEP_1)
	v_cmp_gt_u32_e32 vcc_lo, s1, v16
                                        ; implicit-def: $vgpr16
	s_and_saveexec_b32 s0, vcc_lo
	s_cbranch_execz .LBB646_29
; %bb.28:
	v_add_co_u32 v16, vcc_lo, v2, v1
	v_add_co_ci_u32_e32 v17, vcc_lo, 0, v3, vcc_lo
	flat_load_u16 v16, v[16:17] offset:2560
.LBB646_29:
	s_or_b32 exec_lo, exec_lo, s0
	v_or_b32_e32 v17, 0x580, v0
	s_delay_alu instid0(VALU_DEP_1)
	v_cmp_gt_u32_e32 vcc_lo, s1, v17
                                        ; implicit-def: $vgpr17
	s_and_saveexec_b32 s0, vcc_lo
	s_cbranch_execz .LBB646_31
; %bb.30:
	v_add_co_u32 v17, vcc_lo, v2, v1
	v_add_co_ci_u32_e32 v18, vcc_lo, 0, v3, vcc_lo
	flat_load_u16 v17, v[17:18] offset:2816
.LBB646_31:
	s_or_b32 exec_lo, exec_lo, s0
	v_or_b32_e32 v18, 0x600, v0
	s_delay_alu instid0(VALU_DEP_1)
	v_cmp_gt_u32_e32 vcc_lo, s1, v18
                                        ; implicit-def: $vgpr18
	s_and_saveexec_b32 s0, vcc_lo
	s_cbranch_execz .LBB646_33
; %bb.32:
	v_add_co_u32 v18, vcc_lo, v2, v1
	v_add_co_ci_u32_e32 v19, vcc_lo, 0, v3, vcc_lo
	flat_load_u16 v18, v[18:19] offset:3072
.LBB646_33:
	s_or_b32 exec_lo, exec_lo, s0
	v_or_b32_e32 v19, 0x680, v0
	s_delay_alu instid0(VALU_DEP_1)
	v_cmp_gt_u32_e32 vcc_lo, s1, v19
                                        ; implicit-def: $vgpr19
	s_and_saveexec_b32 s0, vcc_lo
	s_cbranch_execz .LBB646_35
; %bb.34:
	v_add_co_u32 v19, vcc_lo, v2, v1
	v_add_co_ci_u32_e32 v20, vcc_lo, 0, v3, vcc_lo
	flat_load_u16 v19, v[19:20] offset:3328
.LBB646_35:
	s_or_b32 exec_lo, exec_lo, s0
	v_or_b32_e32 v20, 0x700, v0
	s_delay_alu instid0(VALU_DEP_1)
	v_cmp_gt_u32_e32 vcc_lo, s1, v20
                                        ; implicit-def: $vgpr20
	s_and_saveexec_b32 s0, vcc_lo
	s_cbranch_execz .LBB646_37
; %bb.36:
	v_add_co_u32 v20, vcc_lo, v2, v1
	v_add_co_ci_u32_e32 v21, vcc_lo, 0, v3, vcc_lo
	flat_load_u16 v20, v[20:21] offset:3584
.LBB646_37:
	s_or_b32 exec_lo, exec_lo, s0
	v_or_b32_e32 v21, 0x780, v0
	s_delay_alu instid0(VALU_DEP_1)
	v_cmp_gt_u32_e32 vcc_lo, s1, v21
                                        ; implicit-def: $vgpr21
	s_and_saveexec_b32 s0, vcc_lo
	s_cbranch_execz .LBB646_39
; %bb.38:
	v_add_co_u32 v21, vcc_lo, v2, v1
	v_add_co_ci_u32_e32 v22, vcc_lo, 0, v3, vcc_lo
	flat_load_u16 v21, v[21:22] offset:3840
.LBB646_39:
	s_or_b32 exec_lo, exec_lo, s0
	v_or_b32_e32 v23, 0x800, v0
	s_mov_b32 s0, exec_lo
                                        ; implicit-def: $vgpr22
	s_delay_alu instid0(VALU_DEP_1)
	v_cmpx_gt_u32_e64 s1, v23
	s_cbranch_execz .LBB646_41
; %bb.40:
	v_lshlrev_b32_e32 v22, 1, v23
	s_delay_alu instid0(VALU_DEP_1)
	v_add_co_u32 v22, vcc_lo, v2, v22
	v_add_co_ci_u32_e32 v23, vcc_lo, 0, v3, vcc_lo
	flat_load_u16 v22, v[22:23]
.LBB646_41:
	s_or_b32 exec_lo, exec_lo, s0
	v_or_b32_e32 v24, 0x880, v0
	s_mov_b32 s0, exec_lo
                                        ; implicit-def: $vgpr23
	s_delay_alu instid0(VALU_DEP_1)
	v_cmpx_gt_u32_e64 s1, v24
	s_cbranch_execz .LBB646_43
; %bb.42:
	v_lshlrev_b32_e32 v23, 1, v24
	s_delay_alu instid0(VALU_DEP_1)
	v_add_co_u32 v23, vcc_lo, v2, v23
	v_add_co_ci_u32_e32 v24, vcc_lo, 0, v3, vcc_lo
	flat_load_u16 v23, v[23:24]
.LBB646_43:
	s_or_b32 exec_lo, exec_lo, s0
	v_or_b32_e32 v25, 0x900, v0
	s_mov_b32 s0, exec_lo
                                        ; implicit-def: $vgpr24
	s_delay_alu instid0(VALU_DEP_1)
	v_cmpx_gt_u32_e64 s1, v25
	s_cbranch_execz .LBB646_45
; %bb.44:
	v_lshlrev_b32_e32 v24, 1, v25
	s_delay_alu instid0(VALU_DEP_1)
	v_add_co_u32 v24, vcc_lo, v2, v24
	v_add_co_ci_u32_e32 v25, vcc_lo, 0, v3, vcc_lo
	flat_load_u16 v24, v[24:25]
.LBB646_45:
	s_or_b32 exec_lo, exec_lo, s0
	v_or_b32_e32 v26, 0x980, v0
	s_mov_b32 s0, exec_lo
                                        ; implicit-def: $vgpr25
	s_delay_alu instid0(VALU_DEP_1)
	v_cmpx_gt_u32_e64 s1, v26
	s_cbranch_execz .LBB646_47
; %bb.46:
	v_lshlrev_b32_e32 v25, 1, v26
	s_delay_alu instid0(VALU_DEP_1)
	v_add_co_u32 v25, vcc_lo, v2, v25
	v_add_co_ci_u32_e32 v26, vcc_lo, 0, v3, vcc_lo
	flat_load_u16 v25, v[25:26]
.LBB646_47:
	s_or_b32 exec_lo, exec_lo, s0
	v_or_b32_e32 v27, 0xa00, v0
	s_mov_b32 s0, exec_lo
                                        ; implicit-def: $vgpr26
	s_delay_alu instid0(VALU_DEP_1)
	v_cmpx_gt_u32_e64 s1, v27
	s_cbranch_execz .LBB646_49
; %bb.48:
	v_lshlrev_b32_e32 v26, 1, v27
	s_delay_alu instid0(VALU_DEP_1)
	v_add_co_u32 v26, vcc_lo, v2, v26
	v_add_co_ci_u32_e32 v27, vcc_lo, 0, v3, vcc_lo
	flat_load_u16 v26, v[26:27]
.LBB646_49:
	s_or_b32 exec_lo, exec_lo, s0
	v_or_b32_e32 v28, 0xa80, v0
	s_mov_b32 s0, exec_lo
                                        ; implicit-def: $vgpr27
	s_delay_alu instid0(VALU_DEP_1)
	v_cmpx_gt_u32_e64 s1, v28
	s_cbranch_execz .LBB646_51
; %bb.50:
	v_lshlrev_b32_e32 v27, 1, v28
	s_delay_alu instid0(VALU_DEP_1)
	v_add_co_u32 v27, vcc_lo, v2, v27
	v_add_co_ci_u32_e32 v28, vcc_lo, 0, v3, vcc_lo
	flat_load_u16 v27, v[27:28]
.LBB646_51:
	s_or_b32 exec_lo, exec_lo, s0
	v_or_b32_e32 v29, 0xb00, v0
	s_mov_b32 s0, exec_lo
                                        ; implicit-def: $vgpr28
	s_delay_alu instid0(VALU_DEP_1)
	v_cmpx_gt_u32_e64 s1, v29
	s_cbranch_execz .LBB646_53
; %bb.52:
	v_lshlrev_b32_e32 v28, 1, v29
	s_delay_alu instid0(VALU_DEP_1)
	v_add_co_u32 v28, vcc_lo, v2, v28
	v_add_co_ci_u32_e32 v29, vcc_lo, 0, v3, vcc_lo
	flat_load_u16 v28, v[28:29]
.LBB646_53:
	s_or_b32 exec_lo, exec_lo, s0
	v_or_b32_e32 v30, 0xb80, v0
	s_mov_b32 s0, exec_lo
                                        ; implicit-def: $vgpr29
	s_delay_alu instid0(VALU_DEP_1)
	v_cmpx_gt_u32_e64 s1, v30
	s_cbranch_execz .LBB646_55
; %bb.54:
	v_lshlrev_b32_e32 v29, 1, v30
	s_delay_alu instid0(VALU_DEP_1)
	v_add_co_u32 v29, vcc_lo, v2, v29
	v_add_co_ci_u32_e32 v30, vcc_lo, 0, v3, vcc_lo
	flat_load_u16 v29, v[29:30]
.LBB646_55:
	s_or_b32 exec_lo, exec_lo, s0
	v_or_b32_e32 v31, 0xc00, v0
	s_mov_b32 s0, exec_lo
                                        ; implicit-def: $vgpr30
	s_delay_alu instid0(VALU_DEP_1)
	v_cmpx_gt_u32_e64 s1, v31
	s_cbranch_execz .LBB646_57
; %bb.56:
	v_lshlrev_b32_e32 v30, 1, v31
	s_delay_alu instid0(VALU_DEP_1)
	v_add_co_u32 v30, vcc_lo, v2, v30
	v_add_co_ci_u32_e32 v31, vcc_lo, 0, v3, vcc_lo
	flat_load_u16 v30, v[30:31]
.LBB646_57:
	s_or_b32 exec_lo, exec_lo, s0
	v_or_b32_e32 v32, 0xc80, v0
	s_mov_b32 s0, exec_lo
                                        ; implicit-def: $vgpr31
	s_delay_alu instid0(VALU_DEP_1)
	v_cmpx_gt_u32_e64 s1, v32
	s_cbranch_execz .LBB646_59
; %bb.58:
	v_lshlrev_b32_e32 v31, 1, v32
	s_delay_alu instid0(VALU_DEP_1)
	v_add_co_u32 v31, vcc_lo, v2, v31
	v_add_co_ci_u32_e32 v32, vcc_lo, 0, v3, vcc_lo
	flat_load_u16 v31, v[31:32]
.LBB646_59:
	s_or_b32 exec_lo, exec_lo, s0
	v_or_b32_e32 v33, 0xd00, v0
	s_mov_b32 s0, exec_lo
                                        ; implicit-def: $vgpr32
	s_delay_alu instid0(VALU_DEP_1)
	v_cmpx_gt_u32_e64 s1, v33
	s_cbranch_execz .LBB646_61
; %bb.60:
	v_lshlrev_b32_e32 v32, 1, v33
	s_delay_alu instid0(VALU_DEP_1)
	v_add_co_u32 v32, vcc_lo, v2, v32
	v_add_co_ci_u32_e32 v33, vcc_lo, 0, v3, vcc_lo
	flat_load_u16 v32, v[32:33]
.LBB646_61:
	s_or_b32 exec_lo, exec_lo, s0
	v_or_b32_e32 v34, 0xd80, v0
	s_mov_b32 s0, exec_lo
                                        ; implicit-def: $vgpr33
	s_delay_alu instid0(VALU_DEP_1)
	v_cmpx_gt_u32_e64 s1, v34
	s_cbranch_execz .LBB646_63
; %bb.62:
	v_lshlrev_b32_e32 v33, 1, v34
	s_delay_alu instid0(VALU_DEP_1)
	v_add_co_u32 v33, vcc_lo, v2, v33
	v_add_co_ci_u32_e32 v34, vcc_lo, 0, v3, vcc_lo
	flat_load_u16 v33, v[33:34]
.LBB646_63:
	s_or_b32 exec_lo, exec_lo, s0
	v_or_b32_e32 v35, 0xe00, v0
	s_mov_b32 s0, exec_lo
                                        ; implicit-def: $vgpr34
	s_delay_alu instid0(VALU_DEP_1)
	v_cmpx_gt_u32_e64 s1, v35
	s_cbranch_execz .LBB646_65
; %bb.64:
	v_lshlrev_b32_e32 v34, 1, v35
	s_delay_alu instid0(VALU_DEP_1)
	v_add_co_u32 v34, vcc_lo, v2, v34
	v_add_co_ci_u32_e32 v35, vcc_lo, 0, v3, vcc_lo
	flat_load_u16 v34, v[34:35]
.LBB646_65:
	s_or_b32 exec_lo, exec_lo, s0
	v_or_b32_e32 v36, 0xe80, v0
	s_mov_b32 s0, exec_lo
                                        ; implicit-def: $vgpr35
	s_delay_alu instid0(VALU_DEP_1)
	v_cmpx_gt_u32_e64 s1, v36
	s_cbranch_execz .LBB646_67
; %bb.66:
	v_lshlrev_b32_e32 v35, 1, v36
	s_delay_alu instid0(VALU_DEP_1)
	v_add_co_u32 v2, vcc_lo, v2, v35
	v_add_co_ci_u32_e32 v3, vcc_lo, 0, v3, vcc_lo
	flat_load_u16 v35, v[2:3]
.LBB646_67:
	s_or_b32 exec_lo, exec_lo, s0
	s_waitcnt vmcnt(0) lgkmcnt(0)
	ds_store_b16 v1, v4
	ds_store_b16 v1, v5 offset:256
	ds_store_b16 v1, v6 offset:512
	;; [unrolled: 1-line block ×29, first 2 shown]
	s_waitcnt lgkmcnt(0)
	s_barrier
.LBB646_68:
	v_mul_u32_u24_e32 v1, 30, v0
	s_waitcnt vmcnt(0)
	buffer_gl0_inv
	s_and_not1_b32 vcc_lo, exec_lo, s4
	v_lshlrev_b32_e32 v2, 1, v1
	ds_load_b32 v11, v2 offset:56
	ds_load_2addr_b32 v[9:10], v2 offset0:12 offset1:13
	ds_load_2addr_b32 v[14:15], v2 offset0:10 offset1:11
	ds_load_2addr_b32 v[24:25], v2 offset1:1
	ds_load_2addr_b32 v[22:23], v2 offset0:2 offset1:3
	ds_load_2addr_b32 v[20:21], v2 offset0:4 offset1:5
	;; [unrolled: 1-line block ×4, first 2 shown]
	s_waitcnt lgkmcnt(0)
	s_barrier
	buffer_gl0_inv
	v_lshrrev_b32_e32 v86, 16, v11
	v_lshrrev_b32_e32 v88, 16, v9
	;; [unrolled: 1-line block ×15, first 2 shown]
	s_cbranch_vccnz .LBB646_70
; %bb.69:
	v_bfe_i32 v28, v24, 0, 16
	v_bfe_i32 v29, v100, 0, 16
	;; [unrolled: 1-line block ×5, first 2 shown]
	v_mul_lo_u32 v28, 0xaaaaaaab, v28
	v_mul_lo_u32 v29, 0xaaaaaaab, v29
	;; [unrolled: 1-line block ×4, first 2 shown]
	v_bfe_i32 v33, v98, 0, 16
	v_bfe_i32 v34, v23, 0, 16
	;; [unrolled: 1-line block ×4, first 2 shown]
	v_cmp_lt_u32_e32 vcc_lo, 0x55555555, v28
	v_mul_lo_u32 v28, 0xaaaaaaab, v32
	v_bfe_i32 v37, v96, 0, 16
	v_bfe_i32 v38, v21, 0, 16
	v_bfe_i32 v39, v95, 0, 16
	v_cndmask_b32_e64 v102, 0, 1, vcc_lo
	v_cmp_lt_u32_e32 vcc_lo, 0x55555555, v29
	v_mul_lo_u32 v29, 0xaaaaaaab, v33
	v_bfe_i32 v40, v18, 0, 16
	v_bfe_i32 v41, v94, 0, 16
	v_bfe_i32 v42, v19, 0, 16
	v_cndmask_b32_e64 v101, 0, 1, vcc_lo
	;; [unrolled: 6-line block ×5, first 2 shown]
	v_cmp_lt_u32_e32 vcc_lo, 0x55555555, v29
	v_mul_lo_u32 v29, 0xaaaaaaab, v36
	v_mul_lo_u32 v27, 0xaaaaaaab, v27
	;; [unrolled: 1-line block ×3, first 2 shown]
	v_bfe_i32 v7, v9, 0, 16
	v_cndmask_b32_e64 v105, 0, 1, vcc_lo
	v_cmp_lt_u32_e32 vcc_lo, 0x55555555, v30
	v_mul_lo_u32 v30, 0xaaaaaaab, v38
	v_mul_lo_u32 v8, 0xaaaaaaab, v8
	v_bfe_i32 v6, v88, 0, 16
	v_mul_lo_u32 v7, 0xaaaaaaab, v7
	v_cndmask_b32_e64 v108, 0, 1, vcc_lo
	v_cmp_lt_u32_e32 vcc_lo, 0x55555555, v28
	v_mul_lo_u32 v28, 0xaaaaaaab, v39
	v_bfe_i32 v5, v10, 0, 16
	v_mul_lo_u32 v6, 0xaaaaaaab, v6
	v_bfe_i32 v4, v87, 0, 16
	v_cndmask_b32_e64 v107, 0, 1, vcc_lo
	v_cmp_lt_u32_e32 vcc_lo, 0x55555555, v29
	v_mul_lo_u32 v29, 0xaaaaaaab, v40
	v_mul_lo_u32 v5, 0xaaaaaaab, v5
	v_bfe_i32 v3, v11, 0, 16
	v_bfe_i32 v2, v86, 0, 16
	v_cndmask_b32_e64 v110, 0, 1, vcc_lo
	v_cmp_lt_u32_e32 vcc_lo, 0x55555555, v31
	v_mul_lo_u32 v31, 0xaaaaaaab, v43
	v_mul_lo_u32 v4, 0xaaaaaaab, v4
	;; [unrolled: 1-line block ×4, first 2 shown]
	v_cndmask_b32_e64 v109, 0, 1, vcc_lo
	v_cmp_lt_u32_e32 vcc_lo, 0x55555555, v30
	v_mul_lo_u32 v30, 0xaaaaaaab, v41
	v_cndmask_b32_e64 v112, 0, 1, vcc_lo
	v_cmp_lt_u32_e32 vcc_lo, 0x55555555, v28
	v_mul_lo_u32 v28, 0xaaaaaaab, v42
	v_cmp_lt_u32_e64 s0, 0x55555555, v3
	v_cndmask_b32_e64 v111, 0, 1, vcc_lo
	v_cmp_lt_u32_e32 vcc_lo, 0x55555555, v29
	v_mul_lo_u32 v29, 0xaaaaaaab, v44
	s_delay_alu instid0(VALU_DEP_4)
	v_cndmask_b32_e64 v129, 0, 1, s0
	v_cndmask_b32_e64 v114, 0, 1, vcc_lo
	v_cmp_lt_u32_e32 vcc_lo, 0x55555555, v30
	v_mul_lo_u32 v30, 0xaaaaaaab, v45
	v_cndmask_b32_e64 v113, 0, 1, vcc_lo
	v_cmp_lt_u32_e32 vcc_lo, 0x55555555, v28
	v_mul_lo_u32 v28, 0xaaaaaaab, v46
	v_cndmask_b32_e64 v116, 0, 1, vcc_lo
	v_cmp_lt_u32_e32 vcc_lo, 0x55555555, v31
	v_cndmask_b32_e64 v115, 0, 1, vcc_lo
	v_cmp_lt_u32_e32 vcc_lo, 0x55555555, v29
	v_mul_lo_u32 v29, 0xaaaaaaab, v47
	v_cndmask_b32_e64 v118, 0, 1, vcc_lo
	v_cmp_lt_u32_e32 vcc_lo, 0x55555555, v30
	v_mul_lo_u32 v30, 0xaaaaaaab, v48
	v_cndmask_b32_e64 v117, 0, 1, vcc_lo
	v_cmp_lt_u32_e32 vcc_lo, 0x55555555, v28
	v_cndmask_b32_e64 v120, 0, 1, vcc_lo
	v_cmp_lt_u32_e32 vcc_lo, 0x55555555, v29
	;; [unrolled: 2-line block ×11, first 2 shown]
	s_and_b32 s6, vcc_lo, exec_lo
	s_cbranch_execz .LBB646_71
	s_branch .LBB646_132
.LBB646_70:
                                        ; implicit-def: $sgpr6
                                        ; implicit-def: $vgpr102
                                        ; implicit-def: $vgpr101
                                        ; implicit-def: $vgpr104
                                        ; implicit-def: $vgpr103
                                        ; implicit-def: $vgpr106
                                        ; implicit-def: $vgpr105
                                        ; implicit-def: $vgpr108
                                        ; implicit-def: $vgpr107
                                        ; implicit-def: $vgpr110
                                        ; implicit-def: $vgpr109
                                        ; implicit-def: $vgpr112
                                        ; implicit-def: $vgpr111
                                        ; implicit-def: $vgpr114
                                        ; implicit-def: $vgpr113
                                        ; implicit-def: $vgpr116
                                        ; implicit-def: $vgpr115
                                        ; implicit-def: $vgpr118
                                        ; implicit-def: $vgpr117
                                        ; implicit-def: $vgpr120
                                        ; implicit-def: $vgpr119
                                        ; implicit-def: $vgpr122
                                        ; implicit-def: $vgpr121
                                        ; implicit-def: $vgpr124
                                        ; implicit-def: $vgpr123
                                        ; implicit-def: $vgpr126
                                        ; implicit-def: $vgpr125
                                        ; implicit-def: $vgpr128
                                        ; implicit-def: $vgpr127
                                        ; implicit-def: $vgpr129
.LBB646_71:
	v_dual_mov_b32 v101, 0 :: v_dual_mov_b32 v102, 0
	s_mov_b32 s0, exec_lo
	v_cmpx_gt_u32_e64 s1, v1
; %bb.72:
	v_bfe_i32 v2, v24, 0, 16
	s_delay_alu instid0(VALU_DEP_1) | instskip(NEXT) | instid1(VALU_DEP_1)
	v_mul_lo_u32 v2, 0xaaaaaaab, v2
	v_cmp_lt_u32_e32 vcc_lo, 0x55555555, v2
	v_cndmask_b32_e64 v102, 0, 1, vcc_lo
; %bb.73:
	s_or_b32 exec_lo, exec_lo, s0
	v_or_b32_e32 v2, 1, v1
	s_mov_b32 s0, exec_lo
	s_delay_alu instid0(VALU_DEP_1)
	v_cmpx_gt_u32_e64 s1, v2
; %bb.74:
	v_bfe_i32 v2, v100, 0, 16
	s_delay_alu instid0(VALU_DEP_1) | instskip(NEXT) | instid1(VALU_DEP_1)
	v_mul_lo_u32 v2, 0xaaaaaaab, v2
	v_cmp_lt_u32_e32 vcc_lo, 0x55555555, v2
	v_cndmask_b32_e64 v101, 0, 1, vcc_lo
; %bb.75:
	s_or_b32 exec_lo, exec_lo, s0
	v_dual_mov_b32 v103, 0 :: v_dual_add_nc_u32 v2, 2, v1
	v_mov_b32_e32 v104, 0
	s_mov_b32 s0, exec_lo
	s_delay_alu instid0(VALU_DEP_2)
	v_cmpx_gt_u32_e64 s1, v2
; %bb.76:
	v_bfe_i32 v2, v25, 0, 16
	s_delay_alu instid0(VALU_DEP_1) | instskip(NEXT) | instid1(VALU_DEP_1)
	v_mul_lo_u32 v2, 0xaaaaaaab, v2
	v_cmp_lt_u32_e32 vcc_lo, 0x55555555, v2
	v_cndmask_b32_e64 v104, 0, 1, vcc_lo
; %bb.77:
	s_or_b32 exec_lo, exec_lo, s0
	v_add_nc_u32_e32 v2, 3, v1
	s_mov_b32 s0, exec_lo
	s_delay_alu instid0(VALU_DEP_1)
	v_cmpx_gt_u32_e64 s1, v2
; %bb.78:
	v_bfe_i32 v2, v99, 0, 16
	s_delay_alu instid0(VALU_DEP_1) | instskip(NEXT) | instid1(VALU_DEP_1)
	v_mul_lo_u32 v2, 0xaaaaaaab, v2
	v_cmp_lt_u32_e32 vcc_lo, 0x55555555, v2
	v_cndmask_b32_e64 v103, 0, 1, vcc_lo
; %bb.79:
	s_or_b32 exec_lo, exec_lo, s0
	v_dual_mov_b32 v105, 0 :: v_dual_add_nc_u32 v2, 4, v1
	v_mov_b32_e32 v106, 0
	s_mov_b32 s0, exec_lo
	s_delay_alu instid0(VALU_DEP_2)
	v_cmpx_gt_u32_e64 s1, v2
; %bb.80:
	v_bfe_i32 v2, v22, 0, 16
	s_delay_alu instid0(VALU_DEP_1) | instskip(NEXT) | instid1(VALU_DEP_1)
	v_mul_lo_u32 v2, 0xaaaaaaab, v2
	v_cmp_lt_u32_e32 vcc_lo, 0x55555555, v2
	v_cndmask_b32_e64 v106, 0, 1, vcc_lo
; %bb.81:
	s_or_b32 exec_lo, exec_lo, s0
	v_add_nc_u32_e32 v2, 5, v1
	;; [unrolled: 25-line block ×13, first 2 shown]
	s_mov_b32 s0, exec_lo
	s_delay_alu instid0(VALU_DEP_1)
	v_cmpx_gt_u32_e64 s1, v2
; %bb.126:
	v_bfe_i32 v2, v87, 0, 16
	s_delay_alu instid0(VALU_DEP_1) | instskip(NEXT) | instid1(VALU_DEP_1)
	v_mul_lo_u32 v2, 0xaaaaaaab, v2
	v_cmp_lt_u32_e32 vcc_lo, 0x55555555, v2
	v_cndmask_b32_e64 v127, 0, 1, vcc_lo
; %bb.127:
	s_or_b32 exec_lo, exec_lo, s0
	v_dual_mov_b32 v129, 0 :: v_dual_add_nc_u32 v2, 28, v1
	s_mov_b32 s0, exec_lo
	s_delay_alu instid0(VALU_DEP_1)
	v_cmpx_gt_u32_e64 s1, v2
; %bb.128:
	v_bfe_i32 v2, v11, 0, 16
	s_delay_alu instid0(VALU_DEP_1) | instskip(NEXT) | instid1(VALU_DEP_1)
	v_mul_lo_u32 v2, 0xaaaaaaab, v2
	v_cmp_lt_u32_e32 vcc_lo, 0x55555555, v2
	v_cndmask_b32_e64 v129, 0, 1, vcc_lo
; %bb.129:
	s_or_b32 exec_lo, exec_lo, s0
	v_add_nc_u32_e32 v1, 29, v1
	s_mov_b32 s6, 0
	s_mov_b32 s0, exec_lo
	s_delay_alu instid0(VALU_DEP_1)
	v_cmpx_gt_u32_e64 s1, v1
; %bb.130:
	v_bfe_i32 v1, v86, 0, 16
	s_delay_alu instid0(VALU_DEP_1) | instskip(NEXT) | instid1(VALU_DEP_1)
	v_mul_lo_u32 v1, 0xaaaaaaab, v1
	v_cmp_lt_u32_e32 vcc_lo, 0x55555555, v1
	s_and_b32 s6, vcc_lo, exec_lo
; %bb.131:
	s_or_b32 exec_lo, exec_lo, s0
.LBB646_132:
	v_and_b32_e32 v84, 0xff, v129
	v_cndmask_b32_e64 v1, 0, 1, s6
	v_dual_mov_b32 v2, 0 :: v_dual_and_b32 v85, 0xff, v127
	v_and_b32_e32 v130, 0xff, v128
	v_and_b32_e32 v131, 0xff, v125
	s_delay_alu instid0(VALU_DEP_4) | instskip(NEXT) | instid1(VALU_DEP_1)
	v_add_co_u32 v1, s0, v84, v1
	v_add_co_ci_u32_e64 v3, null, 0, 0, s0
	v_and_b32_e32 v132, 0xff, v126
	s_delay_alu instid0(VALU_DEP_3) | instskip(NEXT) | instid1(VALU_DEP_3)
	v_add_co_u32 v1, vcc_lo, v1, v85
	v_add_co_ci_u32_e32 v3, vcc_lo, 0, v3, vcc_lo
	v_and_b32_e32 v34, 0xff, v123
	s_delay_alu instid0(VALU_DEP_3) | instskip(NEXT) | instid1(VALU_DEP_3)
	v_add_co_u32 v1, vcc_lo, v1, v130
	v_add_co_ci_u32_e32 v3, vcc_lo, 0, v3, vcc_lo
	;; [unrolled: 4-line block ×24, first 2 shown]
	v_mbcnt_lo_u32_b32 v58, -1, 0
	s_delay_alu instid0(VALU_DEP_3) | instskip(NEXT) | instid1(VALU_DEP_3)
	v_add_co_u32 v1, vcc_lo, v1, v55
	v_add_co_ci_u32_e32 v3, vcc_lo, 0, v3, vcc_lo
	v_and_b32_e32 v46, 0xff, v102
	s_delay_alu instid0(VALU_DEP_3) | instskip(NEXT) | instid1(VALU_DEP_3)
	v_add_co_u32 v1, vcc_lo, v1, v56
	v_add_co_ci_u32_e32 v3, vcc_lo, 0, v3, vcc_lo
	v_and_b32_e32 v59, 15, v58
	s_delay_alu instid0(VALU_DEP_3) | instskip(NEXT) | instid1(VALU_DEP_3)
	v_add_co_u32 v1, vcc_lo, v1, v57
	v_add_co_ci_u32_e32 v3, vcc_lo, 0, v3, vcc_lo
	s_delay_alu instid0(VALU_DEP_3) | instskip(NEXT) | instid1(VALU_DEP_3)
	v_cmp_ne_u32_e64 s0, 0, v59
	v_add_co_u32 v26, vcc_lo, v1, v46
	s_delay_alu instid0(VALU_DEP_3)
	v_add_co_ci_u32_e32 v27, vcc_lo, 0, v3, vcc_lo
	s_cmp_lg_u32 s10, 0
	s_mov_b32 s1, -1
	s_cbranch_scc0 .LBB646_192
; %bb.133:
	v_mov_b32_e32 v3, v26
	v_mov_b32_dpp v1, v26 row_shr:1 row_mask:0xf bank_mask:0xf
	v_mov_b32_dpp v6, v2 row_shr:1 row_mask:0xf bank_mask:0xf
	v_dual_mov_b32 v5, v26 :: v_dual_mov_b32 v4, v27
	s_and_saveexec_b32 s1, s0
; %bb.134:
	s_delay_alu instid0(VALU_DEP_3) | instskip(SKIP_1) | instid1(VALU_DEP_2)
	v_add_co_u32 v5, vcc_lo, v26, v1
	v_add_co_ci_u32_e32 v2, vcc_lo, 0, v27, vcc_lo
	v_add_co_u32 v1, vcc_lo, 0, v5
	s_delay_alu instid0(VALU_DEP_2) | instskip(NEXT) | instid1(VALU_DEP_1)
	v_add_co_ci_u32_e32 v2, vcc_lo, v6, v2, vcc_lo
	v_dual_mov_b32 v4, v2 :: v_dual_mov_b32 v3, v1
; %bb.135:
	s_or_b32 exec_lo, exec_lo, s1
	v_mov_b32_dpp v1, v5 row_shr:2 row_mask:0xf bank_mask:0xf
	v_mov_b32_dpp v6, v2 row_shr:2 row_mask:0xf bank_mask:0xf
	s_mov_b32 s1, exec_lo
	v_cmpx_lt_u32_e32 1, v59
; %bb.136:
	s_delay_alu instid0(VALU_DEP_3) | instskip(SKIP_1) | instid1(VALU_DEP_2)
	v_add_co_u32 v5, vcc_lo, v3, v1
	v_add_co_ci_u32_e32 v2, vcc_lo, 0, v4, vcc_lo
	v_add_co_u32 v1, vcc_lo, 0, v5
	s_delay_alu instid0(VALU_DEP_2) | instskip(NEXT) | instid1(VALU_DEP_1)
	v_add_co_ci_u32_e32 v2, vcc_lo, v6, v2, vcc_lo
	v_dual_mov_b32 v4, v2 :: v_dual_mov_b32 v3, v1
; %bb.137:
	s_or_b32 exec_lo, exec_lo, s1
	v_mov_b32_dpp v1, v5 row_shr:4 row_mask:0xf bank_mask:0xf
	v_mov_b32_dpp v6, v2 row_shr:4 row_mask:0xf bank_mask:0xf
	s_mov_b32 s1, exec_lo
	v_cmpx_lt_u32_e32 3, v59
	;; [unrolled: 14-line block ×3, first 2 shown]
; %bb.140:
	s_delay_alu instid0(VALU_DEP_3) | instskip(SKIP_1) | instid1(VALU_DEP_2)
	v_add_co_u32 v5, vcc_lo, v3, v6
	v_add_co_ci_u32_e32 v2, vcc_lo, 0, v4, vcc_lo
	v_add_co_u32 v3, vcc_lo, 0, v5
	s_delay_alu instid0(VALU_DEP_2) | instskip(NEXT) | instid1(VALU_DEP_1)
	v_add_co_ci_u32_e32 v4, vcc_lo, v1, v2, vcc_lo
	v_mov_b32_e32 v2, v4
; %bb.141:
	s_or_b32 exec_lo, exec_lo, s1
	ds_swizzle_b32 v1, v5 offset:swizzle(BROADCAST,32,15)
	ds_swizzle_b32 v6, v2 offset:swizzle(BROADCAST,32,15)
	v_and_b32_e32 v7, 16, v58
	s_mov_b32 s1, exec_lo
	s_delay_alu instid0(VALU_DEP_1)
	v_cmpx_ne_u32_e32 0, v7
	s_cbranch_execz .LBB646_143
; %bb.142:
	s_waitcnt lgkmcnt(1)
	v_add_co_u32 v5, vcc_lo, v3, v1
	v_add_co_ci_u32_e32 v2, vcc_lo, 0, v4, vcc_lo
	s_delay_alu instid0(VALU_DEP_2) | instskip(SKIP_1) | instid1(VALU_DEP_2)
	v_add_co_u32 v1, vcc_lo, 0, v5
	s_waitcnt lgkmcnt(0)
	v_add_co_ci_u32_e32 v2, vcc_lo, v6, v2, vcc_lo
	s_delay_alu instid0(VALU_DEP_1)
	v_dual_mov_b32 v4, v2 :: v_dual_mov_b32 v3, v1
.LBB646_143:
	s_or_b32 exec_lo, exec_lo, s1
	s_waitcnt lgkmcnt(0)
	v_or_b32_e32 v6, 31, v0
	v_lshrrev_b32_e32 v1, 5, v0
	s_mov_b32 s1, exec_lo
	s_delay_alu instid0(VALU_DEP_2)
	v_cmpx_eq_u32_e64 v6, v0
	s_cbranch_execz .LBB646_145
; %bb.144:
	s_delay_alu instid0(VALU_DEP_2)
	v_lshlrev_b32_e32 v6, 3, v1
	ds_store_b64 v6, v[3:4]
.LBB646_145:
	s_or_b32 exec_lo, exec_lo, s1
	s_delay_alu instid0(SALU_CYCLE_1)
	s_mov_b32 s1, exec_lo
	s_waitcnt lgkmcnt(0)
	s_barrier
	buffer_gl0_inv
	v_cmpx_gt_u32_e32 4, v0
	s_cbranch_execz .LBB646_151
; %bb.146:
	v_lshlrev_b32_e32 v6, 3, v0
	s_mov_b32 s7, exec_lo
	ds_load_b64 v[3:4], v6
	s_waitcnt lgkmcnt(0)
	v_dual_mov_b32 v8, v3 :: v_dual_and_b32 v7, 3, v58
	v_mov_b32_dpp v29, v3 row_shr:1 row_mask:0xf bank_mask:0xf
	v_mov_b32_dpp v28, v4 row_shr:1 row_mask:0xf bank_mask:0xf
	s_delay_alu instid0(VALU_DEP_3)
	v_cmpx_ne_u32_e32 0, v7
; %bb.147:
	s_delay_alu instid0(VALU_DEP_3) | instskip(SKIP_1) | instid1(VALU_DEP_2)
	v_add_co_u32 v8, vcc_lo, v3, v29
	v_add_co_ci_u32_e32 v4, vcc_lo, 0, v4, vcc_lo
	v_add_co_u32 v3, vcc_lo, 0, v8
	s_delay_alu instid0(VALU_DEP_2)
	v_add_co_ci_u32_e32 v4, vcc_lo, v28, v4, vcc_lo
; %bb.148:
	s_or_b32 exec_lo, exec_lo, s7
	v_mov_b32_dpp v28, v8 row_shr:2 row_mask:0xf bank_mask:0xf
	s_delay_alu instid0(VALU_DEP_2)
	v_mov_b32_dpp v8, v4 row_shr:2 row_mask:0xf bank_mask:0xf
	s_mov_b32 s7, exec_lo
	v_cmpx_lt_u32_e32 1, v7
; %bb.149:
	s_delay_alu instid0(VALU_DEP_3) | instskip(SKIP_1) | instid1(VALU_DEP_2)
	v_add_co_u32 v3, vcc_lo, v3, v28
	v_add_co_ci_u32_e32 v4, vcc_lo, 0, v4, vcc_lo
	v_add_co_u32 v3, vcc_lo, v3, 0
	s_delay_alu instid0(VALU_DEP_2)
	v_add_co_ci_u32_e32 v4, vcc_lo, v4, v8, vcc_lo
; %bb.150:
	s_or_b32 exec_lo, exec_lo, s7
	ds_store_b64 v6, v[3:4]
.LBB646_151:
	s_or_b32 exec_lo, exec_lo, s1
	v_cmp_gt_u32_e32 vcc_lo, 32, v0
	s_mov_b32 s7, exec_lo
	s_waitcnt lgkmcnt(0)
	s_barrier
	buffer_gl0_inv
                                        ; implicit-def: $vgpr28_vgpr29
	v_cmpx_lt_u32_e32 31, v0
	s_cbranch_execz .LBB646_153
; %bb.152:
	v_lshl_add_u32 v1, v1, 3, -8
	ds_load_b64 v[28:29], v1
	s_waitcnt lgkmcnt(0)
	v_add_co_u32 v5, s1, v5, v28
	s_delay_alu instid0(VALU_DEP_1)
	v_add_co_ci_u32_e64 v2, s1, v2, v29, s1
.LBB646_153:
	s_or_b32 exec_lo, exec_lo, s7
	v_add_nc_u32_e32 v1, -1, v58
	s_delay_alu instid0(VALU_DEP_1) | instskip(NEXT) | instid1(VALU_DEP_1)
	v_cmp_gt_i32_e64 s1, 0, v1
	v_cndmask_b32_e64 v1, v1, v58, s1
	v_cmp_eq_u32_e64 s1, 0, v58
	s_delay_alu instid0(VALU_DEP_2)
	v_lshlrev_b32_e32 v1, 2, v1
	ds_bpermute_b32 v60, v1, v5
	ds_bpermute_b32 v61, v1, v2
	s_and_saveexec_b32 s7, vcc_lo
	s_cbranch_execz .LBB646_191
; %bb.154:
	v_mov_b32_e32 v4, 0
	ds_load_b64 v[1:2], v4 offset:24
	s_and_saveexec_b32 s11, s1
	s_cbranch_execz .LBB646_156
; %bb.155:
	s_add_i32 s16, s10, 32
	s_mov_b32 s17, 0
	s_delay_alu instid0(SALU_CYCLE_1) | instskip(NEXT) | instid1(SALU_CYCLE_1)
	s_lshl_b64 s[16:17], s[16:17], 4
	s_add_u32 s16, s14, s16
	s_addc_u32 s17, s15, s17
	v_mov_b32_e32 v5, s16
	v_dual_mov_b32 v3, 1 :: v_dual_mov_b32 v6, s17
	s_waitcnt lgkmcnt(0)
	;;#ASMSTART
	global_store_dwordx4 v[5:6], v[1:4] off	
s_waitcnt vmcnt(0)
	;;#ASMEND
.LBB646_156:
	s_or_b32 exec_lo, exec_lo, s11
	v_xad_u32 v30, v58, -1, s10
	s_mov_b32 s16, 0
	s_mov_b32 s11, exec_lo
	s_delay_alu instid0(VALU_DEP_1) | instskip(NEXT) | instid1(VALU_DEP_1)
	v_add_nc_u32_e32 v3, 32, v30
	v_lshlrev_b64 v[3:4], 4, v[3:4]
	s_delay_alu instid0(VALU_DEP_1) | instskip(NEXT) | instid1(VALU_DEP_2)
	v_add_co_u32 v3, vcc_lo, s14, v3
	v_add_co_ci_u32_e32 v4, vcc_lo, s15, v4, vcc_lo
	;;#ASMSTART
	global_load_dwordx4 v[5:8], v[3:4] off glc	
s_waitcnt vmcnt(0)
	;;#ASMEND
	v_and_b32_e32 v8, 0xff, v6
	v_and_b32_e32 v31, 0xff00, v6
	v_or3_b32 v5, v5, 0, 0
	v_and_b32_e32 v32, 0xff000000, v6
	v_and_b32_e32 v6, 0xff0000, v6
	s_delay_alu instid0(VALU_DEP_4) | instskip(SKIP_2) | instid1(VALU_DEP_3)
	v_or3_b32 v8, 0, v8, v31
	v_and_b32_e32 v31, 0xff, v7
	v_or3_b32 v5, v5, 0, 0
	v_or3_b32 v6, v8, v6, v32
	s_delay_alu instid0(VALU_DEP_3)
	v_cmpx_eq_u16_e32 0, v31
	s_cbranch_execz .LBB646_159
.LBB646_157:                            ; =>This Inner Loop Header: Depth=1
	;;#ASMSTART
	global_load_dwordx4 v[5:8], v[3:4] off glc	
s_waitcnt vmcnt(0)
	;;#ASMEND
	v_and_b32_e32 v8, 0xff, v7
	s_delay_alu instid0(VALU_DEP_1) | instskip(SKIP_1) | instid1(SALU_CYCLE_1)
	v_cmp_ne_u16_e32 vcc_lo, 0, v8
	s_or_b32 s16, vcc_lo, s16
	s_and_not1_b32 exec_lo, exec_lo, s16
	s_cbranch_execnz .LBB646_157
; %bb.158:
	s_or_b32 exec_lo, exec_lo, s16
.LBB646_159:
	s_delay_alu instid0(SALU_CYCLE_1)
	s_or_b32 exec_lo, exec_lo, s11
	v_cmp_ne_u32_e32 vcc_lo, 31, v58
	v_and_b32_e32 v4, 0xff, v7
	v_lshlrev_b32_e64 v63, v58, -1
	s_mov_b32 s11, exec_lo
	v_add_co_ci_u32_e32 v3, vcc_lo, 0, v58, vcc_lo
	s_delay_alu instid0(VALU_DEP_3) | instskip(SKIP_1) | instid1(VALU_DEP_3)
	v_cmp_eq_u16_e32 vcc_lo, 2, v4
	v_mov_b32_e32 v4, v5
	v_lshlrev_b32_e32 v62, 2, v3
	v_and_or_b32 v3, vcc_lo, v63, 0x80000000
	ds_bpermute_b32 v31, v62, v5
	ds_bpermute_b32 v8, v62, v6
	v_ctz_i32_b32_e32 v3, v3
	s_delay_alu instid0(VALU_DEP_1)
	v_cmpx_lt_u32_e64 v58, v3
	s_cbranch_execz .LBB646_161
; %bb.160:
	s_waitcnt lgkmcnt(1)
	v_add_co_u32 v4, vcc_lo, v5, v31
	v_add_co_ci_u32_e32 v6, vcc_lo, 0, v6, vcc_lo
	s_delay_alu instid0(VALU_DEP_2) | instskip(SKIP_1) | instid1(VALU_DEP_2)
	v_add_co_u32 v5, vcc_lo, 0, v4
	s_waitcnt lgkmcnt(0)
	v_add_co_ci_u32_e32 v6, vcc_lo, v8, v6, vcc_lo
.LBB646_161:
	s_or_b32 exec_lo, exec_lo, s11
	v_cmp_gt_u32_e32 vcc_lo, 30, v58
	v_add_nc_u32_e32 v65, 2, v58
	s_mov_b32 s11, exec_lo
	s_waitcnt lgkmcnt(0)
	v_cndmask_b32_e64 v8, 0, 1, vcc_lo
	s_delay_alu instid0(VALU_DEP_1) | instskip(NEXT) | instid1(VALU_DEP_1)
	v_lshlrev_b32_e32 v8, 1, v8
	v_add_lshl_u32 v64, v8, v58, 2
	ds_bpermute_b32 v31, v64, v4
	ds_bpermute_b32 v8, v64, v6
	v_cmpx_le_u32_e64 v65, v3
	s_cbranch_execz .LBB646_163
; %bb.162:
	s_waitcnt lgkmcnt(1)
	v_add_co_u32 v4, vcc_lo, v5, v31
	v_add_co_ci_u32_e32 v6, vcc_lo, 0, v6, vcc_lo
	s_delay_alu instid0(VALU_DEP_2) | instskip(SKIP_1) | instid1(VALU_DEP_2)
	v_add_co_u32 v5, vcc_lo, 0, v4
	s_waitcnt lgkmcnt(0)
	v_add_co_ci_u32_e32 v6, vcc_lo, v8, v6, vcc_lo
.LBB646_163:
	s_or_b32 exec_lo, exec_lo, s11
	v_cmp_gt_u32_e32 vcc_lo, 28, v58
	v_add_nc_u32_e32 v67, 4, v58
	s_mov_b32 s11, exec_lo
	s_waitcnt lgkmcnt(0)
	v_cndmask_b32_e64 v8, 0, 1, vcc_lo
	s_delay_alu instid0(VALU_DEP_1) | instskip(NEXT) | instid1(VALU_DEP_1)
	v_lshlrev_b32_e32 v8, 2, v8
	v_add_lshl_u32 v66, v8, v58, 2
	ds_bpermute_b32 v31, v66, v4
	ds_bpermute_b32 v8, v66, v6
	v_cmpx_le_u32_e64 v67, v3
	;; [unrolled: 22-line block ×4, first 2 shown]
	s_cbranch_execz .LBB646_169
; %bb.168:
	s_waitcnt lgkmcnt(1)
	v_add_co_u32 v3, vcc_lo, v5, v8
	v_add_co_ci_u32_e32 v6, vcc_lo, 0, v6, vcc_lo
	s_delay_alu instid0(VALU_DEP_2) | instskip(SKIP_1) | instid1(VALU_DEP_2)
	v_add_co_u32 v5, vcc_lo, v3, 0
	s_waitcnt lgkmcnt(0)
	v_add_co_ci_u32_e32 v6, vcc_lo, v6, v4, vcc_lo
.LBB646_169:
	s_or_b32 exec_lo, exec_lo, s11
	v_mov_b32_e32 v31, 0
	s_branch .LBB646_171
.LBB646_170:                            ;   in Loop: Header=BB646_171 Depth=1
	s_or_b32 exec_lo, exec_lo, s11
	v_add_co_u32 v5, vcc_lo, v5, v3
	v_subrev_nc_u32_e32 v30, 32, v30
	v_add_co_ci_u32_e32 v6, vcc_lo, v6, v4, vcc_lo
.LBB646_171:                            ; =>This Loop Header: Depth=1
                                        ;     Child Loop BB646_174 Depth 2
	v_and_b32_e32 v3, 0xff, v7
	s_delay_alu instid0(VALU_DEP_1) | instskip(SKIP_2) | instid1(VALU_DEP_1)
	v_cmp_ne_u16_e32 vcc_lo, 2, v3
	v_cndmask_b32_e64 v3, 0, 1, vcc_lo
	;;#ASMSTART
	;;#ASMEND
	v_cmp_ne_u32_e32 vcc_lo, 0, v3
	s_waitcnt lgkmcnt(0)
	v_dual_mov_b32 v3, v5 :: v_dual_mov_b32 v4, v6
	s_cmp_lg_u32 vcc_lo, exec_lo
	s_cbranch_scc1 .LBB646_186
; %bb.172:                              ;   in Loop: Header=BB646_171 Depth=1
	v_lshlrev_b64 v[5:6], 4, v[30:31]
	s_mov_b32 s11, exec_lo
	s_delay_alu instid0(VALU_DEP_1) | instskip(NEXT) | instid1(VALU_DEP_2)
	v_add_co_u32 v32, vcc_lo, s14, v5
	v_add_co_ci_u32_e32 v33, vcc_lo, s15, v6, vcc_lo
	;;#ASMSTART
	global_load_dwordx4 v[5:8], v[32:33] off glc	
s_waitcnt vmcnt(0)
	;;#ASMEND
	v_and_b32_e32 v8, 0xff, v6
	v_and_b32_e32 v72, 0xff00, v6
	v_or3_b32 v5, v5, 0, 0
	v_and_b32_e32 v73, 0xff000000, v6
	v_and_b32_e32 v6, 0xff0000, v6
	s_delay_alu instid0(VALU_DEP_4) | instskip(SKIP_2) | instid1(VALU_DEP_3)
	v_or3_b32 v8, 0, v8, v72
	v_and_b32_e32 v72, 0xff, v7
	v_or3_b32 v5, v5, 0, 0
	v_or3_b32 v6, v8, v6, v73
	s_delay_alu instid0(VALU_DEP_3)
	v_cmpx_eq_u16_e32 0, v72
	s_cbranch_execz .LBB646_176
; %bb.173:                              ;   in Loop: Header=BB646_171 Depth=1
	s_mov_b32 s16, 0
.LBB646_174:                            ;   Parent Loop BB646_171 Depth=1
                                        ; =>  This Inner Loop Header: Depth=2
	;;#ASMSTART
	global_load_dwordx4 v[5:8], v[32:33] off glc	
s_waitcnt vmcnt(0)
	;;#ASMEND
	v_and_b32_e32 v8, 0xff, v7
	s_delay_alu instid0(VALU_DEP_1) | instskip(SKIP_1) | instid1(SALU_CYCLE_1)
	v_cmp_ne_u16_e32 vcc_lo, 0, v8
	s_or_b32 s16, vcc_lo, s16
	s_and_not1_b32 exec_lo, exec_lo, s16
	s_cbranch_execnz .LBB646_174
; %bb.175:                              ;   in Loop: Header=BB646_171 Depth=1
	s_or_b32 exec_lo, exec_lo, s16
.LBB646_176:                            ;   in Loop: Header=BB646_171 Depth=1
	s_delay_alu instid0(SALU_CYCLE_1)
	s_or_b32 exec_lo, exec_lo, s11
	v_and_b32_e32 v8, 0xff, v7
	ds_bpermute_b32 v72, v62, v5
	ds_bpermute_b32 v33, v62, v6
	v_mov_b32_e32 v32, v5
	s_mov_b32 s11, exec_lo
	v_cmp_eq_u16_e32 vcc_lo, 2, v8
	v_and_or_b32 v8, vcc_lo, v63, 0x80000000
	s_delay_alu instid0(VALU_DEP_1) | instskip(NEXT) | instid1(VALU_DEP_1)
	v_ctz_i32_b32_e32 v8, v8
	v_cmpx_lt_u32_e64 v58, v8
	s_cbranch_execz .LBB646_178
; %bb.177:                              ;   in Loop: Header=BB646_171 Depth=1
	s_waitcnt lgkmcnt(1)
	v_add_co_u32 v32, vcc_lo, v5, v72
	v_add_co_ci_u32_e32 v6, vcc_lo, 0, v6, vcc_lo
	s_delay_alu instid0(VALU_DEP_2) | instskip(SKIP_1) | instid1(VALU_DEP_2)
	v_add_co_u32 v5, vcc_lo, 0, v32
	s_waitcnt lgkmcnt(0)
	v_add_co_ci_u32_e32 v6, vcc_lo, v33, v6, vcc_lo
.LBB646_178:                            ;   in Loop: Header=BB646_171 Depth=1
	s_or_b32 exec_lo, exec_lo, s11
	s_waitcnt lgkmcnt(1)
	ds_bpermute_b32 v72, v64, v32
	s_waitcnt lgkmcnt(1)
	ds_bpermute_b32 v33, v64, v6
	s_mov_b32 s11, exec_lo
	v_cmpx_le_u32_e64 v65, v8
	s_cbranch_execz .LBB646_180
; %bb.179:                              ;   in Loop: Header=BB646_171 Depth=1
	s_waitcnt lgkmcnt(1)
	v_add_co_u32 v32, vcc_lo, v5, v72
	v_add_co_ci_u32_e32 v6, vcc_lo, 0, v6, vcc_lo
	s_delay_alu instid0(VALU_DEP_2) | instskip(SKIP_1) | instid1(VALU_DEP_2)
	v_add_co_u32 v5, vcc_lo, 0, v32
	s_waitcnt lgkmcnt(0)
	v_add_co_ci_u32_e32 v6, vcc_lo, v33, v6, vcc_lo
.LBB646_180:                            ;   in Loop: Header=BB646_171 Depth=1
	s_or_b32 exec_lo, exec_lo, s11
	s_waitcnt lgkmcnt(1)
	ds_bpermute_b32 v72, v66, v32
	s_waitcnt lgkmcnt(1)
	ds_bpermute_b32 v33, v66, v6
	s_mov_b32 s11, exec_lo
	v_cmpx_le_u32_e64 v67, v8
	;; [unrolled: 17-line block ×3, first 2 shown]
	s_cbranch_execz .LBB646_184
; %bb.183:                              ;   in Loop: Header=BB646_171 Depth=1
	s_waitcnt lgkmcnt(1)
	v_add_co_u32 v32, vcc_lo, v5, v72
	v_add_co_ci_u32_e32 v6, vcc_lo, 0, v6, vcc_lo
	s_delay_alu instid0(VALU_DEP_2) | instskip(SKIP_1) | instid1(VALU_DEP_2)
	v_add_co_u32 v5, vcc_lo, 0, v32
	s_waitcnt lgkmcnt(0)
	v_add_co_ci_u32_e32 v6, vcc_lo, v33, v6, vcc_lo
.LBB646_184:                            ;   in Loop: Header=BB646_171 Depth=1
	s_or_b32 exec_lo, exec_lo, s11
	s_waitcnt lgkmcnt(0)
	ds_bpermute_b32 v33, v70, v32
	ds_bpermute_b32 v32, v70, v6
	s_mov_b32 s11, exec_lo
	v_cmpx_le_u32_e64 v71, v8
	s_cbranch_execz .LBB646_170
; %bb.185:                              ;   in Loop: Header=BB646_171 Depth=1
	s_waitcnt lgkmcnt(1)
	v_add_co_u32 v5, vcc_lo, v5, v33
	v_add_co_ci_u32_e32 v6, vcc_lo, 0, v6, vcc_lo
	s_delay_alu instid0(VALU_DEP_2) | instskip(SKIP_1) | instid1(VALU_DEP_2)
	v_add_co_u32 v5, vcc_lo, v5, 0
	s_waitcnt lgkmcnt(0)
	v_add_co_ci_u32_e32 v6, vcc_lo, v6, v32, vcc_lo
	s_branch .LBB646_170
.LBB646_186:                            ;   in Loop: Header=BB646_171 Depth=1
                                        ; implicit-def: $vgpr5_vgpr6
	s_cbranch_execz .LBB646_171
; %bb.187:
	s_and_saveexec_b32 s11, s1
	s_cbranch_execz .LBB646_189
; %bb.188:
	s_add_i32 s16, s10, 32
	s_mov_b32 s17, 0
	v_add_co_u32 v5, vcc_lo, v3, v1
	s_lshl_b64 s[16:17], s[16:17], 4
	v_dual_mov_b32 v7, 2 :: v_dual_mov_b32 v8, 0
	s_add_u32 s16, s14, s16
	s_addc_u32 s17, s15, s17
	v_add_co_ci_u32_e32 v6, vcc_lo, v4, v2, vcc_lo
	v_dual_mov_b32 v31, s17 :: v_dual_mov_b32 v30, s16
	;;#ASMSTART
	global_store_dwordx4 v[30:31], v[5:8] off	
s_waitcnt vmcnt(0)
	;;#ASMEND
	ds_store_b128 v8, v[1:4] offset:7680
.LBB646_189:
	s_or_b32 exec_lo, exec_lo, s11
	s_delay_alu instid0(SALU_CYCLE_1)
	s_and_b32 exec_lo, exec_lo, s2
	s_cbranch_execz .LBB646_191
; %bb.190:
	v_mov_b32_e32 v1, 0
	ds_store_b64 v1, v[3:4] offset:24
.LBB646_191:
	s_or_b32 exec_lo, exec_lo, s7
	v_mov_b32_e32 v3, 0
	s_waitcnt lgkmcnt(0)
	s_barrier
	buffer_gl0_inv
	v_cndmask_b32_e64 v8, v61, v29, s1
	ds_load_b64 v[1:2], v3 offset:24
	s_waitcnt lgkmcnt(0)
	s_barrier
	buffer_gl0_inv
	ds_load_b128 v[4:7], v3 offset:7680
	v_cndmask_b32_e64 v3, v60, v28, s1
	v_cndmask_b32_e64 v8, v8, 0, s2
	s_delay_alu instid0(VALU_DEP_2) | instskip(NEXT) | instid1(VALU_DEP_1)
	v_cndmask_b32_e64 v3, v3, 0, s2
	v_add_co_u32 v74, vcc_lo, v1, v3
	s_delay_alu instid0(VALU_DEP_3)
	v_add_co_ci_u32_e32 v75, vcc_lo, v2, v8, vcc_lo
	s_branch .LBB646_216
.LBB646_192:
                                        ; implicit-def: $vgpr6_vgpr7
                                        ; implicit-def: $vgpr74_vgpr75
	s_and_b32 vcc_lo, exec_lo, s1
	s_cbranch_vccz .LBB646_216
; %bb.193:
	v_dual_mov_b32 v2, 0 :: v_dual_mov_b32 v3, v26
	s_waitcnt lgkmcnt(0)
	v_mov_b32_dpp v4, v26 row_shr:1 row_mask:0xf bank_mask:0xf
	s_delay_alu instid0(VALU_DEP_2)
	v_mov_b32_dpp v1, v2 row_shr:1 row_mask:0xf bank_mask:0xf
	s_and_saveexec_b32 s1, s0
; %bb.194:
	s_delay_alu instid0(VALU_DEP_2) | instskip(SKIP_1) | instid1(VALU_DEP_2)
	v_add_co_u32 v3, vcc_lo, v26, v4
	v_add_co_ci_u32_e32 v2, vcc_lo, 0, v27, vcc_lo
	v_add_co_u32 v26, vcc_lo, 0, v3
	s_delay_alu instid0(VALU_DEP_2) | instskip(NEXT) | instid1(VALU_DEP_1)
	v_add_co_ci_u32_e32 v27, vcc_lo, v1, v2, vcc_lo
	v_mov_b32_e32 v2, v27
; %bb.195:
	s_or_b32 exec_lo, exec_lo, s1
	v_mov_b32_dpp v1, v3 row_shr:2 row_mask:0xf bank_mask:0xf
	s_delay_alu instid0(VALU_DEP_2)
	v_mov_b32_dpp v4, v2 row_shr:2 row_mask:0xf bank_mask:0xf
	s_mov_b32 s0, exec_lo
	v_cmpx_lt_u32_e32 1, v59
; %bb.196:
	s_delay_alu instid0(VALU_DEP_3) | instskip(SKIP_1) | instid1(VALU_DEP_2)
	v_add_co_u32 v3, vcc_lo, v26, v1
	v_add_co_ci_u32_e32 v2, vcc_lo, 0, v27, vcc_lo
	v_add_co_u32 v1, vcc_lo, 0, v3
	s_delay_alu instid0(VALU_DEP_2) | instskip(NEXT) | instid1(VALU_DEP_1)
	v_add_co_ci_u32_e32 v2, vcc_lo, v4, v2, vcc_lo
	v_dual_mov_b32 v27, v2 :: v_dual_mov_b32 v26, v1
; %bb.197:
	s_or_b32 exec_lo, exec_lo, s0
	v_mov_b32_dpp v1, v3 row_shr:4 row_mask:0xf bank_mask:0xf
	v_mov_b32_dpp v4, v2 row_shr:4 row_mask:0xf bank_mask:0xf
	s_mov_b32 s0, exec_lo
	v_cmpx_lt_u32_e32 3, v59
; %bb.198:
	s_delay_alu instid0(VALU_DEP_3) | instskip(SKIP_1) | instid1(VALU_DEP_2)
	v_add_co_u32 v3, vcc_lo, v26, v1
	v_add_co_ci_u32_e32 v2, vcc_lo, 0, v27, vcc_lo
	v_add_co_u32 v1, vcc_lo, 0, v3
	s_delay_alu instid0(VALU_DEP_2) | instskip(NEXT) | instid1(VALU_DEP_1)
	v_add_co_ci_u32_e32 v2, vcc_lo, v4, v2, vcc_lo
	v_dual_mov_b32 v27, v2 :: v_dual_mov_b32 v26, v1
; %bb.199:
	s_or_b32 exec_lo, exec_lo, s0
	v_mov_b32_dpp v4, v3 row_shr:8 row_mask:0xf bank_mask:0xf
	v_mov_b32_dpp v1, v2 row_shr:8 row_mask:0xf bank_mask:0xf
	s_mov_b32 s0, exec_lo
	v_cmpx_lt_u32_e32 7, v59
; %bb.200:
	s_delay_alu instid0(VALU_DEP_3) | instskip(SKIP_1) | instid1(VALU_DEP_2)
	v_add_co_u32 v3, vcc_lo, v26, v4
	v_add_co_ci_u32_e32 v2, vcc_lo, 0, v27, vcc_lo
	v_add_co_u32 v26, vcc_lo, 0, v3
	s_delay_alu instid0(VALU_DEP_2) | instskip(NEXT) | instid1(VALU_DEP_1)
	v_add_co_ci_u32_e32 v27, vcc_lo, v1, v2, vcc_lo
	v_mov_b32_e32 v2, v27
; %bb.201:
	s_or_b32 exec_lo, exec_lo, s0
	ds_swizzle_b32 v3, v3 offset:swizzle(BROADCAST,32,15)
	ds_swizzle_b32 v1, v2 offset:swizzle(BROADCAST,32,15)
	v_and_b32_e32 v2, 16, v58
	s_mov_b32 s0, exec_lo
	s_delay_alu instid0(VALU_DEP_1)
	v_cmpx_ne_u32_e32 0, v2
	s_cbranch_execz .LBB646_203
; %bb.202:
	s_waitcnt lgkmcnt(1)
	v_add_co_u32 v2, vcc_lo, v26, v3
	v_add_co_ci_u32_e32 v3, vcc_lo, 0, v27, vcc_lo
	s_delay_alu instid0(VALU_DEP_2) | instskip(SKIP_1) | instid1(VALU_DEP_2)
	v_add_co_u32 v26, vcc_lo, v2, 0
	s_waitcnt lgkmcnt(0)
	v_add_co_ci_u32_e32 v27, vcc_lo, v3, v1, vcc_lo
.LBB646_203:
	s_or_b32 exec_lo, exec_lo, s0
	s_waitcnt lgkmcnt(0)
	v_or_b32_e32 v1, 31, v0
	v_lshrrev_b32_e32 v3, 5, v0
	s_mov_b32 s0, exec_lo
	s_delay_alu instid0(VALU_DEP_2)
	v_cmpx_eq_u32_e64 v1, v0
	s_cbranch_execz .LBB646_205
; %bb.204:
	s_delay_alu instid0(VALU_DEP_2)
	v_lshlrev_b32_e32 v1, 3, v3
	ds_store_b64 v1, v[26:27]
.LBB646_205:
	s_or_b32 exec_lo, exec_lo, s0
	s_delay_alu instid0(SALU_CYCLE_1)
	s_mov_b32 s0, exec_lo
	s_waitcnt lgkmcnt(0)
	s_barrier
	buffer_gl0_inv
	v_cmpx_gt_u32_e32 4, v0
	s_cbranch_execz .LBB646_211
; %bb.206:
	v_lshlrev_b32_e32 v4, 3, v0
	s_mov_b32 s1, exec_lo
	ds_load_b64 v[1:2], v4
	s_waitcnt lgkmcnt(0)
	v_dual_mov_b32 v6, v1 :: v_dual_and_b32 v5, 3, v58
	v_mov_b32_dpp v8, v1 row_shr:1 row_mask:0xf bank_mask:0xf
	v_mov_b32_dpp v7, v2 row_shr:1 row_mask:0xf bank_mask:0xf
	s_delay_alu instid0(VALU_DEP_3)
	v_cmpx_ne_u32_e32 0, v5
; %bb.207:
	s_delay_alu instid0(VALU_DEP_3) | instskip(SKIP_1) | instid1(VALU_DEP_2)
	v_add_co_u32 v6, vcc_lo, v1, v8
	v_add_co_ci_u32_e32 v2, vcc_lo, 0, v2, vcc_lo
	v_add_co_u32 v1, vcc_lo, 0, v6
	s_delay_alu instid0(VALU_DEP_2)
	v_add_co_ci_u32_e32 v2, vcc_lo, v7, v2, vcc_lo
; %bb.208:
	s_or_b32 exec_lo, exec_lo, s1
	v_mov_b32_dpp v7, v6 row_shr:2 row_mask:0xf bank_mask:0xf
	s_delay_alu instid0(VALU_DEP_2)
	v_mov_b32_dpp v6, v2 row_shr:2 row_mask:0xf bank_mask:0xf
	s_mov_b32 s1, exec_lo
	v_cmpx_lt_u32_e32 1, v5
; %bb.209:
	s_delay_alu instid0(VALU_DEP_3) | instskip(SKIP_1) | instid1(VALU_DEP_2)
	v_add_co_u32 v1, vcc_lo, v1, v7
	v_add_co_ci_u32_e32 v2, vcc_lo, 0, v2, vcc_lo
	v_add_co_u32 v1, vcc_lo, v1, 0
	s_delay_alu instid0(VALU_DEP_2)
	v_add_co_ci_u32_e32 v2, vcc_lo, v2, v6, vcc_lo
; %bb.210:
	s_or_b32 exec_lo, exec_lo, s1
	ds_store_b64 v4, v[1:2]
.LBB646_211:
	s_or_b32 exec_lo, exec_lo, s0
	v_mov_b32_e32 v1, 0
	v_mov_b32_e32 v2, 0
	s_mov_b32 s0, exec_lo
	s_waitcnt lgkmcnt(0)
	s_barrier
	buffer_gl0_inv
	v_cmpx_lt_u32_e32 31, v0
	s_cbranch_execz .LBB646_213
; %bb.212:
	v_lshl_add_u32 v1, v3, 3, -8
	ds_load_b64 v[1:2], v1
.LBB646_213:
	s_or_b32 exec_lo, exec_lo, s0
	v_add_nc_u32_e32 v3, -1, v58
	v_mov_b32_e32 v7, 0
	s_delay_alu instid0(VALU_DEP_2) | instskip(SKIP_1) | instid1(VALU_DEP_1)
	v_cmp_gt_i32_e32 vcc_lo, 0, v3
	v_cndmask_b32_e32 v3, v3, v58, vcc_lo
	v_lshlrev_b32_e32 v4, 2, v3
	s_waitcnt lgkmcnt(0)
	v_add_co_u32 v3, vcc_lo, v1, v26
	v_add_co_ci_u32_e32 v5, vcc_lo, v2, v27, vcc_lo
	ds_bpermute_b32 v3, v4, v3
	ds_bpermute_b32 v8, v4, v5
	ds_load_b64 v[4:5], v7 offset:24
	s_and_saveexec_b32 s0, s2
	s_cbranch_execz .LBB646_215
; %bb.214:
	s_add_u32 s10, s14, 0x200
	s_addc_u32 s11, s15, 0
	s_delay_alu instid0(SALU_CYCLE_1)
	v_dual_mov_b32 v6, 2 :: v_dual_mov_b32 v27, s11
	v_mov_b32_e32 v26, s10
	s_waitcnt lgkmcnt(0)
	;;#ASMSTART
	global_store_dwordx4 v[26:27], v[4:7] off	
s_waitcnt vmcnt(0)
	;;#ASMEND
.LBB646_215:
	s_or_b32 exec_lo, exec_lo, s0
	v_cmp_eq_u32_e32 vcc_lo, 0, v58
	v_mov_b32_e32 v6, 0
	v_mov_b32_e32 v7, 0
	s_waitcnt lgkmcnt(0)
	s_barrier
	v_dual_cndmask_b32 v1, v3, v1 :: v_dual_cndmask_b32 v2, v8, v2
	buffer_gl0_inv
	v_cndmask_b32_e64 v74, v1, 0, s2
	v_cndmask_b32_e64 v75, v2, 0, s2
.LBB646_216:
	s_delay_alu instid0(VALU_DEP_2) | instskip(NEXT) | instid1(VALU_DEP_2)
	v_add_co_u32 v82, vcc_lo, v74, v46
	v_add_co_ci_u32_e32 v83, vcc_lo, 0, v75, vcc_lo
	s_delay_alu instid0(VALU_DEP_2) | instskip(NEXT) | instid1(VALU_DEP_2)
	v_add_co_u32 v80, vcc_lo, v82, v57
	v_add_co_ci_u32_e32 v81, vcc_lo, 0, v83, vcc_lo
	;; [unrolled: 3-line block ×27, first 2 shown]
	s_waitcnt lgkmcnt(0)
	v_cmp_gt_u64_e32 vcc_lo, 0x81, v[4:5]
	s_delay_alu instid0(VALU_DEP_3) | instskip(NEXT) | instid1(VALU_DEP_1)
	v_add_co_u32 v28, s0, v26, v85
	v_add_co_ci_u32_e64 v29, s0, 0, v27, s0
	s_delay_alu instid0(VALU_DEP_2) | instskip(NEXT) | instid1(VALU_DEP_1)
	v_add_co_u32 v1, s0, v28, v84
	v_add_co_ci_u32_e64 v2, s0, 0, v29, s0
	s_mov_b32 s0, -1
	s_cbranch_vccnz .LBB646_220
; %bb.217:
	s_and_b32 vcc_lo, exec_lo, s0
	s_cbranch_vccnz .LBB646_310
.LBB646_218:
	s_and_b32 s0, s2, s5
	s_delay_alu instid0(SALU_CYCLE_1)
	s_and_saveexec_b32 s1, s0
	s_cbranch_execnz .LBB646_381
.LBB646_219:
	s_nop 0
	s_sendmsg sendmsg(MSG_DEALLOC_VGPRS)
	s_endpgm
.LBB646_220:
	v_add_co_u32 v84, vcc_lo, v6, v4
	v_add_co_ci_u32_e32 v85, vcc_lo, v7, v5, vcc_lo
	v_lshlrev_b64 v[130:131], 1, v[12:13]
	s_delay_alu instid0(VALU_DEP_2) | instskip(NEXT) | instid1(VALU_DEP_2)
	v_cmp_lt_u64_e32 vcc_lo, v[74:75], v[84:85]
	v_add_co_u32 v3, s0, s12, v130
	s_delay_alu instid0(VALU_DEP_1) | instskip(SKIP_1) | instid1(SALU_CYCLE_1)
	v_add_co_ci_u32_e64 v8, s0, s13, v131, s0
	s_or_b32 s1, s4, vcc_lo
	s_and_saveexec_b32 s0, s1
	s_cbranch_execz .LBB646_223
; %bb.221:
	v_and_b32_e32 v130, 1, v102
	s_delay_alu instid0(VALU_DEP_1)
	v_cmp_eq_u32_e32 vcc_lo, 1, v130
	s_and_b32 exec_lo, exec_lo, vcc_lo
	s_cbranch_execz .LBB646_223
; %bb.222:
	v_lshlrev_b64 v[130:131], 1, v[74:75]
	s_delay_alu instid0(VALU_DEP_1) | instskip(NEXT) | instid1(VALU_DEP_2)
	v_add_co_u32 v130, vcc_lo, v3, v130
	v_add_co_ci_u32_e32 v131, vcc_lo, v8, v131, vcc_lo
	global_store_b16 v[130:131], v24, off
.LBB646_223:
	s_or_b32 exec_lo, exec_lo, s0
	v_cmp_lt_u64_e32 vcc_lo, v[82:83], v[84:85]
	s_or_b32 s1, s4, vcc_lo
	s_delay_alu instid0(SALU_CYCLE_1)
	s_and_saveexec_b32 s0, s1
	s_cbranch_execz .LBB646_226
; %bb.224:
	v_and_b32_e32 v75, 1, v101
	s_delay_alu instid0(VALU_DEP_1)
	v_cmp_eq_u32_e32 vcc_lo, 1, v75
	s_and_b32 exec_lo, exec_lo, vcc_lo
	s_cbranch_execz .LBB646_226
; %bb.225:
	v_lshlrev_b64 v[130:131], 1, v[82:83]
	s_delay_alu instid0(VALU_DEP_1) | instskip(NEXT) | instid1(VALU_DEP_2)
	v_add_co_u32 v130, vcc_lo, v3, v130
	v_add_co_ci_u32_e32 v131, vcc_lo, v8, v131, vcc_lo
	global_store_b16 v[130:131], v100, off
.LBB646_226:
	s_or_b32 exec_lo, exec_lo, s0
	v_cmp_lt_u64_e32 vcc_lo, v[80:81], v[84:85]
	s_or_b32 s1, s4, vcc_lo
	s_delay_alu instid0(SALU_CYCLE_1)
	;; [unrolled: 19-line block ×28, first 2 shown]
	s_and_saveexec_b32 s0, s1
	s_cbranch_execz .LBB646_307
; %bb.305:
	v_and_b32_e32 v27, 1, v129
	s_delay_alu instid0(VALU_DEP_1)
	v_cmp_eq_u32_e32 vcc_lo, 1, v27
	s_and_b32 exec_lo, exec_lo, vcc_lo
	s_cbranch_execz .LBB646_307
; %bb.306:
	v_lshlrev_b64 v[130:131], 1, v[28:29]
	s_delay_alu instid0(VALU_DEP_1) | instskip(NEXT) | instid1(VALU_DEP_2)
	v_add_co_u32 v130, vcc_lo, v3, v130
	v_add_co_ci_u32_e32 v131, vcc_lo, v8, v131, vcc_lo
	global_store_b16 v[130:131], v11, off
.LBB646_307:
	s_or_b32 exec_lo, exec_lo, s0
	v_cmp_ge_u64_e32 vcc_lo, v[1:2], v[84:85]
	s_xor_b32 s1, s6, -1
	s_and_b32 s0, s3, vcc_lo
	s_delay_alu instid0(SALU_CYCLE_1) | instskip(NEXT) | instid1(SALU_CYCLE_1)
	s_or_b32 s0, s0, s1
	s_xor_b32 s1, s0, -1
	s_delay_alu instid0(SALU_CYCLE_1)
	s_and_saveexec_b32 s0, s1
	s_cbranch_execz .LBB646_309
; %bb.308:
	v_lshlrev_b64 v[83:84], 1, v[1:2]
	s_delay_alu instid0(VALU_DEP_1) | instskip(NEXT) | instid1(VALU_DEP_2)
	v_add_co_u32 v2, vcc_lo, v3, v83
	v_add_co_ci_u32_e32 v3, vcc_lo, v8, v84, vcc_lo
	global_store_b16 v[2:3], v86, off
.LBB646_309:
	s_or_b32 exec_lo, exec_lo, s0
	s_branch .LBB646_218
.LBB646_310:
	v_and_b32_e32 v2, 1, v102
	s_mov_b32 s0, exec_lo
	s_delay_alu instid0(VALU_DEP_1)
	v_cmpx_eq_u32_e32 1, v2
	s_cbranch_execz .LBB646_312
; %bb.311:
	v_sub_nc_u32_e32 v2, v74, v6
	s_delay_alu instid0(VALU_DEP_1)
	v_lshlrev_b32_e32 v2, 1, v2
	ds_store_b16 v2, v24
.LBB646_312:
	s_or_b32 exec_lo, exec_lo, s0
	v_and_b32_e32 v2, 1, v101
	s_mov_b32 s0, exec_lo
	s_delay_alu instid0(VALU_DEP_1)
	v_cmpx_eq_u32_e32 1, v2
	s_cbranch_execz .LBB646_314
; %bb.313:
	v_sub_nc_u32_e32 v2, v82, v6
	s_delay_alu instid0(VALU_DEP_1)
	v_lshlrev_b32_e32 v2, 1, v2
	ds_store_b16 v2, v100
.LBB646_314:
	s_or_b32 exec_lo, exec_lo, s0
	v_and_b32_e32 v2, 1, v104
	s_mov_b32 s0, exec_lo
	s_delay_alu instid0(VALU_DEP_1)
	v_cmpx_eq_u32_e32 1, v2
	s_cbranch_execz .LBB646_316
; %bb.315:
	v_sub_nc_u32_e32 v2, v80, v6
	s_delay_alu instid0(VALU_DEP_1)
	v_lshlrev_b32_e32 v2, 1, v2
	ds_store_b16 v2, v25
.LBB646_316:
	s_or_b32 exec_lo, exec_lo, s0
	v_and_b32_e32 v2, 1, v103
	s_mov_b32 s0, exec_lo
	s_delay_alu instid0(VALU_DEP_1)
	v_cmpx_eq_u32_e32 1, v2
	s_cbranch_execz .LBB646_318
; %bb.317:
	v_sub_nc_u32_e32 v2, v78, v6
	s_delay_alu instid0(VALU_DEP_1)
	v_lshlrev_b32_e32 v2, 1, v2
	ds_store_b16 v2, v99
.LBB646_318:
	s_or_b32 exec_lo, exec_lo, s0
	v_and_b32_e32 v2, 1, v106
	s_mov_b32 s0, exec_lo
	s_delay_alu instid0(VALU_DEP_1)
	v_cmpx_eq_u32_e32 1, v2
	s_cbranch_execz .LBB646_320
; %bb.319:
	v_sub_nc_u32_e32 v2, v76, v6
	s_delay_alu instid0(VALU_DEP_1)
	v_lshlrev_b32_e32 v2, 1, v2
	ds_store_b16 v2, v22
.LBB646_320:
	s_or_b32 exec_lo, exec_lo, s0
	v_and_b32_e32 v2, 1, v105
	s_mov_b32 s0, exec_lo
	s_delay_alu instid0(VALU_DEP_1)
	v_cmpx_eq_u32_e32 1, v2
	s_cbranch_execz .LBB646_322
; %bb.321:
	v_sub_nc_u32_e32 v2, v72, v6
	s_delay_alu instid0(VALU_DEP_1)
	v_lshlrev_b32_e32 v2, 1, v2
	ds_store_b16 v2, v98
.LBB646_322:
	s_or_b32 exec_lo, exec_lo, s0
	v_and_b32_e32 v2, 1, v108
	s_mov_b32 s0, exec_lo
	s_delay_alu instid0(VALU_DEP_1)
	v_cmpx_eq_u32_e32 1, v2
	s_cbranch_execz .LBB646_324
; %bb.323:
	v_sub_nc_u32_e32 v2, v70, v6
	s_delay_alu instid0(VALU_DEP_1)
	v_lshlrev_b32_e32 v2, 1, v2
	ds_store_b16 v2, v23
.LBB646_324:
	s_or_b32 exec_lo, exec_lo, s0
	v_and_b32_e32 v2, 1, v107
	s_mov_b32 s0, exec_lo
	s_delay_alu instid0(VALU_DEP_1)
	v_cmpx_eq_u32_e32 1, v2
	s_cbranch_execz .LBB646_326
; %bb.325:
	v_sub_nc_u32_e32 v2, v68, v6
	s_delay_alu instid0(VALU_DEP_1)
	v_lshlrev_b32_e32 v2, 1, v2
	ds_store_b16 v2, v97
.LBB646_326:
	s_or_b32 exec_lo, exec_lo, s0
	v_and_b32_e32 v2, 1, v110
	s_mov_b32 s0, exec_lo
	s_delay_alu instid0(VALU_DEP_1)
	v_cmpx_eq_u32_e32 1, v2
	s_cbranch_execz .LBB646_328
; %bb.327:
	v_sub_nc_u32_e32 v2, v66, v6
	s_delay_alu instid0(VALU_DEP_1)
	v_lshlrev_b32_e32 v2, 1, v2
	ds_store_b16 v2, v20
.LBB646_328:
	s_or_b32 exec_lo, exec_lo, s0
	v_and_b32_e32 v2, 1, v109
	s_mov_b32 s0, exec_lo
	s_delay_alu instid0(VALU_DEP_1)
	v_cmpx_eq_u32_e32 1, v2
	s_cbranch_execz .LBB646_330
; %bb.329:
	v_sub_nc_u32_e32 v2, v64, v6
	s_delay_alu instid0(VALU_DEP_1)
	v_lshlrev_b32_e32 v2, 1, v2
	ds_store_b16 v2, v96
.LBB646_330:
	s_or_b32 exec_lo, exec_lo, s0
	v_and_b32_e32 v2, 1, v112
	s_mov_b32 s0, exec_lo
	s_delay_alu instid0(VALU_DEP_1)
	v_cmpx_eq_u32_e32 1, v2
	s_cbranch_execz .LBB646_332
; %bb.331:
	v_sub_nc_u32_e32 v2, v62, v6
	s_delay_alu instid0(VALU_DEP_1)
	v_lshlrev_b32_e32 v2, 1, v2
	ds_store_b16 v2, v21
.LBB646_332:
	s_or_b32 exec_lo, exec_lo, s0
	v_and_b32_e32 v2, 1, v111
	s_mov_b32 s0, exec_lo
	s_delay_alu instid0(VALU_DEP_1)
	v_cmpx_eq_u32_e32 1, v2
	s_cbranch_execz .LBB646_334
; %bb.333:
	v_sub_nc_u32_e32 v2, v60, v6
	s_delay_alu instid0(VALU_DEP_1)
	v_lshlrev_b32_e32 v2, 1, v2
	ds_store_b16 v2, v95
.LBB646_334:
	s_or_b32 exec_lo, exec_lo, s0
	v_and_b32_e32 v2, 1, v114
	s_mov_b32 s0, exec_lo
	s_delay_alu instid0(VALU_DEP_1)
	v_cmpx_eq_u32_e32 1, v2
	s_cbranch_execz .LBB646_336
; %bb.335:
	v_sub_nc_u32_e32 v2, v58, v6
	s_delay_alu instid0(VALU_DEP_1)
	v_lshlrev_b32_e32 v2, 1, v2
	ds_store_b16 v2, v18
.LBB646_336:
	s_or_b32 exec_lo, exec_lo, s0
	v_and_b32_e32 v2, 1, v113
	s_mov_b32 s0, exec_lo
	s_delay_alu instid0(VALU_DEP_1)
	v_cmpx_eq_u32_e32 1, v2
	s_cbranch_execz .LBB646_338
; %bb.337:
	v_sub_nc_u32_e32 v2, v56, v6
	s_delay_alu instid0(VALU_DEP_1)
	v_lshlrev_b32_e32 v2, 1, v2
	ds_store_b16 v2, v94
.LBB646_338:
	s_or_b32 exec_lo, exec_lo, s0
	v_and_b32_e32 v2, 1, v116
	s_mov_b32 s0, exec_lo
	s_delay_alu instid0(VALU_DEP_1)
	v_cmpx_eq_u32_e32 1, v2
	s_cbranch_execz .LBB646_340
; %bb.339:
	v_sub_nc_u32_e32 v2, v54, v6
	s_delay_alu instid0(VALU_DEP_1)
	v_lshlrev_b32_e32 v2, 1, v2
	ds_store_b16 v2, v19
.LBB646_340:
	s_or_b32 exec_lo, exec_lo, s0
	v_and_b32_e32 v2, 1, v115
	s_mov_b32 s0, exec_lo
	s_delay_alu instid0(VALU_DEP_1)
	v_cmpx_eq_u32_e32 1, v2
	s_cbranch_execz .LBB646_342
; %bb.341:
	v_sub_nc_u32_e32 v2, v52, v6
	s_delay_alu instid0(VALU_DEP_1)
	v_lshlrev_b32_e32 v2, 1, v2
	ds_store_b16 v2, v93
.LBB646_342:
	s_or_b32 exec_lo, exec_lo, s0
	v_and_b32_e32 v2, 1, v118
	s_mov_b32 s0, exec_lo
	s_delay_alu instid0(VALU_DEP_1)
	v_cmpx_eq_u32_e32 1, v2
	s_cbranch_execz .LBB646_344
; %bb.343:
	v_sub_nc_u32_e32 v2, v50, v6
	s_delay_alu instid0(VALU_DEP_1)
	v_lshlrev_b32_e32 v2, 1, v2
	ds_store_b16 v2, v16
.LBB646_344:
	s_or_b32 exec_lo, exec_lo, s0
	v_and_b32_e32 v2, 1, v117
	s_mov_b32 s0, exec_lo
	s_delay_alu instid0(VALU_DEP_1)
	v_cmpx_eq_u32_e32 1, v2
	s_cbranch_execz .LBB646_346
; %bb.345:
	v_sub_nc_u32_e32 v2, v48, v6
	s_delay_alu instid0(VALU_DEP_1)
	v_lshlrev_b32_e32 v2, 1, v2
	ds_store_b16 v2, v92
.LBB646_346:
	s_or_b32 exec_lo, exec_lo, s0
	v_and_b32_e32 v2, 1, v120
	s_mov_b32 s0, exec_lo
	s_delay_alu instid0(VALU_DEP_1)
	v_cmpx_eq_u32_e32 1, v2
	s_cbranch_execz .LBB646_348
; %bb.347:
	v_sub_nc_u32_e32 v2, v46, v6
	s_delay_alu instid0(VALU_DEP_1)
	v_lshlrev_b32_e32 v2, 1, v2
	ds_store_b16 v2, v17
.LBB646_348:
	s_or_b32 exec_lo, exec_lo, s0
	v_and_b32_e32 v2, 1, v119
	s_mov_b32 s0, exec_lo
	s_delay_alu instid0(VALU_DEP_1)
	v_cmpx_eq_u32_e32 1, v2
	s_cbranch_execz .LBB646_350
; %bb.349:
	v_sub_nc_u32_e32 v2, v44, v6
	s_delay_alu instid0(VALU_DEP_1)
	v_lshlrev_b32_e32 v2, 1, v2
	ds_store_b16 v2, v91
.LBB646_350:
	s_or_b32 exec_lo, exec_lo, s0
	v_and_b32_e32 v2, 1, v122
	s_mov_b32 s0, exec_lo
	s_delay_alu instid0(VALU_DEP_1)
	v_cmpx_eq_u32_e32 1, v2
	s_cbranch_execz .LBB646_352
; %bb.351:
	v_sub_nc_u32_e32 v2, v42, v6
	s_delay_alu instid0(VALU_DEP_1)
	v_lshlrev_b32_e32 v2, 1, v2
	ds_store_b16 v2, v14
.LBB646_352:
	s_or_b32 exec_lo, exec_lo, s0
	v_and_b32_e32 v2, 1, v121
	s_mov_b32 s0, exec_lo
	s_delay_alu instid0(VALU_DEP_1)
	v_cmpx_eq_u32_e32 1, v2
	s_cbranch_execz .LBB646_354
; %bb.353:
	v_sub_nc_u32_e32 v2, v40, v6
	s_delay_alu instid0(VALU_DEP_1)
	v_lshlrev_b32_e32 v2, 1, v2
	ds_store_b16 v2, v90
.LBB646_354:
	s_or_b32 exec_lo, exec_lo, s0
	v_and_b32_e32 v2, 1, v124
	s_mov_b32 s0, exec_lo
	s_delay_alu instid0(VALU_DEP_1)
	v_cmpx_eq_u32_e32 1, v2
	s_cbranch_execz .LBB646_356
; %bb.355:
	v_sub_nc_u32_e32 v2, v38, v6
	s_delay_alu instid0(VALU_DEP_1)
	v_lshlrev_b32_e32 v2, 1, v2
	ds_store_b16 v2, v15
.LBB646_356:
	s_or_b32 exec_lo, exec_lo, s0
	v_and_b32_e32 v2, 1, v123
	s_mov_b32 s0, exec_lo
	s_delay_alu instid0(VALU_DEP_1)
	v_cmpx_eq_u32_e32 1, v2
	s_cbranch_execz .LBB646_358
; %bb.357:
	v_sub_nc_u32_e32 v2, v36, v6
	s_delay_alu instid0(VALU_DEP_1)
	v_lshlrev_b32_e32 v2, 1, v2
	ds_store_b16 v2, v89
.LBB646_358:
	s_or_b32 exec_lo, exec_lo, s0
	v_and_b32_e32 v2, 1, v126
	s_mov_b32 s0, exec_lo
	s_delay_alu instid0(VALU_DEP_1)
	v_cmpx_eq_u32_e32 1, v2
	s_cbranch_execz .LBB646_360
; %bb.359:
	v_sub_nc_u32_e32 v2, v34, v6
	s_delay_alu instid0(VALU_DEP_1)
	v_lshlrev_b32_e32 v2, 1, v2
	ds_store_b16 v2, v9
.LBB646_360:
	s_or_b32 exec_lo, exec_lo, s0
	v_and_b32_e32 v2, 1, v125
	s_mov_b32 s0, exec_lo
	s_delay_alu instid0(VALU_DEP_1)
	v_cmpx_eq_u32_e32 1, v2
	s_cbranch_execz .LBB646_362
; %bb.361:
	v_sub_nc_u32_e32 v2, v32, v6
	s_delay_alu instid0(VALU_DEP_1)
	v_lshlrev_b32_e32 v2, 1, v2
	ds_store_b16 v2, v88
.LBB646_362:
	s_or_b32 exec_lo, exec_lo, s0
	v_and_b32_e32 v2, 1, v128
	s_mov_b32 s0, exec_lo
	s_delay_alu instid0(VALU_DEP_1)
	v_cmpx_eq_u32_e32 1, v2
	s_cbranch_execz .LBB646_364
; %bb.363:
	v_sub_nc_u32_e32 v2, v30, v6
	s_delay_alu instid0(VALU_DEP_1)
	v_lshlrev_b32_e32 v2, 1, v2
	ds_store_b16 v2, v10
.LBB646_364:
	s_or_b32 exec_lo, exec_lo, s0
	v_and_b32_e32 v2, 1, v127
	s_mov_b32 s0, exec_lo
	s_delay_alu instid0(VALU_DEP_1)
	v_cmpx_eq_u32_e32 1, v2
	s_cbranch_execz .LBB646_366
; %bb.365:
	v_sub_nc_u32_e32 v2, v26, v6
	s_delay_alu instid0(VALU_DEP_1)
	v_lshlrev_b32_e32 v2, 1, v2
	ds_store_b16 v2, v87
.LBB646_366:
	s_or_b32 exec_lo, exec_lo, s0
	v_and_b32_e32 v2, 1, v129
	s_mov_b32 s0, exec_lo
	s_delay_alu instid0(VALU_DEP_1)
	v_cmpx_eq_u32_e32 1, v2
	s_cbranch_execz .LBB646_368
; %bb.367:
	v_sub_nc_u32_e32 v2, v28, v6
	s_delay_alu instid0(VALU_DEP_1)
	v_lshlrev_b32_e32 v2, 1, v2
	ds_store_b16 v2, v11
.LBB646_368:
	s_or_b32 exec_lo, exec_lo, s0
	s_and_saveexec_b32 s0, s6
	s_cbranch_execz .LBB646_370
; %bb.369:
	v_sub_nc_u32_e32 v1, v1, v6
	s_delay_alu instid0(VALU_DEP_1)
	v_lshlrev_b32_e32 v1, 1, v1
	ds_store_b16 v1, v86
.LBB646_370:
	s_or_b32 exec_lo, exec_lo, s0
	v_mov_b32_e32 v1, 0
	s_mov_b32 s10, exec_lo
	s_waitcnt lgkmcnt(0)
	s_waitcnt_vscnt null, 0x0
	s_barrier
	buffer_gl0_inv
	v_cmpx_gt_u64_e64 v[4:5], v[0:1]
	s_cbranch_execz .LBB646_380
; %bb.371:
	v_not_b32_e32 v2, v0
	v_not_b32_e32 v3, 0
	s_mov_b32 s11, exec_lo
	s_delay_alu instid0(VALU_DEP_2) | instskip(NEXT) | instid1(VALU_DEP_2)
	v_add_co_u32 v8, vcc_lo, v4, v2
	v_add_co_ci_u32_e32 v9, vcc_lo, v5, v3, vcc_lo
	v_dual_mov_b32 v3, v1 :: v_dual_mov_b32 v2, v0
	s_delay_alu instid0(VALU_DEP_2)
	v_cmp_gt_u64_e32 vcc_lo, 0x1a80, v[8:9]
	v_cmpx_lt_u64_e32 0x1a7f, v[8:9]
	s_cbranch_execz .LBB646_377
; %bb.372:
	v_alignbit_b32 v2, v9, v8, 7
	v_not_b32_e32 v3, v0
	v_xor_b32_e32 v10, 0xffffff7f, v0
	s_movk_i32 s7, 0x7f
	s_mov_b32 s6, -1
	v_lshlrev_b32_e32 v11, 7, v2
	v_cmp_lt_u64_e64 s0, s[6:7], v[8:9]
	v_cmp_lt_u32_e64 s1, 0x1ffffff, v2
	s_delay_alu instid0(VALU_DEP_3) | instskip(SKIP_2) | instid1(VALU_DEP_4)
	v_cmp_gt_u32_e64 s3, v11, v3
	v_dual_mov_b32 v3, v1 :: v_dual_mov_b32 v2, v0
	v_cmp_lt_u32_e64 s4, v10, v11
	s_or_b32 s0, s1, s0
	s_delay_alu instid0(VALU_DEP_3) | instskip(NEXT) | instid1(VALU_DEP_1)
	s_or_b32 s1, s3, s1
	s_or_b32 s0, s0, s4
	s_delay_alu instid0(SALU_CYCLE_1) | instskip(NEXT) | instid1(SALU_CYCLE_1)
	s_or_b32 s0, s1, s0
	s_xor_b32 s0, s0, -1
	s_delay_alu instid0(SALU_CYCLE_1)
	s_and_saveexec_b32 s3, s0
	s_cbranch_execz .LBB646_376
; %bb.373:
	v_lshrrev_b64 v[2:3], 7, v[8:9]
	v_lshlrev_b64 v[8:9], 1, v[6:7]
	s_mov_b32 s4, 0
	s_delay_alu instid0(VALU_DEP_2) | instskip(NEXT) | instid1(VALU_DEP_1)
	v_add_co_u32 v14, s0, v2, 1
	v_add_co_ci_u32_e64 v15, s0, 0, v3, s0
	v_lshlrev_b64 v[2:3], 1, v[12:13]
	s_delay_alu instid0(VALU_DEP_2) | instskip(NEXT) | instid1(VALU_DEP_2)
	v_dual_mov_b32 v17, v15 :: v_dual_and_b32 v16, -2, v14
	v_add_co_u32 v2, s0, v8, v2
	s_delay_alu instid0(VALU_DEP_1) | instskip(SKIP_1) | instid1(VALU_DEP_3)
	v_add_co_ci_u32_e64 v3, s0, v9, v3, s0
	v_lshlrev_b32_e32 v8, 1, v0
	v_add_co_u32 v9, s0, s12, v2
	s_delay_alu instid0(VALU_DEP_1) | instskip(SKIP_1) | instid1(VALU_DEP_3)
	v_add_co_ci_u32_e64 v3, s0, s13, v3, s0
	v_or_b32_e32 v2, 0x80, v0
	v_add_co_u32 v8, s0, v9, v8
	s_delay_alu instid0(VALU_DEP_1) | instskip(SKIP_1) | instid1(VALU_DEP_3)
	v_add_co_ci_u32_e64 v9, s0, 0, v3, s0
	v_mov_b32_e32 v3, v1
	v_add_co_u32 v18, s0, 0x100, v8
	s_delay_alu instid0(VALU_DEP_1) | instskip(NEXT) | instid1(VALU_DEP_3)
	v_add_co_ci_u32_e64 v19, s0, 0, v9, s0
	v_dual_mov_b32 v11, v3 :: v_dual_mov_b32 v10, v2
	v_dual_mov_b32 v21, v17 :: v_dual_mov_b32 v20, v16
	;; [unrolled: 1-line block ×3, first 2 shown]
	s_set_inst_prefetch_distance 0x1
	.p2align	6
.LBB646_374:                            ; =>This Inner Loop Header: Depth=1
	s_delay_alu instid0(VALU_DEP_1) | instskip(SKIP_2) | instid1(VALU_DEP_1)
	v_lshlrev_b32_e32 v1, 1, v8
	v_lshlrev_b32_e32 v2, 1, v10
	v_add_co_u32 v10, s0, 0x100, v10
	v_add_co_ci_u32_e64 v11, s0, 0, v11, s0
	ds_load_u16 v1, v1
	ds_load_u16 v2, v2
	v_add_co_u32 v20, s0, v20, -2
	s_delay_alu instid0(VALU_DEP_1) | instskip(SKIP_1) | instid1(VALU_DEP_1)
	v_add_co_ci_u32_e64 v21, s0, -1, v21, s0
	v_add_co_u32 v8, s0, 0x100, v8
	v_add_co_ci_u32_e64 v9, s0, 0, v9, s0
	s_delay_alu instid0(VALU_DEP_3)
	v_cmp_eq_u64_e64 s0, 0, v[20:21]
	s_waitcnt lgkmcnt(1)
	global_store_b16 v[18:19], v1, off offset:-256
	s_waitcnt lgkmcnt(0)
	global_store_b16 v[18:19], v2, off
	v_add_co_u32 v18, s1, 0x200, v18
	s_delay_alu instid0(VALU_DEP_1) | instskip(SKIP_1) | instid1(SALU_CYCLE_1)
	v_add_co_ci_u32_e64 v19, s1, 0, v19, s1
	s_or_b32 s4, s0, s4
	s_and_not1_b32 exec_lo, exec_lo, s4
	s_cbranch_execnz .LBB646_374
; %bb.375:
	s_set_inst_prefetch_distance 0x2
	s_or_b32 exec_lo, exec_lo, s4
	v_lshlrev_b64 v[1:2], 7, v[16:17]
	v_cmp_ne_u64_e64 s0, v[14:15], v[16:17]
	s_delay_alu instid0(VALU_DEP_2) | instskip(NEXT) | instid1(VALU_DEP_3)
	v_or_b32_e32 v3, 0, v2
	v_or_b32_e32 v2, v1, v0
	v_lshl_or_b32 v0, v16, 7, v0
	s_delay_alu instid0(VALU_DEP_4)
	s_or_not1_b32 s6, s0, exec_lo
.LBB646_376:
	s_or_b32 exec_lo, exec_lo, s3
	s_delay_alu instid0(SALU_CYCLE_1) | instskip(SKIP_1) | instid1(SALU_CYCLE_1)
	s_and_not1_b32 s0, vcc_lo, exec_lo
	s_and_b32 s1, s6, exec_lo
	s_or_b32 vcc_lo, s0, s1
.LBB646_377:
	s_or_b32 exec_lo, exec_lo, s11
	s_delay_alu instid0(SALU_CYCLE_1)
	s_and_b32 exec_lo, exec_lo, vcc_lo
	s_cbranch_execz .LBB646_380
; %bb.378:
	v_lshlrev_b64 v[8:9], 1, v[6:7]
	v_lshlrev_b64 v[10:11], 1, v[12:13]
	v_add_nc_u32_e32 v0, 0x80, v0
	s_mov_b32 s1, 0
	s_delay_alu instid0(VALU_DEP_3) | instskip(NEXT) | instid1(VALU_DEP_4)
	v_add_co_u32 v1, vcc_lo, s12, v8
	v_add_co_ci_u32_e32 v9, vcc_lo, s13, v9, vcc_lo
	s_delay_alu instid0(VALU_DEP_2) | instskip(SKIP_1) | instid1(VALU_DEP_3)
	v_add_co_u32 v8, vcc_lo, v1, v10
	v_mov_b32_e32 v1, 0
	v_add_co_ci_u32_e32 v9, vcc_lo, v9, v11, vcc_lo
	.p2align	6
.LBB646_379:                            ; =>This Inner Loop Header: Depth=1
	v_lshlrev_b32_e32 v10, 1, v2
	s_delay_alu instid0(VALU_DEP_3)
	v_cmp_le_u64_e32 vcc_lo, v[4:5], v[0:1]
	ds_load_u16 v14, v10
	v_lshlrev_b64 v[10:11], 1, v[2:3]
	v_dual_mov_b32 v3, v1 :: v_dual_mov_b32 v2, v0
	v_add_nc_u32_e32 v0, 0x80, v0
	s_or_b32 s1, vcc_lo, s1
	s_delay_alu instid0(VALU_DEP_3) | instskip(NEXT) | instid1(VALU_DEP_1)
	v_add_co_u32 v10, s0, v8, v10
	v_add_co_ci_u32_e64 v11, s0, v9, v11, s0
	s_waitcnt lgkmcnt(0)
	global_store_b16 v[10:11], v14, off
	s_and_not1_b32 exec_lo, exec_lo, s1
	s_cbranch_execnz .LBB646_379
.LBB646_380:
	s_or_b32 exec_lo, exec_lo, s10
	s_and_b32 s0, s2, s5
	s_delay_alu instid0(SALU_CYCLE_1)
	s_and_saveexec_b32 s1, s0
	s_cbranch_execz .LBB646_219
.LBB646_381:
	v_add_co_u32 v0, vcc_lo, v6, v4
	v_add_co_ci_u32_e32 v1, vcc_lo, v7, v5, vcc_lo
	v_mov_b32_e32 v2, 0
	s_delay_alu instid0(VALU_DEP_3) | instskip(NEXT) | instid1(VALU_DEP_3)
	v_add_co_u32 v0, vcc_lo, v0, v12
	v_add_co_ci_u32_e32 v1, vcc_lo, v1, v13, vcc_lo
	global_store_b64 v2, v[0:1], s[8:9]
	s_nop 0
	s_sendmsg sendmsg(MSG_DEALLOC_VGPRS)
	s_endpgm
	.section	.rodata,"a",@progbits
	.p2align	6, 0x0
	.amdhsa_kernel _ZN7rocprim17ROCPRIM_400000_NS6detail17trampoline_kernelINS0_14default_configENS1_25partition_config_selectorILNS1_17partition_subalgoE6EsNS0_10empty_typeEbEEZZNS1_14partition_implILS5_6ELb0ES3_mN6thrust23THRUST_200600_302600_NS6detail15normal_iteratorINSA_10device_ptrIsEEEEPS6_SG_NS0_5tupleIJSF_S6_EEENSH_IJSG_SG_EEES6_PlJ5mod_3IsEEEE10hipError_tPvRmT3_T4_T5_T6_T7_T9_mT8_P12ihipStream_tbDpT10_ENKUlT_T0_E_clISt17integral_constantIbLb0EES15_IbLb1EEEEDaS11_S12_EUlS11_E_NS1_11comp_targetILNS1_3genE9ELNS1_11target_archE1100ELNS1_3gpuE3ELNS1_3repE0EEENS1_30default_config_static_selectorELNS0_4arch9wavefront6targetE0EEEvT1_
		.amdhsa_group_segment_fixed_size 7696
		.amdhsa_private_segment_fixed_size 0
		.amdhsa_kernarg_size 128
		.amdhsa_user_sgpr_count 15
		.amdhsa_user_sgpr_dispatch_ptr 0
		.amdhsa_user_sgpr_queue_ptr 0
		.amdhsa_user_sgpr_kernarg_segment_ptr 1
		.amdhsa_user_sgpr_dispatch_id 0
		.amdhsa_user_sgpr_private_segment_size 0
		.amdhsa_wavefront_size32 1
		.amdhsa_uses_dynamic_stack 0
		.amdhsa_enable_private_segment 0
		.amdhsa_system_sgpr_workgroup_id_x 1
		.amdhsa_system_sgpr_workgroup_id_y 0
		.amdhsa_system_sgpr_workgroup_id_z 0
		.amdhsa_system_sgpr_workgroup_info 0
		.amdhsa_system_vgpr_workitem_id 0
		.amdhsa_next_free_vgpr 133
		.amdhsa_next_free_sgpr 19
		.amdhsa_reserve_vcc 1
		.amdhsa_float_round_mode_32 0
		.amdhsa_float_round_mode_16_64 0
		.amdhsa_float_denorm_mode_32 3
		.amdhsa_float_denorm_mode_16_64 3
		.amdhsa_dx10_clamp 1
		.amdhsa_ieee_mode 1
		.amdhsa_fp16_overflow 0
		.amdhsa_workgroup_processor_mode 1
		.amdhsa_memory_ordered 1
		.amdhsa_forward_progress 0
		.amdhsa_shared_vgpr_count 0
		.amdhsa_exception_fp_ieee_invalid_op 0
		.amdhsa_exception_fp_denorm_src 0
		.amdhsa_exception_fp_ieee_div_zero 0
		.amdhsa_exception_fp_ieee_overflow 0
		.amdhsa_exception_fp_ieee_underflow 0
		.amdhsa_exception_fp_ieee_inexact 0
		.amdhsa_exception_int_div_zero 0
	.end_amdhsa_kernel
	.section	.text._ZN7rocprim17ROCPRIM_400000_NS6detail17trampoline_kernelINS0_14default_configENS1_25partition_config_selectorILNS1_17partition_subalgoE6EsNS0_10empty_typeEbEEZZNS1_14partition_implILS5_6ELb0ES3_mN6thrust23THRUST_200600_302600_NS6detail15normal_iteratorINSA_10device_ptrIsEEEEPS6_SG_NS0_5tupleIJSF_S6_EEENSH_IJSG_SG_EEES6_PlJ5mod_3IsEEEE10hipError_tPvRmT3_T4_T5_T6_T7_T9_mT8_P12ihipStream_tbDpT10_ENKUlT_T0_E_clISt17integral_constantIbLb0EES15_IbLb1EEEEDaS11_S12_EUlS11_E_NS1_11comp_targetILNS1_3genE9ELNS1_11target_archE1100ELNS1_3gpuE3ELNS1_3repE0EEENS1_30default_config_static_selectorELNS0_4arch9wavefront6targetE0EEEvT1_,"axG",@progbits,_ZN7rocprim17ROCPRIM_400000_NS6detail17trampoline_kernelINS0_14default_configENS1_25partition_config_selectorILNS1_17partition_subalgoE6EsNS0_10empty_typeEbEEZZNS1_14partition_implILS5_6ELb0ES3_mN6thrust23THRUST_200600_302600_NS6detail15normal_iteratorINSA_10device_ptrIsEEEEPS6_SG_NS0_5tupleIJSF_S6_EEENSH_IJSG_SG_EEES6_PlJ5mod_3IsEEEE10hipError_tPvRmT3_T4_T5_T6_T7_T9_mT8_P12ihipStream_tbDpT10_ENKUlT_T0_E_clISt17integral_constantIbLb0EES15_IbLb1EEEEDaS11_S12_EUlS11_E_NS1_11comp_targetILNS1_3genE9ELNS1_11target_archE1100ELNS1_3gpuE3ELNS1_3repE0EEENS1_30default_config_static_selectorELNS0_4arch9wavefront6targetE0EEEvT1_,comdat
.Lfunc_end646:
	.size	_ZN7rocprim17ROCPRIM_400000_NS6detail17trampoline_kernelINS0_14default_configENS1_25partition_config_selectorILNS1_17partition_subalgoE6EsNS0_10empty_typeEbEEZZNS1_14partition_implILS5_6ELb0ES3_mN6thrust23THRUST_200600_302600_NS6detail15normal_iteratorINSA_10device_ptrIsEEEEPS6_SG_NS0_5tupleIJSF_S6_EEENSH_IJSG_SG_EEES6_PlJ5mod_3IsEEEE10hipError_tPvRmT3_T4_T5_T6_T7_T9_mT8_P12ihipStream_tbDpT10_ENKUlT_T0_E_clISt17integral_constantIbLb0EES15_IbLb1EEEEDaS11_S12_EUlS11_E_NS1_11comp_targetILNS1_3genE9ELNS1_11target_archE1100ELNS1_3gpuE3ELNS1_3repE0EEENS1_30default_config_static_selectorELNS0_4arch9wavefront6targetE0EEEvT1_, .Lfunc_end646-_ZN7rocprim17ROCPRIM_400000_NS6detail17trampoline_kernelINS0_14default_configENS1_25partition_config_selectorILNS1_17partition_subalgoE6EsNS0_10empty_typeEbEEZZNS1_14partition_implILS5_6ELb0ES3_mN6thrust23THRUST_200600_302600_NS6detail15normal_iteratorINSA_10device_ptrIsEEEEPS6_SG_NS0_5tupleIJSF_S6_EEENSH_IJSG_SG_EEES6_PlJ5mod_3IsEEEE10hipError_tPvRmT3_T4_T5_T6_T7_T9_mT8_P12ihipStream_tbDpT10_ENKUlT_T0_E_clISt17integral_constantIbLb0EES15_IbLb1EEEEDaS11_S12_EUlS11_E_NS1_11comp_targetILNS1_3genE9ELNS1_11target_archE1100ELNS1_3gpuE3ELNS1_3repE0EEENS1_30default_config_static_selectorELNS0_4arch9wavefront6targetE0EEEvT1_
                                        ; -- End function
	.section	.AMDGPU.csdata,"",@progbits
; Kernel info:
; codeLenInByte = 15472
; NumSgprs: 21
; NumVgprs: 133
; ScratchSize: 0
; MemoryBound: 0
; FloatMode: 240
; IeeeMode: 1
; LDSByteSize: 7696 bytes/workgroup (compile time only)
; SGPRBlocks: 2
; VGPRBlocks: 16
; NumSGPRsForWavesPerEU: 21
; NumVGPRsForWavesPerEU: 133
; Occupancy: 10
; WaveLimiterHint : 1
; COMPUTE_PGM_RSRC2:SCRATCH_EN: 0
; COMPUTE_PGM_RSRC2:USER_SGPR: 15
; COMPUTE_PGM_RSRC2:TRAP_HANDLER: 0
; COMPUTE_PGM_RSRC2:TGID_X_EN: 1
; COMPUTE_PGM_RSRC2:TGID_Y_EN: 0
; COMPUTE_PGM_RSRC2:TGID_Z_EN: 0
; COMPUTE_PGM_RSRC2:TIDIG_COMP_CNT: 0
	.section	.text._ZN7rocprim17ROCPRIM_400000_NS6detail17trampoline_kernelINS0_14default_configENS1_25partition_config_selectorILNS1_17partition_subalgoE6EsNS0_10empty_typeEbEEZZNS1_14partition_implILS5_6ELb0ES3_mN6thrust23THRUST_200600_302600_NS6detail15normal_iteratorINSA_10device_ptrIsEEEEPS6_SG_NS0_5tupleIJSF_S6_EEENSH_IJSG_SG_EEES6_PlJ5mod_3IsEEEE10hipError_tPvRmT3_T4_T5_T6_T7_T9_mT8_P12ihipStream_tbDpT10_ENKUlT_T0_E_clISt17integral_constantIbLb0EES15_IbLb1EEEEDaS11_S12_EUlS11_E_NS1_11comp_targetILNS1_3genE8ELNS1_11target_archE1030ELNS1_3gpuE2ELNS1_3repE0EEENS1_30default_config_static_selectorELNS0_4arch9wavefront6targetE0EEEvT1_,"axG",@progbits,_ZN7rocprim17ROCPRIM_400000_NS6detail17trampoline_kernelINS0_14default_configENS1_25partition_config_selectorILNS1_17partition_subalgoE6EsNS0_10empty_typeEbEEZZNS1_14partition_implILS5_6ELb0ES3_mN6thrust23THRUST_200600_302600_NS6detail15normal_iteratorINSA_10device_ptrIsEEEEPS6_SG_NS0_5tupleIJSF_S6_EEENSH_IJSG_SG_EEES6_PlJ5mod_3IsEEEE10hipError_tPvRmT3_T4_T5_T6_T7_T9_mT8_P12ihipStream_tbDpT10_ENKUlT_T0_E_clISt17integral_constantIbLb0EES15_IbLb1EEEEDaS11_S12_EUlS11_E_NS1_11comp_targetILNS1_3genE8ELNS1_11target_archE1030ELNS1_3gpuE2ELNS1_3repE0EEENS1_30default_config_static_selectorELNS0_4arch9wavefront6targetE0EEEvT1_,comdat
	.protected	_ZN7rocprim17ROCPRIM_400000_NS6detail17trampoline_kernelINS0_14default_configENS1_25partition_config_selectorILNS1_17partition_subalgoE6EsNS0_10empty_typeEbEEZZNS1_14partition_implILS5_6ELb0ES3_mN6thrust23THRUST_200600_302600_NS6detail15normal_iteratorINSA_10device_ptrIsEEEEPS6_SG_NS0_5tupleIJSF_S6_EEENSH_IJSG_SG_EEES6_PlJ5mod_3IsEEEE10hipError_tPvRmT3_T4_T5_T6_T7_T9_mT8_P12ihipStream_tbDpT10_ENKUlT_T0_E_clISt17integral_constantIbLb0EES15_IbLb1EEEEDaS11_S12_EUlS11_E_NS1_11comp_targetILNS1_3genE8ELNS1_11target_archE1030ELNS1_3gpuE2ELNS1_3repE0EEENS1_30default_config_static_selectorELNS0_4arch9wavefront6targetE0EEEvT1_ ; -- Begin function _ZN7rocprim17ROCPRIM_400000_NS6detail17trampoline_kernelINS0_14default_configENS1_25partition_config_selectorILNS1_17partition_subalgoE6EsNS0_10empty_typeEbEEZZNS1_14partition_implILS5_6ELb0ES3_mN6thrust23THRUST_200600_302600_NS6detail15normal_iteratorINSA_10device_ptrIsEEEEPS6_SG_NS0_5tupleIJSF_S6_EEENSH_IJSG_SG_EEES6_PlJ5mod_3IsEEEE10hipError_tPvRmT3_T4_T5_T6_T7_T9_mT8_P12ihipStream_tbDpT10_ENKUlT_T0_E_clISt17integral_constantIbLb0EES15_IbLb1EEEEDaS11_S12_EUlS11_E_NS1_11comp_targetILNS1_3genE8ELNS1_11target_archE1030ELNS1_3gpuE2ELNS1_3repE0EEENS1_30default_config_static_selectorELNS0_4arch9wavefront6targetE0EEEvT1_
	.globl	_ZN7rocprim17ROCPRIM_400000_NS6detail17trampoline_kernelINS0_14default_configENS1_25partition_config_selectorILNS1_17partition_subalgoE6EsNS0_10empty_typeEbEEZZNS1_14partition_implILS5_6ELb0ES3_mN6thrust23THRUST_200600_302600_NS6detail15normal_iteratorINSA_10device_ptrIsEEEEPS6_SG_NS0_5tupleIJSF_S6_EEENSH_IJSG_SG_EEES6_PlJ5mod_3IsEEEE10hipError_tPvRmT3_T4_T5_T6_T7_T9_mT8_P12ihipStream_tbDpT10_ENKUlT_T0_E_clISt17integral_constantIbLb0EES15_IbLb1EEEEDaS11_S12_EUlS11_E_NS1_11comp_targetILNS1_3genE8ELNS1_11target_archE1030ELNS1_3gpuE2ELNS1_3repE0EEENS1_30default_config_static_selectorELNS0_4arch9wavefront6targetE0EEEvT1_
	.p2align	8
	.type	_ZN7rocprim17ROCPRIM_400000_NS6detail17trampoline_kernelINS0_14default_configENS1_25partition_config_selectorILNS1_17partition_subalgoE6EsNS0_10empty_typeEbEEZZNS1_14partition_implILS5_6ELb0ES3_mN6thrust23THRUST_200600_302600_NS6detail15normal_iteratorINSA_10device_ptrIsEEEEPS6_SG_NS0_5tupleIJSF_S6_EEENSH_IJSG_SG_EEES6_PlJ5mod_3IsEEEE10hipError_tPvRmT3_T4_T5_T6_T7_T9_mT8_P12ihipStream_tbDpT10_ENKUlT_T0_E_clISt17integral_constantIbLb0EES15_IbLb1EEEEDaS11_S12_EUlS11_E_NS1_11comp_targetILNS1_3genE8ELNS1_11target_archE1030ELNS1_3gpuE2ELNS1_3repE0EEENS1_30default_config_static_selectorELNS0_4arch9wavefront6targetE0EEEvT1_,@function
_ZN7rocprim17ROCPRIM_400000_NS6detail17trampoline_kernelINS0_14default_configENS1_25partition_config_selectorILNS1_17partition_subalgoE6EsNS0_10empty_typeEbEEZZNS1_14partition_implILS5_6ELb0ES3_mN6thrust23THRUST_200600_302600_NS6detail15normal_iteratorINSA_10device_ptrIsEEEEPS6_SG_NS0_5tupleIJSF_S6_EEENSH_IJSG_SG_EEES6_PlJ5mod_3IsEEEE10hipError_tPvRmT3_T4_T5_T6_T7_T9_mT8_P12ihipStream_tbDpT10_ENKUlT_T0_E_clISt17integral_constantIbLb0EES15_IbLb1EEEEDaS11_S12_EUlS11_E_NS1_11comp_targetILNS1_3genE8ELNS1_11target_archE1030ELNS1_3gpuE2ELNS1_3repE0EEENS1_30default_config_static_selectorELNS0_4arch9wavefront6targetE0EEEvT1_: ; @_ZN7rocprim17ROCPRIM_400000_NS6detail17trampoline_kernelINS0_14default_configENS1_25partition_config_selectorILNS1_17partition_subalgoE6EsNS0_10empty_typeEbEEZZNS1_14partition_implILS5_6ELb0ES3_mN6thrust23THRUST_200600_302600_NS6detail15normal_iteratorINSA_10device_ptrIsEEEEPS6_SG_NS0_5tupleIJSF_S6_EEENSH_IJSG_SG_EEES6_PlJ5mod_3IsEEEE10hipError_tPvRmT3_T4_T5_T6_T7_T9_mT8_P12ihipStream_tbDpT10_ENKUlT_T0_E_clISt17integral_constantIbLb0EES15_IbLb1EEEEDaS11_S12_EUlS11_E_NS1_11comp_targetILNS1_3genE8ELNS1_11target_archE1030ELNS1_3gpuE2ELNS1_3repE0EEENS1_30default_config_static_selectorELNS0_4arch9wavefront6targetE0EEEvT1_
; %bb.0:
	.section	.rodata,"a",@progbits
	.p2align	6, 0x0
	.amdhsa_kernel _ZN7rocprim17ROCPRIM_400000_NS6detail17trampoline_kernelINS0_14default_configENS1_25partition_config_selectorILNS1_17partition_subalgoE6EsNS0_10empty_typeEbEEZZNS1_14partition_implILS5_6ELb0ES3_mN6thrust23THRUST_200600_302600_NS6detail15normal_iteratorINSA_10device_ptrIsEEEEPS6_SG_NS0_5tupleIJSF_S6_EEENSH_IJSG_SG_EEES6_PlJ5mod_3IsEEEE10hipError_tPvRmT3_T4_T5_T6_T7_T9_mT8_P12ihipStream_tbDpT10_ENKUlT_T0_E_clISt17integral_constantIbLb0EES15_IbLb1EEEEDaS11_S12_EUlS11_E_NS1_11comp_targetILNS1_3genE8ELNS1_11target_archE1030ELNS1_3gpuE2ELNS1_3repE0EEENS1_30default_config_static_selectorELNS0_4arch9wavefront6targetE0EEEvT1_
		.amdhsa_group_segment_fixed_size 0
		.amdhsa_private_segment_fixed_size 0
		.amdhsa_kernarg_size 128
		.amdhsa_user_sgpr_count 15
		.amdhsa_user_sgpr_dispatch_ptr 0
		.amdhsa_user_sgpr_queue_ptr 0
		.amdhsa_user_sgpr_kernarg_segment_ptr 1
		.amdhsa_user_sgpr_dispatch_id 0
		.amdhsa_user_sgpr_private_segment_size 0
		.amdhsa_wavefront_size32 1
		.amdhsa_uses_dynamic_stack 0
		.amdhsa_enable_private_segment 0
		.amdhsa_system_sgpr_workgroup_id_x 1
		.amdhsa_system_sgpr_workgroup_id_y 0
		.amdhsa_system_sgpr_workgroup_id_z 0
		.amdhsa_system_sgpr_workgroup_info 0
		.amdhsa_system_vgpr_workitem_id 0
		.amdhsa_next_free_vgpr 1
		.amdhsa_next_free_sgpr 1
		.amdhsa_reserve_vcc 0
		.amdhsa_float_round_mode_32 0
		.amdhsa_float_round_mode_16_64 0
		.amdhsa_float_denorm_mode_32 3
		.amdhsa_float_denorm_mode_16_64 3
		.amdhsa_dx10_clamp 1
		.amdhsa_ieee_mode 1
		.amdhsa_fp16_overflow 0
		.amdhsa_workgroup_processor_mode 1
		.amdhsa_memory_ordered 1
		.amdhsa_forward_progress 0
		.amdhsa_shared_vgpr_count 0
		.amdhsa_exception_fp_ieee_invalid_op 0
		.amdhsa_exception_fp_denorm_src 0
		.amdhsa_exception_fp_ieee_div_zero 0
		.amdhsa_exception_fp_ieee_overflow 0
		.amdhsa_exception_fp_ieee_underflow 0
		.amdhsa_exception_fp_ieee_inexact 0
		.amdhsa_exception_int_div_zero 0
	.end_amdhsa_kernel
	.section	.text._ZN7rocprim17ROCPRIM_400000_NS6detail17trampoline_kernelINS0_14default_configENS1_25partition_config_selectorILNS1_17partition_subalgoE6EsNS0_10empty_typeEbEEZZNS1_14partition_implILS5_6ELb0ES3_mN6thrust23THRUST_200600_302600_NS6detail15normal_iteratorINSA_10device_ptrIsEEEEPS6_SG_NS0_5tupleIJSF_S6_EEENSH_IJSG_SG_EEES6_PlJ5mod_3IsEEEE10hipError_tPvRmT3_T4_T5_T6_T7_T9_mT8_P12ihipStream_tbDpT10_ENKUlT_T0_E_clISt17integral_constantIbLb0EES15_IbLb1EEEEDaS11_S12_EUlS11_E_NS1_11comp_targetILNS1_3genE8ELNS1_11target_archE1030ELNS1_3gpuE2ELNS1_3repE0EEENS1_30default_config_static_selectorELNS0_4arch9wavefront6targetE0EEEvT1_,"axG",@progbits,_ZN7rocprim17ROCPRIM_400000_NS6detail17trampoline_kernelINS0_14default_configENS1_25partition_config_selectorILNS1_17partition_subalgoE6EsNS0_10empty_typeEbEEZZNS1_14partition_implILS5_6ELb0ES3_mN6thrust23THRUST_200600_302600_NS6detail15normal_iteratorINSA_10device_ptrIsEEEEPS6_SG_NS0_5tupleIJSF_S6_EEENSH_IJSG_SG_EEES6_PlJ5mod_3IsEEEE10hipError_tPvRmT3_T4_T5_T6_T7_T9_mT8_P12ihipStream_tbDpT10_ENKUlT_T0_E_clISt17integral_constantIbLb0EES15_IbLb1EEEEDaS11_S12_EUlS11_E_NS1_11comp_targetILNS1_3genE8ELNS1_11target_archE1030ELNS1_3gpuE2ELNS1_3repE0EEENS1_30default_config_static_selectorELNS0_4arch9wavefront6targetE0EEEvT1_,comdat
.Lfunc_end647:
	.size	_ZN7rocprim17ROCPRIM_400000_NS6detail17trampoline_kernelINS0_14default_configENS1_25partition_config_selectorILNS1_17partition_subalgoE6EsNS0_10empty_typeEbEEZZNS1_14partition_implILS5_6ELb0ES3_mN6thrust23THRUST_200600_302600_NS6detail15normal_iteratorINSA_10device_ptrIsEEEEPS6_SG_NS0_5tupleIJSF_S6_EEENSH_IJSG_SG_EEES6_PlJ5mod_3IsEEEE10hipError_tPvRmT3_T4_T5_T6_T7_T9_mT8_P12ihipStream_tbDpT10_ENKUlT_T0_E_clISt17integral_constantIbLb0EES15_IbLb1EEEEDaS11_S12_EUlS11_E_NS1_11comp_targetILNS1_3genE8ELNS1_11target_archE1030ELNS1_3gpuE2ELNS1_3repE0EEENS1_30default_config_static_selectorELNS0_4arch9wavefront6targetE0EEEvT1_, .Lfunc_end647-_ZN7rocprim17ROCPRIM_400000_NS6detail17trampoline_kernelINS0_14default_configENS1_25partition_config_selectorILNS1_17partition_subalgoE6EsNS0_10empty_typeEbEEZZNS1_14partition_implILS5_6ELb0ES3_mN6thrust23THRUST_200600_302600_NS6detail15normal_iteratorINSA_10device_ptrIsEEEEPS6_SG_NS0_5tupleIJSF_S6_EEENSH_IJSG_SG_EEES6_PlJ5mod_3IsEEEE10hipError_tPvRmT3_T4_T5_T6_T7_T9_mT8_P12ihipStream_tbDpT10_ENKUlT_T0_E_clISt17integral_constantIbLb0EES15_IbLb1EEEEDaS11_S12_EUlS11_E_NS1_11comp_targetILNS1_3genE8ELNS1_11target_archE1030ELNS1_3gpuE2ELNS1_3repE0EEENS1_30default_config_static_selectorELNS0_4arch9wavefront6targetE0EEEvT1_
                                        ; -- End function
	.section	.AMDGPU.csdata,"",@progbits
; Kernel info:
; codeLenInByte = 0
; NumSgprs: 0
; NumVgprs: 0
; ScratchSize: 0
; MemoryBound: 0
; FloatMode: 240
; IeeeMode: 1
; LDSByteSize: 0 bytes/workgroup (compile time only)
; SGPRBlocks: 0
; VGPRBlocks: 0
; NumSGPRsForWavesPerEU: 1
; NumVGPRsForWavesPerEU: 1
; Occupancy: 16
; WaveLimiterHint : 0
; COMPUTE_PGM_RSRC2:SCRATCH_EN: 0
; COMPUTE_PGM_RSRC2:USER_SGPR: 15
; COMPUTE_PGM_RSRC2:TRAP_HANDLER: 0
; COMPUTE_PGM_RSRC2:TGID_X_EN: 1
; COMPUTE_PGM_RSRC2:TGID_Y_EN: 0
; COMPUTE_PGM_RSRC2:TGID_Z_EN: 0
; COMPUTE_PGM_RSRC2:TIDIG_COMP_CNT: 0
	.section	.text._ZN6thrust23THRUST_200600_302600_NS11hip_rocprim14__parallel_for6kernelILj256ENS1_10for_each_fINS0_10device_ptrI10large_dataEENS0_6detail16wrapped_functionINS8_23allocator_traits_detail24construct1_via_allocatorINS0_16device_allocatorIS6_EEEEvEEEEmLj1EEEvT0_T1_SI_,"axG",@progbits,_ZN6thrust23THRUST_200600_302600_NS11hip_rocprim14__parallel_for6kernelILj256ENS1_10for_each_fINS0_10device_ptrI10large_dataEENS0_6detail16wrapped_functionINS8_23allocator_traits_detail24construct1_via_allocatorINS0_16device_allocatorIS6_EEEEvEEEEmLj1EEEvT0_T1_SI_,comdat
	.protected	_ZN6thrust23THRUST_200600_302600_NS11hip_rocprim14__parallel_for6kernelILj256ENS1_10for_each_fINS0_10device_ptrI10large_dataEENS0_6detail16wrapped_functionINS8_23allocator_traits_detail24construct1_via_allocatorINS0_16device_allocatorIS6_EEEEvEEEEmLj1EEEvT0_T1_SI_ ; -- Begin function _ZN6thrust23THRUST_200600_302600_NS11hip_rocprim14__parallel_for6kernelILj256ENS1_10for_each_fINS0_10device_ptrI10large_dataEENS0_6detail16wrapped_functionINS8_23allocator_traits_detail24construct1_via_allocatorINS0_16device_allocatorIS6_EEEEvEEEEmLj1EEEvT0_T1_SI_
	.globl	_ZN6thrust23THRUST_200600_302600_NS11hip_rocprim14__parallel_for6kernelILj256ENS1_10for_each_fINS0_10device_ptrI10large_dataEENS0_6detail16wrapped_functionINS8_23allocator_traits_detail24construct1_via_allocatorINS0_16device_allocatorIS6_EEEEvEEEEmLj1EEEvT0_T1_SI_
	.p2align	8
	.type	_ZN6thrust23THRUST_200600_302600_NS11hip_rocprim14__parallel_for6kernelILj256ENS1_10for_each_fINS0_10device_ptrI10large_dataEENS0_6detail16wrapped_functionINS8_23allocator_traits_detail24construct1_via_allocatorINS0_16device_allocatorIS6_EEEEvEEEEmLj1EEEvT0_T1_SI_,@function
_ZN6thrust23THRUST_200600_302600_NS11hip_rocprim14__parallel_for6kernelILj256ENS1_10for_each_fINS0_10device_ptrI10large_dataEENS0_6detail16wrapped_functionINS8_23allocator_traits_detail24construct1_via_allocatorINS0_16device_allocatorIS6_EEEEvEEEEmLj1EEEvT0_T1_SI_: ; @_ZN6thrust23THRUST_200600_302600_NS11hip_rocprim14__parallel_for6kernelILj256ENS1_10for_each_fINS0_10device_ptrI10large_dataEENS0_6detail16wrapped_functionINS8_23allocator_traits_detail24construct1_via_allocatorINS0_16device_allocatorIS6_EEEEvEEEEmLj1EEEvT0_T1_SI_
; %bb.0:
	s_load_b128 s[4:7], s[0:1], 0x10
	s_lshl_b32 s2, s15, 8
	s_waitcnt lgkmcnt(0)
	s_add_u32 s2, s2, s6
	s_addc_u32 s3, 0, s7
	s_sub_u32 s4, s4, s2
	s_subb_u32 s5, s5, s3
	s_delay_alu instid0(SALU_CYCLE_1) | instskip(NEXT) | instid1(VALU_DEP_1)
	v_cmp_gt_u64_e64 s5, 0x100, s[4:5]
	s_and_b32 vcc_lo, exec_lo, s5
	s_mov_b32 s5, 0
	s_cbranch_vccz .LBB648_2
; %bb.1:
	v_cmp_gt_u32_e32 vcc_lo, s4, v0
	s_and_b32 s5, vcc_lo, exec_lo
	s_cbranch_execz .LBB648_3
	s_branch .LBB648_4
.LBB648_2:
.LBB648_3:
	s_or_b32 s5, s5, exec_lo
.LBB648_4:
	s_delay_alu instid0(SALU_CYCLE_1)
	s_and_saveexec_b32 s4, s5
	s_cbranch_execnz .LBB648_6
; %bb.5:
	s_endpgm
.LBB648_6:
	s_load_b64 s[0:1], s[0:1], 0x0
	v_mov_b32_e32 v1, 0
	s_lshl_b64 s[2:3], s[2:3], 9
	s_delay_alu instid0(VALU_DEP_1) | instskip(SKIP_3) | instid1(VALU_DEP_1)
	v_lshlrev_b64 v[2:3], 9, v[0:1]
	s_waitcnt lgkmcnt(0)
	s_add_u32 s0, s0, s2
	s_addc_u32 s1, s1, s3
	v_add_co_u32 v2, vcc_lo, s0, v2
	s_delay_alu instid0(VALU_DEP_2)
	v_add_co_ci_u32_e32 v3, vcc_lo, s1, v3, vcc_lo
	flat_store_b8 v[2:3], v1
	s_endpgm
	.section	.rodata,"a",@progbits
	.p2align	6, 0x0
	.amdhsa_kernel _ZN6thrust23THRUST_200600_302600_NS11hip_rocprim14__parallel_for6kernelILj256ENS1_10for_each_fINS0_10device_ptrI10large_dataEENS0_6detail16wrapped_functionINS8_23allocator_traits_detail24construct1_via_allocatorINS0_16device_allocatorIS6_EEEEvEEEEmLj1EEEvT0_T1_SI_
		.amdhsa_group_segment_fixed_size 0
		.amdhsa_private_segment_fixed_size 0
		.amdhsa_kernarg_size 32
		.amdhsa_user_sgpr_count 15
		.amdhsa_user_sgpr_dispatch_ptr 0
		.amdhsa_user_sgpr_queue_ptr 0
		.amdhsa_user_sgpr_kernarg_segment_ptr 1
		.amdhsa_user_sgpr_dispatch_id 0
		.amdhsa_user_sgpr_private_segment_size 0
		.amdhsa_wavefront_size32 1
		.amdhsa_uses_dynamic_stack 0
		.amdhsa_enable_private_segment 0
		.amdhsa_system_sgpr_workgroup_id_x 1
		.amdhsa_system_sgpr_workgroup_id_y 0
		.amdhsa_system_sgpr_workgroup_id_z 0
		.amdhsa_system_sgpr_workgroup_info 0
		.amdhsa_system_vgpr_workitem_id 0
		.amdhsa_next_free_vgpr 4
		.amdhsa_next_free_sgpr 16
		.amdhsa_reserve_vcc 1
		.amdhsa_float_round_mode_32 0
		.amdhsa_float_round_mode_16_64 0
		.amdhsa_float_denorm_mode_32 3
		.amdhsa_float_denorm_mode_16_64 3
		.amdhsa_dx10_clamp 1
		.amdhsa_ieee_mode 1
		.amdhsa_fp16_overflow 0
		.amdhsa_workgroup_processor_mode 1
		.amdhsa_memory_ordered 1
		.amdhsa_forward_progress 0
		.amdhsa_shared_vgpr_count 0
		.amdhsa_exception_fp_ieee_invalid_op 0
		.amdhsa_exception_fp_denorm_src 0
		.amdhsa_exception_fp_ieee_div_zero 0
		.amdhsa_exception_fp_ieee_overflow 0
		.amdhsa_exception_fp_ieee_underflow 0
		.amdhsa_exception_fp_ieee_inexact 0
		.amdhsa_exception_int_div_zero 0
	.end_amdhsa_kernel
	.section	.text._ZN6thrust23THRUST_200600_302600_NS11hip_rocprim14__parallel_for6kernelILj256ENS1_10for_each_fINS0_10device_ptrI10large_dataEENS0_6detail16wrapped_functionINS8_23allocator_traits_detail24construct1_via_allocatorINS0_16device_allocatorIS6_EEEEvEEEEmLj1EEEvT0_T1_SI_,"axG",@progbits,_ZN6thrust23THRUST_200600_302600_NS11hip_rocprim14__parallel_for6kernelILj256ENS1_10for_each_fINS0_10device_ptrI10large_dataEENS0_6detail16wrapped_functionINS8_23allocator_traits_detail24construct1_via_allocatorINS0_16device_allocatorIS6_EEEEvEEEEmLj1EEEvT0_T1_SI_,comdat
.Lfunc_end648:
	.size	_ZN6thrust23THRUST_200600_302600_NS11hip_rocprim14__parallel_for6kernelILj256ENS1_10for_each_fINS0_10device_ptrI10large_dataEENS0_6detail16wrapped_functionINS8_23allocator_traits_detail24construct1_via_allocatorINS0_16device_allocatorIS6_EEEEvEEEEmLj1EEEvT0_T1_SI_, .Lfunc_end648-_ZN6thrust23THRUST_200600_302600_NS11hip_rocprim14__parallel_for6kernelILj256ENS1_10for_each_fINS0_10device_ptrI10large_dataEENS0_6detail16wrapped_functionINS8_23allocator_traits_detail24construct1_via_allocatorINS0_16device_allocatorIS6_EEEEvEEEEmLj1EEEvT0_T1_SI_
                                        ; -- End function
	.section	.AMDGPU.csdata,"",@progbits
; Kernel info:
; codeLenInByte = 164
; NumSgprs: 18
; NumVgprs: 4
; ScratchSize: 0
; MemoryBound: 0
; FloatMode: 240
; IeeeMode: 1
; LDSByteSize: 0 bytes/workgroup (compile time only)
; SGPRBlocks: 2
; VGPRBlocks: 0
; NumSGPRsForWavesPerEU: 18
; NumVGPRsForWavesPerEU: 4
; Occupancy: 16
; WaveLimiterHint : 0
; COMPUTE_PGM_RSRC2:SCRATCH_EN: 0
; COMPUTE_PGM_RSRC2:USER_SGPR: 15
; COMPUTE_PGM_RSRC2:TRAP_HANDLER: 0
; COMPUTE_PGM_RSRC2:TGID_X_EN: 1
; COMPUTE_PGM_RSRC2:TGID_Y_EN: 0
; COMPUTE_PGM_RSRC2:TGID_Z_EN: 0
; COMPUTE_PGM_RSRC2:TIDIG_COMP_CNT: 0
	.section	.text._ZN6thrust23THRUST_200600_302600_NS11hip_rocprim14__parallel_for6kernelILj256ENS1_10__tabulate7functorINS0_6detail15normal_iteratorINS0_10device_ptrI10large_dataEEEENS0_6system6detail7generic6detail22compute_sequence_valueIS9_vEElEElLj1EEEvT0_T1_SK_,"axG",@progbits,_ZN6thrust23THRUST_200600_302600_NS11hip_rocprim14__parallel_for6kernelILj256ENS1_10__tabulate7functorINS0_6detail15normal_iteratorINS0_10device_ptrI10large_dataEEEENS0_6system6detail7generic6detail22compute_sequence_valueIS9_vEElEElLj1EEEvT0_T1_SK_,comdat
	.protected	_ZN6thrust23THRUST_200600_302600_NS11hip_rocprim14__parallel_for6kernelILj256ENS1_10__tabulate7functorINS0_6detail15normal_iteratorINS0_10device_ptrI10large_dataEEEENS0_6system6detail7generic6detail22compute_sequence_valueIS9_vEElEElLj1EEEvT0_T1_SK_ ; -- Begin function _ZN6thrust23THRUST_200600_302600_NS11hip_rocprim14__parallel_for6kernelILj256ENS1_10__tabulate7functorINS0_6detail15normal_iteratorINS0_10device_ptrI10large_dataEEEENS0_6system6detail7generic6detail22compute_sequence_valueIS9_vEElEElLj1EEEvT0_T1_SK_
	.globl	_ZN6thrust23THRUST_200600_302600_NS11hip_rocprim14__parallel_for6kernelILj256ENS1_10__tabulate7functorINS0_6detail15normal_iteratorINS0_10device_ptrI10large_dataEEEENS0_6system6detail7generic6detail22compute_sequence_valueIS9_vEElEElLj1EEEvT0_T1_SK_
	.p2align	8
	.type	_ZN6thrust23THRUST_200600_302600_NS11hip_rocprim14__parallel_for6kernelILj256ENS1_10__tabulate7functorINS0_6detail15normal_iteratorINS0_10device_ptrI10large_dataEEEENS0_6system6detail7generic6detail22compute_sequence_valueIS9_vEElEElLj1EEEvT0_T1_SK_,@function
_ZN6thrust23THRUST_200600_302600_NS11hip_rocprim14__parallel_for6kernelILj256ENS1_10__tabulate7functorINS0_6detail15normal_iteratorINS0_10device_ptrI10large_dataEEEENS0_6system6detail7generic6detail22compute_sequence_valueIS9_vEElEElLj1EEEvT0_T1_SK_: ; @_ZN6thrust23THRUST_200600_302600_NS11hip_rocprim14__parallel_for6kernelILj256ENS1_10__tabulate7functorINS0_6detail15normal_iteratorINS0_10device_ptrI10large_dataEEEENS0_6system6detail7generic6detail22compute_sequence_valueIS9_vEElEElLj1EEEvT0_T1_SK_
; %bb.0:
	s_load_b128 s[4:7], s[0:1], 0x408
	s_lshl_b32 s2, s15, 8
	s_waitcnt lgkmcnt(0)
	s_add_u32 s2, s2, s6
	s_addc_u32 s3, 0, s7
	s_sub_u32 s4, s4, s2
	s_subb_u32 s5, s5, s3
	s_delay_alu instid0(SALU_CYCLE_1) | instskip(NEXT) | instid1(VALU_DEP_1)
	v_cmp_gt_i64_e64 s5, 0x100, s[4:5]
	s_and_b32 s5, s5, exec_lo
	s_cselect_b32 s4, s4, 0x100
	s_delay_alu instid0(SALU_CYCLE_1) | instskip(SKIP_2) | instid1(SALU_CYCLE_1)
	v_cmp_gt_u32_e32 vcc_lo, s4, v0
	s_cmpk_eq_i32 s4, 0x100
	s_cselect_b32 s4, -1, 0
	s_or_b32 s4, s4, vcc_lo
	s_delay_alu instid0(SALU_CYCLE_1)
	s_and_saveexec_b32 s5, s4
	s_cbranch_execz .LBB649_2
; %bb.1:
	s_clause 0x2
	s_load_b32 s4, s[0:1], 0x208
	s_load_b32 s5, s[0:1], 0x8
	s_load_b64 s[0:1], s[0:1], 0x0
	v_add_co_u32 v0, s2, s2, v0
	s_delay_alu instid0(VALU_DEP_1) | instskip(NEXT) | instid1(VALU_DEP_1)
	v_add_co_ci_u32_e64 v1, null, s3, 0, s2
	v_lshlrev_b64 v[1:2], 9, v[0:1]
	s_waitcnt lgkmcnt(0)
	v_mad_u16 v3, s4, v0, s5
	s_delay_alu instid0(VALU_DEP_2) | instskip(NEXT) | instid1(VALU_DEP_3)
	v_add_co_u32 v0, vcc_lo, s0, v1
	v_add_co_ci_u32_e32 v1, vcc_lo, s1, v2, vcc_lo
	flat_store_b8 v[0:1], v3
.LBB649_2:
	s_endpgm
	.section	.rodata,"a",@progbits
	.p2align	6, 0x0
	.amdhsa_kernel _ZN6thrust23THRUST_200600_302600_NS11hip_rocprim14__parallel_for6kernelILj256ENS1_10__tabulate7functorINS0_6detail15normal_iteratorINS0_10device_ptrI10large_dataEEEENS0_6system6detail7generic6detail22compute_sequence_valueIS9_vEElEElLj1EEEvT0_T1_SK_
		.amdhsa_group_segment_fixed_size 0
		.amdhsa_private_segment_fixed_size 0
		.amdhsa_kernarg_size 1048
		.amdhsa_user_sgpr_count 15
		.amdhsa_user_sgpr_dispatch_ptr 0
		.amdhsa_user_sgpr_queue_ptr 0
		.amdhsa_user_sgpr_kernarg_segment_ptr 1
		.amdhsa_user_sgpr_dispatch_id 0
		.amdhsa_user_sgpr_private_segment_size 0
		.amdhsa_wavefront_size32 1
		.amdhsa_uses_dynamic_stack 0
		.amdhsa_enable_private_segment 0
		.amdhsa_system_sgpr_workgroup_id_x 1
		.amdhsa_system_sgpr_workgroup_id_y 0
		.amdhsa_system_sgpr_workgroup_id_z 0
		.amdhsa_system_sgpr_workgroup_info 0
		.amdhsa_system_vgpr_workitem_id 0
		.amdhsa_next_free_vgpr 4
		.amdhsa_next_free_sgpr 16
		.amdhsa_reserve_vcc 1
		.amdhsa_float_round_mode_32 0
		.amdhsa_float_round_mode_16_64 0
		.amdhsa_float_denorm_mode_32 3
		.amdhsa_float_denorm_mode_16_64 3
		.amdhsa_dx10_clamp 1
		.amdhsa_ieee_mode 1
		.amdhsa_fp16_overflow 0
		.amdhsa_workgroup_processor_mode 1
		.amdhsa_memory_ordered 1
		.amdhsa_forward_progress 0
		.amdhsa_shared_vgpr_count 0
		.amdhsa_exception_fp_ieee_invalid_op 0
		.amdhsa_exception_fp_denorm_src 0
		.amdhsa_exception_fp_ieee_div_zero 0
		.amdhsa_exception_fp_ieee_overflow 0
		.amdhsa_exception_fp_ieee_underflow 0
		.amdhsa_exception_fp_ieee_inexact 0
		.amdhsa_exception_int_div_zero 0
	.end_amdhsa_kernel
	.section	.text._ZN6thrust23THRUST_200600_302600_NS11hip_rocprim14__parallel_for6kernelILj256ENS1_10__tabulate7functorINS0_6detail15normal_iteratorINS0_10device_ptrI10large_dataEEEENS0_6system6detail7generic6detail22compute_sequence_valueIS9_vEElEElLj1EEEvT0_T1_SK_,"axG",@progbits,_ZN6thrust23THRUST_200600_302600_NS11hip_rocprim14__parallel_for6kernelILj256ENS1_10__tabulate7functorINS0_6detail15normal_iteratorINS0_10device_ptrI10large_dataEEEENS0_6system6detail7generic6detail22compute_sequence_valueIS9_vEElEElLj1EEEvT0_T1_SK_,comdat
.Lfunc_end649:
	.size	_ZN6thrust23THRUST_200600_302600_NS11hip_rocprim14__parallel_for6kernelILj256ENS1_10__tabulate7functorINS0_6detail15normal_iteratorINS0_10device_ptrI10large_dataEEEENS0_6system6detail7generic6detail22compute_sequence_valueIS9_vEElEElLj1EEEvT0_T1_SK_, .Lfunc_end649-_ZN6thrust23THRUST_200600_302600_NS11hip_rocprim14__parallel_for6kernelILj256ENS1_10__tabulate7functorINS0_6detail15normal_iteratorINS0_10device_ptrI10large_dataEEEENS0_6system6detail7generic6detail22compute_sequence_valueIS9_vEElEElLj1EEEvT0_T1_SK_
                                        ; -- End function
	.section	.AMDGPU.csdata,"",@progbits
; Kernel info:
; codeLenInByte = 188
; NumSgprs: 18
; NumVgprs: 4
; ScratchSize: 0
; MemoryBound: 0
; FloatMode: 240
; IeeeMode: 1
; LDSByteSize: 0 bytes/workgroup (compile time only)
; SGPRBlocks: 2
; VGPRBlocks: 0
; NumSGPRsForWavesPerEU: 18
; NumVGPRsForWavesPerEU: 4
; Occupancy: 16
; WaveLimiterHint : 1
; COMPUTE_PGM_RSRC2:SCRATCH_EN: 0
; COMPUTE_PGM_RSRC2:USER_SGPR: 15
; COMPUTE_PGM_RSRC2:TRAP_HANDLER: 0
; COMPUTE_PGM_RSRC2:TGID_X_EN: 1
; COMPUTE_PGM_RSRC2:TGID_Y_EN: 0
; COMPUTE_PGM_RSRC2:TGID_Z_EN: 0
; COMPUTE_PGM_RSRC2:TIDIG_COMP_CNT: 0
	.section	.text._ZN7rocprim17ROCPRIM_400000_NS6detail17trampoline_kernelINS0_14default_configENS1_25partition_config_selectorILNS1_17partition_subalgoE5E10large_dataNS0_10empty_typeEbEEZZNS1_14partition_implILS5_5ELb0ES3_mN6thrust23THRUST_200600_302600_NS6detail15normal_iteratorINSB_10device_ptrIS6_EEEEPS7_NSB_18transform_iteratorI7is_evenIS6_ESG_NSB_11use_defaultESL_EENS0_5tupleIJSG_S7_EEENSN_IJSH_SH_EEES7_PlJS7_EEE10hipError_tPvRmT3_T4_T5_T6_T7_T9_mT8_P12ihipStream_tbDpT10_ENKUlT_T0_E_clISt17integral_constantIbLb0EES1A_EEDaS15_S16_EUlS15_E_NS1_11comp_targetILNS1_3genE0ELNS1_11target_archE4294967295ELNS1_3gpuE0ELNS1_3repE0EEENS1_30default_config_static_selectorELNS0_4arch9wavefront6targetE0EEEvT1_,"axG",@progbits,_ZN7rocprim17ROCPRIM_400000_NS6detail17trampoline_kernelINS0_14default_configENS1_25partition_config_selectorILNS1_17partition_subalgoE5E10large_dataNS0_10empty_typeEbEEZZNS1_14partition_implILS5_5ELb0ES3_mN6thrust23THRUST_200600_302600_NS6detail15normal_iteratorINSB_10device_ptrIS6_EEEEPS7_NSB_18transform_iteratorI7is_evenIS6_ESG_NSB_11use_defaultESL_EENS0_5tupleIJSG_S7_EEENSN_IJSH_SH_EEES7_PlJS7_EEE10hipError_tPvRmT3_T4_T5_T6_T7_T9_mT8_P12ihipStream_tbDpT10_ENKUlT_T0_E_clISt17integral_constantIbLb0EES1A_EEDaS15_S16_EUlS15_E_NS1_11comp_targetILNS1_3genE0ELNS1_11target_archE4294967295ELNS1_3gpuE0ELNS1_3repE0EEENS1_30default_config_static_selectorELNS0_4arch9wavefront6targetE0EEEvT1_,comdat
	.protected	_ZN7rocprim17ROCPRIM_400000_NS6detail17trampoline_kernelINS0_14default_configENS1_25partition_config_selectorILNS1_17partition_subalgoE5E10large_dataNS0_10empty_typeEbEEZZNS1_14partition_implILS5_5ELb0ES3_mN6thrust23THRUST_200600_302600_NS6detail15normal_iteratorINSB_10device_ptrIS6_EEEEPS7_NSB_18transform_iteratorI7is_evenIS6_ESG_NSB_11use_defaultESL_EENS0_5tupleIJSG_S7_EEENSN_IJSH_SH_EEES7_PlJS7_EEE10hipError_tPvRmT3_T4_T5_T6_T7_T9_mT8_P12ihipStream_tbDpT10_ENKUlT_T0_E_clISt17integral_constantIbLb0EES1A_EEDaS15_S16_EUlS15_E_NS1_11comp_targetILNS1_3genE0ELNS1_11target_archE4294967295ELNS1_3gpuE0ELNS1_3repE0EEENS1_30default_config_static_selectorELNS0_4arch9wavefront6targetE0EEEvT1_ ; -- Begin function _ZN7rocprim17ROCPRIM_400000_NS6detail17trampoline_kernelINS0_14default_configENS1_25partition_config_selectorILNS1_17partition_subalgoE5E10large_dataNS0_10empty_typeEbEEZZNS1_14partition_implILS5_5ELb0ES3_mN6thrust23THRUST_200600_302600_NS6detail15normal_iteratorINSB_10device_ptrIS6_EEEEPS7_NSB_18transform_iteratorI7is_evenIS6_ESG_NSB_11use_defaultESL_EENS0_5tupleIJSG_S7_EEENSN_IJSH_SH_EEES7_PlJS7_EEE10hipError_tPvRmT3_T4_T5_T6_T7_T9_mT8_P12ihipStream_tbDpT10_ENKUlT_T0_E_clISt17integral_constantIbLb0EES1A_EEDaS15_S16_EUlS15_E_NS1_11comp_targetILNS1_3genE0ELNS1_11target_archE4294967295ELNS1_3gpuE0ELNS1_3repE0EEENS1_30default_config_static_selectorELNS0_4arch9wavefront6targetE0EEEvT1_
	.globl	_ZN7rocprim17ROCPRIM_400000_NS6detail17trampoline_kernelINS0_14default_configENS1_25partition_config_selectorILNS1_17partition_subalgoE5E10large_dataNS0_10empty_typeEbEEZZNS1_14partition_implILS5_5ELb0ES3_mN6thrust23THRUST_200600_302600_NS6detail15normal_iteratorINSB_10device_ptrIS6_EEEEPS7_NSB_18transform_iteratorI7is_evenIS6_ESG_NSB_11use_defaultESL_EENS0_5tupleIJSG_S7_EEENSN_IJSH_SH_EEES7_PlJS7_EEE10hipError_tPvRmT3_T4_T5_T6_T7_T9_mT8_P12ihipStream_tbDpT10_ENKUlT_T0_E_clISt17integral_constantIbLb0EES1A_EEDaS15_S16_EUlS15_E_NS1_11comp_targetILNS1_3genE0ELNS1_11target_archE4294967295ELNS1_3gpuE0ELNS1_3repE0EEENS1_30default_config_static_selectorELNS0_4arch9wavefront6targetE0EEEvT1_
	.p2align	8
	.type	_ZN7rocprim17ROCPRIM_400000_NS6detail17trampoline_kernelINS0_14default_configENS1_25partition_config_selectorILNS1_17partition_subalgoE5E10large_dataNS0_10empty_typeEbEEZZNS1_14partition_implILS5_5ELb0ES3_mN6thrust23THRUST_200600_302600_NS6detail15normal_iteratorINSB_10device_ptrIS6_EEEEPS7_NSB_18transform_iteratorI7is_evenIS6_ESG_NSB_11use_defaultESL_EENS0_5tupleIJSG_S7_EEENSN_IJSH_SH_EEES7_PlJS7_EEE10hipError_tPvRmT3_T4_T5_T6_T7_T9_mT8_P12ihipStream_tbDpT10_ENKUlT_T0_E_clISt17integral_constantIbLb0EES1A_EEDaS15_S16_EUlS15_E_NS1_11comp_targetILNS1_3genE0ELNS1_11target_archE4294967295ELNS1_3gpuE0ELNS1_3repE0EEENS1_30default_config_static_selectorELNS0_4arch9wavefront6targetE0EEEvT1_,@function
_ZN7rocprim17ROCPRIM_400000_NS6detail17trampoline_kernelINS0_14default_configENS1_25partition_config_selectorILNS1_17partition_subalgoE5E10large_dataNS0_10empty_typeEbEEZZNS1_14partition_implILS5_5ELb0ES3_mN6thrust23THRUST_200600_302600_NS6detail15normal_iteratorINSB_10device_ptrIS6_EEEEPS7_NSB_18transform_iteratorI7is_evenIS6_ESG_NSB_11use_defaultESL_EENS0_5tupleIJSG_S7_EEENSN_IJSH_SH_EEES7_PlJS7_EEE10hipError_tPvRmT3_T4_T5_T6_T7_T9_mT8_P12ihipStream_tbDpT10_ENKUlT_T0_E_clISt17integral_constantIbLb0EES1A_EEDaS15_S16_EUlS15_E_NS1_11comp_targetILNS1_3genE0ELNS1_11target_archE4294967295ELNS1_3gpuE0ELNS1_3repE0EEENS1_30default_config_static_selectorELNS0_4arch9wavefront6targetE0EEEvT1_: ; @_ZN7rocprim17ROCPRIM_400000_NS6detail17trampoline_kernelINS0_14default_configENS1_25partition_config_selectorILNS1_17partition_subalgoE5E10large_dataNS0_10empty_typeEbEEZZNS1_14partition_implILS5_5ELb0ES3_mN6thrust23THRUST_200600_302600_NS6detail15normal_iteratorINSB_10device_ptrIS6_EEEEPS7_NSB_18transform_iteratorI7is_evenIS6_ESG_NSB_11use_defaultESL_EENS0_5tupleIJSG_S7_EEENSN_IJSH_SH_EEES7_PlJS7_EEE10hipError_tPvRmT3_T4_T5_T6_T7_T9_mT8_P12ihipStream_tbDpT10_ENKUlT_T0_E_clISt17integral_constantIbLb0EES1A_EEDaS15_S16_EUlS15_E_NS1_11comp_targetILNS1_3genE0ELNS1_11target_archE4294967295ELNS1_3gpuE0ELNS1_3repE0EEENS1_30default_config_static_selectorELNS0_4arch9wavefront6targetE0EEEvT1_
; %bb.0:
	.section	.rodata,"a",@progbits
	.p2align	6, 0x0
	.amdhsa_kernel _ZN7rocprim17ROCPRIM_400000_NS6detail17trampoline_kernelINS0_14default_configENS1_25partition_config_selectorILNS1_17partition_subalgoE5E10large_dataNS0_10empty_typeEbEEZZNS1_14partition_implILS5_5ELb0ES3_mN6thrust23THRUST_200600_302600_NS6detail15normal_iteratorINSB_10device_ptrIS6_EEEEPS7_NSB_18transform_iteratorI7is_evenIS6_ESG_NSB_11use_defaultESL_EENS0_5tupleIJSG_S7_EEENSN_IJSH_SH_EEES7_PlJS7_EEE10hipError_tPvRmT3_T4_T5_T6_T7_T9_mT8_P12ihipStream_tbDpT10_ENKUlT_T0_E_clISt17integral_constantIbLb0EES1A_EEDaS15_S16_EUlS15_E_NS1_11comp_targetILNS1_3genE0ELNS1_11target_archE4294967295ELNS1_3gpuE0ELNS1_3repE0EEENS1_30default_config_static_selectorELNS0_4arch9wavefront6targetE0EEEvT1_
		.amdhsa_group_segment_fixed_size 0
		.amdhsa_private_segment_fixed_size 0
		.amdhsa_kernarg_size 120
		.amdhsa_user_sgpr_count 15
		.amdhsa_user_sgpr_dispatch_ptr 0
		.amdhsa_user_sgpr_queue_ptr 0
		.amdhsa_user_sgpr_kernarg_segment_ptr 1
		.amdhsa_user_sgpr_dispatch_id 0
		.amdhsa_user_sgpr_private_segment_size 0
		.amdhsa_wavefront_size32 1
		.amdhsa_uses_dynamic_stack 0
		.amdhsa_enable_private_segment 0
		.amdhsa_system_sgpr_workgroup_id_x 1
		.amdhsa_system_sgpr_workgroup_id_y 0
		.amdhsa_system_sgpr_workgroup_id_z 0
		.amdhsa_system_sgpr_workgroup_info 0
		.amdhsa_system_vgpr_workitem_id 0
		.amdhsa_next_free_vgpr 1
		.amdhsa_next_free_sgpr 1
		.amdhsa_reserve_vcc 0
		.amdhsa_float_round_mode_32 0
		.amdhsa_float_round_mode_16_64 0
		.amdhsa_float_denorm_mode_32 3
		.amdhsa_float_denorm_mode_16_64 3
		.amdhsa_dx10_clamp 1
		.amdhsa_ieee_mode 1
		.amdhsa_fp16_overflow 0
		.amdhsa_workgroup_processor_mode 1
		.amdhsa_memory_ordered 1
		.amdhsa_forward_progress 0
		.amdhsa_shared_vgpr_count 0
		.amdhsa_exception_fp_ieee_invalid_op 0
		.amdhsa_exception_fp_denorm_src 0
		.amdhsa_exception_fp_ieee_div_zero 0
		.amdhsa_exception_fp_ieee_overflow 0
		.amdhsa_exception_fp_ieee_underflow 0
		.amdhsa_exception_fp_ieee_inexact 0
		.amdhsa_exception_int_div_zero 0
	.end_amdhsa_kernel
	.section	.text._ZN7rocprim17ROCPRIM_400000_NS6detail17trampoline_kernelINS0_14default_configENS1_25partition_config_selectorILNS1_17partition_subalgoE5E10large_dataNS0_10empty_typeEbEEZZNS1_14partition_implILS5_5ELb0ES3_mN6thrust23THRUST_200600_302600_NS6detail15normal_iteratorINSB_10device_ptrIS6_EEEEPS7_NSB_18transform_iteratorI7is_evenIS6_ESG_NSB_11use_defaultESL_EENS0_5tupleIJSG_S7_EEENSN_IJSH_SH_EEES7_PlJS7_EEE10hipError_tPvRmT3_T4_T5_T6_T7_T9_mT8_P12ihipStream_tbDpT10_ENKUlT_T0_E_clISt17integral_constantIbLb0EES1A_EEDaS15_S16_EUlS15_E_NS1_11comp_targetILNS1_3genE0ELNS1_11target_archE4294967295ELNS1_3gpuE0ELNS1_3repE0EEENS1_30default_config_static_selectorELNS0_4arch9wavefront6targetE0EEEvT1_,"axG",@progbits,_ZN7rocprim17ROCPRIM_400000_NS6detail17trampoline_kernelINS0_14default_configENS1_25partition_config_selectorILNS1_17partition_subalgoE5E10large_dataNS0_10empty_typeEbEEZZNS1_14partition_implILS5_5ELb0ES3_mN6thrust23THRUST_200600_302600_NS6detail15normal_iteratorINSB_10device_ptrIS6_EEEEPS7_NSB_18transform_iteratorI7is_evenIS6_ESG_NSB_11use_defaultESL_EENS0_5tupleIJSG_S7_EEENSN_IJSH_SH_EEES7_PlJS7_EEE10hipError_tPvRmT3_T4_T5_T6_T7_T9_mT8_P12ihipStream_tbDpT10_ENKUlT_T0_E_clISt17integral_constantIbLb0EES1A_EEDaS15_S16_EUlS15_E_NS1_11comp_targetILNS1_3genE0ELNS1_11target_archE4294967295ELNS1_3gpuE0ELNS1_3repE0EEENS1_30default_config_static_selectorELNS0_4arch9wavefront6targetE0EEEvT1_,comdat
.Lfunc_end650:
	.size	_ZN7rocprim17ROCPRIM_400000_NS6detail17trampoline_kernelINS0_14default_configENS1_25partition_config_selectorILNS1_17partition_subalgoE5E10large_dataNS0_10empty_typeEbEEZZNS1_14partition_implILS5_5ELb0ES3_mN6thrust23THRUST_200600_302600_NS6detail15normal_iteratorINSB_10device_ptrIS6_EEEEPS7_NSB_18transform_iteratorI7is_evenIS6_ESG_NSB_11use_defaultESL_EENS0_5tupleIJSG_S7_EEENSN_IJSH_SH_EEES7_PlJS7_EEE10hipError_tPvRmT3_T4_T5_T6_T7_T9_mT8_P12ihipStream_tbDpT10_ENKUlT_T0_E_clISt17integral_constantIbLb0EES1A_EEDaS15_S16_EUlS15_E_NS1_11comp_targetILNS1_3genE0ELNS1_11target_archE4294967295ELNS1_3gpuE0ELNS1_3repE0EEENS1_30default_config_static_selectorELNS0_4arch9wavefront6targetE0EEEvT1_, .Lfunc_end650-_ZN7rocprim17ROCPRIM_400000_NS6detail17trampoline_kernelINS0_14default_configENS1_25partition_config_selectorILNS1_17partition_subalgoE5E10large_dataNS0_10empty_typeEbEEZZNS1_14partition_implILS5_5ELb0ES3_mN6thrust23THRUST_200600_302600_NS6detail15normal_iteratorINSB_10device_ptrIS6_EEEEPS7_NSB_18transform_iteratorI7is_evenIS6_ESG_NSB_11use_defaultESL_EENS0_5tupleIJSG_S7_EEENSN_IJSH_SH_EEES7_PlJS7_EEE10hipError_tPvRmT3_T4_T5_T6_T7_T9_mT8_P12ihipStream_tbDpT10_ENKUlT_T0_E_clISt17integral_constantIbLb0EES1A_EEDaS15_S16_EUlS15_E_NS1_11comp_targetILNS1_3genE0ELNS1_11target_archE4294967295ELNS1_3gpuE0ELNS1_3repE0EEENS1_30default_config_static_selectorELNS0_4arch9wavefront6targetE0EEEvT1_
                                        ; -- End function
	.section	.AMDGPU.csdata,"",@progbits
; Kernel info:
; codeLenInByte = 0
; NumSgprs: 0
; NumVgprs: 0
; ScratchSize: 0
; MemoryBound: 0
; FloatMode: 240
; IeeeMode: 1
; LDSByteSize: 0 bytes/workgroup (compile time only)
; SGPRBlocks: 0
; VGPRBlocks: 0
; NumSGPRsForWavesPerEU: 1
; NumVGPRsForWavesPerEU: 1
; Occupancy: 16
; WaveLimiterHint : 0
; COMPUTE_PGM_RSRC2:SCRATCH_EN: 0
; COMPUTE_PGM_RSRC2:USER_SGPR: 15
; COMPUTE_PGM_RSRC2:TRAP_HANDLER: 0
; COMPUTE_PGM_RSRC2:TGID_X_EN: 1
; COMPUTE_PGM_RSRC2:TGID_Y_EN: 0
; COMPUTE_PGM_RSRC2:TGID_Z_EN: 0
; COMPUTE_PGM_RSRC2:TIDIG_COMP_CNT: 0
	.section	.text._ZN7rocprim17ROCPRIM_400000_NS6detail17trampoline_kernelINS0_14default_configENS1_25partition_config_selectorILNS1_17partition_subalgoE5E10large_dataNS0_10empty_typeEbEEZZNS1_14partition_implILS5_5ELb0ES3_mN6thrust23THRUST_200600_302600_NS6detail15normal_iteratorINSB_10device_ptrIS6_EEEEPS7_NSB_18transform_iteratorI7is_evenIS6_ESG_NSB_11use_defaultESL_EENS0_5tupleIJSG_S7_EEENSN_IJSH_SH_EEES7_PlJS7_EEE10hipError_tPvRmT3_T4_T5_T6_T7_T9_mT8_P12ihipStream_tbDpT10_ENKUlT_T0_E_clISt17integral_constantIbLb0EES1A_EEDaS15_S16_EUlS15_E_NS1_11comp_targetILNS1_3genE5ELNS1_11target_archE942ELNS1_3gpuE9ELNS1_3repE0EEENS1_30default_config_static_selectorELNS0_4arch9wavefront6targetE0EEEvT1_,"axG",@progbits,_ZN7rocprim17ROCPRIM_400000_NS6detail17trampoline_kernelINS0_14default_configENS1_25partition_config_selectorILNS1_17partition_subalgoE5E10large_dataNS0_10empty_typeEbEEZZNS1_14partition_implILS5_5ELb0ES3_mN6thrust23THRUST_200600_302600_NS6detail15normal_iteratorINSB_10device_ptrIS6_EEEEPS7_NSB_18transform_iteratorI7is_evenIS6_ESG_NSB_11use_defaultESL_EENS0_5tupleIJSG_S7_EEENSN_IJSH_SH_EEES7_PlJS7_EEE10hipError_tPvRmT3_T4_T5_T6_T7_T9_mT8_P12ihipStream_tbDpT10_ENKUlT_T0_E_clISt17integral_constantIbLb0EES1A_EEDaS15_S16_EUlS15_E_NS1_11comp_targetILNS1_3genE5ELNS1_11target_archE942ELNS1_3gpuE9ELNS1_3repE0EEENS1_30default_config_static_selectorELNS0_4arch9wavefront6targetE0EEEvT1_,comdat
	.protected	_ZN7rocprim17ROCPRIM_400000_NS6detail17trampoline_kernelINS0_14default_configENS1_25partition_config_selectorILNS1_17partition_subalgoE5E10large_dataNS0_10empty_typeEbEEZZNS1_14partition_implILS5_5ELb0ES3_mN6thrust23THRUST_200600_302600_NS6detail15normal_iteratorINSB_10device_ptrIS6_EEEEPS7_NSB_18transform_iteratorI7is_evenIS6_ESG_NSB_11use_defaultESL_EENS0_5tupleIJSG_S7_EEENSN_IJSH_SH_EEES7_PlJS7_EEE10hipError_tPvRmT3_T4_T5_T6_T7_T9_mT8_P12ihipStream_tbDpT10_ENKUlT_T0_E_clISt17integral_constantIbLb0EES1A_EEDaS15_S16_EUlS15_E_NS1_11comp_targetILNS1_3genE5ELNS1_11target_archE942ELNS1_3gpuE9ELNS1_3repE0EEENS1_30default_config_static_selectorELNS0_4arch9wavefront6targetE0EEEvT1_ ; -- Begin function _ZN7rocprim17ROCPRIM_400000_NS6detail17trampoline_kernelINS0_14default_configENS1_25partition_config_selectorILNS1_17partition_subalgoE5E10large_dataNS0_10empty_typeEbEEZZNS1_14partition_implILS5_5ELb0ES3_mN6thrust23THRUST_200600_302600_NS6detail15normal_iteratorINSB_10device_ptrIS6_EEEEPS7_NSB_18transform_iteratorI7is_evenIS6_ESG_NSB_11use_defaultESL_EENS0_5tupleIJSG_S7_EEENSN_IJSH_SH_EEES7_PlJS7_EEE10hipError_tPvRmT3_T4_T5_T6_T7_T9_mT8_P12ihipStream_tbDpT10_ENKUlT_T0_E_clISt17integral_constantIbLb0EES1A_EEDaS15_S16_EUlS15_E_NS1_11comp_targetILNS1_3genE5ELNS1_11target_archE942ELNS1_3gpuE9ELNS1_3repE0EEENS1_30default_config_static_selectorELNS0_4arch9wavefront6targetE0EEEvT1_
	.globl	_ZN7rocprim17ROCPRIM_400000_NS6detail17trampoline_kernelINS0_14default_configENS1_25partition_config_selectorILNS1_17partition_subalgoE5E10large_dataNS0_10empty_typeEbEEZZNS1_14partition_implILS5_5ELb0ES3_mN6thrust23THRUST_200600_302600_NS6detail15normal_iteratorINSB_10device_ptrIS6_EEEEPS7_NSB_18transform_iteratorI7is_evenIS6_ESG_NSB_11use_defaultESL_EENS0_5tupleIJSG_S7_EEENSN_IJSH_SH_EEES7_PlJS7_EEE10hipError_tPvRmT3_T4_T5_T6_T7_T9_mT8_P12ihipStream_tbDpT10_ENKUlT_T0_E_clISt17integral_constantIbLb0EES1A_EEDaS15_S16_EUlS15_E_NS1_11comp_targetILNS1_3genE5ELNS1_11target_archE942ELNS1_3gpuE9ELNS1_3repE0EEENS1_30default_config_static_selectorELNS0_4arch9wavefront6targetE0EEEvT1_
	.p2align	8
	.type	_ZN7rocprim17ROCPRIM_400000_NS6detail17trampoline_kernelINS0_14default_configENS1_25partition_config_selectorILNS1_17partition_subalgoE5E10large_dataNS0_10empty_typeEbEEZZNS1_14partition_implILS5_5ELb0ES3_mN6thrust23THRUST_200600_302600_NS6detail15normal_iteratorINSB_10device_ptrIS6_EEEEPS7_NSB_18transform_iteratorI7is_evenIS6_ESG_NSB_11use_defaultESL_EENS0_5tupleIJSG_S7_EEENSN_IJSH_SH_EEES7_PlJS7_EEE10hipError_tPvRmT3_T4_T5_T6_T7_T9_mT8_P12ihipStream_tbDpT10_ENKUlT_T0_E_clISt17integral_constantIbLb0EES1A_EEDaS15_S16_EUlS15_E_NS1_11comp_targetILNS1_3genE5ELNS1_11target_archE942ELNS1_3gpuE9ELNS1_3repE0EEENS1_30default_config_static_selectorELNS0_4arch9wavefront6targetE0EEEvT1_,@function
_ZN7rocprim17ROCPRIM_400000_NS6detail17trampoline_kernelINS0_14default_configENS1_25partition_config_selectorILNS1_17partition_subalgoE5E10large_dataNS0_10empty_typeEbEEZZNS1_14partition_implILS5_5ELb0ES3_mN6thrust23THRUST_200600_302600_NS6detail15normal_iteratorINSB_10device_ptrIS6_EEEEPS7_NSB_18transform_iteratorI7is_evenIS6_ESG_NSB_11use_defaultESL_EENS0_5tupleIJSG_S7_EEENSN_IJSH_SH_EEES7_PlJS7_EEE10hipError_tPvRmT3_T4_T5_T6_T7_T9_mT8_P12ihipStream_tbDpT10_ENKUlT_T0_E_clISt17integral_constantIbLb0EES1A_EEDaS15_S16_EUlS15_E_NS1_11comp_targetILNS1_3genE5ELNS1_11target_archE942ELNS1_3gpuE9ELNS1_3repE0EEENS1_30default_config_static_selectorELNS0_4arch9wavefront6targetE0EEEvT1_: ; @_ZN7rocprim17ROCPRIM_400000_NS6detail17trampoline_kernelINS0_14default_configENS1_25partition_config_selectorILNS1_17partition_subalgoE5E10large_dataNS0_10empty_typeEbEEZZNS1_14partition_implILS5_5ELb0ES3_mN6thrust23THRUST_200600_302600_NS6detail15normal_iteratorINSB_10device_ptrIS6_EEEEPS7_NSB_18transform_iteratorI7is_evenIS6_ESG_NSB_11use_defaultESL_EENS0_5tupleIJSG_S7_EEENSN_IJSH_SH_EEES7_PlJS7_EEE10hipError_tPvRmT3_T4_T5_T6_T7_T9_mT8_P12ihipStream_tbDpT10_ENKUlT_T0_E_clISt17integral_constantIbLb0EES1A_EEDaS15_S16_EUlS15_E_NS1_11comp_targetILNS1_3genE5ELNS1_11target_archE942ELNS1_3gpuE9ELNS1_3repE0EEENS1_30default_config_static_selectorELNS0_4arch9wavefront6targetE0EEEvT1_
; %bb.0:
	.section	.rodata,"a",@progbits
	.p2align	6, 0x0
	.amdhsa_kernel _ZN7rocprim17ROCPRIM_400000_NS6detail17trampoline_kernelINS0_14default_configENS1_25partition_config_selectorILNS1_17partition_subalgoE5E10large_dataNS0_10empty_typeEbEEZZNS1_14partition_implILS5_5ELb0ES3_mN6thrust23THRUST_200600_302600_NS6detail15normal_iteratorINSB_10device_ptrIS6_EEEEPS7_NSB_18transform_iteratorI7is_evenIS6_ESG_NSB_11use_defaultESL_EENS0_5tupleIJSG_S7_EEENSN_IJSH_SH_EEES7_PlJS7_EEE10hipError_tPvRmT3_T4_T5_T6_T7_T9_mT8_P12ihipStream_tbDpT10_ENKUlT_T0_E_clISt17integral_constantIbLb0EES1A_EEDaS15_S16_EUlS15_E_NS1_11comp_targetILNS1_3genE5ELNS1_11target_archE942ELNS1_3gpuE9ELNS1_3repE0EEENS1_30default_config_static_selectorELNS0_4arch9wavefront6targetE0EEEvT1_
		.amdhsa_group_segment_fixed_size 0
		.amdhsa_private_segment_fixed_size 0
		.amdhsa_kernarg_size 120
		.amdhsa_user_sgpr_count 15
		.amdhsa_user_sgpr_dispatch_ptr 0
		.amdhsa_user_sgpr_queue_ptr 0
		.amdhsa_user_sgpr_kernarg_segment_ptr 1
		.amdhsa_user_sgpr_dispatch_id 0
		.amdhsa_user_sgpr_private_segment_size 0
		.amdhsa_wavefront_size32 1
		.amdhsa_uses_dynamic_stack 0
		.amdhsa_enable_private_segment 0
		.amdhsa_system_sgpr_workgroup_id_x 1
		.amdhsa_system_sgpr_workgroup_id_y 0
		.amdhsa_system_sgpr_workgroup_id_z 0
		.amdhsa_system_sgpr_workgroup_info 0
		.amdhsa_system_vgpr_workitem_id 0
		.amdhsa_next_free_vgpr 1
		.amdhsa_next_free_sgpr 1
		.amdhsa_reserve_vcc 0
		.amdhsa_float_round_mode_32 0
		.amdhsa_float_round_mode_16_64 0
		.amdhsa_float_denorm_mode_32 3
		.amdhsa_float_denorm_mode_16_64 3
		.amdhsa_dx10_clamp 1
		.amdhsa_ieee_mode 1
		.amdhsa_fp16_overflow 0
		.amdhsa_workgroup_processor_mode 1
		.amdhsa_memory_ordered 1
		.amdhsa_forward_progress 0
		.amdhsa_shared_vgpr_count 0
		.amdhsa_exception_fp_ieee_invalid_op 0
		.amdhsa_exception_fp_denorm_src 0
		.amdhsa_exception_fp_ieee_div_zero 0
		.amdhsa_exception_fp_ieee_overflow 0
		.amdhsa_exception_fp_ieee_underflow 0
		.amdhsa_exception_fp_ieee_inexact 0
		.amdhsa_exception_int_div_zero 0
	.end_amdhsa_kernel
	.section	.text._ZN7rocprim17ROCPRIM_400000_NS6detail17trampoline_kernelINS0_14default_configENS1_25partition_config_selectorILNS1_17partition_subalgoE5E10large_dataNS0_10empty_typeEbEEZZNS1_14partition_implILS5_5ELb0ES3_mN6thrust23THRUST_200600_302600_NS6detail15normal_iteratorINSB_10device_ptrIS6_EEEEPS7_NSB_18transform_iteratorI7is_evenIS6_ESG_NSB_11use_defaultESL_EENS0_5tupleIJSG_S7_EEENSN_IJSH_SH_EEES7_PlJS7_EEE10hipError_tPvRmT3_T4_T5_T6_T7_T9_mT8_P12ihipStream_tbDpT10_ENKUlT_T0_E_clISt17integral_constantIbLb0EES1A_EEDaS15_S16_EUlS15_E_NS1_11comp_targetILNS1_3genE5ELNS1_11target_archE942ELNS1_3gpuE9ELNS1_3repE0EEENS1_30default_config_static_selectorELNS0_4arch9wavefront6targetE0EEEvT1_,"axG",@progbits,_ZN7rocprim17ROCPRIM_400000_NS6detail17trampoline_kernelINS0_14default_configENS1_25partition_config_selectorILNS1_17partition_subalgoE5E10large_dataNS0_10empty_typeEbEEZZNS1_14partition_implILS5_5ELb0ES3_mN6thrust23THRUST_200600_302600_NS6detail15normal_iteratorINSB_10device_ptrIS6_EEEEPS7_NSB_18transform_iteratorI7is_evenIS6_ESG_NSB_11use_defaultESL_EENS0_5tupleIJSG_S7_EEENSN_IJSH_SH_EEES7_PlJS7_EEE10hipError_tPvRmT3_T4_T5_T6_T7_T9_mT8_P12ihipStream_tbDpT10_ENKUlT_T0_E_clISt17integral_constantIbLb0EES1A_EEDaS15_S16_EUlS15_E_NS1_11comp_targetILNS1_3genE5ELNS1_11target_archE942ELNS1_3gpuE9ELNS1_3repE0EEENS1_30default_config_static_selectorELNS0_4arch9wavefront6targetE0EEEvT1_,comdat
.Lfunc_end651:
	.size	_ZN7rocprim17ROCPRIM_400000_NS6detail17trampoline_kernelINS0_14default_configENS1_25partition_config_selectorILNS1_17partition_subalgoE5E10large_dataNS0_10empty_typeEbEEZZNS1_14partition_implILS5_5ELb0ES3_mN6thrust23THRUST_200600_302600_NS6detail15normal_iteratorINSB_10device_ptrIS6_EEEEPS7_NSB_18transform_iteratorI7is_evenIS6_ESG_NSB_11use_defaultESL_EENS0_5tupleIJSG_S7_EEENSN_IJSH_SH_EEES7_PlJS7_EEE10hipError_tPvRmT3_T4_T5_T6_T7_T9_mT8_P12ihipStream_tbDpT10_ENKUlT_T0_E_clISt17integral_constantIbLb0EES1A_EEDaS15_S16_EUlS15_E_NS1_11comp_targetILNS1_3genE5ELNS1_11target_archE942ELNS1_3gpuE9ELNS1_3repE0EEENS1_30default_config_static_selectorELNS0_4arch9wavefront6targetE0EEEvT1_, .Lfunc_end651-_ZN7rocprim17ROCPRIM_400000_NS6detail17trampoline_kernelINS0_14default_configENS1_25partition_config_selectorILNS1_17partition_subalgoE5E10large_dataNS0_10empty_typeEbEEZZNS1_14partition_implILS5_5ELb0ES3_mN6thrust23THRUST_200600_302600_NS6detail15normal_iteratorINSB_10device_ptrIS6_EEEEPS7_NSB_18transform_iteratorI7is_evenIS6_ESG_NSB_11use_defaultESL_EENS0_5tupleIJSG_S7_EEENSN_IJSH_SH_EEES7_PlJS7_EEE10hipError_tPvRmT3_T4_T5_T6_T7_T9_mT8_P12ihipStream_tbDpT10_ENKUlT_T0_E_clISt17integral_constantIbLb0EES1A_EEDaS15_S16_EUlS15_E_NS1_11comp_targetILNS1_3genE5ELNS1_11target_archE942ELNS1_3gpuE9ELNS1_3repE0EEENS1_30default_config_static_selectorELNS0_4arch9wavefront6targetE0EEEvT1_
                                        ; -- End function
	.section	.AMDGPU.csdata,"",@progbits
; Kernel info:
; codeLenInByte = 0
; NumSgprs: 0
; NumVgprs: 0
; ScratchSize: 0
; MemoryBound: 0
; FloatMode: 240
; IeeeMode: 1
; LDSByteSize: 0 bytes/workgroup (compile time only)
; SGPRBlocks: 0
; VGPRBlocks: 0
; NumSGPRsForWavesPerEU: 1
; NumVGPRsForWavesPerEU: 1
; Occupancy: 16
; WaveLimiterHint : 0
; COMPUTE_PGM_RSRC2:SCRATCH_EN: 0
; COMPUTE_PGM_RSRC2:USER_SGPR: 15
; COMPUTE_PGM_RSRC2:TRAP_HANDLER: 0
; COMPUTE_PGM_RSRC2:TGID_X_EN: 1
; COMPUTE_PGM_RSRC2:TGID_Y_EN: 0
; COMPUTE_PGM_RSRC2:TGID_Z_EN: 0
; COMPUTE_PGM_RSRC2:TIDIG_COMP_CNT: 0
	.section	.text._ZN7rocprim17ROCPRIM_400000_NS6detail17trampoline_kernelINS0_14default_configENS1_25partition_config_selectorILNS1_17partition_subalgoE5E10large_dataNS0_10empty_typeEbEEZZNS1_14partition_implILS5_5ELb0ES3_mN6thrust23THRUST_200600_302600_NS6detail15normal_iteratorINSB_10device_ptrIS6_EEEEPS7_NSB_18transform_iteratorI7is_evenIS6_ESG_NSB_11use_defaultESL_EENS0_5tupleIJSG_S7_EEENSN_IJSH_SH_EEES7_PlJS7_EEE10hipError_tPvRmT3_T4_T5_T6_T7_T9_mT8_P12ihipStream_tbDpT10_ENKUlT_T0_E_clISt17integral_constantIbLb0EES1A_EEDaS15_S16_EUlS15_E_NS1_11comp_targetILNS1_3genE4ELNS1_11target_archE910ELNS1_3gpuE8ELNS1_3repE0EEENS1_30default_config_static_selectorELNS0_4arch9wavefront6targetE0EEEvT1_,"axG",@progbits,_ZN7rocprim17ROCPRIM_400000_NS6detail17trampoline_kernelINS0_14default_configENS1_25partition_config_selectorILNS1_17partition_subalgoE5E10large_dataNS0_10empty_typeEbEEZZNS1_14partition_implILS5_5ELb0ES3_mN6thrust23THRUST_200600_302600_NS6detail15normal_iteratorINSB_10device_ptrIS6_EEEEPS7_NSB_18transform_iteratorI7is_evenIS6_ESG_NSB_11use_defaultESL_EENS0_5tupleIJSG_S7_EEENSN_IJSH_SH_EEES7_PlJS7_EEE10hipError_tPvRmT3_T4_T5_T6_T7_T9_mT8_P12ihipStream_tbDpT10_ENKUlT_T0_E_clISt17integral_constantIbLb0EES1A_EEDaS15_S16_EUlS15_E_NS1_11comp_targetILNS1_3genE4ELNS1_11target_archE910ELNS1_3gpuE8ELNS1_3repE0EEENS1_30default_config_static_selectorELNS0_4arch9wavefront6targetE0EEEvT1_,comdat
	.protected	_ZN7rocprim17ROCPRIM_400000_NS6detail17trampoline_kernelINS0_14default_configENS1_25partition_config_selectorILNS1_17partition_subalgoE5E10large_dataNS0_10empty_typeEbEEZZNS1_14partition_implILS5_5ELb0ES3_mN6thrust23THRUST_200600_302600_NS6detail15normal_iteratorINSB_10device_ptrIS6_EEEEPS7_NSB_18transform_iteratorI7is_evenIS6_ESG_NSB_11use_defaultESL_EENS0_5tupleIJSG_S7_EEENSN_IJSH_SH_EEES7_PlJS7_EEE10hipError_tPvRmT3_T4_T5_T6_T7_T9_mT8_P12ihipStream_tbDpT10_ENKUlT_T0_E_clISt17integral_constantIbLb0EES1A_EEDaS15_S16_EUlS15_E_NS1_11comp_targetILNS1_3genE4ELNS1_11target_archE910ELNS1_3gpuE8ELNS1_3repE0EEENS1_30default_config_static_selectorELNS0_4arch9wavefront6targetE0EEEvT1_ ; -- Begin function _ZN7rocprim17ROCPRIM_400000_NS6detail17trampoline_kernelINS0_14default_configENS1_25partition_config_selectorILNS1_17partition_subalgoE5E10large_dataNS0_10empty_typeEbEEZZNS1_14partition_implILS5_5ELb0ES3_mN6thrust23THRUST_200600_302600_NS6detail15normal_iteratorINSB_10device_ptrIS6_EEEEPS7_NSB_18transform_iteratorI7is_evenIS6_ESG_NSB_11use_defaultESL_EENS0_5tupleIJSG_S7_EEENSN_IJSH_SH_EEES7_PlJS7_EEE10hipError_tPvRmT3_T4_T5_T6_T7_T9_mT8_P12ihipStream_tbDpT10_ENKUlT_T0_E_clISt17integral_constantIbLb0EES1A_EEDaS15_S16_EUlS15_E_NS1_11comp_targetILNS1_3genE4ELNS1_11target_archE910ELNS1_3gpuE8ELNS1_3repE0EEENS1_30default_config_static_selectorELNS0_4arch9wavefront6targetE0EEEvT1_
	.globl	_ZN7rocprim17ROCPRIM_400000_NS6detail17trampoline_kernelINS0_14default_configENS1_25partition_config_selectorILNS1_17partition_subalgoE5E10large_dataNS0_10empty_typeEbEEZZNS1_14partition_implILS5_5ELb0ES3_mN6thrust23THRUST_200600_302600_NS6detail15normal_iteratorINSB_10device_ptrIS6_EEEEPS7_NSB_18transform_iteratorI7is_evenIS6_ESG_NSB_11use_defaultESL_EENS0_5tupleIJSG_S7_EEENSN_IJSH_SH_EEES7_PlJS7_EEE10hipError_tPvRmT3_T4_T5_T6_T7_T9_mT8_P12ihipStream_tbDpT10_ENKUlT_T0_E_clISt17integral_constantIbLb0EES1A_EEDaS15_S16_EUlS15_E_NS1_11comp_targetILNS1_3genE4ELNS1_11target_archE910ELNS1_3gpuE8ELNS1_3repE0EEENS1_30default_config_static_selectorELNS0_4arch9wavefront6targetE0EEEvT1_
	.p2align	8
	.type	_ZN7rocprim17ROCPRIM_400000_NS6detail17trampoline_kernelINS0_14default_configENS1_25partition_config_selectorILNS1_17partition_subalgoE5E10large_dataNS0_10empty_typeEbEEZZNS1_14partition_implILS5_5ELb0ES3_mN6thrust23THRUST_200600_302600_NS6detail15normal_iteratorINSB_10device_ptrIS6_EEEEPS7_NSB_18transform_iteratorI7is_evenIS6_ESG_NSB_11use_defaultESL_EENS0_5tupleIJSG_S7_EEENSN_IJSH_SH_EEES7_PlJS7_EEE10hipError_tPvRmT3_T4_T5_T6_T7_T9_mT8_P12ihipStream_tbDpT10_ENKUlT_T0_E_clISt17integral_constantIbLb0EES1A_EEDaS15_S16_EUlS15_E_NS1_11comp_targetILNS1_3genE4ELNS1_11target_archE910ELNS1_3gpuE8ELNS1_3repE0EEENS1_30default_config_static_selectorELNS0_4arch9wavefront6targetE0EEEvT1_,@function
_ZN7rocprim17ROCPRIM_400000_NS6detail17trampoline_kernelINS0_14default_configENS1_25partition_config_selectorILNS1_17partition_subalgoE5E10large_dataNS0_10empty_typeEbEEZZNS1_14partition_implILS5_5ELb0ES3_mN6thrust23THRUST_200600_302600_NS6detail15normal_iteratorINSB_10device_ptrIS6_EEEEPS7_NSB_18transform_iteratorI7is_evenIS6_ESG_NSB_11use_defaultESL_EENS0_5tupleIJSG_S7_EEENSN_IJSH_SH_EEES7_PlJS7_EEE10hipError_tPvRmT3_T4_T5_T6_T7_T9_mT8_P12ihipStream_tbDpT10_ENKUlT_T0_E_clISt17integral_constantIbLb0EES1A_EEDaS15_S16_EUlS15_E_NS1_11comp_targetILNS1_3genE4ELNS1_11target_archE910ELNS1_3gpuE8ELNS1_3repE0EEENS1_30default_config_static_selectorELNS0_4arch9wavefront6targetE0EEEvT1_: ; @_ZN7rocprim17ROCPRIM_400000_NS6detail17trampoline_kernelINS0_14default_configENS1_25partition_config_selectorILNS1_17partition_subalgoE5E10large_dataNS0_10empty_typeEbEEZZNS1_14partition_implILS5_5ELb0ES3_mN6thrust23THRUST_200600_302600_NS6detail15normal_iteratorINSB_10device_ptrIS6_EEEEPS7_NSB_18transform_iteratorI7is_evenIS6_ESG_NSB_11use_defaultESL_EENS0_5tupleIJSG_S7_EEENSN_IJSH_SH_EEES7_PlJS7_EEE10hipError_tPvRmT3_T4_T5_T6_T7_T9_mT8_P12ihipStream_tbDpT10_ENKUlT_T0_E_clISt17integral_constantIbLb0EES1A_EEDaS15_S16_EUlS15_E_NS1_11comp_targetILNS1_3genE4ELNS1_11target_archE910ELNS1_3gpuE8ELNS1_3repE0EEENS1_30default_config_static_selectorELNS0_4arch9wavefront6targetE0EEEvT1_
; %bb.0:
	.section	.rodata,"a",@progbits
	.p2align	6, 0x0
	.amdhsa_kernel _ZN7rocprim17ROCPRIM_400000_NS6detail17trampoline_kernelINS0_14default_configENS1_25partition_config_selectorILNS1_17partition_subalgoE5E10large_dataNS0_10empty_typeEbEEZZNS1_14partition_implILS5_5ELb0ES3_mN6thrust23THRUST_200600_302600_NS6detail15normal_iteratorINSB_10device_ptrIS6_EEEEPS7_NSB_18transform_iteratorI7is_evenIS6_ESG_NSB_11use_defaultESL_EENS0_5tupleIJSG_S7_EEENSN_IJSH_SH_EEES7_PlJS7_EEE10hipError_tPvRmT3_T4_T5_T6_T7_T9_mT8_P12ihipStream_tbDpT10_ENKUlT_T0_E_clISt17integral_constantIbLb0EES1A_EEDaS15_S16_EUlS15_E_NS1_11comp_targetILNS1_3genE4ELNS1_11target_archE910ELNS1_3gpuE8ELNS1_3repE0EEENS1_30default_config_static_selectorELNS0_4arch9wavefront6targetE0EEEvT1_
		.amdhsa_group_segment_fixed_size 0
		.amdhsa_private_segment_fixed_size 0
		.amdhsa_kernarg_size 120
		.amdhsa_user_sgpr_count 15
		.amdhsa_user_sgpr_dispatch_ptr 0
		.amdhsa_user_sgpr_queue_ptr 0
		.amdhsa_user_sgpr_kernarg_segment_ptr 1
		.amdhsa_user_sgpr_dispatch_id 0
		.amdhsa_user_sgpr_private_segment_size 0
		.amdhsa_wavefront_size32 1
		.amdhsa_uses_dynamic_stack 0
		.amdhsa_enable_private_segment 0
		.amdhsa_system_sgpr_workgroup_id_x 1
		.amdhsa_system_sgpr_workgroup_id_y 0
		.amdhsa_system_sgpr_workgroup_id_z 0
		.amdhsa_system_sgpr_workgroup_info 0
		.amdhsa_system_vgpr_workitem_id 0
		.amdhsa_next_free_vgpr 1
		.amdhsa_next_free_sgpr 1
		.amdhsa_reserve_vcc 0
		.amdhsa_float_round_mode_32 0
		.amdhsa_float_round_mode_16_64 0
		.amdhsa_float_denorm_mode_32 3
		.amdhsa_float_denorm_mode_16_64 3
		.amdhsa_dx10_clamp 1
		.amdhsa_ieee_mode 1
		.amdhsa_fp16_overflow 0
		.amdhsa_workgroup_processor_mode 1
		.amdhsa_memory_ordered 1
		.amdhsa_forward_progress 0
		.amdhsa_shared_vgpr_count 0
		.amdhsa_exception_fp_ieee_invalid_op 0
		.amdhsa_exception_fp_denorm_src 0
		.amdhsa_exception_fp_ieee_div_zero 0
		.amdhsa_exception_fp_ieee_overflow 0
		.amdhsa_exception_fp_ieee_underflow 0
		.amdhsa_exception_fp_ieee_inexact 0
		.amdhsa_exception_int_div_zero 0
	.end_amdhsa_kernel
	.section	.text._ZN7rocprim17ROCPRIM_400000_NS6detail17trampoline_kernelINS0_14default_configENS1_25partition_config_selectorILNS1_17partition_subalgoE5E10large_dataNS0_10empty_typeEbEEZZNS1_14partition_implILS5_5ELb0ES3_mN6thrust23THRUST_200600_302600_NS6detail15normal_iteratorINSB_10device_ptrIS6_EEEEPS7_NSB_18transform_iteratorI7is_evenIS6_ESG_NSB_11use_defaultESL_EENS0_5tupleIJSG_S7_EEENSN_IJSH_SH_EEES7_PlJS7_EEE10hipError_tPvRmT3_T4_T5_T6_T7_T9_mT8_P12ihipStream_tbDpT10_ENKUlT_T0_E_clISt17integral_constantIbLb0EES1A_EEDaS15_S16_EUlS15_E_NS1_11comp_targetILNS1_3genE4ELNS1_11target_archE910ELNS1_3gpuE8ELNS1_3repE0EEENS1_30default_config_static_selectorELNS0_4arch9wavefront6targetE0EEEvT1_,"axG",@progbits,_ZN7rocprim17ROCPRIM_400000_NS6detail17trampoline_kernelINS0_14default_configENS1_25partition_config_selectorILNS1_17partition_subalgoE5E10large_dataNS0_10empty_typeEbEEZZNS1_14partition_implILS5_5ELb0ES3_mN6thrust23THRUST_200600_302600_NS6detail15normal_iteratorINSB_10device_ptrIS6_EEEEPS7_NSB_18transform_iteratorI7is_evenIS6_ESG_NSB_11use_defaultESL_EENS0_5tupleIJSG_S7_EEENSN_IJSH_SH_EEES7_PlJS7_EEE10hipError_tPvRmT3_T4_T5_T6_T7_T9_mT8_P12ihipStream_tbDpT10_ENKUlT_T0_E_clISt17integral_constantIbLb0EES1A_EEDaS15_S16_EUlS15_E_NS1_11comp_targetILNS1_3genE4ELNS1_11target_archE910ELNS1_3gpuE8ELNS1_3repE0EEENS1_30default_config_static_selectorELNS0_4arch9wavefront6targetE0EEEvT1_,comdat
.Lfunc_end652:
	.size	_ZN7rocprim17ROCPRIM_400000_NS6detail17trampoline_kernelINS0_14default_configENS1_25partition_config_selectorILNS1_17partition_subalgoE5E10large_dataNS0_10empty_typeEbEEZZNS1_14partition_implILS5_5ELb0ES3_mN6thrust23THRUST_200600_302600_NS6detail15normal_iteratorINSB_10device_ptrIS6_EEEEPS7_NSB_18transform_iteratorI7is_evenIS6_ESG_NSB_11use_defaultESL_EENS0_5tupleIJSG_S7_EEENSN_IJSH_SH_EEES7_PlJS7_EEE10hipError_tPvRmT3_T4_T5_T6_T7_T9_mT8_P12ihipStream_tbDpT10_ENKUlT_T0_E_clISt17integral_constantIbLb0EES1A_EEDaS15_S16_EUlS15_E_NS1_11comp_targetILNS1_3genE4ELNS1_11target_archE910ELNS1_3gpuE8ELNS1_3repE0EEENS1_30default_config_static_selectorELNS0_4arch9wavefront6targetE0EEEvT1_, .Lfunc_end652-_ZN7rocprim17ROCPRIM_400000_NS6detail17trampoline_kernelINS0_14default_configENS1_25partition_config_selectorILNS1_17partition_subalgoE5E10large_dataNS0_10empty_typeEbEEZZNS1_14partition_implILS5_5ELb0ES3_mN6thrust23THRUST_200600_302600_NS6detail15normal_iteratorINSB_10device_ptrIS6_EEEEPS7_NSB_18transform_iteratorI7is_evenIS6_ESG_NSB_11use_defaultESL_EENS0_5tupleIJSG_S7_EEENSN_IJSH_SH_EEES7_PlJS7_EEE10hipError_tPvRmT3_T4_T5_T6_T7_T9_mT8_P12ihipStream_tbDpT10_ENKUlT_T0_E_clISt17integral_constantIbLb0EES1A_EEDaS15_S16_EUlS15_E_NS1_11comp_targetILNS1_3genE4ELNS1_11target_archE910ELNS1_3gpuE8ELNS1_3repE0EEENS1_30default_config_static_selectorELNS0_4arch9wavefront6targetE0EEEvT1_
                                        ; -- End function
	.section	.AMDGPU.csdata,"",@progbits
; Kernel info:
; codeLenInByte = 0
; NumSgprs: 0
; NumVgprs: 0
; ScratchSize: 0
; MemoryBound: 0
; FloatMode: 240
; IeeeMode: 1
; LDSByteSize: 0 bytes/workgroup (compile time only)
; SGPRBlocks: 0
; VGPRBlocks: 0
; NumSGPRsForWavesPerEU: 1
; NumVGPRsForWavesPerEU: 1
; Occupancy: 16
; WaveLimiterHint : 0
; COMPUTE_PGM_RSRC2:SCRATCH_EN: 0
; COMPUTE_PGM_RSRC2:USER_SGPR: 15
; COMPUTE_PGM_RSRC2:TRAP_HANDLER: 0
; COMPUTE_PGM_RSRC2:TGID_X_EN: 1
; COMPUTE_PGM_RSRC2:TGID_Y_EN: 0
; COMPUTE_PGM_RSRC2:TGID_Z_EN: 0
; COMPUTE_PGM_RSRC2:TIDIG_COMP_CNT: 0
	.section	.text._ZN7rocprim17ROCPRIM_400000_NS6detail17trampoline_kernelINS0_14default_configENS1_25partition_config_selectorILNS1_17partition_subalgoE5E10large_dataNS0_10empty_typeEbEEZZNS1_14partition_implILS5_5ELb0ES3_mN6thrust23THRUST_200600_302600_NS6detail15normal_iteratorINSB_10device_ptrIS6_EEEEPS7_NSB_18transform_iteratorI7is_evenIS6_ESG_NSB_11use_defaultESL_EENS0_5tupleIJSG_S7_EEENSN_IJSH_SH_EEES7_PlJS7_EEE10hipError_tPvRmT3_T4_T5_T6_T7_T9_mT8_P12ihipStream_tbDpT10_ENKUlT_T0_E_clISt17integral_constantIbLb0EES1A_EEDaS15_S16_EUlS15_E_NS1_11comp_targetILNS1_3genE3ELNS1_11target_archE908ELNS1_3gpuE7ELNS1_3repE0EEENS1_30default_config_static_selectorELNS0_4arch9wavefront6targetE0EEEvT1_,"axG",@progbits,_ZN7rocprim17ROCPRIM_400000_NS6detail17trampoline_kernelINS0_14default_configENS1_25partition_config_selectorILNS1_17partition_subalgoE5E10large_dataNS0_10empty_typeEbEEZZNS1_14partition_implILS5_5ELb0ES3_mN6thrust23THRUST_200600_302600_NS6detail15normal_iteratorINSB_10device_ptrIS6_EEEEPS7_NSB_18transform_iteratorI7is_evenIS6_ESG_NSB_11use_defaultESL_EENS0_5tupleIJSG_S7_EEENSN_IJSH_SH_EEES7_PlJS7_EEE10hipError_tPvRmT3_T4_T5_T6_T7_T9_mT8_P12ihipStream_tbDpT10_ENKUlT_T0_E_clISt17integral_constantIbLb0EES1A_EEDaS15_S16_EUlS15_E_NS1_11comp_targetILNS1_3genE3ELNS1_11target_archE908ELNS1_3gpuE7ELNS1_3repE0EEENS1_30default_config_static_selectorELNS0_4arch9wavefront6targetE0EEEvT1_,comdat
	.protected	_ZN7rocprim17ROCPRIM_400000_NS6detail17trampoline_kernelINS0_14default_configENS1_25partition_config_selectorILNS1_17partition_subalgoE5E10large_dataNS0_10empty_typeEbEEZZNS1_14partition_implILS5_5ELb0ES3_mN6thrust23THRUST_200600_302600_NS6detail15normal_iteratorINSB_10device_ptrIS6_EEEEPS7_NSB_18transform_iteratorI7is_evenIS6_ESG_NSB_11use_defaultESL_EENS0_5tupleIJSG_S7_EEENSN_IJSH_SH_EEES7_PlJS7_EEE10hipError_tPvRmT3_T4_T5_T6_T7_T9_mT8_P12ihipStream_tbDpT10_ENKUlT_T0_E_clISt17integral_constantIbLb0EES1A_EEDaS15_S16_EUlS15_E_NS1_11comp_targetILNS1_3genE3ELNS1_11target_archE908ELNS1_3gpuE7ELNS1_3repE0EEENS1_30default_config_static_selectorELNS0_4arch9wavefront6targetE0EEEvT1_ ; -- Begin function _ZN7rocprim17ROCPRIM_400000_NS6detail17trampoline_kernelINS0_14default_configENS1_25partition_config_selectorILNS1_17partition_subalgoE5E10large_dataNS0_10empty_typeEbEEZZNS1_14partition_implILS5_5ELb0ES3_mN6thrust23THRUST_200600_302600_NS6detail15normal_iteratorINSB_10device_ptrIS6_EEEEPS7_NSB_18transform_iteratorI7is_evenIS6_ESG_NSB_11use_defaultESL_EENS0_5tupleIJSG_S7_EEENSN_IJSH_SH_EEES7_PlJS7_EEE10hipError_tPvRmT3_T4_T5_T6_T7_T9_mT8_P12ihipStream_tbDpT10_ENKUlT_T0_E_clISt17integral_constantIbLb0EES1A_EEDaS15_S16_EUlS15_E_NS1_11comp_targetILNS1_3genE3ELNS1_11target_archE908ELNS1_3gpuE7ELNS1_3repE0EEENS1_30default_config_static_selectorELNS0_4arch9wavefront6targetE0EEEvT1_
	.globl	_ZN7rocprim17ROCPRIM_400000_NS6detail17trampoline_kernelINS0_14default_configENS1_25partition_config_selectorILNS1_17partition_subalgoE5E10large_dataNS0_10empty_typeEbEEZZNS1_14partition_implILS5_5ELb0ES3_mN6thrust23THRUST_200600_302600_NS6detail15normal_iteratorINSB_10device_ptrIS6_EEEEPS7_NSB_18transform_iteratorI7is_evenIS6_ESG_NSB_11use_defaultESL_EENS0_5tupleIJSG_S7_EEENSN_IJSH_SH_EEES7_PlJS7_EEE10hipError_tPvRmT3_T4_T5_T6_T7_T9_mT8_P12ihipStream_tbDpT10_ENKUlT_T0_E_clISt17integral_constantIbLb0EES1A_EEDaS15_S16_EUlS15_E_NS1_11comp_targetILNS1_3genE3ELNS1_11target_archE908ELNS1_3gpuE7ELNS1_3repE0EEENS1_30default_config_static_selectorELNS0_4arch9wavefront6targetE0EEEvT1_
	.p2align	8
	.type	_ZN7rocprim17ROCPRIM_400000_NS6detail17trampoline_kernelINS0_14default_configENS1_25partition_config_selectorILNS1_17partition_subalgoE5E10large_dataNS0_10empty_typeEbEEZZNS1_14partition_implILS5_5ELb0ES3_mN6thrust23THRUST_200600_302600_NS6detail15normal_iteratorINSB_10device_ptrIS6_EEEEPS7_NSB_18transform_iteratorI7is_evenIS6_ESG_NSB_11use_defaultESL_EENS0_5tupleIJSG_S7_EEENSN_IJSH_SH_EEES7_PlJS7_EEE10hipError_tPvRmT3_T4_T5_T6_T7_T9_mT8_P12ihipStream_tbDpT10_ENKUlT_T0_E_clISt17integral_constantIbLb0EES1A_EEDaS15_S16_EUlS15_E_NS1_11comp_targetILNS1_3genE3ELNS1_11target_archE908ELNS1_3gpuE7ELNS1_3repE0EEENS1_30default_config_static_selectorELNS0_4arch9wavefront6targetE0EEEvT1_,@function
_ZN7rocprim17ROCPRIM_400000_NS6detail17trampoline_kernelINS0_14default_configENS1_25partition_config_selectorILNS1_17partition_subalgoE5E10large_dataNS0_10empty_typeEbEEZZNS1_14partition_implILS5_5ELb0ES3_mN6thrust23THRUST_200600_302600_NS6detail15normal_iteratorINSB_10device_ptrIS6_EEEEPS7_NSB_18transform_iteratorI7is_evenIS6_ESG_NSB_11use_defaultESL_EENS0_5tupleIJSG_S7_EEENSN_IJSH_SH_EEES7_PlJS7_EEE10hipError_tPvRmT3_T4_T5_T6_T7_T9_mT8_P12ihipStream_tbDpT10_ENKUlT_T0_E_clISt17integral_constantIbLb0EES1A_EEDaS15_S16_EUlS15_E_NS1_11comp_targetILNS1_3genE3ELNS1_11target_archE908ELNS1_3gpuE7ELNS1_3repE0EEENS1_30default_config_static_selectorELNS0_4arch9wavefront6targetE0EEEvT1_: ; @_ZN7rocprim17ROCPRIM_400000_NS6detail17trampoline_kernelINS0_14default_configENS1_25partition_config_selectorILNS1_17partition_subalgoE5E10large_dataNS0_10empty_typeEbEEZZNS1_14partition_implILS5_5ELb0ES3_mN6thrust23THRUST_200600_302600_NS6detail15normal_iteratorINSB_10device_ptrIS6_EEEEPS7_NSB_18transform_iteratorI7is_evenIS6_ESG_NSB_11use_defaultESL_EENS0_5tupleIJSG_S7_EEENSN_IJSH_SH_EEES7_PlJS7_EEE10hipError_tPvRmT3_T4_T5_T6_T7_T9_mT8_P12ihipStream_tbDpT10_ENKUlT_T0_E_clISt17integral_constantIbLb0EES1A_EEDaS15_S16_EUlS15_E_NS1_11comp_targetILNS1_3genE3ELNS1_11target_archE908ELNS1_3gpuE7ELNS1_3repE0EEENS1_30default_config_static_selectorELNS0_4arch9wavefront6targetE0EEEvT1_
; %bb.0:
	.section	.rodata,"a",@progbits
	.p2align	6, 0x0
	.amdhsa_kernel _ZN7rocprim17ROCPRIM_400000_NS6detail17trampoline_kernelINS0_14default_configENS1_25partition_config_selectorILNS1_17partition_subalgoE5E10large_dataNS0_10empty_typeEbEEZZNS1_14partition_implILS5_5ELb0ES3_mN6thrust23THRUST_200600_302600_NS6detail15normal_iteratorINSB_10device_ptrIS6_EEEEPS7_NSB_18transform_iteratorI7is_evenIS6_ESG_NSB_11use_defaultESL_EENS0_5tupleIJSG_S7_EEENSN_IJSH_SH_EEES7_PlJS7_EEE10hipError_tPvRmT3_T4_T5_T6_T7_T9_mT8_P12ihipStream_tbDpT10_ENKUlT_T0_E_clISt17integral_constantIbLb0EES1A_EEDaS15_S16_EUlS15_E_NS1_11comp_targetILNS1_3genE3ELNS1_11target_archE908ELNS1_3gpuE7ELNS1_3repE0EEENS1_30default_config_static_selectorELNS0_4arch9wavefront6targetE0EEEvT1_
		.amdhsa_group_segment_fixed_size 0
		.amdhsa_private_segment_fixed_size 0
		.amdhsa_kernarg_size 120
		.amdhsa_user_sgpr_count 15
		.amdhsa_user_sgpr_dispatch_ptr 0
		.amdhsa_user_sgpr_queue_ptr 0
		.amdhsa_user_sgpr_kernarg_segment_ptr 1
		.amdhsa_user_sgpr_dispatch_id 0
		.amdhsa_user_sgpr_private_segment_size 0
		.amdhsa_wavefront_size32 1
		.amdhsa_uses_dynamic_stack 0
		.amdhsa_enable_private_segment 0
		.amdhsa_system_sgpr_workgroup_id_x 1
		.amdhsa_system_sgpr_workgroup_id_y 0
		.amdhsa_system_sgpr_workgroup_id_z 0
		.amdhsa_system_sgpr_workgroup_info 0
		.amdhsa_system_vgpr_workitem_id 0
		.amdhsa_next_free_vgpr 1
		.amdhsa_next_free_sgpr 1
		.amdhsa_reserve_vcc 0
		.amdhsa_float_round_mode_32 0
		.amdhsa_float_round_mode_16_64 0
		.amdhsa_float_denorm_mode_32 3
		.amdhsa_float_denorm_mode_16_64 3
		.amdhsa_dx10_clamp 1
		.amdhsa_ieee_mode 1
		.amdhsa_fp16_overflow 0
		.amdhsa_workgroup_processor_mode 1
		.amdhsa_memory_ordered 1
		.amdhsa_forward_progress 0
		.amdhsa_shared_vgpr_count 0
		.amdhsa_exception_fp_ieee_invalid_op 0
		.amdhsa_exception_fp_denorm_src 0
		.amdhsa_exception_fp_ieee_div_zero 0
		.amdhsa_exception_fp_ieee_overflow 0
		.amdhsa_exception_fp_ieee_underflow 0
		.amdhsa_exception_fp_ieee_inexact 0
		.amdhsa_exception_int_div_zero 0
	.end_amdhsa_kernel
	.section	.text._ZN7rocprim17ROCPRIM_400000_NS6detail17trampoline_kernelINS0_14default_configENS1_25partition_config_selectorILNS1_17partition_subalgoE5E10large_dataNS0_10empty_typeEbEEZZNS1_14partition_implILS5_5ELb0ES3_mN6thrust23THRUST_200600_302600_NS6detail15normal_iteratorINSB_10device_ptrIS6_EEEEPS7_NSB_18transform_iteratorI7is_evenIS6_ESG_NSB_11use_defaultESL_EENS0_5tupleIJSG_S7_EEENSN_IJSH_SH_EEES7_PlJS7_EEE10hipError_tPvRmT3_T4_T5_T6_T7_T9_mT8_P12ihipStream_tbDpT10_ENKUlT_T0_E_clISt17integral_constantIbLb0EES1A_EEDaS15_S16_EUlS15_E_NS1_11comp_targetILNS1_3genE3ELNS1_11target_archE908ELNS1_3gpuE7ELNS1_3repE0EEENS1_30default_config_static_selectorELNS0_4arch9wavefront6targetE0EEEvT1_,"axG",@progbits,_ZN7rocprim17ROCPRIM_400000_NS6detail17trampoline_kernelINS0_14default_configENS1_25partition_config_selectorILNS1_17partition_subalgoE5E10large_dataNS0_10empty_typeEbEEZZNS1_14partition_implILS5_5ELb0ES3_mN6thrust23THRUST_200600_302600_NS6detail15normal_iteratorINSB_10device_ptrIS6_EEEEPS7_NSB_18transform_iteratorI7is_evenIS6_ESG_NSB_11use_defaultESL_EENS0_5tupleIJSG_S7_EEENSN_IJSH_SH_EEES7_PlJS7_EEE10hipError_tPvRmT3_T4_T5_T6_T7_T9_mT8_P12ihipStream_tbDpT10_ENKUlT_T0_E_clISt17integral_constantIbLb0EES1A_EEDaS15_S16_EUlS15_E_NS1_11comp_targetILNS1_3genE3ELNS1_11target_archE908ELNS1_3gpuE7ELNS1_3repE0EEENS1_30default_config_static_selectorELNS0_4arch9wavefront6targetE0EEEvT1_,comdat
.Lfunc_end653:
	.size	_ZN7rocprim17ROCPRIM_400000_NS6detail17trampoline_kernelINS0_14default_configENS1_25partition_config_selectorILNS1_17partition_subalgoE5E10large_dataNS0_10empty_typeEbEEZZNS1_14partition_implILS5_5ELb0ES3_mN6thrust23THRUST_200600_302600_NS6detail15normal_iteratorINSB_10device_ptrIS6_EEEEPS7_NSB_18transform_iteratorI7is_evenIS6_ESG_NSB_11use_defaultESL_EENS0_5tupleIJSG_S7_EEENSN_IJSH_SH_EEES7_PlJS7_EEE10hipError_tPvRmT3_T4_T5_T6_T7_T9_mT8_P12ihipStream_tbDpT10_ENKUlT_T0_E_clISt17integral_constantIbLb0EES1A_EEDaS15_S16_EUlS15_E_NS1_11comp_targetILNS1_3genE3ELNS1_11target_archE908ELNS1_3gpuE7ELNS1_3repE0EEENS1_30default_config_static_selectorELNS0_4arch9wavefront6targetE0EEEvT1_, .Lfunc_end653-_ZN7rocprim17ROCPRIM_400000_NS6detail17trampoline_kernelINS0_14default_configENS1_25partition_config_selectorILNS1_17partition_subalgoE5E10large_dataNS0_10empty_typeEbEEZZNS1_14partition_implILS5_5ELb0ES3_mN6thrust23THRUST_200600_302600_NS6detail15normal_iteratorINSB_10device_ptrIS6_EEEEPS7_NSB_18transform_iteratorI7is_evenIS6_ESG_NSB_11use_defaultESL_EENS0_5tupleIJSG_S7_EEENSN_IJSH_SH_EEES7_PlJS7_EEE10hipError_tPvRmT3_T4_T5_T6_T7_T9_mT8_P12ihipStream_tbDpT10_ENKUlT_T0_E_clISt17integral_constantIbLb0EES1A_EEDaS15_S16_EUlS15_E_NS1_11comp_targetILNS1_3genE3ELNS1_11target_archE908ELNS1_3gpuE7ELNS1_3repE0EEENS1_30default_config_static_selectorELNS0_4arch9wavefront6targetE0EEEvT1_
                                        ; -- End function
	.section	.AMDGPU.csdata,"",@progbits
; Kernel info:
; codeLenInByte = 0
; NumSgprs: 0
; NumVgprs: 0
; ScratchSize: 0
; MemoryBound: 0
; FloatMode: 240
; IeeeMode: 1
; LDSByteSize: 0 bytes/workgroup (compile time only)
; SGPRBlocks: 0
; VGPRBlocks: 0
; NumSGPRsForWavesPerEU: 1
; NumVGPRsForWavesPerEU: 1
; Occupancy: 16
; WaveLimiterHint : 0
; COMPUTE_PGM_RSRC2:SCRATCH_EN: 0
; COMPUTE_PGM_RSRC2:USER_SGPR: 15
; COMPUTE_PGM_RSRC2:TRAP_HANDLER: 0
; COMPUTE_PGM_RSRC2:TGID_X_EN: 1
; COMPUTE_PGM_RSRC2:TGID_Y_EN: 0
; COMPUTE_PGM_RSRC2:TGID_Z_EN: 0
; COMPUTE_PGM_RSRC2:TIDIG_COMP_CNT: 0
	.section	.text._ZN7rocprim17ROCPRIM_400000_NS6detail17trampoline_kernelINS0_14default_configENS1_25partition_config_selectorILNS1_17partition_subalgoE5E10large_dataNS0_10empty_typeEbEEZZNS1_14partition_implILS5_5ELb0ES3_mN6thrust23THRUST_200600_302600_NS6detail15normal_iteratorINSB_10device_ptrIS6_EEEEPS7_NSB_18transform_iteratorI7is_evenIS6_ESG_NSB_11use_defaultESL_EENS0_5tupleIJSG_S7_EEENSN_IJSH_SH_EEES7_PlJS7_EEE10hipError_tPvRmT3_T4_T5_T6_T7_T9_mT8_P12ihipStream_tbDpT10_ENKUlT_T0_E_clISt17integral_constantIbLb0EES1A_EEDaS15_S16_EUlS15_E_NS1_11comp_targetILNS1_3genE2ELNS1_11target_archE906ELNS1_3gpuE6ELNS1_3repE0EEENS1_30default_config_static_selectorELNS0_4arch9wavefront6targetE0EEEvT1_,"axG",@progbits,_ZN7rocprim17ROCPRIM_400000_NS6detail17trampoline_kernelINS0_14default_configENS1_25partition_config_selectorILNS1_17partition_subalgoE5E10large_dataNS0_10empty_typeEbEEZZNS1_14partition_implILS5_5ELb0ES3_mN6thrust23THRUST_200600_302600_NS6detail15normal_iteratorINSB_10device_ptrIS6_EEEEPS7_NSB_18transform_iteratorI7is_evenIS6_ESG_NSB_11use_defaultESL_EENS0_5tupleIJSG_S7_EEENSN_IJSH_SH_EEES7_PlJS7_EEE10hipError_tPvRmT3_T4_T5_T6_T7_T9_mT8_P12ihipStream_tbDpT10_ENKUlT_T0_E_clISt17integral_constantIbLb0EES1A_EEDaS15_S16_EUlS15_E_NS1_11comp_targetILNS1_3genE2ELNS1_11target_archE906ELNS1_3gpuE6ELNS1_3repE0EEENS1_30default_config_static_selectorELNS0_4arch9wavefront6targetE0EEEvT1_,comdat
	.protected	_ZN7rocprim17ROCPRIM_400000_NS6detail17trampoline_kernelINS0_14default_configENS1_25partition_config_selectorILNS1_17partition_subalgoE5E10large_dataNS0_10empty_typeEbEEZZNS1_14partition_implILS5_5ELb0ES3_mN6thrust23THRUST_200600_302600_NS6detail15normal_iteratorINSB_10device_ptrIS6_EEEEPS7_NSB_18transform_iteratorI7is_evenIS6_ESG_NSB_11use_defaultESL_EENS0_5tupleIJSG_S7_EEENSN_IJSH_SH_EEES7_PlJS7_EEE10hipError_tPvRmT3_T4_T5_T6_T7_T9_mT8_P12ihipStream_tbDpT10_ENKUlT_T0_E_clISt17integral_constantIbLb0EES1A_EEDaS15_S16_EUlS15_E_NS1_11comp_targetILNS1_3genE2ELNS1_11target_archE906ELNS1_3gpuE6ELNS1_3repE0EEENS1_30default_config_static_selectorELNS0_4arch9wavefront6targetE0EEEvT1_ ; -- Begin function _ZN7rocprim17ROCPRIM_400000_NS6detail17trampoline_kernelINS0_14default_configENS1_25partition_config_selectorILNS1_17partition_subalgoE5E10large_dataNS0_10empty_typeEbEEZZNS1_14partition_implILS5_5ELb0ES3_mN6thrust23THRUST_200600_302600_NS6detail15normal_iteratorINSB_10device_ptrIS6_EEEEPS7_NSB_18transform_iteratorI7is_evenIS6_ESG_NSB_11use_defaultESL_EENS0_5tupleIJSG_S7_EEENSN_IJSH_SH_EEES7_PlJS7_EEE10hipError_tPvRmT3_T4_T5_T6_T7_T9_mT8_P12ihipStream_tbDpT10_ENKUlT_T0_E_clISt17integral_constantIbLb0EES1A_EEDaS15_S16_EUlS15_E_NS1_11comp_targetILNS1_3genE2ELNS1_11target_archE906ELNS1_3gpuE6ELNS1_3repE0EEENS1_30default_config_static_selectorELNS0_4arch9wavefront6targetE0EEEvT1_
	.globl	_ZN7rocprim17ROCPRIM_400000_NS6detail17trampoline_kernelINS0_14default_configENS1_25partition_config_selectorILNS1_17partition_subalgoE5E10large_dataNS0_10empty_typeEbEEZZNS1_14partition_implILS5_5ELb0ES3_mN6thrust23THRUST_200600_302600_NS6detail15normal_iteratorINSB_10device_ptrIS6_EEEEPS7_NSB_18transform_iteratorI7is_evenIS6_ESG_NSB_11use_defaultESL_EENS0_5tupleIJSG_S7_EEENSN_IJSH_SH_EEES7_PlJS7_EEE10hipError_tPvRmT3_T4_T5_T6_T7_T9_mT8_P12ihipStream_tbDpT10_ENKUlT_T0_E_clISt17integral_constantIbLb0EES1A_EEDaS15_S16_EUlS15_E_NS1_11comp_targetILNS1_3genE2ELNS1_11target_archE906ELNS1_3gpuE6ELNS1_3repE0EEENS1_30default_config_static_selectorELNS0_4arch9wavefront6targetE0EEEvT1_
	.p2align	8
	.type	_ZN7rocprim17ROCPRIM_400000_NS6detail17trampoline_kernelINS0_14default_configENS1_25partition_config_selectorILNS1_17partition_subalgoE5E10large_dataNS0_10empty_typeEbEEZZNS1_14partition_implILS5_5ELb0ES3_mN6thrust23THRUST_200600_302600_NS6detail15normal_iteratorINSB_10device_ptrIS6_EEEEPS7_NSB_18transform_iteratorI7is_evenIS6_ESG_NSB_11use_defaultESL_EENS0_5tupleIJSG_S7_EEENSN_IJSH_SH_EEES7_PlJS7_EEE10hipError_tPvRmT3_T4_T5_T6_T7_T9_mT8_P12ihipStream_tbDpT10_ENKUlT_T0_E_clISt17integral_constantIbLb0EES1A_EEDaS15_S16_EUlS15_E_NS1_11comp_targetILNS1_3genE2ELNS1_11target_archE906ELNS1_3gpuE6ELNS1_3repE0EEENS1_30default_config_static_selectorELNS0_4arch9wavefront6targetE0EEEvT1_,@function
_ZN7rocprim17ROCPRIM_400000_NS6detail17trampoline_kernelINS0_14default_configENS1_25partition_config_selectorILNS1_17partition_subalgoE5E10large_dataNS0_10empty_typeEbEEZZNS1_14partition_implILS5_5ELb0ES3_mN6thrust23THRUST_200600_302600_NS6detail15normal_iteratorINSB_10device_ptrIS6_EEEEPS7_NSB_18transform_iteratorI7is_evenIS6_ESG_NSB_11use_defaultESL_EENS0_5tupleIJSG_S7_EEENSN_IJSH_SH_EEES7_PlJS7_EEE10hipError_tPvRmT3_T4_T5_T6_T7_T9_mT8_P12ihipStream_tbDpT10_ENKUlT_T0_E_clISt17integral_constantIbLb0EES1A_EEDaS15_S16_EUlS15_E_NS1_11comp_targetILNS1_3genE2ELNS1_11target_archE906ELNS1_3gpuE6ELNS1_3repE0EEENS1_30default_config_static_selectorELNS0_4arch9wavefront6targetE0EEEvT1_: ; @_ZN7rocprim17ROCPRIM_400000_NS6detail17trampoline_kernelINS0_14default_configENS1_25partition_config_selectorILNS1_17partition_subalgoE5E10large_dataNS0_10empty_typeEbEEZZNS1_14partition_implILS5_5ELb0ES3_mN6thrust23THRUST_200600_302600_NS6detail15normal_iteratorINSB_10device_ptrIS6_EEEEPS7_NSB_18transform_iteratorI7is_evenIS6_ESG_NSB_11use_defaultESL_EENS0_5tupleIJSG_S7_EEENSN_IJSH_SH_EEES7_PlJS7_EEE10hipError_tPvRmT3_T4_T5_T6_T7_T9_mT8_P12ihipStream_tbDpT10_ENKUlT_T0_E_clISt17integral_constantIbLb0EES1A_EEDaS15_S16_EUlS15_E_NS1_11comp_targetILNS1_3genE2ELNS1_11target_archE906ELNS1_3gpuE6ELNS1_3repE0EEENS1_30default_config_static_selectorELNS0_4arch9wavefront6targetE0EEEvT1_
; %bb.0:
	.section	.rodata,"a",@progbits
	.p2align	6, 0x0
	.amdhsa_kernel _ZN7rocprim17ROCPRIM_400000_NS6detail17trampoline_kernelINS0_14default_configENS1_25partition_config_selectorILNS1_17partition_subalgoE5E10large_dataNS0_10empty_typeEbEEZZNS1_14partition_implILS5_5ELb0ES3_mN6thrust23THRUST_200600_302600_NS6detail15normal_iteratorINSB_10device_ptrIS6_EEEEPS7_NSB_18transform_iteratorI7is_evenIS6_ESG_NSB_11use_defaultESL_EENS0_5tupleIJSG_S7_EEENSN_IJSH_SH_EEES7_PlJS7_EEE10hipError_tPvRmT3_T4_T5_T6_T7_T9_mT8_P12ihipStream_tbDpT10_ENKUlT_T0_E_clISt17integral_constantIbLb0EES1A_EEDaS15_S16_EUlS15_E_NS1_11comp_targetILNS1_3genE2ELNS1_11target_archE906ELNS1_3gpuE6ELNS1_3repE0EEENS1_30default_config_static_selectorELNS0_4arch9wavefront6targetE0EEEvT1_
		.amdhsa_group_segment_fixed_size 0
		.amdhsa_private_segment_fixed_size 0
		.amdhsa_kernarg_size 120
		.amdhsa_user_sgpr_count 15
		.amdhsa_user_sgpr_dispatch_ptr 0
		.amdhsa_user_sgpr_queue_ptr 0
		.amdhsa_user_sgpr_kernarg_segment_ptr 1
		.amdhsa_user_sgpr_dispatch_id 0
		.amdhsa_user_sgpr_private_segment_size 0
		.amdhsa_wavefront_size32 1
		.amdhsa_uses_dynamic_stack 0
		.amdhsa_enable_private_segment 0
		.amdhsa_system_sgpr_workgroup_id_x 1
		.amdhsa_system_sgpr_workgroup_id_y 0
		.amdhsa_system_sgpr_workgroup_id_z 0
		.amdhsa_system_sgpr_workgroup_info 0
		.amdhsa_system_vgpr_workitem_id 0
		.amdhsa_next_free_vgpr 1
		.amdhsa_next_free_sgpr 1
		.amdhsa_reserve_vcc 0
		.amdhsa_float_round_mode_32 0
		.amdhsa_float_round_mode_16_64 0
		.amdhsa_float_denorm_mode_32 3
		.amdhsa_float_denorm_mode_16_64 3
		.amdhsa_dx10_clamp 1
		.amdhsa_ieee_mode 1
		.amdhsa_fp16_overflow 0
		.amdhsa_workgroup_processor_mode 1
		.amdhsa_memory_ordered 1
		.amdhsa_forward_progress 0
		.amdhsa_shared_vgpr_count 0
		.amdhsa_exception_fp_ieee_invalid_op 0
		.amdhsa_exception_fp_denorm_src 0
		.amdhsa_exception_fp_ieee_div_zero 0
		.amdhsa_exception_fp_ieee_overflow 0
		.amdhsa_exception_fp_ieee_underflow 0
		.amdhsa_exception_fp_ieee_inexact 0
		.amdhsa_exception_int_div_zero 0
	.end_amdhsa_kernel
	.section	.text._ZN7rocprim17ROCPRIM_400000_NS6detail17trampoline_kernelINS0_14default_configENS1_25partition_config_selectorILNS1_17partition_subalgoE5E10large_dataNS0_10empty_typeEbEEZZNS1_14partition_implILS5_5ELb0ES3_mN6thrust23THRUST_200600_302600_NS6detail15normal_iteratorINSB_10device_ptrIS6_EEEEPS7_NSB_18transform_iteratorI7is_evenIS6_ESG_NSB_11use_defaultESL_EENS0_5tupleIJSG_S7_EEENSN_IJSH_SH_EEES7_PlJS7_EEE10hipError_tPvRmT3_T4_T5_T6_T7_T9_mT8_P12ihipStream_tbDpT10_ENKUlT_T0_E_clISt17integral_constantIbLb0EES1A_EEDaS15_S16_EUlS15_E_NS1_11comp_targetILNS1_3genE2ELNS1_11target_archE906ELNS1_3gpuE6ELNS1_3repE0EEENS1_30default_config_static_selectorELNS0_4arch9wavefront6targetE0EEEvT1_,"axG",@progbits,_ZN7rocprim17ROCPRIM_400000_NS6detail17trampoline_kernelINS0_14default_configENS1_25partition_config_selectorILNS1_17partition_subalgoE5E10large_dataNS0_10empty_typeEbEEZZNS1_14partition_implILS5_5ELb0ES3_mN6thrust23THRUST_200600_302600_NS6detail15normal_iteratorINSB_10device_ptrIS6_EEEEPS7_NSB_18transform_iteratorI7is_evenIS6_ESG_NSB_11use_defaultESL_EENS0_5tupleIJSG_S7_EEENSN_IJSH_SH_EEES7_PlJS7_EEE10hipError_tPvRmT3_T4_T5_T6_T7_T9_mT8_P12ihipStream_tbDpT10_ENKUlT_T0_E_clISt17integral_constantIbLb0EES1A_EEDaS15_S16_EUlS15_E_NS1_11comp_targetILNS1_3genE2ELNS1_11target_archE906ELNS1_3gpuE6ELNS1_3repE0EEENS1_30default_config_static_selectorELNS0_4arch9wavefront6targetE0EEEvT1_,comdat
.Lfunc_end654:
	.size	_ZN7rocprim17ROCPRIM_400000_NS6detail17trampoline_kernelINS0_14default_configENS1_25partition_config_selectorILNS1_17partition_subalgoE5E10large_dataNS0_10empty_typeEbEEZZNS1_14partition_implILS5_5ELb0ES3_mN6thrust23THRUST_200600_302600_NS6detail15normal_iteratorINSB_10device_ptrIS6_EEEEPS7_NSB_18transform_iteratorI7is_evenIS6_ESG_NSB_11use_defaultESL_EENS0_5tupleIJSG_S7_EEENSN_IJSH_SH_EEES7_PlJS7_EEE10hipError_tPvRmT3_T4_T5_T6_T7_T9_mT8_P12ihipStream_tbDpT10_ENKUlT_T0_E_clISt17integral_constantIbLb0EES1A_EEDaS15_S16_EUlS15_E_NS1_11comp_targetILNS1_3genE2ELNS1_11target_archE906ELNS1_3gpuE6ELNS1_3repE0EEENS1_30default_config_static_selectorELNS0_4arch9wavefront6targetE0EEEvT1_, .Lfunc_end654-_ZN7rocprim17ROCPRIM_400000_NS6detail17trampoline_kernelINS0_14default_configENS1_25partition_config_selectorILNS1_17partition_subalgoE5E10large_dataNS0_10empty_typeEbEEZZNS1_14partition_implILS5_5ELb0ES3_mN6thrust23THRUST_200600_302600_NS6detail15normal_iteratorINSB_10device_ptrIS6_EEEEPS7_NSB_18transform_iteratorI7is_evenIS6_ESG_NSB_11use_defaultESL_EENS0_5tupleIJSG_S7_EEENSN_IJSH_SH_EEES7_PlJS7_EEE10hipError_tPvRmT3_T4_T5_T6_T7_T9_mT8_P12ihipStream_tbDpT10_ENKUlT_T0_E_clISt17integral_constantIbLb0EES1A_EEDaS15_S16_EUlS15_E_NS1_11comp_targetILNS1_3genE2ELNS1_11target_archE906ELNS1_3gpuE6ELNS1_3repE0EEENS1_30default_config_static_selectorELNS0_4arch9wavefront6targetE0EEEvT1_
                                        ; -- End function
	.section	.AMDGPU.csdata,"",@progbits
; Kernel info:
; codeLenInByte = 0
; NumSgprs: 0
; NumVgprs: 0
; ScratchSize: 0
; MemoryBound: 0
; FloatMode: 240
; IeeeMode: 1
; LDSByteSize: 0 bytes/workgroup (compile time only)
; SGPRBlocks: 0
; VGPRBlocks: 0
; NumSGPRsForWavesPerEU: 1
; NumVGPRsForWavesPerEU: 1
; Occupancy: 16
; WaveLimiterHint : 0
; COMPUTE_PGM_RSRC2:SCRATCH_EN: 0
; COMPUTE_PGM_RSRC2:USER_SGPR: 15
; COMPUTE_PGM_RSRC2:TRAP_HANDLER: 0
; COMPUTE_PGM_RSRC2:TGID_X_EN: 1
; COMPUTE_PGM_RSRC2:TGID_Y_EN: 0
; COMPUTE_PGM_RSRC2:TGID_Z_EN: 0
; COMPUTE_PGM_RSRC2:TIDIG_COMP_CNT: 0
	.section	.text._ZN7rocprim17ROCPRIM_400000_NS6detail17trampoline_kernelINS0_14default_configENS1_25partition_config_selectorILNS1_17partition_subalgoE5E10large_dataNS0_10empty_typeEbEEZZNS1_14partition_implILS5_5ELb0ES3_mN6thrust23THRUST_200600_302600_NS6detail15normal_iteratorINSB_10device_ptrIS6_EEEEPS7_NSB_18transform_iteratorI7is_evenIS6_ESG_NSB_11use_defaultESL_EENS0_5tupleIJSG_S7_EEENSN_IJSH_SH_EEES7_PlJS7_EEE10hipError_tPvRmT3_T4_T5_T6_T7_T9_mT8_P12ihipStream_tbDpT10_ENKUlT_T0_E_clISt17integral_constantIbLb0EES1A_EEDaS15_S16_EUlS15_E_NS1_11comp_targetILNS1_3genE10ELNS1_11target_archE1200ELNS1_3gpuE4ELNS1_3repE0EEENS1_30default_config_static_selectorELNS0_4arch9wavefront6targetE0EEEvT1_,"axG",@progbits,_ZN7rocprim17ROCPRIM_400000_NS6detail17trampoline_kernelINS0_14default_configENS1_25partition_config_selectorILNS1_17partition_subalgoE5E10large_dataNS0_10empty_typeEbEEZZNS1_14partition_implILS5_5ELb0ES3_mN6thrust23THRUST_200600_302600_NS6detail15normal_iteratorINSB_10device_ptrIS6_EEEEPS7_NSB_18transform_iteratorI7is_evenIS6_ESG_NSB_11use_defaultESL_EENS0_5tupleIJSG_S7_EEENSN_IJSH_SH_EEES7_PlJS7_EEE10hipError_tPvRmT3_T4_T5_T6_T7_T9_mT8_P12ihipStream_tbDpT10_ENKUlT_T0_E_clISt17integral_constantIbLb0EES1A_EEDaS15_S16_EUlS15_E_NS1_11comp_targetILNS1_3genE10ELNS1_11target_archE1200ELNS1_3gpuE4ELNS1_3repE0EEENS1_30default_config_static_selectorELNS0_4arch9wavefront6targetE0EEEvT1_,comdat
	.protected	_ZN7rocprim17ROCPRIM_400000_NS6detail17trampoline_kernelINS0_14default_configENS1_25partition_config_selectorILNS1_17partition_subalgoE5E10large_dataNS0_10empty_typeEbEEZZNS1_14partition_implILS5_5ELb0ES3_mN6thrust23THRUST_200600_302600_NS6detail15normal_iteratorINSB_10device_ptrIS6_EEEEPS7_NSB_18transform_iteratorI7is_evenIS6_ESG_NSB_11use_defaultESL_EENS0_5tupleIJSG_S7_EEENSN_IJSH_SH_EEES7_PlJS7_EEE10hipError_tPvRmT3_T4_T5_T6_T7_T9_mT8_P12ihipStream_tbDpT10_ENKUlT_T0_E_clISt17integral_constantIbLb0EES1A_EEDaS15_S16_EUlS15_E_NS1_11comp_targetILNS1_3genE10ELNS1_11target_archE1200ELNS1_3gpuE4ELNS1_3repE0EEENS1_30default_config_static_selectorELNS0_4arch9wavefront6targetE0EEEvT1_ ; -- Begin function _ZN7rocprim17ROCPRIM_400000_NS6detail17trampoline_kernelINS0_14default_configENS1_25partition_config_selectorILNS1_17partition_subalgoE5E10large_dataNS0_10empty_typeEbEEZZNS1_14partition_implILS5_5ELb0ES3_mN6thrust23THRUST_200600_302600_NS6detail15normal_iteratorINSB_10device_ptrIS6_EEEEPS7_NSB_18transform_iteratorI7is_evenIS6_ESG_NSB_11use_defaultESL_EENS0_5tupleIJSG_S7_EEENSN_IJSH_SH_EEES7_PlJS7_EEE10hipError_tPvRmT3_T4_T5_T6_T7_T9_mT8_P12ihipStream_tbDpT10_ENKUlT_T0_E_clISt17integral_constantIbLb0EES1A_EEDaS15_S16_EUlS15_E_NS1_11comp_targetILNS1_3genE10ELNS1_11target_archE1200ELNS1_3gpuE4ELNS1_3repE0EEENS1_30default_config_static_selectorELNS0_4arch9wavefront6targetE0EEEvT1_
	.globl	_ZN7rocprim17ROCPRIM_400000_NS6detail17trampoline_kernelINS0_14default_configENS1_25partition_config_selectorILNS1_17partition_subalgoE5E10large_dataNS0_10empty_typeEbEEZZNS1_14partition_implILS5_5ELb0ES3_mN6thrust23THRUST_200600_302600_NS6detail15normal_iteratorINSB_10device_ptrIS6_EEEEPS7_NSB_18transform_iteratorI7is_evenIS6_ESG_NSB_11use_defaultESL_EENS0_5tupleIJSG_S7_EEENSN_IJSH_SH_EEES7_PlJS7_EEE10hipError_tPvRmT3_T4_T5_T6_T7_T9_mT8_P12ihipStream_tbDpT10_ENKUlT_T0_E_clISt17integral_constantIbLb0EES1A_EEDaS15_S16_EUlS15_E_NS1_11comp_targetILNS1_3genE10ELNS1_11target_archE1200ELNS1_3gpuE4ELNS1_3repE0EEENS1_30default_config_static_selectorELNS0_4arch9wavefront6targetE0EEEvT1_
	.p2align	8
	.type	_ZN7rocprim17ROCPRIM_400000_NS6detail17trampoline_kernelINS0_14default_configENS1_25partition_config_selectorILNS1_17partition_subalgoE5E10large_dataNS0_10empty_typeEbEEZZNS1_14partition_implILS5_5ELb0ES3_mN6thrust23THRUST_200600_302600_NS6detail15normal_iteratorINSB_10device_ptrIS6_EEEEPS7_NSB_18transform_iteratorI7is_evenIS6_ESG_NSB_11use_defaultESL_EENS0_5tupleIJSG_S7_EEENSN_IJSH_SH_EEES7_PlJS7_EEE10hipError_tPvRmT3_T4_T5_T6_T7_T9_mT8_P12ihipStream_tbDpT10_ENKUlT_T0_E_clISt17integral_constantIbLb0EES1A_EEDaS15_S16_EUlS15_E_NS1_11comp_targetILNS1_3genE10ELNS1_11target_archE1200ELNS1_3gpuE4ELNS1_3repE0EEENS1_30default_config_static_selectorELNS0_4arch9wavefront6targetE0EEEvT1_,@function
_ZN7rocprim17ROCPRIM_400000_NS6detail17trampoline_kernelINS0_14default_configENS1_25partition_config_selectorILNS1_17partition_subalgoE5E10large_dataNS0_10empty_typeEbEEZZNS1_14partition_implILS5_5ELb0ES3_mN6thrust23THRUST_200600_302600_NS6detail15normal_iteratorINSB_10device_ptrIS6_EEEEPS7_NSB_18transform_iteratorI7is_evenIS6_ESG_NSB_11use_defaultESL_EENS0_5tupleIJSG_S7_EEENSN_IJSH_SH_EEES7_PlJS7_EEE10hipError_tPvRmT3_T4_T5_T6_T7_T9_mT8_P12ihipStream_tbDpT10_ENKUlT_T0_E_clISt17integral_constantIbLb0EES1A_EEDaS15_S16_EUlS15_E_NS1_11comp_targetILNS1_3genE10ELNS1_11target_archE1200ELNS1_3gpuE4ELNS1_3repE0EEENS1_30default_config_static_selectorELNS0_4arch9wavefront6targetE0EEEvT1_: ; @_ZN7rocprim17ROCPRIM_400000_NS6detail17trampoline_kernelINS0_14default_configENS1_25partition_config_selectorILNS1_17partition_subalgoE5E10large_dataNS0_10empty_typeEbEEZZNS1_14partition_implILS5_5ELb0ES3_mN6thrust23THRUST_200600_302600_NS6detail15normal_iteratorINSB_10device_ptrIS6_EEEEPS7_NSB_18transform_iteratorI7is_evenIS6_ESG_NSB_11use_defaultESL_EENS0_5tupleIJSG_S7_EEENSN_IJSH_SH_EEES7_PlJS7_EEE10hipError_tPvRmT3_T4_T5_T6_T7_T9_mT8_P12ihipStream_tbDpT10_ENKUlT_T0_E_clISt17integral_constantIbLb0EES1A_EEDaS15_S16_EUlS15_E_NS1_11comp_targetILNS1_3genE10ELNS1_11target_archE1200ELNS1_3gpuE4ELNS1_3repE0EEENS1_30default_config_static_selectorELNS0_4arch9wavefront6targetE0EEEvT1_
; %bb.0:
	.section	.rodata,"a",@progbits
	.p2align	6, 0x0
	.amdhsa_kernel _ZN7rocprim17ROCPRIM_400000_NS6detail17trampoline_kernelINS0_14default_configENS1_25partition_config_selectorILNS1_17partition_subalgoE5E10large_dataNS0_10empty_typeEbEEZZNS1_14partition_implILS5_5ELb0ES3_mN6thrust23THRUST_200600_302600_NS6detail15normal_iteratorINSB_10device_ptrIS6_EEEEPS7_NSB_18transform_iteratorI7is_evenIS6_ESG_NSB_11use_defaultESL_EENS0_5tupleIJSG_S7_EEENSN_IJSH_SH_EEES7_PlJS7_EEE10hipError_tPvRmT3_T4_T5_T6_T7_T9_mT8_P12ihipStream_tbDpT10_ENKUlT_T0_E_clISt17integral_constantIbLb0EES1A_EEDaS15_S16_EUlS15_E_NS1_11comp_targetILNS1_3genE10ELNS1_11target_archE1200ELNS1_3gpuE4ELNS1_3repE0EEENS1_30default_config_static_selectorELNS0_4arch9wavefront6targetE0EEEvT1_
		.amdhsa_group_segment_fixed_size 0
		.amdhsa_private_segment_fixed_size 0
		.amdhsa_kernarg_size 120
		.amdhsa_user_sgpr_count 15
		.amdhsa_user_sgpr_dispatch_ptr 0
		.amdhsa_user_sgpr_queue_ptr 0
		.amdhsa_user_sgpr_kernarg_segment_ptr 1
		.amdhsa_user_sgpr_dispatch_id 0
		.amdhsa_user_sgpr_private_segment_size 0
		.amdhsa_wavefront_size32 1
		.amdhsa_uses_dynamic_stack 0
		.amdhsa_enable_private_segment 0
		.amdhsa_system_sgpr_workgroup_id_x 1
		.amdhsa_system_sgpr_workgroup_id_y 0
		.amdhsa_system_sgpr_workgroup_id_z 0
		.amdhsa_system_sgpr_workgroup_info 0
		.amdhsa_system_vgpr_workitem_id 0
		.amdhsa_next_free_vgpr 1
		.amdhsa_next_free_sgpr 1
		.amdhsa_reserve_vcc 0
		.amdhsa_float_round_mode_32 0
		.amdhsa_float_round_mode_16_64 0
		.amdhsa_float_denorm_mode_32 3
		.amdhsa_float_denorm_mode_16_64 3
		.amdhsa_dx10_clamp 1
		.amdhsa_ieee_mode 1
		.amdhsa_fp16_overflow 0
		.amdhsa_workgroup_processor_mode 1
		.amdhsa_memory_ordered 1
		.amdhsa_forward_progress 0
		.amdhsa_shared_vgpr_count 0
		.amdhsa_exception_fp_ieee_invalid_op 0
		.amdhsa_exception_fp_denorm_src 0
		.amdhsa_exception_fp_ieee_div_zero 0
		.amdhsa_exception_fp_ieee_overflow 0
		.amdhsa_exception_fp_ieee_underflow 0
		.amdhsa_exception_fp_ieee_inexact 0
		.amdhsa_exception_int_div_zero 0
	.end_amdhsa_kernel
	.section	.text._ZN7rocprim17ROCPRIM_400000_NS6detail17trampoline_kernelINS0_14default_configENS1_25partition_config_selectorILNS1_17partition_subalgoE5E10large_dataNS0_10empty_typeEbEEZZNS1_14partition_implILS5_5ELb0ES3_mN6thrust23THRUST_200600_302600_NS6detail15normal_iteratorINSB_10device_ptrIS6_EEEEPS7_NSB_18transform_iteratorI7is_evenIS6_ESG_NSB_11use_defaultESL_EENS0_5tupleIJSG_S7_EEENSN_IJSH_SH_EEES7_PlJS7_EEE10hipError_tPvRmT3_T4_T5_T6_T7_T9_mT8_P12ihipStream_tbDpT10_ENKUlT_T0_E_clISt17integral_constantIbLb0EES1A_EEDaS15_S16_EUlS15_E_NS1_11comp_targetILNS1_3genE10ELNS1_11target_archE1200ELNS1_3gpuE4ELNS1_3repE0EEENS1_30default_config_static_selectorELNS0_4arch9wavefront6targetE0EEEvT1_,"axG",@progbits,_ZN7rocprim17ROCPRIM_400000_NS6detail17trampoline_kernelINS0_14default_configENS1_25partition_config_selectorILNS1_17partition_subalgoE5E10large_dataNS0_10empty_typeEbEEZZNS1_14partition_implILS5_5ELb0ES3_mN6thrust23THRUST_200600_302600_NS6detail15normal_iteratorINSB_10device_ptrIS6_EEEEPS7_NSB_18transform_iteratorI7is_evenIS6_ESG_NSB_11use_defaultESL_EENS0_5tupleIJSG_S7_EEENSN_IJSH_SH_EEES7_PlJS7_EEE10hipError_tPvRmT3_T4_T5_T6_T7_T9_mT8_P12ihipStream_tbDpT10_ENKUlT_T0_E_clISt17integral_constantIbLb0EES1A_EEDaS15_S16_EUlS15_E_NS1_11comp_targetILNS1_3genE10ELNS1_11target_archE1200ELNS1_3gpuE4ELNS1_3repE0EEENS1_30default_config_static_selectorELNS0_4arch9wavefront6targetE0EEEvT1_,comdat
.Lfunc_end655:
	.size	_ZN7rocprim17ROCPRIM_400000_NS6detail17trampoline_kernelINS0_14default_configENS1_25partition_config_selectorILNS1_17partition_subalgoE5E10large_dataNS0_10empty_typeEbEEZZNS1_14partition_implILS5_5ELb0ES3_mN6thrust23THRUST_200600_302600_NS6detail15normal_iteratorINSB_10device_ptrIS6_EEEEPS7_NSB_18transform_iteratorI7is_evenIS6_ESG_NSB_11use_defaultESL_EENS0_5tupleIJSG_S7_EEENSN_IJSH_SH_EEES7_PlJS7_EEE10hipError_tPvRmT3_T4_T5_T6_T7_T9_mT8_P12ihipStream_tbDpT10_ENKUlT_T0_E_clISt17integral_constantIbLb0EES1A_EEDaS15_S16_EUlS15_E_NS1_11comp_targetILNS1_3genE10ELNS1_11target_archE1200ELNS1_3gpuE4ELNS1_3repE0EEENS1_30default_config_static_selectorELNS0_4arch9wavefront6targetE0EEEvT1_, .Lfunc_end655-_ZN7rocprim17ROCPRIM_400000_NS6detail17trampoline_kernelINS0_14default_configENS1_25partition_config_selectorILNS1_17partition_subalgoE5E10large_dataNS0_10empty_typeEbEEZZNS1_14partition_implILS5_5ELb0ES3_mN6thrust23THRUST_200600_302600_NS6detail15normal_iteratorINSB_10device_ptrIS6_EEEEPS7_NSB_18transform_iteratorI7is_evenIS6_ESG_NSB_11use_defaultESL_EENS0_5tupleIJSG_S7_EEENSN_IJSH_SH_EEES7_PlJS7_EEE10hipError_tPvRmT3_T4_T5_T6_T7_T9_mT8_P12ihipStream_tbDpT10_ENKUlT_T0_E_clISt17integral_constantIbLb0EES1A_EEDaS15_S16_EUlS15_E_NS1_11comp_targetILNS1_3genE10ELNS1_11target_archE1200ELNS1_3gpuE4ELNS1_3repE0EEENS1_30default_config_static_selectorELNS0_4arch9wavefront6targetE0EEEvT1_
                                        ; -- End function
	.section	.AMDGPU.csdata,"",@progbits
; Kernel info:
; codeLenInByte = 0
; NumSgprs: 0
; NumVgprs: 0
; ScratchSize: 0
; MemoryBound: 0
; FloatMode: 240
; IeeeMode: 1
; LDSByteSize: 0 bytes/workgroup (compile time only)
; SGPRBlocks: 0
; VGPRBlocks: 0
; NumSGPRsForWavesPerEU: 1
; NumVGPRsForWavesPerEU: 1
; Occupancy: 16
; WaveLimiterHint : 0
; COMPUTE_PGM_RSRC2:SCRATCH_EN: 0
; COMPUTE_PGM_RSRC2:USER_SGPR: 15
; COMPUTE_PGM_RSRC2:TRAP_HANDLER: 0
; COMPUTE_PGM_RSRC2:TGID_X_EN: 1
; COMPUTE_PGM_RSRC2:TGID_Y_EN: 0
; COMPUTE_PGM_RSRC2:TGID_Z_EN: 0
; COMPUTE_PGM_RSRC2:TIDIG_COMP_CNT: 0
	.section	.text._ZN7rocprim17ROCPRIM_400000_NS6detail17trampoline_kernelINS0_14default_configENS1_25partition_config_selectorILNS1_17partition_subalgoE5E10large_dataNS0_10empty_typeEbEEZZNS1_14partition_implILS5_5ELb0ES3_mN6thrust23THRUST_200600_302600_NS6detail15normal_iteratorINSB_10device_ptrIS6_EEEEPS7_NSB_18transform_iteratorI7is_evenIS6_ESG_NSB_11use_defaultESL_EENS0_5tupleIJSG_S7_EEENSN_IJSH_SH_EEES7_PlJS7_EEE10hipError_tPvRmT3_T4_T5_T6_T7_T9_mT8_P12ihipStream_tbDpT10_ENKUlT_T0_E_clISt17integral_constantIbLb0EES1A_EEDaS15_S16_EUlS15_E_NS1_11comp_targetILNS1_3genE9ELNS1_11target_archE1100ELNS1_3gpuE3ELNS1_3repE0EEENS1_30default_config_static_selectorELNS0_4arch9wavefront6targetE0EEEvT1_,"axG",@progbits,_ZN7rocprim17ROCPRIM_400000_NS6detail17trampoline_kernelINS0_14default_configENS1_25partition_config_selectorILNS1_17partition_subalgoE5E10large_dataNS0_10empty_typeEbEEZZNS1_14partition_implILS5_5ELb0ES3_mN6thrust23THRUST_200600_302600_NS6detail15normal_iteratorINSB_10device_ptrIS6_EEEEPS7_NSB_18transform_iteratorI7is_evenIS6_ESG_NSB_11use_defaultESL_EENS0_5tupleIJSG_S7_EEENSN_IJSH_SH_EEES7_PlJS7_EEE10hipError_tPvRmT3_T4_T5_T6_T7_T9_mT8_P12ihipStream_tbDpT10_ENKUlT_T0_E_clISt17integral_constantIbLb0EES1A_EEDaS15_S16_EUlS15_E_NS1_11comp_targetILNS1_3genE9ELNS1_11target_archE1100ELNS1_3gpuE3ELNS1_3repE0EEENS1_30default_config_static_selectorELNS0_4arch9wavefront6targetE0EEEvT1_,comdat
	.protected	_ZN7rocprim17ROCPRIM_400000_NS6detail17trampoline_kernelINS0_14default_configENS1_25partition_config_selectorILNS1_17partition_subalgoE5E10large_dataNS0_10empty_typeEbEEZZNS1_14partition_implILS5_5ELb0ES3_mN6thrust23THRUST_200600_302600_NS6detail15normal_iteratorINSB_10device_ptrIS6_EEEEPS7_NSB_18transform_iteratorI7is_evenIS6_ESG_NSB_11use_defaultESL_EENS0_5tupleIJSG_S7_EEENSN_IJSH_SH_EEES7_PlJS7_EEE10hipError_tPvRmT3_T4_T5_T6_T7_T9_mT8_P12ihipStream_tbDpT10_ENKUlT_T0_E_clISt17integral_constantIbLb0EES1A_EEDaS15_S16_EUlS15_E_NS1_11comp_targetILNS1_3genE9ELNS1_11target_archE1100ELNS1_3gpuE3ELNS1_3repE0EEENS1_30default_config_static_selectorELNS0_4arch9wavefront6targetE0EEEvT1_ ; -- Begin function _ZN7rocprim17ROCPRIM_400000_NS6detail17trampoline_kernelINS0_14default_configENS1_25partition_config_selectorILNS1_17partition_subalgoE5E10large_dataNS0_10empty_typeEbEEZZNS1_14partition_implILS5_5ELb0ES3_mN6thrust23THRUST_200600_302600_NS6detail15normal_iteratorINSB_10device_ptrIS6_EEEEPS7_NSB_18transform_iteratorI7is_evenIS6_ESG_NSB_11use_defaultESL_EENS0_5tupleIJSG_S7_EEENSN_IJSH_SH_EEES7_PlJS7_EEE10hipError_tPvRmT3_T4_T5_T6_T7_T9_mT8_P12ihipStream_tbDpT10_ENKUlT_T0_E_clISt17integral_constantIbLb0EES1A_EEDaS15_S16_EUlS15_E_NS1_11comp_targetILNS1_3genE9ELNS1_11target_archE1100ELNS1_3gpuE3ELNS1_3repE0EEENS1_30default_config_static_selectorELNS0_4arch9wavefront6targetE0EEEvT1_
	.globl	_ZN7rocprim17ROCPRIM_400000_NS6detail17trampoline_kernelINS0_14default_configENS1_25partition_config_selectorILNS1_17partition_subalgoE5E10large_dataNS0_10empty_typeEbEEZZNS1_14partition_implILS5_5ELb0ES3_mN6thrust23THRUST_200600_302600_NS6detail15normal_iteratorINSB_10device_ptrIS6_EEEEPS7_NSB_18transform_iteratorI7is_evenIS6_ESG_NSB_11use_defaultESL_EENS0_5tupleIJSG_S7_EEENSN_IJSH_SH_EEES7_PlJS7_EEE10hipError_tPvRmT3_T4_T5_T6_T7_T9_mT8_P12ihipStream_tbDpT10_ENKUlT_T0_E_clISt17integral_constantIbLb0EES1A_EEDaS15_S16_EUlS15_E_NS1_11comp_targetILNS1_3genE9ELNS1_11target_archE1100ELNS1_3gpuE3ELNS1_3repE0EEENS1_30default_config_static_selectorELNS0_4arch9wavefront6targetE0EEEvT1_
	.p2align	8
	.type	_ZN7rocprim17ROCPRIM_400000_NS6detail17trampoline_kernelINS0_14default_configENS1_25partition_config_selectorILNS1_17partition_subalgoE5E10large_dataNS0_10empty_typeEbEEZZNS1_14partition_implILS5_5ELb0ES3_mN6thrust23THRUST_200600_302600_NS6detail15normal_iteratorINSB_10device_ptrIS6_EEEEPS7_NSB_18transform_iteratorI7is_evenIS6_ESG_NSB_11use_defaultESL_EENS0_5tupleIJSG_S7_EEENSN_IJSH_SH_EEES7_PlJS7_EEE10hipError_tPvRmT3_T4_T5_T6_T7_T9_mT8_P12ihipStream_tbDpT10_ENKUlT_T0_E_clISt17integral_constantIbLb0EES1A_EEDaS15_S16_EUlS15_E_NS1_11comp_targetILNS1_3genE9ELNS1_11target_archE1100ELNS1_3gpuE3ELNS1_3repE0EEENS1_30default_config_static_selectorELNS0_4arch9wavefront6targetE0EEEvT1_,@function
_ZN7rocprim17ROCPRIM_400000_NS6detail17trampoline_kernelINS0_14default_configENS1_25partition_config_selectorILNS1_17partition_subalgoE5E10large_dataNS0_10empty_typeEbEEZZNS1_14partition_implILS5_5ELb0ES3_mN6thrust23THRUST_200600_302600_NS6detail15normal_iteratorINSB_10device_ptrIS6_EEEEPS7_NSB_18transform_iteratorI7is_evenIS6_ESG_NSB_11use_defaultESL_EENS0_5tupleIJSG_S7_EEENSN_IJSH_SH_EEES7_PlJS7_EEE10hipError_tPvRmT3_T4_T5_T6_T7_T9_mT8_P12ihipStream_tbDpT10_ENKUlT_T0_E_clISt17integral_constantIbLb0EES1A_EEDaS15_S16_EUlS15_E_NS1_11comp_targetILNS1_3genE9ELNS1_11target_archE1100ELNS1_3gpuE3ELNS1_3repE0EEENS1_30default_config_static_selectorELNS0_4arch9wavefront6targetE0EEEvT1_: ; @_ZN7rocprim17ROCPRIM_400000_NS6detail17trampoline_kernelINS0_14default_configENS1_25partition_config_selectorILNS1_17partition_subalgoE5E10large_dataNS0_10empty_typeEbEEZZNS1_14partition_implILS5_5ELb0ES3_mN6thrust23THRUST_200600_302600_NS6detail15normal_iteratorINSB_10device_ptrIS6_EEEEPS7_NSB_18transform_iteratorI7is_evenIS6_ESG_NSB_11use_defaultESL_EENS0_5tupleIJSG_S7_EEENSN_IJSH_SH_EEES7_PlJS7_EEE10hipError_tPvRmT3_T4_T5_T6_T7_T9_mT8_P12ihipStream_tbDpT10_ENKUlT_T0_E_clISt17integral_constantIbLb0EES1A_EEDaS15_S16_EUlS15_E_NS1_11comp_targetILNS1_3genE9ELNS1_11target_archE1100ELNS1_3gpuE3ELNS1_3repE0EEENS1_30default_config_static_selectorELNS0_4arch9wavefront6targetE0EEEvT1_
; %bb.0:
	s_clause 0x4
	s_load_b128 s[8:11], s[0:1], 0x0
	s_load_b64 s[16:17], s[0:1], 0x10
	s_load_b32 s18, s[0:1], 0x70
	s_load_b128 s[4:7], s[0:1], 0x48
	s_load_b64 s[20:21], s[0:1], 0x58
	s_mov_b32 s12, s15
	s_mov_b32 s13, 0
	s_mov_b32 s26, -1
	s_lshl_b64 s[2:3], s[12:13], 18
	s_waitcnt lgkmcnt(0)
	s_add_u32 s8, s8, s2
	s_addc_u32 s9, s9, s3
	s_lshl_b64 s[14:15], s[16:17], 9
	s_load_b64 s[2:3], s[6:7], 0x0
	s_add_u32 s23, s10, s14
	s_addc_u32 s24, s11, s15
	s_add_i32 s10, s18, -1
	s_lshl_b32 s7, s18, 8
	s_lshl_b32 s6, s10, 8
	s_delay_alu instid0(SALU_CYCLE_1)
	s_add_i32 s25, s16, s6
	s_add_u32 s6, s16, s7
	s_addc_u32 s7, s17, 0
	s_cmp_eq_u32 s12, s10
	v_cmp_ge_u64_e64 s6, s[6:7], s[20:21]
	s_cselect_b32 s21, -1, 0
	s_lshl_b32 s16, s12, 8
	s_delay_alu instid0(VALU_DEP_1) | instskip(NEXT) | instid1(SALU_CYCLE_1)
	s_and_b32 s6, s21, s6
	s_xor_b32 s22, s6, -1
	s_delay_alu instid0(SALU_CYCLE_1)
	s_and_b32 vcc_lo, exec_lo, s22
	s_cbranch_vccz .LBB656_2
; %bb.1:
	s_mov_b32 s17, s13
	v_lshlrev_b32_e32 v3, 9, v0
	s_lshl_b64 s[6:7], s[16:17], 9
	s_mov_b32 s26, 0
	s_add_u32 s6, s23, s6
	s_addc_u32 s7, s24, s7
	v_add_co_u32 v1, s6, s6, v3
	s_delay_alu instid0(VALU_DEP_1) | instskip(SKIP_2) | instid1(VALU_DEP_1)
	v_add_co_ci_u32_e64 v2, null, s7, 0, s6
	flat_load_u8 v4, v[1:2]
	v_add_co_u32 v1, s6, s8, v3
	v_add_co_ci_u32_e64 v2, null, s9, 0, s6
	s_waitcnt vmcnt(0) lgkmcnt(0)
	global_store_b8 v3, v4, s[8:9]
	s_waitcnt_vscnt null, 0x0
	s_barrier
	s_branch .LBB656_3
.LBB656_2:
                                        ; implicit-def: $vgpr1_vgpr2
.LBB656_3:
	s_clause 0x2
	s_load_b64 s[18:19], s[0:1], 0x20
	s_load_b64 s[6:7], s[0:1], 0x30
	;; [unrolled: 1-line block ×3, first 2 shown]
	v_dual_mov_b32 v3, s16 :: v_dual_mov_b32 v4, s17
	s_and_not1_b32 vcc_lo, exec_lo, s26
	s_sub_i32 s0, s20, s25
	s_cbranch_vccnz .LBB656_9
; %bb.4:
	s_mov_b32 s1, exec_lo
	v_cmpx_le_u32_e64 s0, v0
	s_xor_b32 s1, exec_lo, s1
; %bb.5:
	v_mov_b32_e32 v1, 0
	s_mov_b32 s17, 0
; %bb.6:
	s_or_saveexec_b32 s1, s1
	v_dual_mov_b32 v3, s16 :: v_dual_mov_b32 v4, s17
	v_mov_b32_e32 v5, s17
	s_xor_b32 exec_lo, exec_lo, s1
	s_cbranch_execz .LBB656_8
; %bb.7:
	s_mov_b32 s17, 0
	v_lshlrev_b32_e32 v1, 9, v0
	s_lshl_b64 s[26:27], s[16:17], 9
	v_dual_mov_b32 v3, s16 :: v_dual_mov_b32 v4, s17
	s_add_u32 s13, s23, s26
	s_addc_u32 s20, s24, s27
	v_add_co_u32 v1, s13, s13, v1
	s_delay_alu instid0(VALU_DEP_1)
	v_add_co_ci_u32_e64 v2, null, s20, 0, s13
	flat_load_u8 v5, v[1:2]
	v_mov_b32_e32 v1, 0
.LBB656_8:
	s_or_b32 exec_lo, exec_lo, s1
	s_delay_alu instid0(VALU_DEP_1) | instskip(NEXT) | instid1(VALU_DEP_1)
	v_lshlrev_b64 v[1:2], 9, v[0:1]
	v_add_co_u32 v1, vcc_lo, s8, v1
	s_delay_alu instid0(VALU_DEP_2)
	v_add_co_ci_u32_e32 v2, vcc_lo, s9, v2, vcc_lo
	s_waitcnt vmcnt(0) lgkmcnt(0)
	global_store_b8 v[1:2], v5, off
	s_waitcnt_vscnt null, 0x0
	s_barrier
.LBB656_9:
	s_waitcnt lgkmcnt(0)
	buffer_gl0_inv
	global_load_u8 v17, v[1:2], off
	v_lshlrev_b64 v[1:2], 9, v[3:4]
	s_add_u32 s1, s18, s14
	s_addc_u32 s13, s19, s15
	s_waitcnt vmcnt(0)
	s_barrier
	buffer_gl0_inv
	v_add_co_u32 v3, vcc_lo, s1, v1
	v_add_co_ci_u32_e32 v4, vcc_lo, s13, v2, vcc_lo
	s_and_b32 vcc_lo, exec_lo, s22
	s_cbranch_vccz .LBB656_11
; %bb.10:
	v_lshlrev_b32_e32 v1, 9, v0
	s_delay_alu instid0(VALU_DEP_1) | instskip(SKIP_4) | instid1(VALU_DEP_1)
	v_add_co_u32 v1, vcc_lo, v3, v1
	v_add_co_ci_u32_e32 v2, vcc_lo, 0, v4, vcc_lo
	global_load_u8 v1, v[1:2], off
	s_waitcnt vmcnt(0)
	v_xor_b32_e32 v1, -1, v1
	v_and_b32_e32 v5, 1, v1
	v_add_co_u32 v1, s1, s8, v0
	s_delay_alu instid0(VALU_DEP_1)
	v_add_co_ci_u32_e64 v2, null, s9, 0, s1
	global_store_b8 v0, v5, s[8:9]
	s_waitcnt_vscnt null, 0x0
	s_barrier
	s_cbranch_execz .LBB656_12
	s_branch .LBB656_15
.LBB656_11:
                                        ; implicit-def: $vgpr1_vgpr2
.LBB656_12:
	v_cmp_gt_u32_e32 vcc_lo, s0, v0
	v_mov_b32_e32 v5, 0
	s_and_saveexec_b32 s0, vcc_lo
	s_cbranch_execz .LBB656_14
; %bb.13:
	v_lshlrev_b32_e32 v1, 9, v0
	s_delay_alu instid0(VALU_DEP_1) | instskip(SKIP_4) | instid1(VALU_DEP_1)
	v_add_co_u32 v1, vcc_lo, v3, v1
	v_add_co_ci_u32_e32 v2, vcc_lo, 0, v4, vcc_lo
	global_load_u8 v1, v[1:2], off
	s_waitcnt vmcnt(0)
	v_xor_b32_e32 v1, -1, v1
	v_and_b32_e32 v5, 1, v1
.LBB656_14:
	s_or_b32 exec_lo, exec_lo, s0
	v_add_co_u32 v1, s0, s8, v0
	s_delay_alu instid0(VALU_DEP_1)
	v_add_co_ci_u32_e64 v2, null, s9, 0, s0
	global_store_b8 v[1:2], v5, off
	s_waitcnt_vscnt null, 0x0
	s_barrier
.LBB656_15:
	buffer_gl0_inv
	global_load_u8 v1, v[1:2], off
	v_mov_b32_e32 v10, 0
	v_mbcnt_lo_u32_b32 v18, -1, 0
	s_cmp_lg_u32 s12, 0
	s_waitcnt vmcnt(0)
	s_barrier
	buffer_gl0_inv
	v_and_b32_e32 v9, 1, v1
	v_and_b32_e32 v19, 0xff, v1
	s_cbranch_scc0 .LBB656_81
; %bb.16:
	v_dual_mov_b32 v2, v10 :: v_dual_and_b32 v7, 0xff, v1
	s_delay_alu instid0(VALU_DEP_3) | instskip(SKIP_2) | instid1(VALU_DEP_4)
	v_mov_b32_e32 v3, v9
	v_dual_mov_b32 v4, v10 :: v_dual_and_b32 v5, 15, v18
	v_mov_b32_dpp v6, v10 row_shr:1 row_mask:0xf bank_mask:0xf
	v_mov_b32_dpp v1, v7 row_shr:1 row_mask:0xf bank_mask:0xf
	s_mov_b32 s0, exec_lo
	s_delay_alu instid0(VALU_DEP_3)
	v_cmpx_ne_u32_e32 0, v5
; %bb.17:
	s_delay_alu instid0(VALU_DEP_2) | instskip(NEXT) | instid1(VALU_DEP_1)
	v_add_co_u32 v7, s1, v1, v9
	v_add_co_ci_u32_e64 v2, null, 0, 0, s1
	s_delay_alu instid0(VALU_DEP_2) | instskip(NEXT) | instid1(VALU_DEP_2)
	v_add_co_u32 v1, vcc_lo, 0, v7
	v_add_co_ci_u32_e32 v2, vcc_lo, v6, v2, vcc_lo
	s_delay_alu instid0(VALU_DEP_1)
	v_dual_mov_b32 v4, v2 :: v_dual_mov_b32 v3, v1
; %bb.18:
	s_or_b32 exec_lo, exec_lo, s0
	v_mov_b32_dpp v1, v7 row_shr:2 row_mask:0xf bank_mask:0xf
	v_mov_b32_dpp v6, v2 row_shr:2 row_mask:0xf bank_mask:0xf
	s_mov_b32 s0, exec_lo
	v_cmpx_lt_u32_e32 1, v5
; %bb.19:
	s_delay_alu instid0(VALU_DEP_3) | instskip(SKIP_1) | instid1(VALU_DEP_2)
	v_add_co_u32 v7, vcc_lo, v3, v1
	v_add_co_ci_u32_e32 v2, vcc_lo, 0, v4, vcc_lo
	v_add_co_u32 v1, vcc_lo, 0, v7
	s_delay_alu instid0(VALU_DEP_2) | instskip(NEXT) | instid1(VALU_DEP_1)
	v_add_co_ci_u32_e32 v2, vcc_lo, v6, v2, vcc_lo
	v_dual_mov_b32 v4, v2 :: v_dual_mov_b32 v3, v1
; %bb.20:
	s_or_b32 exec_lo, exec_lo, s0
	v_mov_b32_dpp v1, v7 row_shr:4 row_mask:0xf bank_mask:0xf
	v_mov_b32_dpp v6, v2 row_shr:4 row_mask:0xf bank_mask:0xf
	s_mov_b32 s0, exec_lo
	v_cmpx_lt_u32_e32 3, v5
; %bb.21:
	s_delay_alu instid0(VALU_DEP_3) | instskip(SKIP_1) | instid1(VALU_DEP_2)
	v_add_co_u32 v7, vcc_lo, v3, v1
	v_add_co_ci_u32_e32 v2, vcc_lo, 0, v4, vcc_lo
	v_add_co_u32 v1, vcc_lo, 0, v7
	s_delay_alu instid0(VALU_DEP_2) | instskip(NEXT) | instid1(VALU_DEP_1)
	v_add_co_ci_u32_e32 v2, vcc_lo, v6, v2, vcc_lo
	;; [unrolled: 14-line block ×3, first 2 shown]
	v_mov_b32_e32 v2, v4
; %bb.24:
	s_or_b32 exec_lo, exec_lo, s0
	ds_swizzle_b32 v1, v7 offset:swizzle(BROADCAST,32,15)
	ds_swizzle_b32 v5, v2 offset:swizzle(BROADCAST,32,15)
	v_and_b32_e32 v6, 16, v18
	s_mov_b32 s0, exec_lo
	s_delay_alu instid0(VALU_DEP_1)
	v_cmpx_ne_u32_e32 0, v6
	s_cbranch_execz .LBB656_26
; %bb.25:
	s_waitcnt lgkmcnt(1)
	v_add_co_u32 v7, vcc_lo, v3, v1
	v_add_co_ci_u32_e32 v2, vcc_lo, 0, v4, vcc_lo
	s_delay_alu instid0(VALU_DEP_2) | instskip(SKIP_1) | instid1(VALU_DEP_2)
	v_add_co_u32 v1, vcc_lo, 0, v7
	s_waitcnt lgkmcnt(0)
	v_add_co_ci_u32_e32 v2, vcc_lo, v5, v2, vcc_lo
	s_delay_alu instid0(VALU_DEP_1)
	v_dual_mov_b32 v4, v2 :: v_dual_mov_b32 v3, v1
.LBB656_26:
	s_or_b32 exec_lo, exec_lo, s0
	s_waitcnt lgkmcnt(0)
	v_or_b32_e32 v5, 31, v0
	v_lshrrev_b32_e32 v1, 5, v0
	s_mov_b32 s0, exec_lo
	s_delay_alu instid0(VALU_DEP_2)
	v_cmpx_eq_u32_e64 v5, v0
	s_cbranch_execz .LBB656_28
; %bb.27:
	s_delay_alu instid0(VALU_DEP_2)
	v_lshlrev_b32_e32 v5, 3, v1
	global_store_b64 v5, v[3:4], s[8:9]
.LBB656_28:
	s_or_b32 exec_lo, exec_lo, s0
	s_delay_alu instid0(SALU_CYCLE_1)
	s_mov_b32 s0, exec_lo
	s_waitcnt_vscnt null, 0x0
	s_barrier
	buffer_gl0_inv
	v_cmpx_gt_u32_e32 8, v0
	s_cbranch_execz .LBB656_36
; %bb.29:
	v_lshlrev_b32_e32 v5, 3, v0
	s_mov_b32 s1, exec_lo
	global_load_b64 v[3:4], v5, s[8:9]
	s_waitcnt vmcnt(0)
	v_dual_mov_b32 v11, v3 :: v_dual_and_b32 v8, 7, v18
	v_mov_b32_dpp v12, v3 row_shr:1 row_mask:0xf bank_mask:0xf
	v_mov_b32_dpp v6, v4 row_shr:1 row_mask:0xf bank_mask:0xf
	s_delay_alu instid0(VALU_DEP_3)
	v_cmpx_ne_u32_e32 0, v8
; %bb.30:
	s_delay_alu instid0(VALU_DEP_3) | instskip(SKIP_1) | instid1(VALU_DEP_2)
	v_add_co_u32 v11, vcc_lo, v3, v12
	v_add_co_ci_u32_e32 v4, vcc_lo, 0, v4, vcc_lo
	v_add_co_u32 v3, vcc_lo, 0, v11
	s_delay_alu instid0(VALU_DEP_2)
	v_add_co_ci_u32_e32 v4, vcc_lo, v6, v4, vcc_lo
; %bb.31:
	s_or_b32 exec_lo, exec_lo, s1
	v_add_co_u32 v5, s1, s8, v5
	s_delay_alu instid0(VALU_DEP_1)
	v_add_co_ci_u32_e64 v6, null, s9, 0, s1
	v_mov_b32_dpp v13, v11 row_shr:2 row_mask:0xf bank_mask:0xf
	v_mov_b32_dpp v12, v4 row_shr:2 row_mask:0xf bank_mask:0xf
	s_mov_b32 s1, exec_lo
	v_cmpx_lt_u32_e32 1, v8
; %bb.32:
	s_delay_alu instid0(VALU_DEP_3) | instskip(SKIP_1) | instid1(VALU_DEP_2)
	v_add_co_u32 v11, vcc_lo, v3, v13
	v_add_co_ci_u32_e32 v4, vcc_lo, 0, v4, vcc_lo
	v_add_co_u32 v3, vcc_lo, 0, v11
	s_delay_alu instid0(VALU_DEP_2)
	v_add_co_ci_u32_e32 v4, vcc_lo, v12, v4, vcc_lo
; %bb.33:
	s_or_b32 exec_lo, exec_lo, s1
	v_mov_b32_dpp v12, v11 row_shr:4 row_mask:0xf bank_mask:0xf
	s_delay_alu instid0(VALU_DEP_2)
	v_mov_b32_dpp v11, v4 row_shr:4 row_mask:0xf bank_mask:0xf
	s_mov_b32 s1, exec_lo
	v_cmpx_lt_u32_e32 3, v8
; %bb.34:
	s_delay_alu instid0(VALU_DEP_3) | instskip(SKIP_1) | instid1(VALU_DEP_2)
	v_add_co_u32 v3, vcc_lo, v3, v12
	v_add_co_ci_u32_e32 v4, vcc_lo, 0, v4, vcc_lo
	v_add_co_u32 v3, vcc_lo, v3, 0
	s_delay_alu instid0(VALU_DEP_2)
	v_add_co_ci_u32_e32 v4, vcc_lo, v4, v11, vcc_lo
; %bb.35:
	s_or_b32 exec_lo, exec_lo, s1
	global_store_b64 v[5:6], v[3:4], off
.LBB656_36:
	s_or_b32 exec_lo, exec_lo, s0
	v_cmp_gt_u32_e32 vcc_lo, 32, v0
	s_mov_b32 s1, exec_lo
	s_waitcnt_vscnt null, 0x0
	s_barrier
	buffer_gl0_inv
                                        ; implicit-def: $vgpr11_vgpr12
	v_cmpx_lt_u32_e32 31, v0
	s_cbranch_execz .LBB656_38
; %bb.37:
	v_dual_mov_b32 v4, 0 :: v_dual_add_nc_u32 v3, -1, v1
	s_delay_alu instid0(VALU_DEP_1) | instskip(NEXT) | instid1(VALU_DEP_1)
	v_lshlrev_b64 v[3:4], 3, v[3:4]
	v_add_co_u32 v3, s0, s8, v3
	s_delay_alu instid0(VALU_DEP_1) | instskip(SKIP_3) | instid1(VALU_DEP_1)
	v_add_co_ci_u32_e64 v4, s0, s9, v4, s0
	global_load_b64 v[11:12], v[3:4], off
	s_waitcnt vmcnt(0)
	v_add_co_u32 v7, s0, v7, v11
	v_add_co_ci_u32_e64 v2, s0, v2, v12, s0
.LBB656_38:
	s_or_b32 exec_lo, exec_lo, s1
	v_add_nc_u32_e32 v1, -1, v18
	s_delay_alu instid0(VALU_DEP_1) | instskip(NEXT) | instid1(VALU_DEP_1)
	v_cmp_gt_i32_e64 s0, 0, v1
	v_cndmask_b32_e64 v1, v1, v18, s0
	v_cmp_eq_u32_e64 s0, 0, v18
	s_delay_alu instid0(VALU_DEP_2)
	v_lshlrev_b32_e32 v1, 2, v1
	ds_bpermute_b32 v20, v1, v7
	ds_bpermute_b32 v21, v1, v2
	s_and_saveexec_b32 s1, vcc_lo
	s_cbranch_execz .LBB656_76
; %bb.39:
	v_mov_b32_e32 v4, 0
	global_load_b64 v[1:2], v4, s[8:9] offset:56
	s_and_saveexec_b32 s13, s0
	s_cbranch_execz .LBB656_41
; %bb.40:
	s_add_i32 s14, s12, 32
	s_mov_b32 s15, 0
	s_delay_alu instid0(SALU_CYCLE_1) | instskip(NEXT) | instid1(SALU_CYCLE_1)
	s_lshl_b64 s[14:15], s[14:15], 4
	s_add_u32 s14, s10, s14
	s_addc_u32 s15, s11, s15
	v_mov_b32_e32 v5, s14
	v_dual_mov_b32 v3, 1 :: v_dual_mov_b32 v6, s15
	s_waitcnt vmcnt(0)
	;;#ASMSTART
	global_store_dwordx4 v[5:6], v[1:4] off	
s_waitcnt vmcnt(0)
	;;#ASMEND
.LBB656_41:
	s_or_b32 exec_lo, exec_lo, s13
	v_xad_u32 v13, v18, -1, s12
	s_mov_b32 s14, 0
	s_mov_b32 s13, exec_lo
	s_delay_alu instid0(VALU_DEP_1) | instskip(NEXT) | instid1(VALU_DEP_1)
	v_add_nc_u32_e32 v3, 32, v13
	v_lshlrev_b64 v[3:4], 4, v[3:4]
	s_delay_alu instid0(VALU_DEP_1) | instskip(NEXT) | instid1(VALU_DEP_2)
	v_add_co_u32 v3, vcc_lo, s10, v3
	v_add_co_ci_u32_e32 v4, vcc_lo, s11, v4, vcc_lo
	;;#ASMSTART
	global_load_dwordx4 v[5:8], v[3:4] off glc	
s_waitcnt vmcnt(0)
	;;#ASMEND
	v_and_b32_e32 v8, 0xff, v6
	v_and_b32_e32 v14, 0xff00, v6
	v_or3_b32 v5, v5, 0, 0
	v_and_b32_e32 v15, 0xff000000, v6
	v_and_b32_e32 v6, 0xff0000, v6
	s_delay_alu instid0(VALU_DEP_4) | instskip(SKIP_2) | instid1(VALU_DEP_3)
	v_or3_b32 v8, 0, v8, v14
	v_and_b32_e32 v14, 0xff, v7
	v_or3_b32 v5, v5, 0, 0
	v_or3_b32 v6, v8, v6, v15
	s_delay_alu instid0(VALU_DEP_3)
	v_cmpx_eq_u16_e32 0, v14
	s_cbranch_execz .LBB656_44
.LBB656_42:                             ; =>This Inner Loop Header: Depth=1
	;;#ASMSTART
	global_load_dwordx4 v[5:8], v[3:4] off glc	
s_waitcnt vmcnt(0)
	;;#ASMEND
	v_and_b32_e32 v8, 0xff, v7
	s_delay_alu instid0(VALU_DEP_1) | instskip(SKIP_1) | instid1(SALU_CYCLE_1)
	v_cmp_ne_u16_e32 vcc_lo, 0, v8
	s_or_b32 s14, vcc_lo, s14
	s_and_not1_b32 exec_lo, exec_lo, s14
	s_cbranch_execnz .LBB656_42
; %bb.43:
	s_or_b32 exec_lo, exec_lo, s14
.LBB656_44:
	s_delay_alu instid0(SALU_CYCLE_1)
	s_or_b32 exec_lo, exec_lo, s13
	v_cmp_ne_u32_e32 vcc_lo, 31, v18
	v_and_b32_e32 v4, 0xff, v7
	v_lshlrev_b32_e64 v23, v18, -1
	s_mov_b32 s13, exec_lo
	v_add_co_ci_u32_e32 v3, vcc_lo, 0, v18, vcc_lo
	s_delay_alu instid0(VALU_DEP_3) | instskip(SKIP_1) | instid1(VALU_DEP_3)
	v_cmp_eq_u16_e32 vcc_lo, 2, v4
	v_mov_b32_e32 v4, v5
	v_lshlrev_b32_e32 v22, 2, v3
	v_and_or_b32 v3, vcc_lo, v23, 0x80000000
	ds_bpermute_b32 v14, v22, v5
	ds_bpermute_b32 v8, v22, v6
	v_ctz_i32_b32_e32 v3, v3
	s_delay_alu instid0(VALU_DEP_1)
	v_cmpx_lt_u32_e64 v18, v3
	s_cbranch_execz .LBB656_46
; %bb.45:
	s_waitcnt lgkmcnt(1)
	v_add_co_u32 v4, vcc_lo, v5, v14
	v_add_co_ci_u32_e32 v6, vcc_lo, 0, v6, vcc_lo
	s_delay_alu instid0(VALU_DEP_2) | instskip(SKIP_1) | instid1(VALU_DEP_2)
	v_add_co_u32 v5, vcc_lo, 0, v4
	s_waitcnt lgkmcnt(0)
	v_add_co_ci_u32_e32 v6, vcc_lo, v8, v6, vcc_lo
.LBB656_46:
	s_or_b32 exec_lo, exec_lo, s13
	v_cmp_gt_u32_e32 vcc_lo, 30, v18
	v_add_nc_u32_e32 v25, 2, v18
	s_mov_b32 s13, exec_lo
	s_waitcnt lgkmcnt(0)
	v_cndmask_b32_e64 v8, 0, 1, vcc_lo
	s_delay_alu instid0(VALU_DEP_1) | instskip(NEXT) | instid1(VALU_DEP_1)
	v_lshlrev_b32_e32 v8, 1, v8
	v_add_lshl_u32 v24, v8, v18, 2
	ds_bpermute_b32 v14, v24, v4
	ds_bpermute_b32 v8, v24, v6
	v_cmpx_le_u32_e64 v25, v3
	s_cbranch_execz .LBB656_48
; %bb.47:
	s_waitcnt lgkmcnt(1)
	v_add_co_u32 v4, vcc_lo, v5, v14
	v_add_co_ci_u32_e32 v6, vcc_lo, 0, v6, vcc_lo
	s_delay_alu instid0(VALU_DEP_2) | instskip(SKIP_1) | instid1(VALU_DEP_2)
	v_add_co_u32 v5, vcc_lo, 0, v4
	s_waitcnt lgkmcnt(0)
	v_add_co_ci_u32_e32 v6, vcc_lo, v8, v6, vcc_lo
.LBB656_48:
	s_or_b32 exec_lo, exec_lo, s13
	v_cmp_gt_u32_e32 vcc_lo, 28, v18
	v_add_nc_u32_e32 v27, 4, v18
	s_mov_b32 s13, exec_lo
	s_waitcnt lgkmcnt(0)
	v_cndmask_b32_e64 v8, 0, 1, vcc_lo
	s_delay_alu instid0(VALU_DEP_1) | instskip(NEXT) | instid1(VALU_DEP_1)
	v_lshlrev_b32_e32 v8, 2, v8
	v_add_lshl_u32 v26, v8, v18, 2
	ds_bpermute_b32 v14, v26, v4
	ds_bpermute_b32 v8, v26, v6
	v_cmpx_le_u32_e64 v27, v3
	;; [unrolled: 22-line block ×4, first 2 shown]
	s_cbranch_execz .LBB656_54
; %bb.53:
	s_waitcnt lgkmcnt(1)
	v_add_co_u32 v3, vcc_lo, v5, v8
	v_add_co_ci_u32_e32 v6, vcc_lo, 0, v6, vcc_lo
	s_delay_alu instid0(VALU_DEP_2) | instskip(SKIP_1) | instid1(VALU_DEP_2)
	v_add_co_u32 v5, vcc_lo, v3, 0
	s_waitcnt lgkmcnt(0)
	v_add_co_ci_u32_e32 v6, vcc_lo, v6, v4, vcc_lo
.LBB656_54:
	s_or_b32 exec_lo, exec_lo, s13
	v_mov_b32_e32 v14, 0
	s_branch .LBB656_56
.LBB656_55:                             ;   in Loop: Header=BB656_56 Depth=1
	s_or_b32 exec_lo, exec_lo, s13
	v_add_co_u32 v5, vcc_lo, v5, v3
	v_subrev_nc_u32_e32 v13, 32, v13
	v_add_co_ci_u32_e32 v6, vcc_lo, v6, v4, vcc_lo
.LBB656_56:                             ; =>This Loop Header: Depth=1
                                        ;     Child Loop BB656_59 Depth 2
	v_and_b32_e32 v3, 0xff, v7
	s_delay_alu instid0(VALU_DEP_1) | instskip(SKIP_2) | instid1(VALU_DEP_1)
	v_cmp_ne_u16_e32 vcc_lo, 2, v3
	v_cndmask_b32_e64 v3, 0, 1, vcc_lo
	;;#ASMSTART
	;;#ASMEND
	v_cmp_ne_u32_e32 vcc_lo, 0, v3
	s_waitcnt lgkmcnt(0)
	v_dual_mov_b32 v3, v5 :: v_dual_mov_b32 v4, v6
	s_cmp_lg_u32 vcc_lo, exec_lo
	s_cbranch_scc1 .LBB656_71
; %bb.57:                               ;   in Loop: Header=BB656_56 Depth=1
	v_lshlrev_b64 v[5:6], 4, v[13:14]
	s_mov_b32 s13, exec_lo
	s_delay_alu instid0(VALU_DEP_1) | instskip(NEXT) | instid1(VALU_DEP_2)
	v_add_co_u32 v15, vcc_lo, s10, v5
	v_add_co_ci_u32_e32 v16, vcc_lo, s11, v6, vcc_lo
	;;#ASMSTART
	global_load_dwordx4 v[5:8], v[15:16] off glc	
s_waitcnt vmcnt(0)
	;;#ASMEND
	v_and_b32_e32 v8, 0xff, v6
	v_and_b32_e32 v32, 0xff00, v6
	v_or3_b32 v5, v5, 0, 0
	v_and_b32_e32 v33, 0xff000000, v6
	v_and_b32_e32 v6, 0xff0000, v6
	s_delay_alu instid0(VALU_DEP_4) | instskip(SKIP_2) | instid1(VALU_DEP_3)
	v_or3_b32 v8, 0, v8, v32
	v_and_b32_e32 v32, 0xff, v7
	v_or3_b32 v5, v5, 0, 0
	v_or3_b32 v6, v8, v6, v33
	s_delay_alu instid0(VALU_DEP_3)
	v_cmpx_eq_u16_e32 0, v32
	s_cbranch_execz .LBB656_61
; %bb.58:                               ;   in Loop: Header=BB656_56 Depth=1
	s_mov_b32 s14, 0
.LBB656_59:                             ;   Parent Loop BB656_56 Depth=1
                                        ; =>  This Inner Loop Header: Depth=2
	;;#ASMSTART
	global_load_dwordx4 v[5:8], v[15:16] off glc	
s_waitcnt vmcnt(0)
	;;#ASMEND
	v_and_b32_e32 v8, 0xff, v7
	s_delay_alu instid0(VALU_DEP_1) | instskip(SKIP_1) | instid1(SALU_CYCLE_1)
	v_cmp_ne_u16_e32 vcc_lo, 0, v8
	s_or_b32 s14, vcc_lo, s14
	s_and_not1_b32 exec_lo, exec_lo, s14
	s_cbranch_execnz .LBB656_59
; %bb.60:                               ;   in Loop: Header=BB656_56 Depth=1
	s_or_b32 exec_lo, exec_lo, s14
.LBB656_61:                             ;   in Loop: Header=BB656_56 Depth=1
	s_delay_alu instid0(SALU_CYCLE_1)
	s_or_b32 exec_lo, exec_lo, s13
	v_dual_mov_b32 v15, v5 :: v_dual_and_b32 v8, 0xff, v7
	ds_bpermute_b32 v32, v22, v5
	ds_bpermute_b32 v16, v22, v6
	s_mov_b32 s13, exec_lo
	v_cmp_eq_u16_e32 vcc_lo, 2, v8
	v_and_or_b32 v8, vcc_lo, v23, 0x80000000
	s_delay_alu instid0(VALU_DEP_1) | instskip(NEXT) | instid1(VALU_DEP_1)
	v_ctz_i32_b32_e32 v8, v8
	v_cmpx_lt_u32_e64 v18, v8
	s_cbranch_execz .LBB656_63
; %bb.62:                               ;   in Loop: Header=BB656_56 Depth=1
	s_waitcnt lgkmcnt(1)
	v_add_co_u32 v15, vcc_lo, v5, v32
	v_add_co_ci_u32_e32 v6, vcc_lo, 0, v6, vcc_lo
	s_delay_alu instid0(VALU_DEP_2) | instskip(SKIP_1) | instid1(VALU_DEP_2)
	v_add_co_u32 v5, vcc_lo, 0, v15
	s_waitcnt lgkmcnt(0)
	v_add_co_ci_u32_e32 v6, vcc_lo, v16, v6, vcc_lo
.LBB656_63:                             ;   in Loop: Header=BB656_56 Depth=1
	s_or_b32 exec_lo, exec_lo, s13
	s_waitcnt lgkmcnt(1)
	ds_bpermute_b32 v32, v24, v15
	s_waitcnt lgkmcnt(1)
	ds_bpermute_b32 v16, v24, v6
	s_mov_b32 s13, exec_lo
	v_cmpx_le_u32_e64 v25, v8
	s_cbranch_execz .LBB656_65
; %bb.64:                               ;   in Loop: Header=BB656_56 Depth=1
	s_waitcnt lgkmcnt(1)
	v_add_co_u32 v15, vcc_lo, v5, v32
	v_add_co_ci_u32_e32 v6, vcc_lo, 0, v6, vcc_lo
	s_delay_alu instid0(VALU_DEP_2) | instskip(SKIP_1) | instid1(VALU_DEP_2)
	v_add_co_u32 v5, vcc_lo, 0, v15
	s_waitcnt lgkmcnt(0)
	v_add_co_ci_u32_e32 v6, vcc_lo, v16, v6, vcc_lo
.LBB656_65:                             ;   in Loop: Header=BB656_56 Depth=1
	s_or_b32 exec_lo, exec_lo, s13
	s_waitcnt lgkmcnt(1)
	ds_bpermute_b32 v32, v26, v15
	s_waitcnt lgkmcnt(1)
	ds_bpermute_b32 v16, v26, v6
	s_mov_b32 s13, exec_lo
	v_cmpx_le_u32_e64 v27, v8
	;; [unrolled: 17-line block ×3, first 2 shown]
	s_cbranch_execz .LBB656_69
; %bb.68:                               ;   in Loop: Header=BB656_56 Depth=1
	s_waitcnt lgkmcnt(1)
	v_add_co_u32 v15, vcc_lo, v5, v32
	v_add_co_ci_u32_e32 v6, vcc_lo, 0, v6, vcc_lo
	s_delay_alu instid0(VALU_DEP_2) | instskip(SKIP_1) | instid1(VALU_DEP_2)
	v_add_co_u32 v5, vcc_lo, 0, v15
	s_waitcnt lgkmcnt(0)
	v_add_co_ci_u32_e32 v6, vcc_lo, v16, v6, vcc_lo
.LBB656_69:                             ;   in Loop: Header=BB656_56 Depth=1
	s_or_b32 exec_lo, exec_lo, s13
	s_waitcnt lgkmcnt(0)
	ds_bpermute_b32 v16, v30, v15
	ds_bpermute_b32 v15, v30, v6
	s_mov_b32 s13, exec_lo
	v_cmpx_le_u32_e64 v31, v8
	s_cbranch_execz .LBB656_55
; %bb.70:                               ;   in Loop: Header=BB656_56 Depth=1
	s_waitcnt lgkmcnt(1)
	v_add_co_u32 v5, vcc_lo, v5, v16
	v_add_co_ci_u32_e32 v6, vcc_lo, 0, v6, vcc_lo
	s_delay_alu instid0(VALU_DEP_2) | instskip(SKIP_1) | instid1(VALU_DEP_2)
	v_add_co_u32 v5, vcc_lo, v5, 0
	s_waitcnt lgkmcnt(0)
	v_add_co_ci_u32_e32 v6, vcc_lo, v6, v15, vcc_lo
	s_branch .LBB656_55
.LBB656_71:                             ;   in Loop: Header=BB656_56 Depth=1
                                        ; implicit-def: $vgpr5_vgpr6
	s_cbranch_execz .LBB656_56
; %bb.72:
	s_and_saveexec_b32 s13, s0
	s_cbranch_execz .LBB656_74
; %bb.73:
	s_add_i32 s14, s12, 32
	s_mov_b32 s15, 0
	s_waitcnt vmcnt(0)
	v_add_co_u32 v5, vcc_lo, v3, v1
	s_lshl_b64 s[14:15], s[14:15], 4
	v_dual_mov_b32 v7, 2 :: v_dual_mov_b32 v8, 0
	s_add_u32 s14, s10, s14
	s_addc_u32 s15, s11, s15
	v_add_co_ci_u32_e32 v6, vcc_lo, v4, v2, vcc_lo
	v_dual_mov_b32 v13, s14 :: v_dual_mov_b32 v14, s15
	;;#ASMSTART
	global_store_dwordx4 v[13:14], v[5:8] off	
s_waitcnt vmcnt(0)
	;;#ASMEND
	ds_store_b128 v8, v[1:4]
.LBB656_74:
	s_or_b32 exec_lo, exec_lo, s13
	v_cmp_eq_u32_e32 vcc_lo, 0, v0
	s_and_b32 exec_lo, exec_lo, vcc_lo
	s_cbranch_execz .LBB656_76
; %bb.75:
	s_waitcnt vmcnt(0)
	v_mov_b32_e32 v1, 0
	global_store_b64 v1, v[3:4], s[8:9] offset:56
.LBB656_76:
	s_or_b32 exec_lo, exec_lo, s1
	s_waitcnt lgkmcnt(0)
	v_cndmask_b32_e64 v8, v21, v12, s0
	v_cmp_ne_u32_e32 vcc_lo, 0, v0
	s_waitcnt vmcnt(0)
	v_mov_b32_e32 v1, 0
	s_waitcnt_vscnt null, 0x0
	s_barrier
	buffer_gl0_inv
	v_cndmask_b32_e32 v8, 0, v8, vcc_lo
	global_load_b64 v[6:7], v1, s[8:9] offset:56
	s_waitcnt vmcnt(0)
	s_barrier
	buffer_gl0_inv
	ds_load_b128 v[2:5], v1
	v_cndmask_b32_e64 v1, v20, v11, s0
	s_delay_alu instid0(VALU_DEP_1) | instskip(NEXT) | instid1(VALU_DEP_1)
	v_cndmask_b32_e32 v1, 0, v1, vcc_lo
	v_add_co_u32 v6, vcc_lo, v6, v1
	v_add_co_ci_u32_e32 v7, vcc_lo, v7, v8, vcc_lo
.LBB656_77:
	s_waitcnt lgkmcnt(0)
	v_cmp_gt_u64_e32 vcc_lo, 0x101, v[2:3]
	s_mov_b32 s0, -1
	s_cbranch_vccnz .LBB656_107
.LBB656_78:
	s_and_not1_b32 vcc_lo, exec_lo, s0
	s_cbranch_vccz .LBB656_111
.LBB656_79:
	v_cmp_eq_u32_e32 vcc_lo, 0, v0
	s_and_b32 s0, vcc_lo, s21
	s_delay_alu instid0(SALU_CYCLE_1)
	s_and_saveexec_b32 s1, s0
	s_cbranch_execnz .LBB656_117
.LBB656_80:
	s_nop 0
	s_sendmsg sendmsg(MSG_DEALLOC_VGPRS)
	s_endpgm
.LBB656_81:
                                        ; implicit-def: $vgpr4_vgpr5
                                        ; implicit-def: $vgpr6_vgpr7
	s_cbranch_execz .LBB656_77
; %bb.82:
	s_waitcnt lgkmcnt(0)
	v_dual_mov_b32 v4, 0 :: v_dual_and_b32 v5, 15, v18
	v_mov_b32_dpp v3, v19 row_shr:1 row_mask:0xf bank_mask:0xf
	v_dual_mov_b32 v1, v9 :: v_dual_mov_b32 v2, v10
	s_delay_alu instid0(VALU_DEP_3)
	v_mov_b32_dpp v6, v4 row_shr:1 row_mask:0xf bank_mask:0xf
	s_mov_b32 s0, exec_lo
	v_cmpx_ne_u32_e32 0, v5
; %bb.83:
	v_add_co_u32 v19, s1, v3, v9
	s_delay_alu instid0(VALU_DEP_1) | instskip(NEXT) | instid1(VALU_DEP_2)
	v_add_co_ci_u32_e64 v1, null, 0, 0, s1
	v_add_co_u32 v3, vcc_lo, 0, v19
	s_delay_alu instid0(VALU_DEP_2) | instskip(NEXT) | instid1(VALU_DEP_1)
	v_add_co_ci_u32_e32 v4, vcc_lo, v6, v1, vcc_lo
	v_dual_mov_b32 v1, v3 :: v_dual_mov_b32 v2, v4
; %bb.84:
	s_or_b32 exec_lo, exec_lo, s0
	v_mov_b32_dpp v3, v19 row_shr:2 row_mask:0xf bank_mask:0xf
	v_mov_b32_dpp v6, v4 row_shr:2 row_mask:0xf bank_mask:0xf
	s_mov_b32 s0, exec_lo
	v_cmpx_lt_u32_e32 1, v5
; %bb.85:
	s_delay_alu instid0(VALU_DEP_3) | instskip(SKIP_1) | instid1(VALU_DEP_2)
	v_add_co_u32 v19, vcc_lo, v1, v3
	v_add_co_ci_u32_e32 v1, vcc_lo, 0, v2, vcc_lo
	v_add_co_u32 v3, vcc_lo, 0, v19
	s_delay_alu instid0(VALU_DEP_2) | instskip(NEXT) | instid1(VALU_DEP_1)
	v_add_co_ci_u32_e32 v4, vcc_lo, v6, v1, vcc_lo
	v_dual_mov_b32 v1, v3 :: v_dual_mov_b32 v2, v4
; %bb.86:
	s_or_b32 exec_lo, exec_lo, s0
	v_mov_b32_dpp v3, v19 row_shr:4 row_mask:0xf bank_mask:0xf
	v_mov_b32_dpp v6, v4 row_shr:4 row_mask:0xf bank_mask:0xf
	s_mov_b32 s0, exec_lo
	v_cmpx_lt_u32_e32 3, v5
; %bb.87:
	s_delay_alu instid0(VALU_DEP_3) | instskip(SKIP_1) | instid1(VALU_DEP_2)
	v_add_co_u32 v19, vcc_lo, v1, v3
	v_add_co_ci_u32_e32 v1, vcc_lo, 0, v2, vcc_lo
	;; [unrolled: 14-line block ×3, first 2 shown]
	v_add_co_u32 v1, vcc_lo, 0, v19
	s_delay_alu instid0(VALU_DEP_2) | instskip(NEXT) | instid1(VALU_DEP_1)
	v_add_co_ci_u32_e32 v2, vcc_lo, v3, v2, vcc_lo
	v_mov_b32_e32 v4, v2
; %bb.90:
	s_or_b32 exec_lo, exec_lo, s0
	ds_swizzle_b32 v3, v19 offset:swizzle(BROADCAST,32,15)
	ds_swizzle_b32 v5, v4 offset:swizzle(BROADCAST,32,15)
	v_and_b32_e32 v6, 16, v18
	s_mov_b32 s0, exec_lo
	s_delay_alu instid0(VALU_DEP_1)
	v_cmpx_ne_u32_e32 0, v6
	s_cbranch_execz .LBB656_92
; %bb.91:
	s_waitcnt lgkmcnt(1)
	v_add_co_u32 v19, vcc_lo, v1, v3
	v_add_co_ci_u32_e32 v1, vcc_lo, 0, v2, vcc_lo
	s_delay_alu instid0(VALU_DEP_2) | instskip(SKIP_1) | instid1(VALU_DEP_2)
	v_add_co_u32 v3, vcc_lo, 0, v19
	s_waitcnt lgkmcnt(0)
	v_add_co_ci_u32_e32 v4, vcc_lo, v5, v1, vcc_lo
	s_delay_alu instid0(VALU_DEP_1)
	v_dual_mov_b32 v1, v3 :: v_dual_mov_b32 v2, v4
.LBB656_92:
	s_or_b32 exec_lo, exec_lo, s0
	s_waitcnt lgkmcnt(0)
	v_or_b32_e32 v5, 31, v0
	v_lshrrev_b32_e32 v3, 5, v0
	s_mov_b32 s0, exec_lo
	s_delay_alu instid0(VALU_DEP_2)
	v_cmpx_eq_u32_e64 v5, v0
	s_cbranch_execz .LBB656_94
; %bb.93:
	s_delay_alu instid0(VALU_DEP_2)
	v_lshlrev_b32_e32 v5, 3, v3
	global_store_b64 v5, v[1:2], s[8:9]
.LBB656_94:
	s_or_b32 exec_lo, exec_lo, s0
	s_delay_alu instid0(SALU_CYCLE_1)
	s_mov_b32 s0, exec_lo
	s_waitcnt_vscnt null, 0x0
	s_barrier
	buffer_gl0_inv
	v_cmpx_gt_u32_e32 8, v0
	s_cbranch_execz .LBB656_102
; %bb.95:
	v_lshlrev_b32_e32 v5, 3, v0
	v_and_b32_e32 v7, 7, v18
	s_mov_b32 s1, exec_lo
	global_load_b64 v[1:2], v5, s[8:9]
	s_waitcnt vmcnt(0)
	v_mov_b32_e32 v8, v1
	v_mov_b32_dpp v10, v1 row_shr:1 row_mask:0xf bank_mask:0xf
	v_mov_b32_dpp v6, v2 row_shr:1 row_mask:0xf bank_mask:0xf
	v_cmpx_ne_u32_e32 0, v7
; %bb.96:
	s_delay_alu instid0(VALU_DEP_3) | instskip(SKIP_1) | instid1(VALU_DEP_2)
	v_add_co_u32 v8, vcc_lo, v1, v10
	v_add_co_ci_u32_e32 v2, vcc_lo, 0, v2, vcc_lo
	v_add_co_u32 v1, vcc_lo, 0, v8
	s_delay_alu instid0(VALU_DEP_2)
	v_add_co_ci_u32_e32 v2, vcc_lo, v6, v2, vcc_lo
; %bb.97:
	s_or_b32 exec_lo, exec_lo, s1
	v_add_co_u32 v5, s1, s8, v5
	s_delay_alu instid0(VALU_DEP_1)
	v_add_co_ci_u32_e64 v6, null, s9, 0, s1
	v_mov_b32_dpp v11, v8 row_shr:2 row_mask:0xf bank_mask:0xf
	v_mov_b32_dpp v10, v2 row_shr:2 row_mask:0xf bank_mask:0xf
	s_mov_b32 s1, exec_lo
	v_cmpx_lt_u32_e32 1, v7
; %bb.98:
	s_delay_alu instid0(VALU_DEP_3) | instskip(SKIP_1) | instid1(VALU_DEP_2)
	v_add_co_u32 v8, vcc_lo, v1, v11
	v_add_co_ci_u32_e32 v2, vcc_lo, 0, v2, vcc_lo
	v_add_co_u32 v1, vcc_lo, 0, v8
	s_delay_alu instid0(VALU_DEP_2)
	v_add_co_ci_u32_e32 v2, vcc_lo, v10, v2, vcc_lo
; %bb.99:
	s_or_b32 exec_lo, exec_lo, s1
	v_mov_b32_dpp v10, v8 row_shr:4 row_mask:0xf bank_mask:0xf
	s_delay_alu instid0(VALU_DEP_2)
	v_mov_b32_dpp v8, v2 row_shr:4 row_mask:0xf bank_mask:0xf
	s_mov_b32 s1, exec_lo
	v_cmpx_lt_u32_e32 3, v7
; %bb.100:
	s_delay_alu instid0(VALU_DEP_3) | instskip(SKIP_1) | instid1(VALU_DEP_2)
	v_add_co_u32 v1, vcc_lo, v1, v10
	v_add_co_ci_u32_e32 v2, vcc_lo, 0, v2, vcc_lo
	v_add_co_u32 v1, vcc_lo, v1, 0
	s_delay_alu instid0(VALU_DEP_2)
	v_add_co_ci_u32_e32 v2, vcc_lo, v2, v8, vcc_lo
; %bb.101:
	s_or_b32 exec_lo, exec_lo, s1
	global_store_b64 v[5:6], v[1:2], off
.LBB656_102:
	s_or_b32 exec_lo, exec_lo, s0
	v_mov_b32_e32 v6, 0
	v_mov_b32_e32 v7, 0
	s_mov_b32 s0, exec_lo
	s_waitcnt_vscnt null, 0x0
	s_barrier
	buffer_gl0_inv
	v_cmpx_lt_u32_e32 31, v0
	s_cbranch_execz .LBB656_104
; %bb.103:
	v_dual_mov_b32 v2, 0 :: v_dual_add_nc_u32 v1, -1, v3
	s_delay_alu instid0(VALU_DEP_1) | instskip(NEXT) | instid1(VALU_DEP_1)
	v_lshlrev_b64 v[1:2], 3, v[1:2]
	v_add_co_u32 v1, vcc_lo, s8, v1
	s_delay_alu instid0(VALU_DEP_2)
	v_add_co_ci_u32_e32 v2, vcc_lo, s9, v2, vcc_lo
	global_load_b64 v[6:7], v[1:2], off
.LBB656_104:
	s_or_b32 exec_lo, exec_lo, s0
	v_add_nc_u32_e32 v1, -1, v18
	s_mov_b32 s0, exec_lo
	s_delay_alu instid0(VALU_DEP_1) | instskip(SKIP_1) | instid1(VALU_DEP_1)
	v_cmp_gt_i32_e32 vcc_lo, 0, v1
	v_cndmask_b32_e32 v1, v1, v18, vcc_lo
	v_dual_mov_b32 v5, 0 :: v_dual_lshlrev_b32 v8, 2, v1
	global_load_b64 v[2:3], v5, s[8:9] offset:56
	s_waitcnt vmcnt(1)
	v_add_co_u32 v1, vcc_lo, v19, v6
	v_add_co_ci_u32_e32 v4, vcc_lo, v4, v7, vcc_lo
	ds_bpermute_b32 v1, v8, v1
	ds_bpermute_b32 v8, v8, v4
	v_cmpx_eq_u32_e32 0, v0
	s_cbranch_execz .LBB656_106
; %bb.105:
	s_add_u32 s10, s10, 0x200
	s_addc_u32 s11, s11, 0
	v_mov_b32_e32 v10, s10
	v_dual_mov_b32 v4, 2 :: v_dual_mov_b32 v11, s11
	s_waitcnt vmcnt(0)
	;;#ASMSTART
	global_store_dwordx4 v[10:11], v[2:5] off	
s_waitcnt vmcnt(0)
	;;#ASMEND
.LBB656_106:
	s_or_b32 exec_lo, exec_lo, s0
	v_cmp_eq_u32_e32 vcc_lo, 0, v18
	s_waitcnt vmcnt(0) lgkmcnt(0)
	s_barrier
	buffer_gl0_inv
	v_dual_mov_b32 v4, 0 :: v_dual_cndmask_b32 v7, v8, v7
	v_dual_mov_b32 v5, 0 :: v_dual_cndmask_b32 v6, v1, v6
	v_cmp_gt_u64_e32 vcc_lo, 0x101, v[2:3]
	s_mov_b32 s0, -1
	s_cbranch_vccz .LBB656_78
.LBB656_107:
	v_add_co_u32 v10, vcc_lo, v4, v2
	v_add_co_ci_u32_e32 v11, vcc_lo, v5, v3, vcc_lo
	s_delay_alu instid0(VALU_DEP_1) | instskip(SKIP_1) | instid1(SALU_CYCLE_1)
	v_cmp_gt_u64_e32 vcc_lo, v[10:11], v[6:7]
	s_or_b32 s1, s22, vcc_lo
	s_and_saveexec_b32 s0, s1
	s_cbranch_execz .LBB656_110
; %bb.108:
	v_cmp_eq_u32_e32 vcc_lo, 1, v9
	s_and_b32 exec_lo, exec_lo, vcc_lo
	s_cbranch_execz .LBB656_110
; %bb.109:
	v_lshlrev_b64 v[7:8], 9, v[6:7]
	s_lshl_b64 s[10:11], s[2:3], 9
	s_delay_alu instid0(SALU_CYCLE_1) | instskip(SKIP_1) | instid1(VALU_DEP_1)
	s_add_u32 s1, s6, s10
	s_addc_u32 s10, s7, s11
	v_add_co_u32 v7, vcc_lo, s1, v7
	s_delay_alu instid0(VALU_DEP_2)
	v_add_co_ci_u32_e32 v8, vcc_lo, s10, v8, vcc_lo
	global_store_b8 v[7:8], v17, off
.LBB656_110:
	s_or_b32 exec_lo, exec_lo, s0
	s_cbranch_execnz .LBB656_79
.LBB656_111:
	s_mov_b32 s0, exec_lo
	v_cmpx_eq_u32_e32 1, v9
	s_cbranch_execz .LBB656_113
; %bb.112:
	v_sub_nc_u32_e32 v6, v6, v4
	v_mov_b32_e32 v7, 0
	s_delay_alu instid0(VALU_DEP_1) | instskip(NEXT) | instid1(VALU_DEP_1)
	v_lshlrev_b64 v[6:7], 9, v[6:7]
	v_add_co_u32 v6, vcc_lo, s8, v6
	s_delay_alu instid0(VALU_DEP_2)
	v_add_co_ci_u32_e32 v7, vcc_lo, s9, v7, vcc_lo
	global_store_b8 v[6:7], v17, off
.LBB656_113:
	s_or_b32 exec_lo, exec_lo, s0
	v_mov_b32_e32 v7, 0
	s_mov_b32 s1, exec_lo
	s_waitcnt_vscnt null, 0x0
	s_barrier
	buffer_gl0_inv
	v_mov_b32_e32 v1, v7
	s_delay_alu instid0(VALU_DEP_1)
	v_cmpx_gt_u64_e64 v[2:3], v[0:1]
	s_cbranch_execz .LBB656_116
; %bb.114:
	v_lshlrev_b64 v[8:9], 9, v[4:5]
	s_lshl_b64 s[10:11], s[2:3], 9
	v_or_b32_e32 v6, 0x100, v0
	s_delay_alu instid0(VALU_DEP_2) | instskip(NEXT) | instid1(VALU_DEP_3)
	v_add_co_u32 v8, vcc_lo, s6, v8
	v_add_co_ci_u32_e32 v9, vcc_lo, s7, v9, vcc_lo
	s_mov_b32 s6, 0
	s_delay_alu instid0(VALU_DEP_2) | instskip(NEXT) | instid1(VALU_DEP_2)
	v_add_co_u32 v10, vcc_lo, v8, s10
	v_add_co_ci_u32_e32 v11, vcc_lo, s11, v9, vcc_lo
	v_dual_mov_b32 v9, v1 :: v_dual_mov_b32 v8, v0
	.p2align	6
.LBB656_115:                            ; =>This Inner Loop Header: Depth=1
	s_delay_alu instid0(VALU_DEP_1) | instskip(NEXT) | instid1(VALU_DEP_1)
	v_lshlrev_b64 v[12:13], 9, v[8:9]
	v_add_co_u32 v8, vcc_lo, s8, v12
	s_delay_alu instid0(VALU_DEP_2)
	v_add_co_ci_u32_e32 v9, vcc_lo, s9, v13, vcc_lo
	v_cmp_le_u64_e32 vcc_lo, v[2:3], v[6:7]
	v_add_co_u32 v12, s0, v10, v12
	global_load_u8 v1, v[8:9], off
	v_dual_mov_b32 v9, v7 :: v_dual_mov_b32 v8, v6
	v_add_co_ci_u32_e64 v13, s0, v11, v13, s0
	v_add_nc_u32_e32 v6, 0x100, v6
	s_or_b32 s6, vcc_lo, s6
	s_waitcnt vmcnt(0)
	global_store_b8 v[12:13], v1, off
	s_and_not1_b32 exec_lo, exec_lo, s6
	s_cbranch_execnz .LBB656_115
.LBB656_116:
	s_or_b32 exec_lo, exec_lo, s1
	v_cmp_eq_u32_e32 vcc_lo, 0, v0
	s_and_b32 s0, vcc_lo, s21
	s_delay_alu instid0(SALU_CYCLE_1)
	s_and_saveexec_b32 s1, s0
	s_cbranch_execz .LBB656_80
.LBB656_117:
	v_add_co_u32 v0, vcc_lo, v4, v2
	v_add_co_ci_u32_e32 v1, vcc_lo, v5, v3, vcc_lo
	v_mov_b32_e32 v2, 0
	s_delay_alu instid0(VALU_DEP_3) | instskip(NEXT) | instid1(VALU_DEP_3)
	v_add_co_u32 v0, vcc_lo, v0, s2
	v_add_co_ci_u32_e32 v1, vcc_lo, s3, v1, vcc_lo
	global_store_b64 v2, v[0:1], s[4:5]
	s_nop 0
	s_sendmsg sendmsg(MSG_DEALLOC_VGPRS)
	s_endpgm
	.section	.rodata,"a",@progbits
	.p2align	6, 0x0
	.amdhsa_kernel _ZN7rocprim17ROCPRIM_400000_NS6detail17trampoline_kernelINS0_14default_configENS1_25partition_config_selectorILNS1_17partition_subalgoE5E10large_dataNS0_10empty_typeEbEEZZNS1_14partition_implILS5_5ELb0ES3_mN6thrust23THRUST_200600_302600_NS6detail15normal_iteratorINSB_10device_ptrIS6_EEEEPS7_NSB_18transform_iteratorI7is_evenIS6_ESG_NSB_11use_defaultESL_EENS0_5tupleIJSG_S7_EEENSN_IJSH_SH_EEES7_PlJS7_EEE10hipError_tPvRmT3_T4_T5_T6_T7_T9_mT8_P12ihipStream_tbDpT10_ENKUlT_T0_E_clISt17integral_constantIbLb0EES1A_EEDaS15_S16_EUlS15_E_NS1_11comp_targetILNS1_3genE9ELNS1_11target_archE1100ELNS1_3gpuE3ELNS1_3repE0EEENS1_30default_config_static_selectorELNS0_4arch9wavefront6targetE0EEEvT1_
		.amdhsa_group_segment_fixed_size 16
		.amdhsa_private_segment_fixed_size 0
		.amdhsa_kernarg_size 120
		.amdhsa_user_sgpr_count 15
		.amdhsa_user_sgpr_dispatch_ptr 0
		.amdhsa_user_sgpr_queue_ptr 0
		.amdhsa_user_sgpr_kernarg_segment_ptr 1
		.amdhsa_user_sgpr_dispatch_id 0
		.amdhsa_user_sgpr_private_segment_size 0
		.amdhsa_wavefront_size32 1
		.amdhsa_uses_dynamic_stack 0
		.amdhsa_enable_private_segment 0
		.amdhsa_system_sgpr_workgroup_id_x 1
		.amdhsa_system_sgpr_workgroup_id_y 0
		.amdhsa_system_sgpr_workgroup_id_z 0
		.amdhsa_system_sgpr_workgroup_info 0
		.amdhsa_system_vgpr_workitem_id 0
		.amdhsa_next_free_vgpr 34
		.amdhsa_next_free_sgpr 28
		.amdhsa_reserve_vcc 1
		.amdhsa_float_round_mode_32 0
		.amdhsa_float_round_mode_16_64 0
		.amdhsa_float_denorm_mode_32 3
		.amdhsa_float_denorm_mode_16_64 3
		.amdhsa_dx10_clamp 1
		.amdhsa_ieee_mode 1
		.amdhsa_fp16_overflow 0
		.amdhsa_workgroup_processor_mode 1
		.amdhsa_memory_ordered 1
		.amdhsa_forward_progress 0
		.amdhsa_shared_vgpr_count 0
		.amdhsa_exception_fp_ieee_invalid_op 0
		.amdhsa_exception_fp_denorm_src 0
		.amdhsa_exception_fp_ieee_div_zero 0
		.amdhsa_exception_fp_ieee_overflow 0
		.amdhsa_exception_fp_ieee_underflow 0
		.amdhsa_exception_fp_ieee_inexact 0
		.amdhsa_exception_int_div_zero 0
	.end_amdhsa_kernel
	.section	.text._ZN7rocprim17ROCPRIM_400000_NS6detail17trampoline_kernelINS0_14default_configENS1_25partition_config_selectorILNS1_17partition_subalgoE5E10large_dataNS0_10empty_typeEbEEZZNS1_14partition_implILS5_5ELb0ES3_mN6thrust23THRUST_200600_302600_NS6detail15normal_iteratorINSB_10device_ptrIS6_EEEEPS7_NSB_18transform_iteratorI7is_evenIS6_ESG_NSB_11use_defaultESL_EENS0_5tupleIJSG_S7_EEENSN_IJSH_SH_EEES7_PlJS7_EEE10hipError_tPvRmT3_T4_T5_T6_T7_T9_mT8_P12ihipStream_tbDpT10_ENKUlT_T0_E_clISt17integral_constantIbLb0EES1A_EEDaS15_S16_EUlS15_E_NS1_11comp_targetILNS1_3genE9ELNS1_11target_archE1100ELNS1_3gpuE3ELNS1_3repE0EEENS1_30default_config_static_selectorELNS0_4arch9wavefront6targetE0EEEvT1_,"axG",@progbits,_ZN7rocprim17ROCPRIM_400000_NS6detail17trampoline_kernelINS0_14default_configENS1_25partition_config_selectorILNS1_17partition_subalgoE5E10large_dataNS0_10empty_typeEbEEZZNS1_14partition_implILS5_5ELb0ES3_mN6thrust23THRUST_200600_302600_NS6detail15normal_iteratorINSB_10device_ptrIS6_EEEEPS7_NSB_18transform_iteratorI7is_evenIS6_ESG_NSB_11use_defaultESL_EENS0_5tupleIJSG_S7_EEENSN_IJSH_SH_EEES7_PlJS7_EEE10hipError_tPvRmT3_T4_T5_T6_T7_T9_mT8_P12ihipStream_tbDpT10_ENKUlT_T0_E_clISt17integral_constantIbLb0EES1A_EEDaS15_S16_EUlS15_E_NS1_11comp_targetILNS1_3genE9ELNS1_11target_archE1100ELNS1_3gpuE3ELNS1_3repE0EEENS1_30default_config_static_selectorELNS0_4arch9wavefront6targetE0EEEvT1_,comdat
.Lfunc_end656:
	.size	_ZN7rocprim17ROCPRIM_400000_NS6detail17trampoline_kernelINS0_14default_configENS1_25partition_config_selectorILNS1_17partition_subalgoE5E10large_dataNS0_10empty_typeEbEEZZNS1_14partition_implILS5_5ELb0ES3_mN6thrust23THRUST_200600_302600_NS6detail15normal_iteratorINSB_10device_ptrIS6_EEEEPS7_NSB_18transform_iteratorI7is_evenIS6_ESG_NSB_11use_defaultESL_EENS0_5tupleIJSG_S7_EEENSN_IJSH_SH_EEES7_PlJS7_EEE10hipError_tPvRmT3_T4_T5_T6_T7_T9_mT8_P12ihipStream_tbDpT10_ENKUlT_T0_E_clISt17integral_constantIbLb0EES1A_EEDaS15_S16_EUlS15_E_NS1_11comp_targetILNS1_3genE9ELNS1_11target_archE1100ELNS1_3gpuE3ELNS1_3repE0EEENS1_30default_config_static_selectorELNS0_4arch9wavefront6targetE0EEEvT1_, .Lfunc_end656-_ZN7rocprim17ROCPRIM_400000_NS6detail17trampoline_kernelINS0_14default_configENS1_25partition_config_selectorILNS1_17partition_subalgoE5E10large_dataNS0_10empty_typeEbEEZZNS1_14partition_implILS5_5ELb0ES3_mN6thrust23THRUST_200600_302600_NS6detail15normal_iteratorINSB_10device_ptrIS6_EEEEPS7_NSB_18transform_iteratorI7is_evenIS6_ESG_NSB_11use_defaultESL_EENS0_5tupleIJSG_S7_EEENSN_IJSH_SH_EEES7_PlJS7_EEE10hipError_tPvRmT3_T4_T5_T6_T7_T9_mT8_P12ihipStream_tbDpT10_ENKUlT_T0_E_clISt17integral_constantIbLb0EES1A_EEDaS15_S16_EUlS15_E_NS1_11comp_targetILNS1_3genE9ELNS1_11target_archE1100ELNS1_3gpuE3ELNS1_3repE0EEENS1_30default_config_static_selectorELNS0_4arch9wavefront6targetE0EEEvT1_
                                        ; -- End function
	.section	.AMDGPU.csdata,"",@progbits
; Kernel info:
; codeLenInByte = 5084
; NumSgprs: 30
; NumVgprs: 34
; ScratchSize: 0
; MemoryBound: 0
; FloatMode: 240
; IeeeMode: 1
; LDSByteSize: 16 bytes/workgroup (compile time only)
; SGPRBlocks: 3
; VGPRBlocks: 4
; NumSGPRsForWavesPerEU: 30
; NumVGPRsForWavesPerEU: 34
; Occupancy: 16
; WaveLimiterHint : 1
; COMPUTE_PGM_RSRC2:SCRATCH_EN: 0
; COMPUTE_PGM_RSRC2:USER_SGPR: 15
; COMPUTE_PGM_RSRC2:TRAP_HANDLER: 0
; COMPUTE_PGM_RSRC2:TGID_X_EN: 1
; COMPUTE_PGM_RSRC2:TGID_Y_EN: 0
; COMPUTE_PGM_RSRC2:TGID_Z_EN: 0
; COMPUTE_PGM_RSRC2:TIDIG_COMP_CNT: 0
	.section	.text._ZN7rocprim17ROCPRIM_400000_NS6detail17trampoline_kernelINS0_14default_configENS1_25partition_config_selectorILNS1_17partition_subalgoE5E10large_dataNS0_10empty_typeEbEEZZNS1_14partition_implILS5_5ELb0ES3_mN6thrust23THRUST_200600_302600_NS6detail15normal_iteratorINSB_10device_ptrIS6_EEEEPS7_NSB_18transform_iteratorI7is_evenIS6_ESG_NSB_11use_defaultESL_EENS0_5tupleIJSG_S7_EEENSN_IJSH_SH_EEES7_PlJS7_EEE10hipError_tPvRmT3_T4_T5_T6_T7_T9_mT8_P12ihipStream_tbDpT10_ENKUlT_T0_E_clISt17integral_constantIbLb0EES1A_EEDaS15_S16_EUlS15_E_NS1_11comp_targetILNS1_3genE8ELNS1_11target_archE1030ELNS1_3gpuE2ELNS1_3repE0EEENS1_30default_config_static_selectorELNS0_4arch9wavefront6targetE0EEEvT1_,"axG",@progbits,_ZN7rocprim17ROCPRIM_400000_NS6detail17trampoline_kernelINS0_14default_configENS1_25partition_config_selectorILNS1_17partition_subalgoE5E10large_dataNS0_10empty_typeEbEEZZNS1_14partition_implILS5_5ELb0ES3_mN6thrust23THRUST_200600_302600_NS6detail15normal_iteratorINSB_10device_ptrIS6_EEEEPS7_NSB_18transform_iteratorI7is_evenIS6_ESG_NSB_11use_defaultESL_EENS0_5tupleIJSG_S7_EEENSN_IJSH_SH_EEES7_PlJS7_EEE10hipError_tPvRmT3_T4_T5_T6_T7_T9_mT8_P12ihipStream_tbDpT10_ENKUlT_T0_E_clISt17integral_constantIbLb0EES1A_EEDaS15_S16_EUlS15_E_NS1_11comp_targetILNS1_3genE8ELNS1_11target_archE1030ELNS1_3gpuE2ELNS1_3repE0EEENS1_30default_config_static_selectorELNS0_4arch9wavefront6targetE0EEEvT1_,comdat
	.protected	_ZN7rocprim17ROCPRIM_400000_NS6detail17trampoline_kernelINS0_14default_configENS1_25partition_config_selectorILNS1_17partition_subalgoE5E10large_dataNS0_10empty_typeEbEEZZNS1_14partition_implILS5_5ELb0ES3_mN6thrust23THRUST_200600_302600_NS6detail15normal_iteratorINSB_10device_ptrIS6_EEEEPS7_NSB_18transform_iteratorI7is_evenIS6_ESG_NSB_11use_defaultESL_EENS0_5tupleIJSG_S7_EEENSN_IJSH_SH_EEES7_PlJS7_EEE10hipError_tPvRmT3_T4_T5_T6_T7_T9_mT8_P12ihipStream_tbDpT10_ENKUlT_T0_E_clISt17integral_constantIbLb0EES1A_EEDaS15_S16_EUlS15_E_NS1_11comp_targetILNS1_3genE8ELNS1_11target_archE1030ELNS1_3gpuE2ELNS1_3repE0EEENS1_30default_config_static_selectorELNS0_4arch9wavefront6targetE0EEEvT1_ ; -- Begin function _ZN7rocprim17ROCPRIM_400000_NS6detail17trampoline_kernelINS0_14default_configENS1_25partition_config_selectorILNS1_17partition_subalgoE5E10large_dataNS0_10empty_typeEbEEZZNS1_14partition_implILS5_5ELb0ES3_mN6thrust23THRUST_200600_302600_NS6detail15normal_iteratorINSB_10device_ptrIS6_EEEEPS7_NSB_18transform_iteratorI7is_evenIS6_ESG_NSB_11use_defaultESL_EENS0_5tupleIJSG_S7_EEENSN_IJSH_SH_EEES7_PlJS7_EEE10hipError_tPvRmT3_T4_T5_T6_T7_T9_mT8_P12ihipStream_tbDpT10_ENKUlT_T0_E_clISt17integral_constantIbLb0EES1A_EEDaS15_S16_EUlS15_E_NS1_11comp_targetILNS1_3genE8ELNS1_11target_archE1030ELNS1_3gpuE2ELNS1_3repE0EEENS1_30default_config_static_selectorELNS0_4arch9wavefront6targetE0EEEvT1_
	.globl	_ZN7rocprim17ROCPRIM_400000_NS6detail17trampoline_kernelINS0_14default_configENS1_25partition_config_selectorILNS1_17partition_subalgoE5E10large_dataNS0_10empty_typeEbEEZZNS1_14partition_implILS5_5ELb0ES3_mN6thrust23THRUST_200600_302600_NS6detail15normal_iteratorINSB_10device_ptrIS6_EEEEPS7_NSB_18transform_iteratorI7is_evenIS6_ESG_NSB_11use_defaultESL_EENS0_5tupleIJSG_S7_EEENSN_IJSH_SH_EEES7_PlJS7_EEE10hipError_tPvRmT3_T4_T5_T6_T7_T9_mT8_P12ihipStream_tbDpT10_ENKUlT_T0_E_clISt17integral_constantIbLb0EES1A_EEDaS15_S16_EUlS15_E_NS1_11comp_targetILNS1_3genE8ELNS1_11target_archE1030ELNS1_3gpuE2ELNS1_3repE0EEENS1_30default_config_static_selectorELNS0_4arch9wavefront6targetE0EEEvT1_
	.p2align	8
	.type	_ZN7rocprim17ROCPRIM_400000_NS6detail17trampoline_kernelINS0_14default_configENS1_25partition_config_selectorILNS1_17partition_subalgoE5E10large_dataNS0_10empty_typeEbEEZZNS1_14partition_implILS5_5ELb0ES3_mN6thrust23THRUST_200600_302600_NS6detail15normal_iteratorINSB_10device_ptrIS6_EEEEPS7_NSB_18transform_iteratorI7is_evenIS6_ESG_NSB_11use_defaultESL_EENS0_5tupleIJSG_S7_EEENSN_IJSH_SH_EEES7_PlJS7_EEE10hipError_tPvRmT3_T4_T5_T6_T7_T9_mT8_P12ihipStream_tbDpT10_ENKUlT_T0_E_clISt17integral_constantIbLb0EES1A_EEDaS15_S16_EUlS15_E_NS1_11comp_targetILNS1_3genE8ELNS1_11target_archE1030ELNS1_3gpuE2ELNS1_3repE0EEENS1_30default_config_static_selectorELNS0_4arch9wavefront6targetE0EEEvT1_,@function
_ZN7rocprim17ROCPRIM_400000_NS6detail17trampoline_kernelINS0_14default_configENS1_25partition_config_selectorILNS1_17partition_subalgoE5E10large_dataNS0_10empty_typeEbEEZZNS1_14partition_implILS5_5ELb0ES3_mN6thrust23THRUST_200600_302600_NS6detail15normal_iteratorINSB_10device_ptrIS6_EEEEPS7_NSB_18transform_iteratorI7is_evenIS6_ESG_NSB_11use_defaultESL_EENS0_5tupleIJSG_S7_EEENSN_IJSH_SH_EEES7_PlJS7_EEE10hipError_tPvRmT3_T4_T5_T6_T7_T9_mT8_P12ihipStream_tbDpT10_ENKUlT_T0_E_clISt17integral_constantIbLb0EES1A_EEDaS15_S16_EUlS15_E_NS1_11comp_targetILNS1_3genE8ELNS1_11target_archE1030ELNS1_3gpuE2ELNS1_3repE0EEENS1_30default_config_static_selectorELNS0_4arch9wavefront6targetE0EEEvT1_: ; @_ZN7rocprim17ROCPRIM_400000_NS6detail17trampoline_kernelINS0_14default_configENS1_25partition_config_selectorILNS1_17partition_subalgoE5E10large_dataNS0_10empty_typeEbEEZZNS1_14partition_implILS5_5ELb0ES3_mN6thrust23THRUST_200600_302600_NS6detail15normal_iteratorINSB_10device_ptrIS6_EEEEPS7_NSB_18transform_iteratorI7is_evenIS6_ESG_NSB_11use_defaultESL_EENS0_5tupleIJSG_S7_EEENSN_IJSH_SH_EEES7_PlJS7_EEE10hipError_tPvRmT3_T4_T5_T6_T7_T9_mT8_P12ihipStream_tbDpT10_ENKUlT_T0_E_clISt17integral_constantIbLb0EES1A_EEDaS15_S16_EUlS15_E_NS1_11comp_targetILNS1_3genE8ELNS1_11target_archE1030ELNS1_3gpuE2ELNS1_3repE0EEENS1_30default_config_static_selectorELNS0_4arch9wavefront6targetE0EEEvT1_
; %bb.0:
	.section	.rodata,"a",@progbits
	.p2align	6, 0x0
	.amdhsa_kernel _ZN7rocprim17ROCPRIM_400000_NS6detail17trampoline_kernelINS0_14default_configENS1_25partition_config_selectorILNS1_17partition_subalgoE5E10large_dataNS0_10empty_typeEbEEZZNS1_14partition_implILS5_5ELb0ES3_mN6thrust23THRUST_200600_302600_NS6detail15normal_iteratorINSB_10device_ptrIS6_EEEEPS7_NSB_18transform_iteratorI7is_evenIS6_ESG_NSB_11use_defaultESL_EENS0_5tupleIJSG_S7_EEENSN_IJSH_SH_EEES7_PlJS7_EEE10hipError_tPvRmT3_T4_T5_T6_T7_T9_mT8_P12ihipStream_tbDpT10_ENKUlT_T0_E_clISt17integral_constantIbLb0EES1A_EEDaS15_S16_EUlS15_E_NS1_11comp_targetILNS1_3genE8ELNS1_11target_archE1030ELNS1_3gpuE2ELNS1_3repE0EEENS1_30default_config_static_selectorELNS0_4arch9wavefront6targetE0EEEvT1_
		.amdhsa_group_segment_fixed_size 0
		.amdhsa_private_segment_fixed_size 0
		.amdhsa_kernarg_size 120
		.amdhsa_user_sgpr_count 15
		.amdhsa_user_sgpr_dispatch_ptr 0
		.amdhsa_user_sgpr_queue_ptr 0
		.amdhsa_user_sgpr_kernarg_segment_ptr 1
		.amdhsa_user_sgpr_dispatch_id 0
		.amdhsa_user_sgpr_private_segment_size 0
		.amdhsa_wavefront_size32 1
		.amdhsa_uses_dynamic_stack 0
		.amdhsa_enable_private_segment 0
		.amdhsa_system_sgpr_workgroup_id_x 1
		.amdhsa_system_sgpr_workgroup_id_y 0
		.amdhsa_system_sgpr_workgroup_id_z 0
		.amdhsa_system_sgpr_workgroup_info 0
		.amdhsa_system_vgpr_workitem_id 0
		.amdhsa_next_free_vgpr 1
		.amdhsa_next_free_sgpr 1
		.amdhsa_reserve_vcc 0
		.amdhsa_float_round_mode_32 0
		.amdhsa_float_round_mode_16_64 0
		.amdhsa_float_denorm_mode_32 3
		.amdhsa_float_denorm_mode_16_64 3
		.amdhsa_dx10_clamp 1
		.amdhsa_ieee_mode 1
		.amdhsa_fp16_overflow 0
		.amdhsa_workgroup_processor_mode 1
		.amdhsa_memory_ordered 1
		.amdhsa_forward_progress 0
		.amdhsa_shared_vgpr_count 0
		.amdhsa_exception_fp_ieee_invalid_op 0
		.amdhsa_exception_fp_denorm_src 0
		.amdhsa_exception_fp_ieee_div_zero 0
		.amdhsa_exception_fp_ieee_overflow 0
		.amdhsa_exception_fp_ieee_underflow 0
		.amdhsa_exception_fp_ieee_inexact 0
		.amdhsa_exception_int_div_zero 0
	.end_amdhsa_kernel
	.section	.text._ZN7rocprim17ROCPRIM_400000_NS6detail17trampoline_kernelINS0_14default_configENS1_25partition_config_selectorILNS1_17partition_subalgoE5E10large_dataNS0_10empty_typeEbEEZZNS1_14partition_implILS5_5ELb0ES3_mN6thrust23THRUST_200600_302600_NS6detail15normal_iteratorINSB_10device_ptrIS6_EEEEPS7_NSB_18transform_iteratorI7is_evenIS6_ESG_NSB_11use_defaultESL_EENS0_5tupleIJSG_S7_EEENSN_IJSH_SH_EEES7_PlJS7_EEE10hipError_tPvRmT3_T4_T5_T6_T7_T9_mT8_P12ihipStream_tbDpT10_ENKUlT_T0_E_clISt17integral_constantIbLb0EES1A_EEDaS15_S16_EUlS15_E_NS1_11comp_targetILNS1_3genE8ELNS1_11target_archE1030ELNS1_3gpuE2ELNS1_3repE0EEENS1_30default_config_static_selectorELNS0_4arch9wavefront6targetE0EEEvT1_,"axG",@progbits,_ZN7rocprim17ROCPRIM_400000_NS6detail17trampoline_kernelINS0_14default_configENS1_25partition_config_selectorILNS1_17partition_subalgoE5E10large_dataNS0_10empty_typeEbEEZZNS1_14partition_implILS5_5ELb0ES3_mN6thrust23THRUST_200600_302600_NS6detail15normal_iteratorINSB_10device_ptrIS6_EEEEPS7_NSB_18transform_iteratorI7is_evenIS6_ESG_NSB_11use_defaultESL_EENS0_5tupleIJSG_S7_EEENSN_IJSH_SH_EEES7_PlJS7_EEE10hipError_tPvRmT3_T4_T5_T6_T7_T9_mT8_P12ihipStream_tbDpT10_ENKUlT_T0_E_clISt17integral_constantIbLb0EES1A_EEDaS15_S16_EUlS15_E_NS1_11comp_targetILNS1_3genE8ELNS1_11target_archE1030ELNS1_3gpuE2ELNS1_3repE0EEENS1_30default_config_static_selectorELNS0_4arch9wavefront6targetE0EEEvT1_,comdat
.Lfunc_end657:
	.size	_ZN7rocprim17ROCPRIM_400000_NS6detail17trampoline_kernelINS0_14default_configENS1_25partition_config_selectorILNS1_17partition_subalgoE5E10large_dataNS0_10empty_typeEbEEZZNS1_14partition_implILS5_5ELb0ES3_mN6thrust23THRUST_200600_302600_NS6detail15normal_iteratorINSB_10device_ptrIS6_EEEEPS7_NSB_18transform_iteratorI7is_evenIS6_ESG_NSB_11use_defaultESL_EENS0_5tupleIJSG_S7_EEENSN_IJSH_SH_EEES7_PlJS7_EEE10hipError_tPvRmT3_T4_T5_T6_T7_T9_mT8_P12ihipStream_tbDpT10_ENKUlT_T0_E_clISt17integral_constantIbLb0EES1A_EEDaS15_S16_EUlS15_E_NS1_11comp_targetILNS1_3genE8ELNS1_11target_archE1030ELNS1_3gpuE2ELNS1_3repE0EEENS1_30default_config_static_selectorELNS0_4arch9wavefront6targetE0EEEvT1_, .Lfunc_end657-_ZN7rocprim17ROCPRIM_400000_NS6detail17trampoline_kernelINS0_14default_configENS1_25partition_config_selectorILNS1_17partition_subalgoE5E10large_dataNS0_10empty_typeEbEEZZNS1_14partition_implILS5_5ELb0ES3_mN6thrust23THRUST_200600_302600_NS6detail15normal_iteratorINSB_10device_ptrIS6_EEEEPS7_NSB_18transform_iteratorI7is_evenIS6_ESG_NSB_11use_defaultESL_EENS0_5tupleIJSG_S7_EEENSN_IJSH_SH_EEES7_PlJS7_EEE10hipError_tPvRmT3_T4_T5_T6_T7_T9_mT8_P12ihipStream_tbDpT10_ENKUlT_T0_E_clISt17integral_constantIbLb0EES1A_EEDaS15_S16_EUlS15_E_NS1_11comp_targetILNS1_3genE8ELNS1_11target_archE1030ELNS1_3gpuE2ELNS1_3repE0EEENS1_30default_config_static_selectorELNS0_4arch9wavefront6targetE0EEEvT1_
                                        ; -- End function
	.section	.AMDGPU.csdata,"",@progbits
; Kernel info:
; codeLenInByte = 0
; NumSgprs: 0
; NumVgprs: 0
; ScratchSize: 0
; MemoryBound: 0
; FloatMode: 240
; IeeeMode: 1
; LDSByteSize: 0 bytes/workgroup (compile time only)
; SGPRBlocks: 0
; VGPRBlocks: 0
; NumSGPRsForWavesPerEU: 1
; NumVGPRsForWavesPerEU: 1
; Occupancy: 16
; WaveLimiterHint : 0
; COMPUTE_PGM_RSRC2:SCRATCH_EN: 0
; COMPUTE_PGM_RSRC2:USER_SGPR: 15
; COMPUTE_PGM_RSRC2:TRAP_HANDLER: 0
; COMPUTE_PGM_RSRC2:TGID_X_EN: 1
; COMPUTE_PGM_RSRC2:TGID_Y_EN: 0
; COMPUTE_PGM_RSRC2:TGID_Z_EN: 0
; COMPUTE_PGM_RSRC2:TIDIG_COMP_CNT: 0
	.section	.text._ZN7rocprim17ROCPRIM_400000_NS6detail17trampoline_kernelINS0_14default_configENS1_25partition_config_selectorILNS1_17partition_subalgoE5E10large_dataNS0_10empty_typeEbEEZZNS1_14partition_implILS5_5ELb0ES3_mN6thrust23THRUST_200600_302600_NS6detail15normal_iteratorINSB_10device_ptrIS6_EEEEPS7_NSB_18transform_iteratorI7is_evenIS6_ESG_NSB_11use_defaultESL_EENS0_5tupleIJSG_S7_EEENSN_IJSH_SH_EEES7_PlJS7_EEE10hipError_tPvRmT3_T4_T5_T6_T7_T9_mT8_P12ihipStream_tbDpT10_ENKUlT_T0_E_clISt17integral_constantIbLb1EES1A_EEDaS15_S16_EUlS15_E_NS1_11comp_targetILNS1_3genE0ELNS1_11target_archE4294967295ELNS1_3gpuE0ELNS1_3repE0EEENS1_30default_config_static_selectorELNS0_4arch9wavefront6targetE0EEEvT1_,"axG",@progbits,_ZN7rocprim17ROCPRIM_400000_NS6detail17trampoline_kernelINS0_14default_configENS1_25partition_config_selectorILNS1_17partition_subalgoE5E10large_dataNS0_10empty_typeEbEEZZNS1_14partition_implILS5_5ELb0ES3_mN6thrust23THRUST_200600_302600_NS6detail15normal_iteratorINSB_10device_ptrIS6_EEEEPS7_NSB_18transform_iteratorI7is_evenIS6_ESG_NSB_11use_defaultESL_EENS0_5tupleIJSG_S7_EEENSN_IJSH_SH_EEES7_PlJS7_EEE10hipError_tPvRmT3_T4_T5_T6_T7_T9_mT8_P12ihipStream_tbDpT10_ENKUlT_T0_E_clISt17integral_constantIbLb1EES1A_EEDaS15_S16_EUlS15_E_NS1_11comp_targetILNS1_3genE0ELNS1_11target_archE4294967295ELNS1_3gpuE0ELNS1_3repE0EEENS1_30default_config_static_selectorELNS0_4arch9wavefront6targetE0EEEvT1_,comdat
	.protected	_ZN7rocprim17ROCPRIM_400000_NS6detail17trampoline_kernelINS0_14default_configENS1_25partition_config_selectorILNS1_17partition_subalgoE5E10large_dataNS0_10empty_typeEbEEZZNS1_14partition_implILS5_5ELb0ES3_mN6thrust23THRUST_200600_302600_NS6detail15normal_iteratorINSB_10device_ptrIS6_EEEEPS7_NSB_18transform_iteratorI7is_evenIS6_ESG_NSB_11use_defaultESL_EENS0_5tupleIJSG_S7_EEENSN_IJSH_SH_EEES7_PlJS7_EEE10hipError_tPvRmT3_T4_T5_T6_T7_T9_mT8_P12ihipStream_tbDpT10_ENKUlT_T0_E_clISt17integral_constantIbLb1EES1A_EEDaS15_S16_EUlS15_E_NS1_11comp_targetILNS1_3genE0ELNS1_11target_archE4294967295ELNS1_3gpuE0ELNS1_3repE0EEENS1_30default_config_static_selectorELNS0_4arch9wavefront6targetE0EEEvT1_ ; -- Begin function _ZN7rocprim17ROCPRIM_400000_NS6detail17trampoline_kernelINS0_14default_configENS1_25partition_config_selectorILNS1_17partition_subalgoE5E10large_dataNS0_10empty_typeEbEEZZNS1_14partition_implILS5_5ELb0ES3_mN6thrust23THRUST_200600_302600_NS6detail15normal_iteratorINSB_10device_ptrIS6_EEEEPS7_NSB_18transform_iteratorI7is_evenIS6_ESG_NSB_11use_defaultESL_EENS0_5tupleIJSG_S7_EEENSN_IJSH_SH_EEES7_PlJS7_EEE10hipError_tPvRmT3_T4_T5_T6_T7_T9_mT8_P12ihipStream_tbDpT10_ENKUlT_T0_E_clISt17integral_constantIbLb1EES1A_EEDaS15_S16_EUlS15_E_NS1_11comp_targetILNS1_3genE0ELNS1_11target_archE4294967295ELNS1_3gpuE0ELNS1_3repE0EEENS1_30default_config_static_selectorELNS0_4arch9wavefront6targetE0EEEvT1_
	.globl	_ZN7rocprim17ROCPRIM_400000_NS6detail17trampoline_kernelINS0_14default_configENS1_25partition_config_selectorILNS1_17partition_subalgoE5E10large_dataNS0_10empty_typeEbEEZZNS1_14partition_implILS5_5ELb0ES3_mN6thrust23THRUST_200600_302600_NS6detail15normal_iteratorINSB_10device_ptrIS6_EEEEPS7_NSB_18transform_iteratorI7is_evenIS6_ESG_NSB_11use_defaultESL_EENS0_5tupleIJSG_S7_EEENSN_IJSH_SH_EEES7_PlJS7_EEE10hipError_tPvRmT3_T4_T5_T6_T7_T9_mT8_P12ihipStream_tbDpT10_ENKUlT_T0_E_clISt17integral_constantIbLb1EES1A_EEDaS15_S16_EUlS15_E_NS1_11comp_targetILNS1_3genE0ELNS1_11target_archE4294967295ELNS1_3gpuE0ELNS1_3repE0EEENS1_30default_config_static_selectorELNS0_4arch9wavefront6targetE0EEEvT1_
	.p2align	8
	.type	_ZN7rocprim17ROCPRIM_400000_NS6detail17trampoline_kernelINS0_14default_configENS1_25partition_config_selectorILNS1_17partition_subalgoE5E10large_dataNS0_10empty_typeEbEEZZNS1_14partition_implILS5_5ELb0ES3_mN6thrust23THRUST_200600_302600_NS6detail15normal_iteratorINSB_10device_ptrIS6_EEEEPS7_NSB_18transform_iteratorI7is_evenIS6_ESG_NSB_11use_defaultESL_EENS0_5tupleIJSG_S7_EEENSN_IJSH_SH_EEES7_PlJS7_EEE10hipError_tPvRmT3_T4_T5_T6_T7_T9_mT8_P12ihipStream_tbDpT10_ENKUlT_T0_E_clISt17integral_constantIbLb1EES1A_EEDaS15_S16_EUlS15_E_NS1_11comp_targetILNS1_3genE0ELNS1_11target_archE4294967295ELNS1_3gpuE0ELNS1_3repE0EEENS1_30default_config_static_selectorELNS0_4arch9wavefront6targetE0EEEvT1_,@function
_ZN7rocprim17ROCPRIM_400000_NS6detail17trampoline_kernelINS0_14default_configENS1_25partition_config_selectorILNS1_17partition_subalgoE5E10large_dataNS0_10empty_typeEbEEZZNS1_14partition_implILS5_5ELb0ES3_mN6thrust23THRUST_200600_302600_NS6detail15normal_iteratorINSB_10device_ptrIS6_EEEEPS7_NSB_18transform_iteratorI7is_evenIS6_ESG_NSB_11use_defaultESL_EENS0_5tupleIJSG_S7_EEENSN_IJSH_SH_EEES7_PlJS7_EEE10hipError_tPvRmT3_T4_T5_T6_T7_T9_mT8_P12ihipStream_tbDpT10_ENKUlT_T0_E_clISt17integral_constantIbLb1EES1A_EEDaS15_S16_EUlS15_E_NS1_11comp_targetILNS1_3genE0ELNS1_11target_archE4294967295ELNS1_3gpuE0ELNS1_3repE0EEENS1_30default_config_static_selectorELNS0_4arch9wavefront6targetE0EEEvT1_: ; @_ZN7rocprim17ROCPRIM_400000_NS6detail17trampoline_kernelINS0_14default_configENS1_25partition_config_selectorILNS1_17partition_subalgoE5E10large_dataNS0_10empty_typeEbEEZZNS1_14partition_implILS5_5ELb0ES3_mN6thrust23THRUST_200600_302600_NS6detail15normal_iteratorINSB_10device_ptrIS6_EEEEPS7_NSB_18transform_iteratorI7is_evenIS6_ESG_NSB_11use_defaultESL_EENS0_5tupleIJSG_S7_EEENSN_IJSH_SH_EEES7_PlJS7_EEE10hipError_tPvRmT3_T4_T5_T6_T7_T9_mT8_P12ihipStream_tbDpT10_ENKUlT_T0_E_clISt17integral_constantIbLb1EES1A_EEDaS15_S16_EUlS15_E_NS1_11comp_targetILNS1_3genE0ELNS1_11target_archE4294967295ELNS1_3gpuE0ELNS1_3repE0EEENS1_30default_config_static_selectorELNS0_4arch9wavefront6targetE0EEEvT1_
; %bb.0:
	.section	.rodata,"a",@progbits
	.p2align	6, 0x0
	.amdhsa_kernel _ZN7rocprim17ROCPRIM_400000_NS6detail17trampoline_kernelINS0_14default_configENS1_25partition_config_selectorILNS1_17partition_subalgoE5E10large_dataNS0_10empty_typeEbEEZZNS1_14partition_implILS5_5ELb0ES3_mN6thrust23THRUST_200600_302600_NS6detail15normal_iteratorINSB_10device_ptrIS6_EEEEPS7_NSB_18transform_iteratorI7is_evenIS6_ESG_NSB_11use_defaultESL_EENS0_5tupleIJSG_S7_EEENSN_IJSH_SH_EEES7_PlJS7_EEE10hipError_tPvRmT3_T4_T5_T6_T7_T9_mT8_P12ihipStream_tbDpT10_ENKUlT_T0_E_clISt17integral_constantIbLb1EES1A_EEDaS15_S16_EUlS15_E_NS1_11comp_targetILNS1_3genE0ELNS1_11target_archE4294967295ELNS1_3gpuE0ELNS1_3repE0EEENS1_30default_config_static_selectorELNS0_4arch9wavefront6targetE0EEEvT1_
		.amdhsa_group_segment_fixed_size 0
		.amdhsa_private_segment_fixed_size 0
		.amdhsa_kernarg_size 136
		.amdhsa_user_sgpr_count 15
		.amdhsa_user_sgpr_dispatch_ptr 0
		.amdhsa_user_sgpr_queue_ptr 0
		.amdhsa_user_sgpr_kernarg_segment_ptr 1
		.amdhsa_user_sgpr_dispatch_id 0
		.amdhsa_user_sgpr_private_segment_size 0
		.amdhsa_wavefront_size32 1
		.amdhsa_uses_dynamic_stack 0
		.amdhsa_enable_private_segment 0
		.amdhsa_system_sgpr_workgroup_id_x 1
		.amdhsa_system_sgpr_workgroup_id_y 0
		.amdhsa_system_sgpr_workgroup_id_z 0
		.amdhsa_system_sgpr_workgroup_info 0
		.amdhsa_system_vgpr_workitem_id 0
		.amdhsa_next_free_vgpr 1
		.amdhsa_next_free_sgpr 1
		.amdhsa_reserve_vcc 0
		.amdhsa_float_round_mode_32 0
		.amdhsa_float_round_mode_16_64 0
		.amdhsa_float_denorm_mode_32 3
		.amdhsa_float_denorm_mode_16_64 3
		.amdhsa_dx10_clamp 1
		.amdhsa_ieee_mode 1
		.amdhsa_fp16_overflow 0
		.amdhsa_workgroup_processor_mode 1
		.amdhsa_memory_ordered 1
		.amdhsa_forward_progress 0
		.amdhsa_shared_vgpr_count 0
		.amdhsa_exception_fp_ieee_invalid_op 0
		.amdhsa_exception_fp_denorm_src 0
		.amdhsa_exception_fp_ieee_div_zero 0
		.amdhsa_exception_fp_ieee_overflow 0
		.amdhsa_exception_fp_ieee_underflow 0
		.amdhsa_exception_fp_ieee_inexact 0
		.amdhsa_exception_int_div_zero 0
	.end_amdhsa_kernel
	.section	.text._ZN7rocprim17ROCPRIM_400000_NS6detail17trampoline_kernelINS0_14default_configENS1_25partition_config_selectorILNS1_17partition_subalgoE5E10large_dataNS0_10empty_typeEbEEZZNS1_14partition_implILS5_5ELb0ES3_mN6thrust23THRUST_200600_302600_NS6detail15normal_iteratorINSB_10device_ptrIS6_EEEEPS7_NSB_18transform_iteratorI7is_evenIS6_ESG_NSB_11use_defaultESL_EENS0_5tupleIJSG_S7_EEENSN_IJSH_SH_EEES7_PlJS7_EEE10hipError_tPvRmT3_T4_T5_T6_T7_T9_mT8_P12ihipStream_tbDpT10_ENKUlT_T0_E_clISt17integral_constantIbLb1EES1A_EEDaS15_S16_EUlS15_E_NS1_11comp_targetILNS1_3genE0ELNS1_11target_archE4294967295ELNS1_3gpuE0ELNS1_3repE0EEENS1_30default_config_static_selectorELNS0_4arch9wavefront6targetE0EEEvT1_,"axG",@progbits,_ZN7rocprim17ROCPRIM_400000_NS6detail17trampoline_kernelINS0_14default_configENS1_25partition_config_selectorILNS1_17partition_subalgoE5E10large_dataNS0_10empty_typeEbEEZZNS1_14partition_implILS5_5ELb0ES3_mN6thrust23THRUST_200600_302600_NS6detail15normal_iteratorINSB_10device_ptrIS6_EEEEPS7_NSB_18transform_iteratorI7is_evenIS6_ESG_NSB_11use_defaultESL_EENS0_5tupleIJSG_S7_EEENSN_IJSH_SH_EEES7_PlJS7_EEE10hipError_tPvRmT3_T4_T5_T6_T7_T9_mT8_P12ihipStream_tbDpT10_ENKUlT_T0_E_clISt17integral_constantIbLb1EES1A_EEDaS15_S16_EUlS15_E_NS1_11comp_targetILNS1_3genE0ELNS1_11target_archE4294967295ELNS1_3gpuE0ELNS1_3repE0EEENS1_30default_config_static_selectorELNS0_4arch9wavefront6targetE0EEEvT1_,comdat
.Lfunc_end658:
	.size	_ZN7rocprim17ROCPRIM_400000_NS6detail17trampoline_kernelINS0_14default_configENS1_25partition_config_selectorILNS1_17partition_subalgoE5E10large_dataNS0_10empty_typeEbEEZZNS1_14partition_implILS5_5ELb0ES3_mN6thrust23THRUST_200600_302600_NS6detail15normal_iteratorINSB_10device_ptrIS6_EEEEPS7_NSB_18transform_iteratorI7is_evenIS6_ESG_NSB_11use_defaultESL_EENS0_5tupleIJSG_S7_EEENSN_IJSH_SH_EEES7_PlJS7_EEE10hipError_tPvRmT3_T4_T5_T6_T7_T9_mT8_P12ihipStream_tbDpT10_ENKUlT_T0_E_clISt17integral_constantIbLb1EES1A_EEDaS15_S16_EUlS15_E_NS1_11comp_targetILNS1_3genE0ELNS1_11target_archE4294967295ELNS1_3gpuE0ELNS1_3repE0EEENS1_30default_config_static_selectorELNS0_4arch9wavefront6targetE0EEEvT1_, .Lfunc_end658-_ZN7rocprim17ROCPRIM_400000_NS6detail17trampoline_kernelINS0_14default_configENS1_25partition_config_selectorILNS1_17partition_subalgoE5E10large_dataNS0_10empty_typeEbEEZZNS1_14partition_implILS5_5ELb0ES3_mN6thrust23THRUST_200600_302600_NS6detail15normal_iteratorINSB_10device_ptrIS6_EEEEPS7_NSB_18transform_iteratorI7is_evenIS6_ESG_NSB_11use_defaultESL_EENS0_5tupleIJSG_S7_EEENSN_IJSH_SH_EEES7_PlJS7_EEE10hipError_tPvRmT3_T4_T5_T6_T7_T9_mT8_P12ihipStream_tbDpT10_ENKUlT_T0_E_clISt17integral_constantIbLb1EES1A_EEDaS15_S16_EUlS15_E_NS1_11comp_targetILNS1_3genE0ELNS1_11target_archE4294967295ELNS1_3gpuE0ELNS1_3repE0EEENS1_30default_config_static_selectorELNS0_4arch9wavefront6targetE0EEEvT1_
                                        ; -- End function
	.section	.AMDGPU.csdata,"",@progbits
; Kernel info:
; codeLenInByte = 0
; NumSgprs: 0
; NumVgprs: 0
; ScratchSize: 0
; MemoryBound: 0
; FloatMode: 240
; IeeeMode: 1
; LDSByteSize: 0 bytes/workgroup (compile time only)
; SGPRBlocks: 0
; VGPRBlocks: 0
; NumSGPRsForWavesPerEU: 1
; NumVGPRsForWavesPerEU: 1
; Occupancy: 16
; WaveLimiterHint : 0
; COMPUTE_PGM_RSRC2:SCRATCH_EN: 0
; COMPUTE_PGM_RSRC2:USER_SGPR: 15
; COMPUTE_PGM_RSRC2:TRAP_HANDLER: 0
; COMPUTE_PGM_RSRC2:TGID_X_EN: 1
; COMPUTE_PGM_RSRC2:TGID_Y_EN: 0
; COMPUTE_PGM_RSRC2:TGID_Z_EN: 0
; COMPUTE_PGM_RSRC2:TIDIG_COMP_CNT: 0
	.section	.text._ZN7rocprim17ROCPRIM_400000_NS6detail17trampoline_kernelINS0_14default_configENS1_25partition_config_selectorILNS1_17partition_subalgoE5E10large_dataNS0_10empty_typeEbEEZZNS1_14partition_implILS5_5ELb0ES3_mN6thrust23THRUST_200600_302600_NS6detail15normal_iteratorINSB_10device_ptrIS6_EEEEPS7_NSB_18transform_iteratorI7is_evenIS6_ESG_NSB_11use_defaultESL_EENS0_5tupleIJSG_S7_EEENSN_IJSH_SH_EEES7_PlJS7_EEE10hipError_tPvRmT3_T4_T5_T6_T7_T9_mT8_P12ihipStream_tbDpT10_ENKUlT_T0_E_clISt17integral_constantIbLb1EES1A_EEDaS15_S16_EUlS15_E_NS1_11comp_targetILNS1_3genE5ELNS1_11target_archE942ELNS1_3gpuE9ELNS1_3repE0EEENS1_30default_config_static_selectorELNS0_4arch9wavefront6targetE0EEEvT1_,"axG",@progbits,_ZN7rocprim17ROCPRIM_400000_NS6detail17trampoline_kernelINS0_14default_configENS1_25partition_config_selectorILNS1_17partition_subalgoE5E10large_dataNS0_10empty_typeEbEEZZNS1_14partition_implILS5_5ELb0ES3_mN6thrust23THRUST_200600_302600_NS6detail15normal_iteratorINSB_10device_ptrIS6_EEEEPS7_NSB_18transform_iteratorI7is_evenIS6_ESG_NSB_11use_defaultESL_EENS0_5tupleIJSG_S7_EEENSN_IJSH_SH_EEES7_PlJS7_EEE10hipError_tPvRmT3_T4_T5_T6_T7_T9_mT8_P12ihipStream_tbDpT10_ENKUlT_T0_E_clISt17integral_constantIbLb1EES1A_EEDaS15_S16_EUlS15_E_NS1_11comp_targetILNS1_3genE5ELNS1_11target_archE942ELNS1_3gpuE9ELNS1_3repE0EEENS1_30default_config_static_selectorELNS0_4arch9wavefront6targetE0EEEvT1_,comdat
	.protected	_ZN7rocprim17ROCPRIM_400000_NS6detail17trampoline_kernelINS0_14default_configENS1_25partition_config_selectorILNS1_17partition_subalgoE5E10large_dataNS0_10empty_typeEbEEZZNS1_14partition_implILS5_5ELb0ES3_mN6thrust23THRUST_200600_302600_NS6detail15normal_iteratorINSB_10device_ptrIS6_EEEEPS7_NSB_18transform_iteratorI7is_evenIS6_ESG_NSB_11use_defaultESL_EENS0_5tupleIJSG_S7_EEENSN_IJSH_SH_EEES7_PlJS7_EEE10hipError_tPvRmT3_T4_T5_T6_T7_T9_mT8_P12ihipStream_tbDpT10_ENKUlT_T0_E_clISt17integral_constantIbLb1EES1A_EEDaS15_S16_EUlS15_E_NS1_11comp_targetILNS1_3genE5ELNS1_11target_archE942ELNS1_3gpuE9ELNS1_3repE0EEENS1_30default_config_static_selectorELNS0_4arch9wavefront6targetE0EEEvT1_ ; -- Begin function _ZN7rocprim17ROCPRIM_400000_NS6detail17trampoline_kernelINS0_14default_configENS1_25partition_config_selectorILNS1_17partition_subalgoE5E10large_dataNS0_10empty_typeEbEEZZNS1_14partition_implILS5_5ELb0ES3_mN6thrust23THRUST_200600_302600_NS6detail15normal_iteratorINSB_10device_ptrIS6_EEEEPS7_NSB_18transform_iteratorI7is_evenIS6_ESG_NSB_11use_defaultESL_EENS0_5tupleIJSG_S7_EEENSN_IJSH_SH_EEES7_PlJS7_EEE10hipError_tPvRmT3_T4_T5_T6_T7_T9_mT8_P12ihipStream_tbDpT10_ENKUlT_T0_E_clISt17integral_constantIbLb1EES1A_EEDaS15_S16_EUlS15_E_NS1_11comp_targetILNS1_3genE5ELNS1_11target_archE942ELNS1_3gpuE9ELNS1_3repE0EEENS1_30default_config_static_selectorELNS0_4arch9wavefront6targetE0EEEvT1_
	.globl	_ZN7rocprim17ROCPRIM_400000_NS6detail17trampoline_kernelINS0_14default_configENS1_25partition_config_selectorILNS1_17partition_subalgoE5E10large_dataNS0_10empty_typeEbEEZZNS1_14partition_implILS5_5ELb0ES3_mN6thrust23THRUST_200600_302600_NS6detail15normal_iteratorINSB_10device_ptrIS6_EEEEPS7_NSB_18transform_iteratorI7is_evenIS6_ESG_NSB_11use_defaultESL_EENS0_5tupleIJSG_S7_EEENSN_IJSH_SH_EEES7_PlJS7_EEE10hipError_tPvRmT3_T4_T5_T6_T7_T9_mT8_P12ihipStream_tbDpT10_ENKUlT_T0_E_clISt17integral_constantIbLb1EES1A_EEDaS15_S16_EUlS15_E_NS1_11comp_targetILNS1_3genE5ELNS1_11target_archE942ELNS1_3gpuE9ELNS1_3repE0EEENS1_30default_config_static_selectorELNS0_4arch9wavefront6targetE0EEEvT1_
	.p2align	8
	.type	_ZN7rocprim17ROCPRIM_400000_NS6detail17trampoline_kernelINS0_14default_configENS1_25partition_config_selectorILNS1_17partition_subalgoE5E10large_dataNS0_10empty_typeEbEEZZNS1_14partition_implILS5_5ELb0ES3_mN6thrust23THRUST_200600_302600_NS6detail15normal_iteratorINSB_10device_ptrIS6_EEEEPS7_NSB_18transform_iteratorI7is_evenIS6_ESG_NSB_11use_defaultESL_EENS0_5tupleIJSG_S7_EEENSN_IJSH_SH_EEES7_PlJS7_EEE10hipError_tPvRmT3_T4_T5_T6_T7_T9_mT8_P12ihipStream_tbDpT10_ENKUlT_T0_E_clISt17integral_constantIbLb1EES1A_EEDaS15_S16_EUlS15_E_NS1_11comp_targetILNS1_3genE5ELNS1_11target_archE942ELNS1_3gpuE9ELNS1_3repE0EEENS1_30default_config_static_selectorELNS0_4arch9wavefront6targetE0EEEvT1_,@function
_ZN7rocprim17ROCPRIM_400000_NS6detail17trampoline_kernelINS0_14default_configENS1_25partition_config_selectorILNS1_17partition_subalgoE5E10large_dataNS0_10empty_typeEbEEZZNS1_14partition_implILS5_5ELb0ES3_mN6thrust23THRUST_200600_302600_NS6detail15normal_iteratorINSB_10device_ptrIS6_EEEEPS7_NSB_18transform_iteratorI7is_evenIS6_ESG_NSB_11use_defaultESL_EENS0_5tupleIJSG_S7_EEENSN_IJSH_SH_EEES7_PlJS7_EEE10hipError_tPvRmT3_T4_T5_T6_T7_T9_mT8_P12ihipStream_tbDpT10_ENKUlT_T0_E_clISt17integral_constantIbLb1EES1A_EEDaS15_S16_EUlS15_E_NS1_11comp_targetILNS1_3genE5ELNS1_11target_archE942ELNS1_3gpuE9ELNS1_3repE0EEENS1_30default_config_static_selectorELNS0_4arch9wavefront6targetE0EEEvT1_: ; @_ZN7rocprim17ROCPRIM_400000_NS6detail17trampoline_kernelINS0_14default_configENS1_25partition_config_selectorILNS1_17partition_subalgoE5E10large_dataNS0_10empty_typeEbEEZZNS1_14partition_implILS5_5ELb0ES3_mN6thrust23THRUST_200600_302600_NS6detail15normal_iteratorINSB_10device_ptrIS6_EEEEPS7_NSB_18transform_iteratorI7is_evenIS6_ESG_NSB_11use_defaultESL_EENS0_5tupleIJSG_S7_EEENSN_IJSH_SH_EEES7_PlJS7_EEE10hipError_tPvRmT3_T4_T5_T6_T7_T9_mT8_P12ihipStream_tbDpT10_ENKUlT_T0_E_clISt17integral_constantIbLb1EES1A_EEDaS15_S16_EUlS15_E_NS1_11comp_targetILNS1_3genE5ELNS1_11target_archE942ELNS1_3gpuE9ELNS1_3repE0EEENS1_30default_config_static_selectorELNS0_4arch9wavefront6targetE0EEEvT1_
; %bb.0:
	.section	.rodata,"a",@progbits
	.p2align	6, 0x0
	.amdhsa_kernel _ZN7rocprim17ROCPRIM_400000_NS6detail17trampoline_kernelINS0_14default_configENS1_25partition_config_selectorILNS1_17partition_subalgoE5E10large_dataNS0_10empty_typeEbEEZZNS1_14partition_implILS5_5ELb0ES3_mN6thrust23THRUST_200600_302600_NS6detail15normal_iteratorINSB_10device_ptrIS6_EEEEPS7_NSB_18transform_iteratorI7is_evenIS6_ESG_NSB_11use_defaultESL_EENS0_5tupleIJSG_S7_EEENSN_IJSH_SH_EEES7_PlJS7_EEE10hipError_tPvRmT3_T4_T5_T6_T7_T9_mT8_P12ihipStream_tbDpT10_ENKUlT_T0_E_clISt17integral_constantIbLb1EES1A_EEDaS15_S16_EUlS15_E_NS1_11comp_targetILNS1_3genE5ELNS1_11target_archE942ELNS1_3gpuE9ELNS1_3repE0EEENS1_30default_config_static_selectorELNS0_4arch9wavefront6targetE0EEEvT1_
		.amdhsa_group_segment_fixed_size 0
		.amdhsa_private_segment_fixed_size 0
		.amdhsa_kernarg_size 136
		.amdhsa_user_sgpr_count 15
		.amdhsa_user_sgpr_dispatch_ptr 0
		.amdhsa_user_sgpr_queue_ptr 0
		.amdhsa_user_sgpr_kernarg_segment_ptr 1
		.amdhsa_user_sgpr_dispatch_id 0
		.amdhsa_user_sgpr_private_segment_size 0
		.amdhsa_wavefront_size32 1
		.amdhsa_uses_dynamic_stack 0
		.amdhsa_enable_private_segment 0
		.amdhsa_system_sgpr_workgroup_id_x 1
		.amdhsa_system_sgpr_workgroup_id_y 0
		.amdhsa_system_sgpr_workgroup_id_z 0
		.amdhsa_system_sgpr_workgroup_info 0
		.amdhsa_system_vgpr_workitem_id 0
		.amdhsa_next_free_vgpr 1
		.amdhsa_next_free_sgpr 1
		.amdhsa_reserve_vcc 0
		.amdhsa_float_round_mode_32 0
		.amdhsa_float_round_mode_16_64 0
		.amdhsa_float_denorm_mode_32 3
		.amdhsa_float_denorm_mode_16_64 3
		.amdhsa_dx10_clamp 1
		.amdhsa_ieee_mode 1
		.amdhsa_fp16_overflow 0
		.amdhsa_workgroup_processor_mode 1
		.amdhsa_memory_ordered 1
		.amdhsa_forward_progress 0
		.amdhsa_shared_vgpr_count 0
		.amdhsa_exception_fp_ieee_invalid_op 0
		.amdhsa_exception_fp_denorm_src 0
		.amdhsa_exception_fp_ieee_div_zero 0
		.amdhsa_exception_fp_ieee_overflow 0
		.amdhsa_exception_fp_ieee_underflow 0
		.amdhsa_exception_fp_ieee_inexact 0
		.amdhsa_exception_int_div_zero 0
	.end_amdhsa_kernel
	.section	.text._ZN7rocprim17ROCPRIM_400000_NS6detail17trampoline_kernelINS0_14default_configENS1_25partition_config_selectorILNS1_17partition_subalgoE5E10large_dataNS0_10empty_typeEbEEZZNS1_14partition_implILS5_5ELb0ES3_mN6thrust23THRUST_200600_302600_NS6detail15normal_iteratorINSB_10device_ptrIS6_EEEEPS7_NSB_18transform_iteratorI7is_evenIS6_ESG_NSB_11use_defaultESL_EENS0_5tupleIJSG_S7_EEENSN_IJSH_SH_EEES7_PlJS7_EEE10hipError_tPvRmT3_T4_T5_T6_T7_T9_mT8_P12ihipStream_tbDpT10_ENKUlT_T0_E_clISt17integral_constantIbLb1EES1A_EEDaS15_S16_EUlS15_E_NS1_11comp_targetILNS1_3genE5ELNS1_11target_archE942ELNS1_3gpuE9ELNS1_3repE0EEENS1_30default_config_static_selectorELNS0_4arch9wavefront6targetE0EEEvT1_,"axG",@progbits,_ZN7rocprim17ROCPRIM_400000_NS6detail17trampoline_kernelINS0_14default_configENS1_25partition_config_selectorILNS1_17partition_subalgoE5E10large_dataNS0_10empty_typeEbEEZZNS1_14partition_implILS5_5ELb0ES3_mN6thrust23THRUST_200600_302600_NS6detail15normal_iteratorINSB_10device_ptrIS6_EEEEPS7_NSB_18transform_iteratorI7is_evenIS6_ESG_NSB_11use_defaultESL_EENS0_5tupleIJSG_S7_EEENSN_IJSH_SH_EEES7_PlJS7_EEE10hipError_tPvRmT3_T4_T5_T6_T7_T9_mT8_P12ihipStream_tbDpT10_ENKUlT_T0_E_clISt17integral_constantIbLb1EES1A_EEDaS15_S16_EUlS15_E_NS1_11comp_targetILNS1_3genE5ELNS1_11target_archE942ELNS1_3gpuE9ELNS1_3repE0EEENS1_30default_config_static_selectorELNS0_4arch9wavefront6targetE0EEEvT1_,comdat
.Lfunc_end659:
	.size	_ZN7rocprim17ROCPRIM_400000_NS6detail17trampoline_kernelINS0_14default_configENS1_25partition_config_selectorILNS1_17partition_subalgoE5E10large_dataNS0_10empty_typeEbEEZZNS1_14partition_implILS5_5ELb0ES3_mN6thrust23THRUST_200600_302600_NS6detail15normal_iteratorINSB_10device_ptrIS6_EEEEPS7_NSB_18transform_iteratorI7is_evenIS6_ESG_NSB_11use_defaultESL_EENS0_5tupleIJSG_S7_EEENSN_IJSH_SH_EEES7_PlJS7_EEE10hipError_tPvRmT3_T4_T5_T6_T7_T9_mT8_P12ihipStream_tbDpT10_ENKUlT_T0_E_clISt17integral_constantIbLb1EES1A_EEDaS15_S16_EUlS15_E_NS1_11comp_targetILNS1_3genE5ELNS1_11target_archE942ELNS1_3gpuE9ELNS1_3repE0EEENS1_30default_config_static_selectorELNS0_4arch9wavefront6targetE0EEEvT1_, .Lfunc_end659-_ZN7rocprim17ROCPRIM_400000_NS6detail17trampoline_kernelINS0_14default_configENS1_25partition_config_selectorILNS1_17partition_subalgoE5E10large_dataNS0_10empty_typeEbEEZZNS1_14partition_implILS5_5ELb0ES3_mN6thrust23THRUST_200600_302600_NS6detail15normal_iteratorINSB_10device_ptrIS6_EEEEPS7_NSB_18transform_iteratorI7is_evenIS6_ESG_NSB_11use_defaultESL_EENS0_5tupleIJSG_S7_EEENSN_IJSH_SH_EEES7_PlJS7_EEE10hipError_tPvRmT3_T4_T5_T6_T7_T9_mT8_P12ihipStream_tbDpT10_ENKUlT_T0_E_clISt17integral_constantIbLb1EES1A_EEDaS15_S16_EUlS15_E_NS1_11comp_targetILNS1_3genE5ELNS1_11target_archE942ELNS1_3gpuE9ELNS1_3repE0EEENS1_30default_config_static_selectorELNS0_4arch9wavefront6targetE0EEEvT1_
                                        ; -- End function
	.section	.AMDGPU.csdata,"",@progbits
; Kernel info:
; codeLenInByte = 0
; NumSgprs: 0
; NumVgprs: 0
; ScratchSize: 0
; MemoryBound: 0
; FloatMode: 240
; IeeeMode: 1
; LDSByteSize: 0 bytes/workgroup (compile time only)
; SGPRBlocks: 0
; VGPRBlocks: 0
; NumSGPRsForWavesPerEU: 1
; NumVGPRsForWavesPerEU: 1
; Occupancy: 16
; WaveLimiterHint : 0
; COMPUTE_PGM_RSRC2:SCRATCH_EN: 0
; COMPUTE_PGM_RSRC2:USER_SGPR: 15
; COMPUTE_PGM_RSRC2:TRAP_HANDLER: 0
; COMPUTE_PGM_RSRC2:TGID_X_EN: 1
; COMPUTE_PGM_RSRC2:TGID_Y_EN: 0
; COMPUTE_PGM_RSRC2:TGID_Z_EN: 0
; COMPUTE_PGM_RSRC2:TIDIG_COMP_CNT: 0
	.section	.text._ZN7rocprim17ROCPRIM_400000_NS6detail17trampoline_kernelINS0_14default_configENS1_25partition_config_selectorILNS1_17partition_subalgoE5E10large_dataNS0_10empty_typeEbEEZZNS1_14partition_implILS5_5ELb0ES3_mN6thrust23THRUST_200600_302600_NS6detail15normal_iteratorINSB_10device_ptrIS6_EEEEPS7_NSB_18transform_iteratorI7is_evenIS6_ESG_NSB_11use_defaultESL_EENS0_5tupleIJSG_S7_EEENSN_IJSH_SH_EEES7_PlJS7_EEE10hipError_tPvRmT3_T4_T5_T6_T7_T9_mT8_P12ihipStream_tbDpT10_ENKUlT_T0_E_clISt17integral_constantIbLb1EES1A_EEDaS15_S16_EUlS15_E_NS1_11comp_targetILNS1_3genE4ELNS1_11target_archE910ELNS1_3gpuE8ELNS1_3repE0EEENS1_30default_config_static_selectorELNS0_4arch9wavefront6targetE0EEEvT1_,"axG",@progbits,_ZN7rocprim17ROCPRIM_400000_NS6detail17trampoline_kernelINS0_14default_configENS1_25partition_config_selectorILNS1_17partition_subalgoE5E10large_dataNS0_10empty_typeEbEEZZNS1_14partition_implILS5_5ELb0ES3_mN6thrust23THRUST_200600_302600_NS6detail15normal_iteratorINSB_10device_ptrIS6_EEEEPS7_NSB_18transform_iteratorI7is_evenIS6_ESG_NSB_11use_defaultESL_EENS0_5tupleIJSG_S7_EEENSN_IJSH_SH_EEES7_PlJS7_EEE10hipError_tPvRmT3_T4_T5_T6_T7_T9_mT8_P12ihipStream_tbDpT10_ENKUlT_T0_E_clISt17integral_constantIbLb1EES1A_EEDaS15_S16_EUlS15_E_NS1_11comp_targetILNS1_3genE4ELNS1_11target_archE910ELNS1_3gpuE8ELNS1_3repE0EEENS1_30default_config_static_selectorELNS0_4arch9wavefront6targetE0EEEvT1_,comdat
	.protected	_ZN7rocprim17ROCPRIM_400000_NS6detail17trampoline_kernelINS0_14default_configENS1_25partition_config_selectorILNS1_17partition_subalgoE5E10large_dataNS0_10empty_typeEbEEZZNS1_14partition_implILS5_5ELb0ES3_mN6thrust23THRUST_200600_302600_NS6detail15normal_iteratorINSB_10device_ptrIS6_EEEEPS7_NSB_18transform_iteratorI7is_evenIS6_ESG_NSB_11use_defaultESL_EENS0_5tupleIJSG_S7_EEENSN_IJSH_SH_EEES7_PlJS7_EEE10hipError_tPvRmT3_T4_T5_T6_T7_T9_mT8_P12ihipStream_tbDpT10_ENKUlT_T0_E_clISt17integral_constantIbLb1EES1A_EEDaS15_S16_EUlS15_E_NS1_11comp_targetILNS1_3genE4ELNS1_11target_archE910ELNS1_3gpuE8ELNS1_3repE0EEENS1_30default_config_static_selectorELNS0_4arch9wavefront6targetE0EEEvT1_ ; -- Begin function _ZN7rocprim17ROCPRIM_400000_NS6detail17trampoline_kernelINS0_14default_configENS1_25partition_config_selectorILNS1_17partition_subalgoE5E10large_dataNS0_10empty_typeEbEEZZNS1_14partition_implILS5_5ELb0ES3_mN6thrust23THRUST_200600_302600_NS6detail15normal_iteratorINSB_10device_ptrIS6_EEEEPS7_NSB_18transform_iteratorI7is_evenIS6_ESG_NSB_11use_defaultESL_EENS0_5tupleIJSG_S7_EEENSN_IJSH_SH_EEES7_PlJS7_EEE10hipError_tPvRmT3_T4_T5_T6_T7_T9_mT8_P12ihipStream_tbDpT10_ENKUlT_T0_E_clISt17integral_constantIbLb1EES1A_EEDaS15_S16_EUlS15_E_NS1_11comp_targetILNS1_3genE4ELNS1_11target_archE910ELNS1_3gpuE8ELNS1_3repE0EEENS1_30default_config_static_selectorELNS0_4arch9wavefront6targetE0EEEvT1_
	.globl	_ZN7rocprim17ROCPRIM_400000_NS6detail17trampoline_kernelINS0_14default_configENS1_25partition_config_selectorILNS1_17partition_subalgoE5E10large_dataNS0_10empty_typeEbEEZZNS1_14partition_implILS5_5ELb0ES3_mN6thrust23THRUST_200600_302600_NS6detail15normal_iteratorINSB_10device_ptrIS6_EEEEPS7_NSB_18transform_iteratorI7is_evenIS6_ESG_NSB_11use_defaultESL_EENS0_5tupleIJSG_S7_EEENSN_IJSH_SH_EEES7_PlJS7_EEE10hipError_tPvRmT3_T4_T5_T6_T7_T9_mT8_P12ihipStream_tbDpT10_ENKUlT_T0_E_clISt17integral_constantIbLb1EES1A_EEDaS15_S16_EUlS15_E_NS1_11comp_targetILNS1_3genE4ELNS1_11target_archE910ELNS1_3gpuE8ELNS1_3repE0EEENS1_30default_config_static_selectorELNS0_4arch9wavefront6targetE0EEEvT1_
	.p2align	8
	.type	_ZN7rocprim17ROCPRIM_400000_NS6detail17trampoline_kernelINS0_14default_configENS1_25partition_config_selectorILNS1_17partition_subalgoE5E10large_dataNS0_10empty_typeEbEEZZNS1_14partition_implILS5_5ELb0ES3_mN6thrust23THRUST_200600_302600_NS6detail15normal_iteratorINSB_10device_ptrIS6_EEEEPS7_NSB_18transform_iteratorI7is_evenIS6_ESG_NSB_11use_defaultESL_EENS0_5tupleIJSG_S7_EEENSN_IJSH_SH_EEES7_PlJS7_EEE10hipError_tPvRmT3_T4_T5_T6_T7_T9_mT8_P12ihipStream_tbDpT10_ENKUlT_T0_E_clISt17integral_constantIbLb1EES1A_EEDaS15_S16_EUlS15_E_NS1_11comp_targetILNS1_3genE4ELNS1_11target_archE910ELNS1_3gpuE8ELNS1_3repE0EEENS1_30default_config_static_selectorELNS0_4arch9wavefront6targetE0EEEvT1_,@function
_ZN7rocprim17ROCPRIM_400000_NS6detail17trampoline_kernelINS0_14default_configENS1_25partition_config_selectorILNS1_17partition_subalgoE5E10large_dataNS0_10empty_typeEbEEZZNS1_14partition_implILS5_5ELb0ES3_mN6thrust23THRUST_200600_302600_NS6detail15normal_iteratorINSB_10device_ptrIS6_EEEEPS7_NSB_18transform_iteratorI7is_evenIS6_ESG_NSB_11use_defaultESL_EENS0_5tupleIJSG_S7_EEENSN_IJSH_SH_EEES7_PlJS7_EEE10hipError_tPvRmT3_T4_T5_T6_T7_T9_mT8_P12ihipStream_tbDpT10_ENKUlT_T0_E_clISt17integral_constantIbLb1EES1A_EEDaS15_S16_EUlS15_E_NS1_11comp_targetILNS1_3genE4ELNS1_11target_archE910ELNS1_3gpuE8ELNS1_3repE0EEENS1_30default_config_static_selectorELNS0_4arch9wavefront6targetE0EEEvT1_: ; @_ZN7rocprim17ROCPRIM_400000_NS6detail17trampoline_kernelINS0_14default_configENS1_25partition_config_selectorILNS1_17partition_subalgoE5E10large_dataNS0_10empty_typeEbEEZZNS1_14partition_implILS5_5ELb0ES3_mN6thrust23THRUST_200600_302600_NS6detail15normal_iteratorINSB_10device_ptrIS6_EEEEPS7_NSB_18transform_iteratorI7is_evenIS6_ESG_NSB_11use_defaultESL_EENS0_5tupleIJSG_S7_EEENSN_IJSH_SH_EEES7_PlJS7_EEE10hipError_tPvRmT3_T4_T5_T6_T7_T9_mT8_P12ihipStream_tbDpT10_ENKUlT_T0_E_clISt17integral_constantIbLb1EES1A_EEDaS15_S16_EUlS15_E_NS1_11comp_targetILNS1_3genE4ELNS1_11target_archE910ELNS1_3gpuE8ELNS1_3repE0EEENS1_30default_config_static_selectorELNS0_4arch9wavefront6targetE0EEEvT1_
; %bb.0:
	.section	.rodata,"a",@progbits
	.p2align	6, 0x0
	.amdhsa_kernel _ZN7rocprim17ROCPRIM_400000_NS6detail17trampoline_kernelINS0_14default_configENS1_25partition_config_selectorILNS1_17partition_subalgoE5E10large_dataNS0_10empty_typeEbEEZZNS1_14partition_implILS5_5ELb0ES3_mN6thrust23THRUST_200600_302600_NS6detail15normal_iteratorINSB_10device_ptrIS6_EEEEPS7_NSB_18transform_iteratorI7is_evenIS6_ESG_NSB_11use_defaultESL_EENS0_5tupleIJSG_S7_EEENSN_IJSH_SH_EEES7_PlJS7_EEE10hipError_tPvRmT3_T4_T5_T6_T7_T9_mT8_P12ihipStream_tbDpT10_ENKUlT_T0_E_clISt17integral_constantIbLb1EES1A_EEDaS15_S16_EUlS15_E_NS1_11comp_targetILNS1_3genE4ELNS1_11target_archE910ELNS1_3gpuE8ELNS1_3repE0EEENS1_30default_config_static_selectorELNS0_4arch9wavefront6targetE0EEEvT1_
		.amdhsa_group_segment_fixed_size 0
		.amdhsa_private_segment_fixed_size 0
		.amdhsa_kernarg_size 136
		.amdhsa_user_sgpr_count 15
		.amdhsa_user_sgpr_dispatch_ptr 0
		.amdhsa_user_sgpr_queue_ptr 0
		.amdhsa_user_sgpr_kernarg_segment_ptr 1
		.amdhsa_user_sgpr_dispatch_id 0
		.amdhsa_user_sgpr_private_segment_size 0
		.amdhsa_wavefront_size32 1
		.amdhsa_uses_dynamic_stack 0
		.amdhsa_enable_private_segment 0
		.amdhsa_system_sgpr_workgroup_id_x 1
		.amdhsa_system_sgpr_workgroup_id_y 0
		.amdhsa_system_sgpr_workgroup_id_z 0
		.amdhsa_system_sgpr_workgroup_info 0
		.amdhsa_system_vgpr_workitem_id 0
		.amdhsa_next_free_vgpr 1
		.amdhsa_next_free_sgpr 1
		.amdhsa_reserve_vcc 0
		.amdhsa_float_round_mode_32 0
		.amdhsa_float_round_mode_16_64 0
		.amdhsa_float_denorm_mode_32 3
		.amdhsa_float_denorm_mode_16_64 3
		.amdhsa_dx10_clamp 1
		.amdhsa_ieee_mode 1
		.amdhsa_fp16_overflow 0
		.amdhsa_workgroup_processor_mode 1
		.amdhsa_memory_ordered 1
		.amdhsa_forward_progress 0
		.amdhsa_shared_vgpr_count 0
		.amdhsa_exception_fp_ieee_invalid_op 0
		.amdhsa_exception_fp_denorm_src 0
		.amdhsa_exception_fp_ieee_div_zero 0
		.amdhsa_exception_fp_ieee_overflow 0
		.amdhsa_exception_fp_ieee_underflow 0
		.amdhsa_exception_fp_ieee_inexact 0
		.amdhsa_exception_int_div_zero 0
	.end_amdhsa_kernel
	.section	.text._ZN7rocprim17ROCPRIM_400000_NS6detail17trampoline_kernelINS0_14default_configENS1_25partition_config_selectorILNS1_17partition_subalgoE5E10large_dataNS0_10empty_typeEbEEZZNS1_14partition_implILS5_5ELb0ES3_mN6thrust23THRUST_200600_302600_NS6detail15normal_iteratorINSB_10device_ptrIS6_EEEEPS7_NSB_18transform_iteratorI7is_evenIS6_ESG_NSB_11use_defaultESL_EENS0_5tupleIJSG_S7_EEENSN_IJSH_SH_EEES7_PlJS7_EEE10hipError_tPvRmT3_T4_T5_T6_T7_T9_mT8_P12ihipStream_tbDpT10_ENKUlT_T0_E_clISt17integral_constantIbLb1EES1A_EEDaS15_S16_EUlS15_E_NS1_11comp_targetILNS1_3genE4ELNS1_11target_archE910ELNS1_3gpuE8ELNS1_3repE0EEENS1_30default_config_static_selectorELNS0_4arch9wavefront6targetE0EEEvT1_,"axG",@progbits,_ZN7rocprim17ROCPRIM_400000_NS6detail17trampoline_kernelINS0_14default_configENS1_25partition_config_selectorILNS1_17partition_subalgoE5E10large_dataNS0_10empty_typeEbEEZZNS1_14partition_implILS5_5ELb0ES3_mN6thrust23THRUST_200600_302600_NS6detail15normal_iteratorINSB_10device_ptrIS6_EEEEPS7_NSB_18transform_iteratorI7is_evenIS6_ESG_NSB_11use_defaultESL_EENS0_5tupleIJSG_S7_EEENSN_IJSH_SH_EEES7_PlJS7_EEE10hipError_tPvRmT3_T4_T5_T6_T7_T9_mT8_P12ihipStream_tbDpT10_ENKUlT_T0_E_clISt17integral_constantIbLb1EES1A_EEDaS15_S16_EUlS15_E_NS1_11comp_targetILNS1_3genE4ELNS1_11target_archE910ELNS1_3gpuE8ELNS1_3repE0EEENS1_30default_config_static_selectorELNS0_4arch9wavefront6targetE0EEEvT1_,comdat
.Lfunc_end660:
	.size	_ZN7rocprim17ROCPRIM_400000_NS6detail17trampoline_kernelINS0_14default_configENS1_25partition_config_selectorILNS1_17partition_subalgoE5E10large_dataNS0_10empty_typeEbEEZZNS1_14partition_implILS5_5ELb0ES3_mN6thrust23THRUST_200600_302600_NS6detail15normal_iteratorINSB_10device_ptrIS6_EEEEPS7_NSB_18transform_iteratorI7is_evenIS6_ESG_NSB_11use_defaultESL_EENS0_5tupleIJSG_S7_EEENSN_IJSH_SH_EEES7_PlJS7_EEE10hipError_tPvRmT3_T4_T5_T6_T7_T9_mT8_P12ihipStream_tbDpT10_ENKUlT_T0_E_clISt17integral_constantIbLb1EES1A_EEDaS15_S16_EUlS15_E_NS1_11comp_targetILNS1_3genE4ELNS1_11target_archE910ELNS1_3gpuE8ELNS1_3repE0EEENS1_30default_config_static_selectorELNS0_4arch9wavefront6targetE0EEEvT1_, .Lfunc_end660-_ZN7rocprim17ROCPRIM_400000_NS6detail17trampoline_kernelINS0_14default_configENS1_25partition_config_selectorILNS1_17partition_subalgoE5E10large_dataNS0_10empty_typeEbEEZZNS1_14partition_implILS5_5ELb0ES3_mN6thrust23THRUST_200600_302600_NS6detail15normal_iteratorINSB_10device_ptrIS6_EEEEPS7_NSB_18transform_iteratorI7is_evenIS6_ESG_NSB_11use_defaultESL_EENS0_5tupleIJSG_S7_EEENSN_IJSH_SH_EEES7_PlJS7_EEE10hipError_tPvRmT3_T4_T5_T6_T7_T9_mT8_P12ihipStream_tbDpT10_ENKUlT_T0_E_clISt17integral_constantIbLb1EES1A_EEDaS15_S16_EUlS15_E_NS1_11comp_targetILNS1_3genE4ELNS1_11target_archE910ELNS1_3gpuE8ELNS1_3repE0EEENS1_30default_config_static_selectorELNS0_4arch9wavefront6targetE0EEEvT1_
                                        ; -- End function
	.section	.AMDGPU.csdata,"",@progbits
; Kernel info:
; codeLenInByte = 0
; NumSgprs: 0
; NumVgprs: 0
; ScratchSize: 0
; MemoryBound: 0
; FloatMode: 240
; IeeeMode: 1
; LDSByteSize: 0 bytes/workgroup (compile time only)
; SGPRBlocks: 0
; VGPRBlocks: 0
; NumSGPRsForWavesPerEU: 1
; NumVGPRsForWavesPerEU: 1
; Occupancy: 16
; WaveLimiterHint : 0
; COMPUTE_PGM_RSRC2:SCRATCH_EN: 0
; COMPUTE_PGM_RSRC2:USER_SGPR: 15
; COMPUTE_PGM_RSRC2:TRAP_HANDLER: 0
; COMPUTE_PGM_RSRC2:TGID_X_EN: 1
; COMPUTE_PGM_RSRC2:TGID_Y_EN: 0
; COMPUTE_PGM_RSRC2:TGID_Z_EN: 0
; COMPUTE_PGM_RSRC2:TIDIG_COMP_CNT: 0
	.section	.text._ZN7rocprim17ROCPRIM_400000_NS6detail17trampoline_kernelINS0_14default_configENS1_25partition_config_selectorILNS1_17partition_subalgoE5E10large_dataNS0_10empty_typeEbEEZZNS1_14partition_implILS5_5ELb0ES3_mN6thrust23THRUST_200600_302600_NS6detail15normal_iteratorINSB_10device_ptrIS6_EEEEPS7_NSB_18transform_iteratorI7is_evenIS6_ESG_NSB_11use_defaultESL_EENS0_5tupleIJSG_S7_EEENSN_IJSH_SH_EEES7_PlJS7_EEE10hipError_tPvRmT3_T4_T5_T6_T7_T9_mT8_P12ihipStream_tbDpT10_ENKUlT_T0_E_clISt17integral_constantIbLb1EES1A_EEDaS15_S16_EUlS15_E_NS1_11comp_targetILNS1_3genE3ELNS1_11target_archE908ELNS1_3gpuE7ELNS1_3repE0EEENS1_30default_config_static_selectorELNS0_4arch9wavefront6targetE0EEEvT1_,"axG",@progbits,_ZN7rocprim17ROCPRIM_400000_NS6detail17trampoline_kernelINS0_14default_configENS1_25partition_config_selectorILNS1_17partition_subalgoE5E10large_dataNS0_10empty_typeEbEEZZNS1_14partition_implILS5_5ELb0ES3_mN6thrust23THRUST_200600_302600_NS6detail15normal_iteratorINSB_10device_ptrIS6_EEEEPS7_NSB_18transform_iteratorI7is_evenIS6_ESG_NSB_11use_defaultESL_EENS0_5tupleIJSG_S7_EEENSN_IJSH_SH_EEES7_PlJS7_EEE10hipError_tPvRmT3_T4_T5_T6_T7_T9_mT8_P12ihipStream_tbDpT10_ENKUlT_T0_E_clISt17integral_constantIbLb1EES1A_EEDaS15_S16_EUlS15_E_NS1_11comp_targetILNS1_3genE3ELNS1_11target_archE908ELNS1_3gpuE7ELNS1_3repE0EEENS1_30default_config_static_selectorELNS0_4arch9wavefront6targetE0EEEvT1_,comdat
	.protected	_ZN7rocprim17ROCPRIM_400000_NS6detail17trampoline_kernelINS0_14default_configENS1_25partition_config_selectorILNS1_17partition_subalgoE5E10large_dataNS0_10empty_typeEbEEZZNS1_14partition_implILS5_5ELb0ES3_mN6thrust23THRUST_200600_302600_NS6detail15normal_iteratorINSB_10device_ptrIS6_EEEEPS7_NSB_18transform_iteratorI7is_evenIS6_ESG_NSB_11use_defaultESL_EENS0_5tupleIJSG_S7_EEENSN_IJSH_SH_EEES7_PlJS7_EEE10hipError_tPvRmT3_T4_T5_T6_T7_T9_mT8_P12ihipStream_tbDpT10_ENKUlT_T0_E_clISt17integral_constantIbLb1EES1A_EEDaS15_S16_EUlS15_E_NS1_11comp_targetILNS1_3genE3ELNS1_11target_archE908ELNS1_3gpuE7ELNS1_3repE0EEENS1_30default_config_static_selectorELNS0_4arch9wavefront6targetE0EEEvT1_ ; -- Begin function _ZN7rocprim17ROCPRIM_400000_NS6detail17trampoline_kernelINS0_14default_configENS1_25partition_config_selectorILNS1_17partition_subalgoE5E10large_dataNS0_10empty_typeEbEEZZNS1_14partition_implILS5_5ELb0ES3_mN6thrust23THRUST_200600_302600_NS6detail15normal_iteratorINSB_10device_ptrIS6_EEEEPS7_NSB_18transform_iteratorI7is_evenIS6_ESG_NSB_11use_defaultESL_EENS0_5tupleIJSG_S7_EEENSN_IJSH_SH_EEES7_PlJS7_EEE10hipError_tPvRmT3_T4_T5_T6_T7_T9_mT8_P12ihipStream_tbDpT10_ENKUlT_T0_E_clISt17integral_constantIbLb1EES1A_EEDaS15_S16_EUlS15_E_NS1_11comp_targetILNS1_3genE3ELNS1_11target_archE908ELNS1_3gpuE7ELNS1_3repE0EEENS1_30default_config_static_selectorELNS0_4arch9wavefront6targetE0EEEvT1_
	.globl	_ZN7rocprim17ROCPRIM_400000_NS6detail17trampoline_kernelINS0_14default_configENS1_25partition_config_selectorILNS1_17partition_subalgoE5E10large_dataNS0_10empty_typeEbEEZZNS1_14partition_implILS5_5ELb0ES3_mN6thrust23THRUST_200600_302600_NS6detail15normal_iteratorINSB_10device_ptrIS6_EEEEPS7_NSB_18transform_iteratorI7is_evenIS6_ESG_NSB_11use_defaultESL_EENS0_5tupleIJSG_S7_EEENSN_IJSH_SH_EEES7_PlJS7_EEE10hipError_tPvRmT3_T4_T5_T6_T7_T9_mT8_P12ihipStream_tbDpT10_ENKUlT_T0_E_clISt17integral_constantIbLb1EES1A_EEDaS15_S16_EUlS15_E_NS1_11comp_targetILNS1_3genE3ELNS1_11target_archE908ELNS1_3gpuE7ELNS1_3repE0EEENS1_30default_config_static_selectorELNS0_4arch9wavefront6targetE0EEEvT1_
	.p2align	8
	.type	_ZN7rocprim17ROCPRIM_400000_NS6detail17trampoline_kernelINS0_14default_configENS1_25partition_config_selectorILNS1_17partition_subalgoE5E10large_dataNS0_10empty_typeEbEEZZNS1_14partition_implILS5_5ELb0ES3_mN6thrust23THRUST_200600_302600_NS6detail15normal_iteratorINSB_10device_ptrIS6_EEEEPS7_NSB_18transform_iteratorI7is_evenIS6_ESG_NSB_11use_defaultESL_EENS0_5tupleIJSG_S7_EEENSN_IJSH_SH_EEES7_PlJS7_EEE10hipError_tPvRmT3_T4_T5_T6_T7_T9_mT8_P12ihipStream_tbDpT10_ENKUlT_T0_E_clISt17integral_constantIbLb1EES1A_EEDaS15_S16_EUlS15_E_NS1_11comp_targetILNS1_3genE3ELNS1_11target_archE908ELNS1_3gpuE7ELNS1_3repE0EEENS1_30default_config_static_selectorELNS0_4arch9wavefront6targetE0EEEvT1_,@function
_ZN7rocprim17ROCPRIM_400000_NS6detail17trampoline_kernelINS0_14default_configENS1_25partition_config_selectorILNS1_17partition_subalgoE5E10large_dataNS0_10empty_typeEbEEZZNS1_14partition_implILS5_5ELb0ES3_mN6thrust23THRUST_200600_302600_NS6detail15normal_iteratorINSB_10device_ptrIS6_EEEEPS7_NSB_18transform_iteratorI7is_evenIS6_ESG_NSB_11use_defaultESL_EENS0_5tupleIJSG_S7_EEENSN_IJSH_SH_EEES7_PlJS7_EEE10hipError_tPvRmT3_T4_T5_T6_T7_T9_mT8_P12ihipStream_tbDpT10_ENKUlT_T0_E_clISt17integral_constantIbLb1EES1A_EEDaS15_S16_EUlS15_E_NS1_11comp_targetILNS1_3genE3ELNS1_11target_archE908ELNS1_3gpuE7ELNS1_3repE0EEENS1_30default_config_static_selectorELNS0_4arch9wavefront6targetE0EEEvT1_: ; @_ZN7rocprim17ROCPRIM_400000_NS6detail17trampoline_kernelINS0_14default_configENS1_25partition_config_selectorILNS1_17partition_subalgoE5E10large_dataNS0_10empty_typeEbEEZZNS1_14partition_implILS5_5ELb0ES3_mN6thrust23THRUST_200600_302600_NS6detail15normal_iteratorINSB_10device_ptrIS6_EEEEPS7_NSB_18transform_iteratorI7is_evenIS6_ESG_NSB_11use_defaultESL_EENS0_5tupleIJSG_S7_EEENSN_IJSH_SH_EEES7_PlJS7_EEE10hipError_tPvRmT3_T4_T5_T6_T7_T9_mT8_P12ihipStream_tbDpT10_ENKUlT_T0_E_clISt17integral_constantIbLb1EES1A_EEDaS15_S16_EUlS15_E_NS1_11comp_targetILNS1_3genE3ELNS1_11target_archE908ELNS1_3gpuE7ELNS1_3repE0EEENS1_30default_config_static_selectorELNS0_4arch9wavefront6targetE0EEEvT1_
; %bb.0:
	.section	.rodata,"a",@progbits
	.p2align	6, 0x0
	.amdhsa_kernel _ZN7rocprim17ROCPRIM_400000_NS6detail17trampoline_kernelINS0_14default_configENS1_25partition_config_selectorILNS1_17partition_subalgoE5E10large_dataNS0_10empty_typeEbEEZZNS1_14partition_implILS5_5ELb0ES3_mN6thrust23THRUST_200600_302600_NS6detail15normal_iteratorINSB_10device_ptrIS6_EEEEPS7_NSB_18transform_iteratorI7is_evenIS6_ESG_NSB_11use_defaultESL_EENS0_5tupleIJSG_S7_EEENSN_IJSH_SH_EEES7_PlJS7_EEE10hipError_tPvRmT3_T4_T5_T6_T7_T9_mT8_P12ihipStream_tbDpT10_ENKUlT_T0_E_clISt17integral_constantIbLb1EES1A_EEDaS15_S16_EUlS15_E_NS1_11comp_targetILNS1_3genE3ELNS1_11target_archE908ELNS1_3gpuE7ELNS1_3repE0EEENS1_30default_config_static_selectorELNS0_4arch9wavefront6targetE0EEEvT1_
		.amdhsa_group_segment_fixed_size 0
		.amdhsa_private_segment_fixed_size 0
		.amdhsa_kernarg_size 136
		.amdhsa_user_sgpr_count 15
		.amdhsa_user_sgpr_dispatch_ptr 0
		.amdhsa_user_sgpr_queue_ptr 0
		.amdhsa_user_sgpr_kernarg_segment_ptr 1
		.amdhsa_user_sgpr_dispatch_id 0
		.amdhsa_user_sgpr_private_segment_size 0
		.amdhsa_wavefront_size32 1
		.amdhsa_uses_dynamic_stack 0
		.amdhsa_enable_private_segment 0
		.amdhsa_system_sgpr_workgroup_id_x 1
		.amdhsa_system_sgpr_workgroup_id_y 0
		.amdhsa_system_sgpr_workgroup_id_z 0
		.amdhsa_system_sgpr_workgroup_info 0
		.amdhsa_system_vgpr_workitem_id 0
		.amdhsa_next_free_vgpr 1
		.amdhsa_next_free_sgpr 1
		.amdhsa_reserve_vcc 0
		.amdhsa_float_round_mode_32 0
		.amdhsa_float_round_mode_16_64 0
		.amdhsa_float_denorm_mode_32 3
		.amdhsa_float_denorm_mode_16_64 3
		.amdhsa_dx10_clamp 1
		.amdhsa_ieee_mode 1
		.amdhsa_fp16_overflow 0
		.amdhsa_workgroup_processor_mode 1
		.amdhsa_memory_ordered 1
		.amdhsa_forward_progress 0
		.amdhsa_shared_vgpr_count 0
		.amdhsa_exception_fp_ieee_invalid_op 0
		.amdhsa_exception_fp_denorm_src 0
		.amdhsa_exception_fp_ieee_div_zero 0
		.amdhsa_exception_fp_ieee_overflow 0
		.amdhsa_exception_fp_ieee_underflow 0
		.amdhsa_exception_fp_ieee_inexact 0
		.amdhsa_exception_int_div_zero 0
	.end_amdhsa_kernel
	.section	.text._ZN7rocprim17ROCPRIM_400000_NS6detail17trampoline_kernelINS0_14default_configENS1_25partition_config_selectorILNS1_17partition_subalgoE5E10large_dataNS0_10empty_typeEbEEZZNS1_14partition_implILS5_5ELb0ES3_mN6thrust23THRUST_200600_302600_NS6detail15normal_iteratorINSB_10device_ptrIS6_EEEEPS7_NSB_18transform_iteratorI7is_evenIS6_ESG_NSB_11use_defaultESL_EENS0_5tupleIJSG_S7_EEENSN_IJSH_SH_EEES7_PlJS7_EEE10hipError_tPvRmT3_T4_T5_T6_T7_T9_mT8_P12ihipStream_tbDpT10_ENKUlT_T0_E_clISt17integral_constantIbLb1EES1A_EEDaS15_S16_EUlS15_E_NS1_11comp_targetILNS1_3genE3ELNS1_11target_archE908ELNS1_3gpuE7ELNS1_3repE0EEENS1_30default_config_static_selectorELNS0_4arch9wavefront6targetE0EEEvT1_,"axG",@progbits,_ZN7rocprim17ROCPRIM_400000_NS6detail17trampoline_kernelINS0_14default_configENS1_25partition_config_selectorILNS1_17partition_subalgoE5E10large_dataNS0_10empty_typeEbEEZZNS1_14partition_implILS5_5ELb0ES3_mN6thrust23THRUST_200600_302600_NS6detail15normal_iteratorINSB_10device_ptrIS6_EEEEPS7_NSB_18transform_iteratorI7is_evenIS6_ESG_NSB_11use_defaultESL_EENS0_5tupleIJSG_S7_EEENSN_IJSH_SH_EEES7_PlJS7_EEE10hipError_tPvRmT3_T4_T5_T6_T7_T9_mT8_P12ihipStream_tbDpT10_ENKUlT_T0_E_clISt17integral_constantIbLb1EES1A_EEDaS15_S16_EUlS15_E_NS1_11comp_targetILNS1_3genE3ELNS1_11target_archE908ELNS1_3gpuE7ELNS1_3repE0EEENS1_30default_config_static_selectorELNS0_4arch9wavefront6targetE0EEEvT1_,comdat
.Lfunc_end661:
	.size	_ZN7rocprim17ROCPRIM_400000_NS6detail17trampoline_kernelINS0_14default_configENS1_25partition_config_selectorILNS1_17partition_subalgoE5E10large_dataNS0_10empty_typeEbEEZZNS1_14partition_implILS5_5ELb0ES3_mN6thrust23THRUST_200600_302600_NS6detail15normal_iteratorINSB_10device_ptrIS6_EEEEPS7_NSB_18transform_iteratorI7is_evenIS6_ESG_NSB_11use_defaultESL_EENS0_5tupleIJSG_S7_EEENSN_IJSH_SH_EEES7_PlJS7_EEE10hipError_tPvRmT3_T4_T5_T6_T7_T9_mT8_P12ihipStream_tbDpT10_ENKUlT_T0_E_clISt17integral_constantIbLb1EES1A_EEDaS15_S16_EUlS15_E_NS1_11comp_targetILNS1_3genE3ELNS1_11target_archE908ELNS1_3gpuE7ELNS1_3repE0EEENS1_30default_config_static_selectorELNS0_4arch9wavefront6targetE0EEEvT1_, .Lfunc_end661-_ZN7rocprim17ROCPRIM_400000_NS6detail17trampoline_kernelINS0_14default_configENS1_25partition_config_selectorILNS1_17partition_subalgoE5E10large_dataNS0_10empty_typeEbEEZZNS1_14partition_implILS5_5ELb0ES3_mN6thrust23THRUST_200600_302600_NS6detail15normal_iteratorINSB_10device_ptrIS6_EEEEPS7_NSB_18transform_iteratorI7is_evenIS6_ESG_NSB_11use_defaultESL_EENS0_5tupleIJSG_S7_EEENSN_IJSH_SH_EEES7_PlJS7_EEE10hipError_tPvRmT3_T4_T5_T6_T7_T9_mT8_P12ihipStream_tbDpT10_ENKUlT_T0_E_clISt17integral_constantIbLb1EES1A_EEDaS15_S16_EUlS15_E_NS1_11comp_targetILNS1_3genE3ELNS1_11target_archE908ELNS1_3gpuE7ELNS1_3repE0EEENS1_30default_config_static_selectorELNS0_4arch9wavefront6targetE0EEEvT1_
                                        ; -- End function
	.section	.AMDGPU.csdata,"",@progbits
; Kernel info:
; codeLenInByte = 0
; NumSgprs: 0
; NumVgprs: 0
; ScratchSize: 0
; MemoryBound: 0
; FloatMode: 240
; IeeeMode: 1
; LDSByteSize: 0 bytes/workgroup (compile time only)
; SGPRBlocks: 0
; VGPRBlocks: 0
; NumSGPRsForWavesPerEU: 1
; NumVGPRsForWavesPerEU: 1
; Occupancy: 16
; WaveLimiterHint : 0
; COMPUTE_PGM_RSRC2:SCRATCH_EN: 0
; COMPUTE_PGM_RSRC2:USER_SGPR: 15
; COMPUTE_PGM_RSRC2:TRAP_HANDLER: 0
; COMPUTE_PGM_RSRC2:TGID_X_EN: 1
; COMPUTE_PGM_RSRC2:TGID_Y_EN: 0
; COMPUTE_PGM_RSRC2:TGID_Z_EN: 0
; COMPUTE_PGM_RSRC2:TIDIG_COMP_CNT: 0
	.section	.text._ZN7rocprim17ROCPRIM_400000_NS6detail17trampoline_kernelINS0_14default_configENS1_25partition_config_selectorILNS1_17partition_subalgoE5E10large_dataNS0_10empty_typeEbEEZZNS1_14partition_implILS5_5ELb0ES3_mN6thrust23THRUST_200600_302600_NS6detail15normal_iteratorINSB_10device_ptrIS6_EEEEPS7_NSB_18transform_iteratorI7is_evenIS6_ESG_NSB_11use_defaultESL_EENS0_5tupleIJSG_S7_EEENSN_IJSH_SH_EEES7_PlJS7_EEE10hipError_tPvRmT3_T4_T5_T6_T7_T9_mT8_P12ihipStream_tbDpT10_ENKUlT_T0_E_clISt17integral_constantIbLb1EES1A_EEDaS15_S16_EUlS15_E_NS1_11comp_targetILNS1_3genE2ELNS1_11target_archE906ELNS1_3gpuE6ELNS1_3repE0EEENS1_30default_config_static_selectorELNS0_4arch9wavefront6targetE0EEEvT1_,"axG",@progbits,_ZN7rocprim17ROCPRIM_400000_NS6detail17trampoline_kernelINS0_14default_configENS1_25partition_config_selectorILNS1_17partition_subalgoE5E10large_dataNS0_10empty_typeEbEEZZNS1_14partition_implILS5_5ELb0ES3_mN6thrust23THRUST_200600_302600_NS6detail15normal_iteratorINSB_10device_ptrIS6_EEEEPS7_NSB_18transform_iteratorI7is_evenIS6_ESG_NSB_11use_defaultESL_EENS0_5tupleIJSG_S7_EEENSN_IJSH_SH_EEES7_PlJS7_EEE10hipError_tPvRmT3_T4_T5_T6_T7_T9_mT8_P12ihipStream_tbDpT10_ENKUlT_T0_E_clISt17integral_constantIbLb1EES1A_EEDaS15_S16_EUlS15_E_NS1_11comp_targetILNS1_3genE2ELNS1_11target_archE906ELNS1_3gpuE6ELNS1_3repE0EEENS1_30default_config_static_selectorELNS0_4arch9wavefront6targetE0EEEvT1_,comdat
	.protected	_ZN7rocprim17ROCPRIM_400000_NS6detail17trampoline_kernelINS0_14default_configENS1_25partition_config_selectorILNS1_17partition_subalgoE5E10large_dataNS0_10empty_typeEbEEZZNS1_14partition_implILS5_5ELb0ES3_mN6thrust23THRUST_200600_302600_NS6detail15normal_iteratorINSB_10device_ptrIS6_EEEEPS7_NSB_18transform_iteratorI7is_evenIS6_ESG_NSB_11use_defaultESL_EENS0_5tupleIJSG_S7_EEENSN_IJSH_SH_EEES7_PlJS7_EEE10hipError_tPvRmT3_T4_T5_T6_T7_T9_mT8_P12ihipStream_tbDpT10_ENKUlT_T0_E_clISt17integral_constantIbLb1EES1A_EEDaS15_S16_EUlS15_E_NS1_11comp_targetILNS1_3genE2ELNS1_11target_archE906ELNS1_3gpuE6ELNS1_3repE0EEENS1_30default_config_static_selectorELNS0_4arch9wavefront6targetE0EEEvT1_ ; -- Begin function _ZN7rocprim17ROCPRIM_400000_NS6detail17trampoline_kernelINS0_14default_configENS1_25partition_config_selectorILNS1_17partition_subalgoE5E10large_dataNS0_10empty_typeEbEEZZNS1_14partition_implILS5_5ELb0ES3_mN6thrust23THRUST_200600_302600_NS6detail15normal_iteratorINSB_10device_ptrIS6_EEEEPS7_NSB_18transform_iteratorI7is_evenIS6_ESG_NSB_11use_defaultESL_EENS0_5tupleIJSG_S7_EEENSN_IJSH_SH_EEES7_PlJS7_EEE10hipError_tPvRmT3_T4_T5_T6_T7_T9_mT8_P12ihipStream_tbDpT10_ENKUlT_T0_E_clISt17integral_constantIbLb1EES1A_EEDaS15_S16_EUlS15_E_NS1_11comp_targetILNS1_3genE2ELNS1_11target_archE906ELNS1_3gpuE6ELNS1_3repE0EEENS1_30default_config_static_selectorELNS0_4arch9wavefront6targetE0EEEvT1_
	.globl	_ZN7rocprim17ROCPRIM_400000_NS6detail17trampoline_kernelINS0_14default_configENS1_25partition_config_selectorILNS1_17partition_subalgoE5E10large_dataNS0_10empty_typeEbEEZZNS1_14partition_implILS5_5ELb0ES3_mN6thrust23THRUST_200600_302600_NS6detail15normal_iteratorINSB_10device_ptrIS6_EEEEPS7_NSB_18transform_iteratorI7is_evenIS6_ESG_NSB_11use_defaultESL_EENS0_5tupleIJSG_S7_EEENSN_IJSH_SH_EEES7_PlJS7_EEE10hipError_tPvRmT3_T4_T5_T6_T7_T9_mT8_P12ihipStream_tbDpT10_ENKUlT_T0_E_clISt17integral_constantIbLb1EES1A_EEDaS15_S16_EUlS15_E_NS1_11comp_targetILNS1_3genE2ELNS1_11target_archE906ELNS1_3gpuE6ELNS1_3repE0EEENS1_30default_config_static_selectorELNS0_4arch9wavefront6targetE0EEEvT1_
	.p2align	8
	.type	_ZN7rocprim17ROCPRIM_400000_NS6detail17trampoline_kernelINS0_14default_configENS1_25partition_config_selectorILNS1_17partition_subalgoE5E10large_dataNS0_10empty_typeEbEEZZNS1_14partition_implILS5_5ELb0ES3_mN6thrust23THRUST_200600_302600_NS6detail15normal_iteratorINSB_10device_ptrIS6_EEEEPS7_NSB_18transform_iteratorI7is_evenIS6_ESG_NSB_11use_defaultESL_EENS0_5tupleIJSG_S7_EEENSN_IJSH_SH_EEES7_PlJS7_EEE10hipError_tPvRmT3_T4_T5_T6_T7_T9_mT8_P12ihipStream_tbDpT10_ENKUlT_T0_E_clISt17integral_constantIbLb1EES1A_EEDaS15_S16_EUlS15_E_NS1_11comp_targetILNS1_3genE2ELNS1_11target_archE906ELNS1_3gpuE6ELNS1_3repE0EEENS1_30default_config_static_selectorELNS0_4arch9wavefront6targetE0EEEvT1_,@function
_ZN7rocprim17ROCPRIM_400000_NS6detail17trampoline_kernelINS0_14default_configENS1_25partition_config_selectorILNS1_17partition_subalgoE5E10large_dataNS0_10empty_typeEbEEZZNS1_14partition_implILS5_5ELb0ES3_mN6thrust23THRUST_200600_302600_NS6detail15normal_iteratorINSB_10device_ptrIS6_EEEEPS7_NSB_18transform_iteratorI7is_evenIS6_ESG_NSB_11use_defaultESL_EENS0_5tupleIJSG_S7_EEENSN_IJSH_SH_EEES7_PlJS7_EEE10hipError_tPvRmT3_T4_T5_T6_T7_T9_mT8_P12ihipStream_tbDpT10_ENKUlT_T0_E_clISt17integral_constantIbLb1EES1A_EEDaS15_S16_EUlS15_E_NS1_11comp_targetILNS1_3genE2ELNS1_11target_archE906ELNS1_3gpuE6ELNS1_3repE0EEENS1_30default_config_static_selectorELNS0_4arch9wavefront6targetE0EEEvT1_: ; @_ZN7rocprim17ROCPRIM_400000_NS6detail17trampoline_kernelINS0_14default_configENS1_25partition_config_selectorILNS1_17partition_subalgoE5E10large_dataNS0_10empty_typeEbEEZZNS1_14partition_implILS5_5ELb0ES3_mN6thrust23THRUST_200600_302600_NS6detail15normal_iteratorINSB_10device_ptrIS6_EEEEPS7_NSB_18transform_iteratorI7is_evenIS6_ESG_NSB_11use_defaultESL_EENS0_5tupleIJSG_S7_EEENSN_IJSH_SH_EEES7_PlJS7_EEE10hipError_tPvRmT3_T4_T5_T6_T7_T9_mT8_P12ihipStream_tbDpT10_ENKUlT_T0_E_clISt17integral_constantIbLb1EES1A_EEDaS15_S16_EUlS15_E_NS1_11comp_targetILNS1_3genE2ELNS1_11target_archE906ELNS1_3gpuE6ELNS1_3repE0EEENS1_30default_config_static_selectorELNS0_4arch9wavefront6targetE0EEEvT1_
; %bb.0:
	.section	.rodata,"a",@progbits
	.p2align	6, 0x0
	.amdhsa_kernel _ZN7rocprim17ROCPRIM_400000_NS6detail17trampoline_kernelINS0_14default_configENS1_25partition_config_selectorILNS1_17partition_subalgoE5E10large_dataNS0_10empty_typeEbEEZZNS1_14partition_implILS5_5ELb0ES3_mN6thrust23THRUST_200600_302600_NS6detail15normal_iteratorINSB_10device_ptrIS6_EEEEPS7_NSB_18transform_iteratorI7is_evenIS6_ESG_NSB_11use_defaultESL_EENS0_5tupleIJSG_S7_EEENSN_IJSH_SH_EEES7_PlJS7_EEE10hipError_tPvRmT3_T4_T5_T6_T7_T9_mT8_P12ihipStream_tbDpT10_ENKUlT_T0_E_clISt17integral_constantIbLb1EES1A_EEDaS15_S16_EUlS15_E_NS1_11comp_targetILNS1_3genE2ELNS1_11target_archE906ELNS1_3gpuE6ELNS1_3repE0EEENS1_30default_config_static_selectorELNS0_4arch9wavefront6targetE0EEEvT1_
		.amdhsa_group_segment_fixed_size 0
		.amdhsa_private_segment_fixed_size 0
		.amdhsa_kernarg_size 136
		.amdhsa_user_sgpr_count 15
		.amdhsa_user_sgpr_dispatch_ptr 0
		.amdhsa_user_sgpr_queue_ptr 0
		.amdhsa_user_sgpr_kernarg_segment_ptr 1
		.amdhsa_user_sgpr_dispatch_id 0
		.amdhsa_user_sgpr_private_segment_size 0
		.amdhsa_wavefront_size32 1
		.amdhsa_uses_dynamic_stack 0
		.amdhsa_enable_private_segment 0
		.amdhsa_system_sgpr_workgroup_id_x 1
		.amdhsa_system_sgpr_workgroup_id_y 0
		.amdhsa_system_sgpr_workgroup_id_z 0
		.amdhsa_system_sgpr_workgroup_info 0
		.amdhsa_system_vgpr_workitem_id 0
		.amdhsa_next_free_vgpr 1
		.amdhsa_next_free_sgpr 1
		.amdhsa_reserve_vcc 0
		.amdhsa_float_round_mode_32 0
		.amdhsa_float_round_mode_16_64 0
		.amdhsa_float_denorm_mode_32 3
		.amdhsa_float_denorm_mode_16_64 3
		.amdhsa_dx10_clamp 1
		.amdhsa_ieee_mode 1
		.amdhsa_fp16_overflow 0
		.amdhsa_workgroup_processor_mode 1
		.amdhsa_memory_ordered 1
		.amdhsa_forward_progress 0
		.amdhsa_shared_vgpr_count 0
		.amdhsa_exception_fp_ieee_invalid_op 0
		.amdhsa_exception_fp_denorm_src 0
		.amdhsa_exception_fp_ieee_div_zero 0
		.amdhsa_exception_fp_ieee_overflow 0
		.amdhsa_exception_fp_ieee_underflow 0
		.amdhsa_exception_fp_ieee_inexact 0
		.amdhsa_exception_int_div_zero 0
	.end_amdhsa_kernel
	.section	.text._ZN7rocprim17ROCPRIM_400000_NS6detail17trampoline_kernelINS0_14default_configENS1_25partition_config_selectorILNS1_17partition_subalgoE5E10large_dataNS0_10empty_typeEbEEZZNS1_14partition_implILS5_5ELb0ES3_mN6thrust23THRUST_200600_302600_NS6detail15normal_iteratorINSB_10device_ptrIS6_EEEEPS7_NSB_18transform_iteratorI7is_evenIS6_ESG_NSB_11use_defaultESL_EENS0_5tupleIJSG_S7_EEENSN_IJSH_SH_EEES7_PlJS7_EEE10hipError_tPvRmT3_T4_T5_T6_T7_T9_mT8_P12ihipStream_tbDpT10_ENKUlT_T0_E_clISt17integral_constantIbLb1EES1A_EEDaS15_S16_EUlS15_E_NS1_11comp_targetILNS1_3genE2ELNS1_11target_archE906ELNS1_3gpuE6ELNS1_3repE0EEENS1_30default_config_static_selectorELNS0_4arch9wavefront6targetE0EEEvT1_,"axG",@progbits,_ZN7rocprim17ROCPRIM_400000_NS6detail17trampoline_kernelINS0_14default_configENS1_25partition_config_selectorILNS1_17partition_subalgoE5E10large_dataNS0_10empty_typeEbEEZZNS1_14partition_implILS5_5ELb0ES3_mN6thrust23THRUST_200600_302600_NS6detail15normal_iteratorINSB_10device_ptrIS6_EEEEPS7_NSB_18transform_iteratorI7is_evenIS6_ESG_NSB_11use_defaultESL_EENS0_5tupleIJSG_S7_EEENSN_IJSH_SH_EEES7_PlJS7_EEE10hipError_tPvRmT3_T4_T5_T6_T7_T9_mT8_P12ihipStream_tbDpT10_ENKUlT_T0_E_clISt17integral_constantIbLb1EES1A_EEDaS15_S16_EUlS15_E_NS1_11comp_targetILNS1_3genE2ELNS1_11target_archE906ELNS1_3gpuE6ELNS1_3repE0EEENS1_30default_config_static_selectorELNS0_4arch9wavefront6targetE0EEEvT1_,comdat
.Lfunc_end662:
	.size	_ZN7rocprim17ROCPRIM_400000_NS6detail17trampoline_kernelINS0_14default_configENS1_25partition_config_selectorILNS1_17partition_subalgoE5E10large_dataNS0_10empty_typeEbEEZZNS1_14partition_implILS5_5ELb0ES3_mN6thrust23THRUST_200600_302600_NS6detail15normal_iteratorINSB_10device_ptrIS6_EEEEPS7_NSB_18transform_iteratorI7is_evenIS6_ESG_NSB_11use_defaultESL_EENS0_5tupleIJSG_S7_EEENSN_IJSH_SH_EEES7_PlJS7_EEE10hipError_tPvRmT3_T4_T5_T6_T7_T9_mT8_P12ihipStream_tbDpT10_ENKUlT_T0_E_clISt17integral_constantIbLb1EES1A_EEDaS15_S16_EUlS15_E_NS1_11comp_targetILNS1_3genE2ELNS1_11target_archE906ELNS1_3gpuE6ELNS1_3repE0EEENS1_30default_config_static_selectorELNS0_4arch9wavefront6targetE0EEEvT1_, .Lfunc_end662-_ZN7rocprim17ROCPRIM_400000_NS6detail17trampoline_kernelINS0_14default_configENS1_25partition_config_selectorILNS1_17partition_subalgoE5E10large_dataNS0_10empty_typeEbEEZZNS1_14partition_implILS5_5ELb0ES3_mN6thrust23THRUST_200600_302600_NS6detail15normal_iteratorINSB_10device_ptrIS6_EEEEPS7_NSB_18transform_iteratorI7is_evenIS6_ESG_NSB_11use_defaultESL_EENS0_5tupleIJSG_S7_EEENSN_IJSH_SH_EEES7_PlJS7_EEE10hipError_tPvRmT3_T4_T5_T6_T7_T9_mT8_P12ihipStream_tbDpT10_ENKUlT_T0_E_clISt17integral_constantIbLb1EES1A_EEDaS15_S16_EUlS15_E_NS1_11comp_targetILNS1_3genE2ELNS1_11target_archE906ELNS1_3gpuE6ELNS1_3repE0EEENS1_30default_config_static_selectorELNS0_4arch9wavefront6targetE0EEEvT1_
                                        ; -- End function
	.section	.AMDGPU.csdata,"",@progbits
; Kernel info:
; codeLenInByte = 0
; NumSgprs: 0
; NumVgprs: 0
; ScratchSize: 0
; MemoryBound: 0
; FloatMode: 240
; IeeeMode: 1
; LDSByteSize: 0 bytes/workgroup (compile time only)
; SGPRBlocks: 0
; VGPRBlocks: 0
; NumSGPRsForWavesPerEU: 1
; NumVGPRsForWavesPerEU: 1
; Occupancy: 16
; WaveLimiterHint : 0
; COMPUTE_PGM_RSRC2:SCRATCH_EN: 0
; COMPUTE_PGM_RSRC2:USER_SGPR: 15
; COMPUTE_PGM_RSRC2:TRAP_HANDLER: 0
; COMPUTE_PGM_RSRC2:TGID_X_EN: 1
; COMPUTE_PGM_RSRC2:TGID_Y_EN: 0
; COMPUTE_PGM_RSRC2:TGID_Z_EN: 0
; COMPUTE_PGM_RSRC2:TIDIG_COMP_CNT: 0
	.section	.text._ZN7rocprim17ROCPRIM_400000_NS6detail17trampoline_kernelINS0_14default_configENS1_25partition_config_selectorILNS1_17partition_subalgoE5E10large_dataNS0_10empty_typeEbEEZZNS1_14partition_implILS5_5ELb0ES3_mN6thrust23THRUST_200600_302600_NS6detail15normal_iteratorINSB_10device_ptrIS6_EEEEPS7_NSB_18transform_iteratorI7is_evenIS6_ESG_NSB_11use_defaultESL_EENS0_5tupleIJSG_S7_EEENSN_IJSH_SH_EEES7_PlJS7_EEE10hipError_tPvRmT3_T4_T5_T6_T7_T9_mT8_P12ihipStream_tbDpT10_ENKUlT_T0_E_clISt17integral_constantIbLb1EES1A_EEDaS15_S16_EUlS15_E_NS1_11comp_targetILNS1_3genE10ELNS1_11target_archE1200ELNS1_3gpuE4ELNS1_3repE0EEENS1_30default_config_static_selectorELNS0_4arch9wavefront6targetE0EEEvT1_,"axG",@progbits,_ZN7rocprim17ROCPRIM_400000_NS6detail17trampoline_kernelINS0_14default_configENS1_25partition_config_selectorILNS1_17partition_subalgoE5E10large_dataNS0_10empty_typeEbEEZZNS1_14partition_implILS5_5ELb0ES3_mN6thrust23THRUST_200600_302600_NS6detail15normal_iteratorINSB_10device_ptrIS6_EEEEPS7_NSB_18transform_iteratorI7is_evenIS6_ESG_NSB_11use_defaultESL_EENS0_5tupleIJSG_S7_EEENSN_IJSH_SH_EEES7_PlJS7_EEE10hipError_tPvRmT3_T4_T5_T6_T7_T9_mT8_P12ihipStream_tbDpT10_ENKUlT_T0_E_clISt17integral_constantIbLb1EES1A_EEDaS15_S16_EUlS15_E_NS1_11comp_targetILNS1_3genE10ELNS1_11target_archE1200ELNS1_3gpuE4ELNS1_3repE0EEENS1_30default_config_static_selectorELNS0_4arch9wavefront6targetE0EEEvT1_,comdat
	.protected	_ZN7rocprim17ROCPRIM_400000_NS6detail17trampoline_kernelINS0_14default_configENS1_25partition_config_selectorILNS1_17partition_subalgoE5E10large_dataNS0_10empty_typeEbEEZZNS1_14partition_implILS5_5ELb0ES3_mN6thrust23THRUST_200600_302600_NS6detail15normal_iteratorINSB_10device_ptrIS6_EEEEPS7_NSB_18transform_iteratorI7is_evenIS6_ESG_NSB_11use_defaultESL_EENS0_5tupleIJSG_S7_EEENSN_IJSH_SH_EEES7_PlJS7_EEE10hipError_tPvRmT3_T4_T5_T6_T7_T9_mT8_P12ihipStream_tbDpT10_ENKUlT_T0_E_clISt17integral_constantIbLb1EES1A_EEDaS15_S16_EUlS15_E_NS1_11comp_targetILNS1_3genE10ELNS1_11target_archE1200ELNS1_3gpuE4ELNS1_3repE0EEENS1_30default_config_static_selectorELNS0_4arch9wavefront6targetE0EEEvT1_ ; -- Begin function _ZN7rocprim17ROCPRIM_400000_NS6detail17trampoline_kernelINS0_14default_configENS1_25partition_config_selectorILNS1_17partition_subalgoE5E10large_dataNS0_10empty_typeEbEEZZNS1_14partition_implILS5_5ELb0ES3_mN6thrust23THRUST_200600_302600_NS6detail15normal_iteratorINSB_10device_ptrIS6_EEEEPS7_NSB_18transform_iteratorI7is_evenIS6_ESG_NSB_11use_defaultESL_EENS0_5tupleIJSG_S7_EEENSN_IJSH_SH_EEES7_PlJS7_EEE10hipError_tPvRmT3_T4_T5_T6_T7_T9_mT8_P12ihipStream_tbDpT10_ENKUlT_T0_E_clISt17integral_constantIbLb1EES1A_EEDaS15_S16_EUlS15_E_NS1_11comp_targetILNS1_3genE10ELNS1_11target_archE1200ELNS1_3gpuE4ELNS1_3repE0EEENS1_30default_config_static_selectorELNS0_4arch9wavefront6targetE0EEEvT1_
	.globl	_ZN7rocprim17ROCPRIM_400000_NS6detail17trampoline_kernelINS0_14default_configENS1_25partition_config_selectorILNS1_17partition_subalgoE5E10large_dataNS0_10empty_typeEbEEZZNS1_14partition_implILS5_5ELb0ES3_mN6thrust23THRUST_200600_302600_NS6detail15normal_iteratorINSB_10device_ptrIS6_EEEEPS7_NSB_18transform_iteratorI7is_evenIS6_ESG_NSB_11use_defaultESL_EENS0_5tupleIJSG_S7_EEENSN_IJSH_SH_EEES7_PlJS7_EEE10hipError_tPvRmT3_T4_T5_T6_T7_T9_mT8_P12ihipStream_tbDpT10_ENKUlT_T0_E_clISt17integral_constantIbLb1EES1A_EEDaS15_S16_EUlS15_E_NS1_11comp_targetILNS1_3genE10ELNS1_11target_archE1200ELNS1_3gpuE4ELNS1_3repE0EEENS1_30default_config_static_selectorELNS0_4arch9wavefront6targetE0EEEvT1_
	.p2align	8
	.type	_ZN7rocprim17ROCPRIM_400000_NS6detail17trampoline_kernelINS0_14default_configENS1_25partition_config_selectorILNS1_17partition_subalgoE5E10large_dataNS0_10empty_typeEbEEZZNS1_14partition_implILS5_5ELb0ES3_mN6thrust23THRUST_200600_302600_NS6detail15normal_iteratorINSB_10device_ptrIS6_EEEEPS7_NSB_18transform_iteratorI7is_evenIS6_ESG_NSB_11use_defaultESL_EENS0_5tupleIJSG_S7_EEENSN_IJSH_SH_EEES7_PlJS7_EEE10hipError_tPvRmT3_T4_T5_T6_T7_T9_mT8_P12ihipStream_tbDpT10_ENKUlT_T0_E_clISt17integral_constantIbLb1EES1A_EEDaS15_S16_EUlS15_E_NS1_11comp_targetILNS1_3genE10ELNS1_11target_archE1200ELNS1_3gpuE4ELNS1_3repE0EEENS1_30default_config_static_selectorELNS0_4arch9wavefront6targetE0EEEvT1_,@function
_ZN7rocprim17ROCPRIM_400000_NS6detail17trampoline_kernelINS0_14default_configENS1_25partition_config_selectorILNS1_17partition_subalgoE5E10large_dataNS0_10empty_typeEbEEZZNS1_14partition_implILS5_5ELb0ES3_mN6thrust23THRUST_200600_302600_NS6detail15normal_iteratorINSB_10device_ptrIS6_EEEEPS7_NSB_18transform_iteratorI7is_evenIS6_ESG_NSB_11use_defaultESL_EENS0_5tupleIJSG_S7_EEENSN_IJSH_SH_EEES7_PlJS7_EEE10hipError_tPvRmT3_T4_T5_T6_T7_T9_mT8_P12ihipStream_tbDpT10_ENKUlT_T0_E_clISt17integral_constantIbLb1EES1A_EEDaS15_S16_EUlS15_E_NS1_11comp_targetILNS1_3genE10ELNS1_11target_archE1200ELNS1_3gpuE4ELNS1_3repE0EEENS1_30default_config_static_selectorELNS0_4arch9wavefront6targetE0EEEvT1_: ; @_ZN7rocprim17ROCPRIM_400000_NS6detail17trampoline_kernelINS0_14default_configENS1_25partition_config_selectorILNS1_17partition_subalgoE5E10large_dataNS0_10empty_typeEbEEZZNS1_14partition_implILS5_5ELb0ES3_mN6thrust23THRUST_200600_302600_NS6detail15normal_iteratorINSB_10device_ptrIS6_EEEEPS7_NSB_18transform_iteratorI7is_evenIS6_ESG_NSB_11use_defaultESL_EENS0_5tupleIJSG_S7_EEENSN_IJSH_SH_EEES7_PlJS7_EEE10hipError_tPvRmT3_T4_T5_T6_T7_T9_mT8_P12ihipStream_tbDpT10_ENKUlT_T0_E_clISt17integral_constantIbLb1EES1A_EEDaS15_S16_EUlS15_E_NS1_11comp_targetILNS1_3genE10ELNS1_11target_archE1200ELNS1_3gpuE4ELNS1_3repE0EEENS1_30default_config_static_selectorELNS0_4arch9wavefront6targetE0EEEvT1_
; %bb.0:
	.section	.rodata,"a",@progbits
	.p2align	6, 0x0
	.amdhsa_kernel _ZN7rocprim17ROCPRIM_400000_NS6detail17trampoline_kernelINS0_14default_configENS1_25partition_config_selectorILNS1_17partition_subalgoE5E10large_dataNS0_10empty_typeEbEEZZNS1_14partition_implILS5_5ELb0ES3_mN6thrust23THRUST_200600_302600_NS6detail15normal_iteratorINSB_10device_ptrIS6_EEEEPS7_NSB_18transform_iteratorI7is_evenIS6_ESG_NSB_11use_defaultESL_EENS0_5tupleIJSG_S7_EEENSN_IJSH_SH_EEES7_PlJS7_EEE10hipError_tPvRmT3_T4_T5_T6_T7_T9_mT8_P12ihipStream_tbDpT10_ENKUlT_T0_E_clISt17integral_constantIbLb1EES1A_EEDaS15_S16_EUlS15_E_NS1_11comp_targetILNS1_3genE10ELNS1_11target_archE1200ELNS1_3gpuE4ELNS1_3repE0EEENS1_30default_config_static_selectorELNS0_4arch9wavefront6targetE0EEEvT1_
		.amdhsa_group_segment_fixed_size 0
		.amdhsa_private_segment_fixed_size 0
		.amdhsa_kernarg_size 136
		.amdhsa_user_sgpr_count 15
		.amdhsa_user_sgpr_dispatch_ptr 0
		.amdhsa_user_sgpr_queue_ptr 0
		.amdhsa_user_sgpr_kernarg_segment_ptr 1
		.amdhsa_user_sgpr_dispatch_id 0
		.amdhsa_user_sgpr_private_segment_size 0
		.amdhsa_wavefront_size32 1
		.amdhsa_uses_dynamic_stack 0
		.amdhsa_enable_private_segment 0
		.amdhsa_system_sgpr_workgroup_id_x 1
		.amdhsa_system_sgpr_workgroup_id_y 0
		.amdhsa_system_sgpr_workgroup_id_z 0
		.amdhsa_system_sgpr_workgroup_info 0
		.amdhsa_system_vgpr_workitem_id 0
		.amdhsa_next_free_vgpr 1
		.amdhsa_next_free_sgpr 1
		.amdhsa_reserve_vcc 0
		.amdhsa_float_round_mode_32 0
		.amdhsa_float_round_mode_16_64 0
		.amdhsa_float_denorm_mode_32 3
		.amdhsa_float_denorm_mode_16_64 3
		.amdhsa_dx10_clamp 1
		.amdhsa_ieee_mode 1
		.amdhsa_fp16_overflow 0
		.amdhsa_workgroup_processor_mode 1
		.amdhsa_memory_ordered 1
		.amdhsa_forward_progress 0
		.amdhsa_shared_vgpr_count 0
		.amdhsa_exception_fp_ieee_invalid_op 0
		.amdhsa_exception_fp_denorm_src 0
		.amdhsa_exception_fp_ieee_div_zero 0
		.amdhsa_exception_fp_ieee_overflow 0
		.amdhsa_exception_fp_ieee_underflow 0
		.amdhsa_exception_fp_ieee_inexact 0
		.amdhsa_exception_int_div_zero 0
	.end_amdhsa_kernel
	.section	.text._ZN7rocprim17ROCPRIM_400000_NS6detail17trampoline_kernelINS0_14default_configENS1_25partition_config_selectorILNS1_17partition_subalgoE5E10large_dataNS0_10empty_typeEbEEZZNS1_14partition_implILS5_5ELb0ES3_mN6thrust23THRUST_200600_302600_NS6detail15normal_iteratorINSB_10device_ptrIS6_EEEEPS7_NSB_18transform_iteratorI7is_evenIS6_ESG_NSB_11use_defaultESL_EENS0_5tupleIJSG_S7_EEENSN_IJSH_SH_EEES7_PlJS7_EEE10hipError_tPvRmT3_T4_T5_T6_T7_T9_mT8_P12ihipStream_tbDpT10_ENKUlT_T0_E_clISt17integral_constantIbLb1EES1A_EEDaS15_S16_EUlS15_E_NS1_11comp_targetILNS1_3genE10ELNS1_11target_archE1200ELNS1_3gpuE4ELNS1_3repE0EEENS1_30default_config_static_selectorELNS0_4arch9wavefront6targetE0EEEvT1_,"axG",@progbits,_ZN7rocprim17ROCPRIM_400000_NS6detail17trampoline_kernelINS0_14default_configENS1_25partition_config_selectorILNS1_17partition_subalgoE5E10large_dataNS0_10empty_typeEbEEZZNS1_14partition_implILS5_5ELb0ES3_mN6thrust23THRUST_200600_302600_NS6detail15normal_iteratorINSB_10device_ptrIS6_EEEEPS7_NSB_18transform_iteratorI7is_evenIS6_ESG_NSB_11use_defaultESL_EENS0_5tupleIJSG_S7_EEENSN_IJSH_SH_EEES7_PlJS7_EEE10hipError_tPvRmT3_T4_T5_T6_T7_T9_mT8_P12ihipStream_tbDpT10_ENKUlT_T0_E_clISt17integral_constantIbLb1EES1A_EEDaS15_S16_EUlS15_E_NS1_11comp_targetILNS1_3genE10ELNS1_11target_archE1200ELNS1_3gpuE4ELNS1_3repE0EEENS1_30default_config_static_selectorELNS0_4arch9wavefront6targetE0EEEvT1_,comdat
.Lfunc_end663:
	.size	_ZN7rocprim17ROCPRIM_400000_NS6detail17trampoline_kernelINS0_14default_configENS1_25partition_config_selectorILNS1_17partition_subalgoE5E10large_dataNS0_10empty_typeEbEEZZNS1_14partition_implILS5_5ELb0ES3_mN6thrust23THRUST_200600_302600_NS6detail15normal_iteratorINSB_10device_ptrIS6_EEEEPS7_NSB_18transform_iteratorI7is_evenIS6_ESG_NSB_11use_defaultESL_EENS0_5tupleIJSG_S7_EEENSN_IJSH_SH_EEES7_PlJS7_EEE10hipError_tPvRmT3_T4_T5_T6_T7_T9_mT8_P12ihipStream_tbDpT10_ENKUlT_T0_E_clISt17integral_constantIbLb1EES1A_EEDaS15_S16_EUlS15_E_NS1_11comp_targetILNS1_3genE10ELNS1_11target_archE1200ELNS1_3gpuE4ELNS1_3repE0EEENS1_30default_config_static_selectorELNS0_4arch9wavefront6targetE0EEEvT1_, .Lfunc_end663-_ZN7rocprim17ROCPRIM_400000_NS6detail17trampoline_kernelINS0_14default_configENS1_25partition_config_selectorILNS1_17partition_subalgoE5E10large_dataNS0_10empty_typeEbEEZZNS1_14partition_implILS5_5ELb0ES3_mN6thrust23THRUST_200600_302600_NS6detail15normal_iteratorINSB_10device_ptrIS6_EEEEPS7_NSB_18transform_iteratorI7is_evenIS6_ESG_NSB_11use_defaultESL_EENS0_5tupleIJSG_S7_EEENSN_IJSH_SH_EEES7_PlJS7_EEE10hipError_tPvRmT3_T4_T5_T6_T7_T9_mT8_P12ihipStream_tbDpT10_ENKUlT_T0_E_clISt17integral_constantIbLb1EES1A_EEDaS15_S16_EUlS15_E_NS1_11comp_targetILNS1_3genE10ELNS1_11target_archE1200ELNS1_3gpuE4ELNS1_3repE0EEENS1_30default_config_static_selectorELNS0_4arch9wavefront6targetE0EEEvT1_
                                        ; -- End function
	.section	.AMDGPU.csdata,"",@progbits
; Kernel info:
; codeLenInByte = 0
; NumSgprs: 0
; NumVgprs: 0
; ScratchSize: 0
; MemoryBound: 0
; FloatMode: 240
; IeeeMode: 1
; LDSByteSize: 0 bytes/workgroup (compile time only)
; SGPRBlocks: 0
; VGPRBlocks: 0
; NumSGPRsForWavesPerEU: 1
; NumVGPRsForWavesPerEU: 1
; Occupancy: 16
; WaveLimiterHint : 0
; COMPUTE_PGM_RSRC2:SCRATCH_EN: 0
; COMPUTE_PGM_RSRC2:USER_SGPR: 15
; COMPUTE_PGM_RSRC2:TRAP_HANDLER: 0
; COMPUTE_PGM_RSRC2:TGID_X_EN: 1
; COMPUTE_PGM_RSRC2:TGID_Y_EN: 0
; COMPUTE_PGM_RSRC2:TGID_Z_EN: 0
; COMPUTE_PGM_RSRC2:TIDIG_COMP_CNT: 0
	.section	.text._ZN7rocprim17ROCPRIM_400000_NS6detail17trampoline_kernelINS0_14default_configENS1_25partition_config_selectorILNS1_17partition_subalgoE5E10large_dataNS0_10empty_typeEbEEZZNS1_14partition_implILS5_5ELb0ES3_mN6thrust23THRUST_200600_302600_NS6detail15normal_iteratorINSB_10device_ptrIS6_EEEEPS7_NSB_18transform_iteratorI7is_evenIS6_ESG_NSB_11use_defaultESL_EENS0_5tupleIJSG_S7_EEENSN_IJSH_SH_EEES7_PlJS7_EEE10hipError_tPvRmT3_T4_T5_T6_T7_T9_mT8_P12ihipStream_tbDpT10_ENKUlT_T0_E_clISt17integral_constantIbLb1EES1A_EEDaS15_S16_EUlS15_E_NS1_11comp_targetILNS1_3genE9ELNS1_11target_archE1100ELNS1_3gpuE3ELNS1_3repE0EEENS1_30default_config_static_selectorELNS0_4arch9wavefront6targetE0EEEvT1_,"axG",@progbits,_ZN7rocprim17ROCPRIM_400000_NS6detail17trampoline_kernelINS0_14default_configENS1_25partition_config_selectorILNS1_17partition_subalgoE5E10large_dataNS0_10empty_typeEbEEZZNS1_14partition_implILS5_5ELb0ES3_mN6thrust23THRUST_200600_302600_NS6detail15normal_iteratorINSB_10device_ptrIS6_EEEEPS7_NSB_18transform_iteratorI7is_evenIS6_ESG_NSB_11use_defaultESL_EENS0_5tupleIJSG_S7_EEENSN_IJSH_SH_EEES7_PlJS7_EEE10hipError_tPvRmT3_T4_T5_T6_T7_T9_mT8_P12ihipStream_tbDpT10_ENKUlT_T0_E_clISt17integral_constantIbLb1EES1A_EEDaS15_S16_EUlS15_E_NS1_11comp_targetILNS1_3genE9ELNS1_11target_archE1100ELNS1_3gpuE3ELNS1_3repE0EEENS1_30default_config_static_selectorELNS0_4arch9wavefront6targetE0EEEvT1_,comdat
	.protected	_ZN7rocprim17ROCPRIM_400000_NS6detail17trampoline_kernelINS0_14default_configENS1_25partition_config_selectorILNS1_17partition_subalgoE5E10large_dataNS0_10empty_typeEbEEZZNS1_14partition_implILS5_5ELb0ES3_mN6thrust23THRUST_200600_302600_NS6detail15normal_iteratorINSB_10device_ptrIS6_EEEEPS7_NSB_18transform_iteratorI7is_evenIS6_ESG_NSB_11use_defaultESL_EENS0_5tupleIJSG_S7_EEENSN_IJSH_SH_EEES7_PlJS7_EEE10hipError_tPvRmT3_T4_T5_T6_T7_T9_mT8_P12ihipStream_tbDpT10_ENKUlT_T0_E_clISt17integral_constantIbLb1EES1A_EEDaS15_S16_EUlS15_E_NS1_11comp_targetILNS1_3genE9ELNS1_11target_archE1100ELNS1_3gpuE3ELNS1_3repE0EEENS1_30default_config_static_selectorELNS0_4arch9wavefront6targetE0EEEvT1_ ; -- Begin function _ZN7rocprim17ROCPRIM_400000_NS6detail17trampoline_kernelINS0_14default_configENS1_25partition_config_selectorILNS1_17partition_subalgoE5E10large_dataNS0_10empty_typeEbEEZZNS1_14partition_implILS5_5ELb0ES3_mN6thrust23THRUST_200600_302600_NS6detail15normal_iteratorINSB_10device_ptrIS6_EEEEPS7_NSB_18transform_iteratorI7is_evenIS6_ESG_NSB_11use_defaultESL_EENS0_5tupleIJSG_S7_EEENSN_IJSH_SH_EEES7_PlJS7_EEE10hipError_tPvRmT3_T4_T5_T6_T7_T9_mT8_P12ihipStream_tbDpT10_ENKUlT_T0_E_clISt17integral_constantIbLb1EES1A_EEDaS15_S16_EUlS15_E_NS1_11comp_targetILNS1_3genE9ELNS1_11target_archE1100ELNS1_3gpuE3ELNS1_3repE0EEENS1_30default_config_static_selectorELNS0_4arch9wavefront6targetE0EEEvT1_
	.globl	_ZN7rocprim17ROCPRIM_400000_NS6detail17trampoline_kernelINS0_14default_configENS1_25partition_config_selectorILNS1_17partition_subalgoE5E10large_dataNS0_10empty_typeEbEEZZNS1_14partition_implILS5_5ELb0ES3_mN6thrust23THRUST_200600_302600_NS6detail15normal_iteratorINSB_10device_ptrIS6_EEEEPS7_NSB_18transform_iteratorI7is_evenIS6_ESG_NSB_11use_defaultESL_EENS0_5tupleIJSG_S7_EEENSN_IJSH_SH_EEES7_PlJS7_EEE10hipError_tPvRmT3_T4_T5_T6_T7_T9_mT8_P12ihipStream_tbDpT10_ENKUlT_T0_E_clISt17integral_constantIbLb1EES1A_EEDaS15_S16_EUlS15_E_NS1_11comp_targetILNS1_3genE9ELNS1_11target_archE1100ELNS1_3gpuE3ELNS1_3repE0EEENS1_30default_config_static_selectorELNS0_4arch9wavefront6targetE0EEEvT1_
	.p2align	8
	.type	_ZN7rocprim17ROCPRIM_400000_NS6detail17trampoline_kernelINS0_14default_configENS1_25partition_config_selectorILNS1_17partition_subalgoE5E10large_dataNS0_10empty_typeEbEEZZNS1_14partition_implILS5_5ELb0ES3_mN6thrust23THRUST_200600_302600_NS6detail15normal_iteratorINSB_10device_ptrIS6_EEEEPS7_NSB_18transform_iteratorI7is_evenIS6_ESG_NSB_11use_defaultESL_EENS0_5tupleIJSG_S7_EEENSN_IJSH_SH_EEES7_PlJS7_EEE10hipError_tPvRmT3_T4_T5_T6_T7_T9_mT8_P12ihipStream_tbDpT10_ENKUlT_T0_E_clISt17integral_constantIbLb1EES1A_EEDaS15_S16_EUlS15_E_NS1_11comp_targetILNS1_3genE9ELNS1_11target_archE1100ELNS1_3gpuE3ELNS1_3repE0EEENS1_30default_config_static_selectorELNS0_4arch9wavefront6targetE0EEEvT1_,@function
_ZN7rocprim17ROCPRIM_400000_NS6detail17trampoline_kernelINS0_14default_configENS1_25partition_config_selectorILNS1_17partition_subalgoE5E10large_dataNS0_10empty_typeEbEEZZNS1_14partition_implILS5_5ELb0ES3_mN6thrust23THRUST_200600_302600_NS6detail15normal_iteratorINSB_10device_ptrIS6_EEEEPS7_NSB_18transform_iteratorI7is_evenIS6_ESG_NSB_11use_defaultESL_EENS0_5tupleIJSG_S7_EEENSN_IJSH_SH_EEES7_PlJS7_EEE10hipError_tPvRmT3_T4_T5_T6_T7_T9_mT8_P12ihipStream_tbDpT10_ENKUlT_T0_E_clISt17integral_constantIbLb1EES1A_EEDaS15_S16_EUlS15_E_NS1_11comp_targetILNS1_3genE9ELNS1_11target_archE1100ELNS1_3gpuE3ELNS1_3repE0EEENS1_30default_config_static_selectorELNS0_4arch9wavefront6targetE0EEEvT1_: ; @_ZN7rocprim17ROCPRIM_400000_NS6detail17trampoline_kernelINS0_14default_configENS1_25partition_config_selectorILNS1_17partition_subalgoE5E10large_dataNS0_10empty_typeEbEEZZNS1_14partition_implILS5_5ELb0ES3_mN6thrust23THRUST_200600_302600_NS6detail15normal_iteratorINSB_10device_ptrIS6_EEEEPS7_NSB_18transform_iteratorI7is_evenIS6_ESG_NSB_11use_defaultESL_EENS0_5tupleIJSG_S7_EEENSN_IJSH_SH_EEES7_PlJS7_EEE10hipError_tPvRmT3_T4_T5_T6_T7_T9_mT8_P12ihipStream_tbDpT10_ENKUlT_T0_E_clISt17integral_constantIbLb1EES1A_EEDaS15_S16_EUlS15_E_NS1_11comp_targetILNS1_3genE9ELNS1_11target_archE1100ELNS1_3gpuE3ELNS1_3repE0EEENS1_30default_config_static_selectorELNS0_4arch9wavefront6targetE0EEEvT1_
; %bb.0:
	s_mov_b32 s2, s15
	s_clause 0x6
	s_load_b128 s[8:11], s[0:1], 0x0
	s_load_b64 s[20:21], s[0:1], 0x10
	s_load_b64 s[16:17], s[0:1], 0x20
	;; [unrolled: 1-line block ×4, first 2 shown]
	s_load_b128 s[4:7], s[0:1], 0x48
	s_load_b64 s[14:15], s[0:1], 0x68
	s_mov_b32 s3, 0
	s_delay_alu instid0(SALU_CYCLE_1) | instskip(SKIP_4) | instid1(VALU_DEP_1)
	s_lshl_b64 s[22:23], s[2:3], 18
	v_cmp_eq_u32_e64 s2, 0, v0
	s_waitcnt lgkmcnt(0)
	s_add_u32 s8, s8, s22
	s_addc_u32 s9, s9, s23
	s_and_saveexec_b32 s3, s2
	s_cbranch_execz .LBB664_4
; %bb.1:
	s_mov_b32 s23, exec_lo
	s_mov_b32 s22, exec_lo
	v_mbcnt_lo_u32_b32 v1, s23, 0
                                        ; implicit-def: $vgpr2
	s_delay_alu instid0(VALU_DEP_1)
	v_cmpx_eq_u32_e32 0, v1
	s_cbranch_execz .LBB664_3
; %bb.2:
	s_load_b64 s[24:25], s[0:1], 0x78
	s_bcnt1_i32_b32 s23, s23
	s_delay_alu instid0(SALU_CYCLE_1)
	v_dual_mov_b32 v2, 0 :: v_dual_mov_b32 v3, s23
	s_waitcnt lgkmcnt(0)
	global_atomic_add_u32 v2, v2, v3, s[24:25] glc
.LBB664_3:
	s_or_b32 exec_lo, exec_lo, s22
	s_waitcnt vmcnt(0)
	v_readfirstlane_b32 s22, v2
	s_delay_alu instid0(VALU_DEP_1)
	v_dual_mov_b32 v2, 0 :: v_dual_add_nc_u32 v1, s22, v1
	global_store_b32 v2, v1, s[8:9]
.LBB664_4:
	s_or_b32 exec_lo, exec_lo, s3
	v_mov_b32_e32 v1, 0
	s_waitcnt_vscnt null, 0x0
	s_barrier
	buffer_gl0_inv
	s_load_b32 s3, s[0:1], 0x70
	global_load_b32 v2, v1, s[8:9]
	s_waitcnt vmcnt(0) lgkmcnt(0)
	s_barrier
	buffer_gl0_inv
	global_load_b64 v[9:10], v1, s[6:7]
	s_lshl_b64 s[0:1], s[20:21], 9
	s_delay_alu instid0(SALU_CYCLE_1) | instskip(SKIP_4) | instid1(SALU_CYCLE_1)
	s_add_u32 s22, s10, s0
	s_addc_u32 s23, s11, s1
	s_add_i32 s10, s3, -1
	s_lshl_b32 s3, s3, 8
	s_lshl_b32 s6, s10, 8
	s_add_i32 s24, s20, s6
	s_add_u32 s6, s20, s3
	s_addc_u32 s7, s21, 0
	s_delay_alu instid0(SALU_CYCLE_1) | instskip(SKIP_3) | instid1(VALU_DEP_1)
	v_cmp_ge_u64_e64 s6, s[6:7], s[18:19]
	s_mov_b32 s19, -1
	s_mov_b32 s7, 0
	v_readfirstlane_b32 s11, v2
	s_cmp_eq_u32 s11, s10
	s_cselect_b32 s3, -1, 0
	s_delay_alu instid0(SALU_CYCLE_1) | instskip(NEXT) | instid1(SALU_CYCLE_1)
	s_and_b32 s6, s6, s3
	s_xor_b32 s10, s6, -1
	s_lshl_b32 s6, s11, 8
	s_and_b32 vcc_lo, exec_lo, s10
	s_cbranch_vccz .LBB664_6
; %bb.5:
	v_lshlrev_b32_e32 v3, 9, v0
	s_lshl_b64 s[20:21], s[6:7], 9
	s_delay_alu instid0(SALU_CYCLE_1) | instskip(SKIP_1) | instid1(VALU_DEP_1)
	s_add_u32 s19, s22, s20
	s_addc_u32 s20, s23, s21
	v_add_co_u32 v1, s19, s19, v3
	s_delay_alu instid0(VALU_DEP_1) | instskip(SKIP_2) | instid1(VALU_DEP_1)
	v_add_co_ci_u32_e64 v2, null, s20, 0, s19
	flat_load_u8 v4, v[1:2]
	v_add_co_u32 v1, s19, s8, v3
	v_add_co_ci_u32_e64 v2, null, s9, 0, s19
	s_mov_b32 s19, 0
	s_waitcnt vmcnt(0) lgkmcnt(0)
	global_store_b8 v3, v4, s[8:9]
	s_waitcnt_vscnt null, 0x0
	s_barrier
	s_branch .LBB664_7
.LBB664_6:
                                        ; implicit-def: $vgpr1_vgpr2
.LBB664_7:
	v_dual_mov_b32 v3, s6 :: v_dual_mov_b32 v4, s7
	s_and_not1_b32 vcc_lo, exec_lo, s19
	s_sub_i32 s18, s18, s24
	s_cbranch_vccnz .LBB664_13
; %bb.8:
	s_mov_b32 s7, exec_lo
	v_cmpx_le_u32_e64 s18, v0
	s_xor_b32 s19, exec_lo, s7
; %bb.9:
	v_mov_b32_e32 v1, 0
	s_mov_b32 s7, 0
; %bb.10:
	s_or_saveexec_b32 s19, s19
	v_dual_mov_b32 v3, s6 :: v_dual_mov_b32 v4, s7
	v_mov_b32_e32 v5, s7
	s_xor_b32 exec_lo, exec_lo, s19
	s_cbranch_execz .LBB664_12
; %bb.11:
	s_mov_b32 s7, 0
	v_lshlrev_b32_e32 v1, 9, v0
	s_lshl_b64 s[20:21], s[6:7], 9
	v_dual_mov_b32 v3, s6 :: v_dual_mov_b32 v4, s7
	s_add_u32 s20, s22, s20
	s_addc_u32 s21, s23, s21
	v_add_co_u32 v1, s20, s20, v1
	s_delay_alu instid0(VALU_DEP_1)
	v_add_co_ci_u32_e64 v2, null, s21, 0, s20
	flat_load_u8 v5, v[1:2]
	v_mov_b32_e32 v1, 0
.LBB664_12:
	s_or_b32 exec_lo, exec_lo, s19
	s_delay_alu instid0(VALU_DEP_1) | instskip(NEXT) | instid1(VALU_DEP_1)
	v_lshlrev_b64 v[1:2], 9, v[0:1]
	v_add_co_u32 v1, vcc_lo, s8, v1
	s_delay_alu instid0(VALU_DEP_2)
	v_add_co_ci_u32_e32 v2, vcc_lo, s9, v2, vcc_lo
	s_waitcnt vmcnt(0) lgkmcnt(0)
	global_store_b8 v[1:2], v5, off
	s_waitcnt_vscnt null, 0x0
	s_barrier
.LBB664_13:
	s_waitcnt vmcnt(0)
	buffer_gl0_inv
	global_load_u8 v19, v[1:2], off
	v_lshlrev_b64 v[1:2], 9, v[3:4]
	s_add_u32 s0, s16, s0
	s_addc_u32 s1, s17, s1
	s_waitcnt vmcnt(0)
	s_barrier
	buffer_gl0_inv
	v_add_co_u32 v3, vcc_lo, s0, v1
	v_add_co_ci_u32_e32 v4, vcc_lo, s1, v2, vcc_lo
	s_and_b32 vcc_lo, exec_lo, s10
	s_cbranch_vccz .LBB664_15
; %bb.14:
	v_lshlrev_b32_e32 v1, 9, v0
	s_delay_alu instid0(VALU_DEP_1) | instskip(SKIP_4) | instid1(VALU_DEP_1)
	v_add_co_u32 v1, vcc_lo, v3, v1
	v_add_co_ci_u32_e32 v2, vcc_lo, 0, v4, vcc_lo
	global_load_u8 v1, v[1:2], off
	s_waitcnt vmcnt(0)
	v_xor_b32_e32 v1, -1, v1
	v_and_b32_e32 v5, 1, v1
	v_add_co_u32 v1, s0, s8, v0
	s_delay_alu instid0(VALU_DEP_1)
	v_add_co_ci_u32_e64 v2, null, s9, 0, s0
	global_store_b8 v0, v5, s[8:9]
	s_waitcnt_vscnt null, 0x0
	s_barrier
	s_cbranch_execz .LBB664_16
	s_branch .LBB664_19
.LBB664_15:
                                        ; implicit-def: $vgpr1_vgpr2
.LBB664_16:
	v_mov_b32_e32 v5, 0
	s_mov_b32 s0, exec_lo
	v_cmpx_gt_u32_e64 s18, v0
	s_cbranch_execz .LBB664_18
; %bb.17:
	v_lshlrev_b32_e32 v1, 9, v0
	s_delay_alu instid0(VALU_DEP_1) | instskip(SKIP_4) | instid1(VALU_DEP_1)
	v_add_co_u32 v1, vcc_lo, v3, v1
	v_add_co_ci_u32_e32 v2, vcc_lo, 0, v4, vcc_lo
	global_load_u8 v1, v[1:2], off
	s_waitcnt vmcnt(0)
	v_xor_b32_e32 v1, -1, v1
	v_and_b32_e32 v5, 1, v1
.LBB664_18:
	s_or_b32 exec_lo, exec_lo, s0
	v_add_co_u32 v1, s0, s8, v0
	s_delay_alu instid0(VALU_DEP_1)
	v_add_co_ci_u32_e64 v2, null, s9, 0, s0
	global_store_b8 v[1:2], v5, off
	s_waitcnt_vscnt null, 0x0
	s_barrier
.LBB664_19:
	buffer_gl0_inv
	global_load_u8 v1, v[1:2], off
	v_mov_b32_e32 v12, 0
	v_mbcnt_lo_u32_b32 v20, -1, 0
	s_cmp_lg_u32 s11, 0
	s_waitcnt vmcnt(0)
	s_barrier
	buffer_gl0_inv
	v_and_b32_e32 v11, 1, v1
	v_and_b32_e32 v21, 0xff, v1
	s_cbranch_scc0 .LBB664_90
; %bb.20:
	v_dual_mov_b32 v2, v12 :: v_dual_and_b32 v7, 0xff, v1
	s_delay_alu instid0(VALU_DEP_3) | instskip(SKIP_2) | instid1(VALU_DEP_4)
	v_mov_b32_e32 v3, v11
	v_dual_mov_b32 v4, v12 :: v_dual_and_b32 v5, 15, v20
	v_mov_b32_dpp v6, v12 row_shr:1 row_mask:0xf bank_mask:0xf
	v_mov_b32_dpp v1, v7 row_shr:1 row_mask:0xf bank_mask:0xf
	s_mov_b32 s0, exec_lo
	s_delay_alu instid0(VALU_DEP_3)
	v_cmpx_ne_u32_e32 0, v5
; %bb.21:
	s_delay_alu instid0(VALU_DEP_2) | instskip(NEXT) | instid1(VALU_DEP_1)
	v_add_co_u32 v7, s1, v1, v11
	v_add_co_ci_u32_e64 v2, null, 0, 0, s1
	s_delay_alu instid0(VALU_DEP_2) | instskip(NEXT) | instid1(VALU_DEP_2)
	v_add_co_u32 v1, vcc_lo, 0, v7
	v_add_co_ci_u32_e32 v2, vcc_lo, v6, v2, vcc_lo
	s_delay_alu instid0(VALU_DEP_1)
	v_dual_mov_b32 v4, v2 :: v_dual_mov_b32 v3, v1
; %bb.22:
	s_or_b32 exec_lo, exec_lo, s0
	v_mov_b32_dpp v1, v7 row_shr:2 row_mask:0xf bank_mask:0xf
	v_mov_b32_dpp v6, v2 row_shr:2 row_mask:0xf bank_mask:0xf
	s_mov_b32 s0, exec_lo
	v_cmpx_lt_u32_e32 1, v5
; %bb.23:
	s_delay_alu instid0(VALU_DEP_3) | instskip(SKIP_1) | instid1(VALU_DEP_2)
	v_add_co_u32 v7, vcc_lo, v3, v1
	v_add_co_ci_u32_e32 v2, vcc_lo, 0, v4, vcc_lo
	v_add_co_u32 v1, vcc_lo, 0, v7
	s_delay_alu instid0(VALU_DEP_2) | instskip(NEXT) | instid1(VALU_DEP_1)
	v_add_co_ci_u32_e32 v2, vcc_lo, v6, v2, vcc_lo
	v_dual_mov_b32 v4, v2 :: v_dual_mov_b32 v3, v1
; %bb.24:
	s_or_b32 exec_lo, exec_lo, s0
	v_mov_b32_dpp v1, v7 row_shr:4 row_mask:0xf bank_mask:0xf
	v_mov_b32_dpp v6, v2 row_shr:4 row_mask:0xf bank_mask:0xf
	s_mov_b32 s0, exec_lo
	v_cmpx_lt_u32_e32 3, v5
; %bb.25:
	s_delay_alu instid0(VALU_DEP_3) | instskip(SKIP_1) | instid1(VALU_DEP_2)
	v_add_co_u32 v7, vcc_lo, v3, v1
	v_add_co_ci_u32_e32 v2, vcc_lo, 0, v4, vcc_lo
	v_add_co_u32 v1, vcc_lo, 0, v7
	s_delay_alu instid0(VALU_DEP_2) | instskip(NEXT) | instid1(VALU_DEP_1)
	v_add_co_ci_u32_e32 v2, vcc_lo, v6, v2, vcc_lo
	;; [unrolled: 14-line block ×3, first 2 shown]
	v_mov_b32_e32 v2, v4
; %bb.28:
	s_or_b32 exec_lo, exec_lo, s0
	ds_swizzle_b32 v1, v7 offset:swizzle(BROADCAST,32,15)
	ds_swizzle_b32 v5, v2 offset:swizzle(BROADCAST,32,15)
	v_and_b32_e32 v6, 16, v20
	s_mov_b32 s0, exec_lo
	s_delay_alu instid0(VALU_DEP_1)
	v_cmpx_ne_u32_e32 0, v6
	s_cbranch_execz .LBB664_30
; %bb.29:
	s_waitcnt lgkmcnt(1)
	v_add_co_u32 v7, vcc_lo, v3, v1
	v_add_co_ci_u32_e32 v2, vcc_lo, 0, v4, vcc_lo
	s_delay_alu instid0(VALU_DEP_2) | instskip(SKIP_1) | instid1(VALU_DEP_2)
	v_add_co_u32 v1, vcc_lo, 0, v7
	s_waitcnt lgkmcnt(0)
	v_add_co_ci_u32_e32 v2, vcc_lo, v5, v2, vcc_lo
	s_delay_alu instid0(VALU_DEP_1)
	v_dual_mov_b32 v4, v2 :: v_dual_mov_b32 v3, v1
.LBB664_30:
	s_or_b32 exec_lo, exec_lo, s0
	s_waitcnt lgkmcnt(0)
	v_or_b32_e32 v5, 31, v0
	v_lshrrev_b32_e32 v1, 5, v0
	s_mov_b32 s0, exec_lo
	s_delay_alu instid0(VALU_DEP_2)
	v_cmpx_eq_u32_e64 v5, v0
	s_cbranch_execz .LBB664_32
; %bb.31:
	s_delay_alu instid0(VALU_DEP_2)
	v_lshlrev_b32_e32 v5, 3, v1
	global_store_b64 v5, v[3:4], s[8:9]
.LBB664_32:
	s_or_b32 exec_lo, exec_lo, s0
	s_delay_alu instid0(SALU_CYCLE_1)
	s_mov_b32 s0, exec_lo
	s_waitcnt_vscnt null, 0x0
	s_barrier
	buffer_gl0_inv
	v_cmpx_gt_u32_e32 8, v0
	s_cbranch_execz .LBB664_40
; %bb.33:
	v_lshlrev_b32_e32 v5, 3, v0
	s_mov_b32 s1, exec_lo
	global_load_b64 v[3:4], v5, s[8:9]
	s_waitcnt vmcnt(0)
	v_dual_mov_b32 v13, v3 :: v_dual_and_b32 v8, 7, v20
	v_mov_b32_dpp v14, v3 row_shr:1 row_mask:0xf bank_mask:0xf
	v_mov_b32_dpp v6, v4 row_shr:1 row_mask:0xf bank_mask:0xf
	s_delay_alu instid0(VALU_DEP_3)
	v_cmpx_ne_u32_e32 0, v8
; %bb.34:
	s_delay_alu instid0(VALU_DEP_3) | instskip(SKIP_1) | instid1(VALU_DEP_2)
	v_add_co_u32 v13, vcc_lo, v3, v14
	v_add_co_ci_u32_e32 v4, vcc_lo, 0, v4, vcc_lo
	v_add_co_u32 v3, vcc_lo, 0, v13
	s_delay_alu instid0(VALU_DEP_2)
	v_add_co_ci_u32_e32 v4, vcc_lo, v6, v4, vcc_lo
; %bb.35:
	s_or_b32 exec_lo, exec_lo, s1
	v_add_co_u32 v5, s1, s8, v5
	s_delay_alu instid0(VALU_DEP_1)
	v_add_co_ci_u32_e64 v6, null, s9, 0, s1
	v_mov_b32_dpp v15, v13 row_shr:2 row_mask:0xf bank_mask:0xf
	v_mov_b32_dpp v14, v4 row_shr:2 row_mask:0xf bank_mask:0xf
	s_mov_b32 s1, exec_lo
	v_cmpx_lt_u32_e32 1, v8
; %bb.36:
	s_delay_alu instid0(VALU_DEP_3) | instskip(SKIP_1) | instid1(VALU_DEP_2)
	v_add_co_u32 v13, vcc_lo, v3, v15
	v_add_co_ci_u32_e32 v4, vcc_lo, 0, v4, vcc_lo
	v_add_co_u32 v3, vcc_lo, 0, v13
	s_delay_alu instid0(VALU_DEP_2)
	v_add_co_ci_u32_e32 v4, vcc_lo, v14, v4, vcc_lo
; %bb.37:
	s_or_b32 exec_lo, exec_lo, s1
	v_mov_b32_dpp v14, v13 row_shr:4 row_mask:0xf bank_mask:0xf
	s_delay_alu instid0(VALU_DEP_2)
	v_mov_b32_dpp v13, v4 row_shr:4 row_mask:0xf bank_mask:0xf
	s_mov_b32 s1, exec_lo
	v_cmpx_lt_u32_e32 3, v8
; %bb.38:
	s_delay_alu instid0(VALU_DEP_3) | instskip(SKIP_1) | instid1(VALU_DEP_2)
	v_add_co_u32 v3, vcc_lo, v3, v14
	v_add_co_ci_u32_e32 v4, vcc_lo, 0, v4, vcc_lo
	v_add_co_u32 v3, vcc_lo, v3, 0
	s_delay_alu instid0(VALU_DEP_2)
	v_add_co_ci_u32_e32 v4, vcc_lo, v4, v13, vcc_lo
; %bb.39:
	s_or_b32 exec_lo, exec_lo, s1
	global_store_b64 v[5:6], v[3:4], off
.LBB664_40:
	s_or_b32 exec_lo, exec_lo, s0
	v_cmp_gt_u32_e32 vcc_lo, 32, v0
	s_mov_b32 s1, exec_lo
	s_waitcnt_vscnt null, 0x0
	s_barrier
	buffer_gl0_inv
                                        ; implicit-def: $vgpr13_vgpr14
	v_cmpx_lt_u32_e32 31, v0
	s_cbranch_execz .LBB664_42
; %bb.41:
	v_dual_mov_b32 v4, 0 :: v_dual_add_nc_u32 v3, -1, v1
	s_delay_alu instid0(VALU_DEP_1) | instskip(NEXT) | instid1(VALU_DEP_1)
	v_lshlrev_b64 v[3:4], 3, v[3:4]
	v_add_co_u32 v3, s0, s8, v3
	s_delay_alu instid0(VALU_DEP_1) | instskip(SKIP_3) | instid1(VALU_DEP_1)
	v_add_co_ci_u32_e64 v4, s0, s9, v4, s0
	global_load_b64 v[13:14], v[3:4], off
	s_waitcnt vmcnt(0)
	v_add_co_u32 v7, s0, v7, v13
	v_add_co_ci_u32_e64 v2, s0, v2, v14, s0
.LBB664_42:
	s_or_b32 exec_lo, exec_lo, s1
	v_add_nc_u32_e32 v1, -1, v20
	s_delay_alu instid0(VALU_DEP_1) | instskip(NEXT) | instid1(VALU_DEP_1)
	v_cmp_gt_i32_e64 s0, 0, v1
	v_cndmask_b32_e64 v1, v1, v20, s0
	v_cmp_eq_u32_e64 s0, 0, v20
	s_delay_alu instid0(VALU_DEP_2)
	v_lshlrev_b32_e32 v1, 2, v1
	ds_bpermute_b32 v22, v1, v7
	ds_bpermute_b32 v23, v1, v2
	s_and_saveexec_b32 s1, vcc_lo
	s_cbranch_execz .LBB664_85
; %bb.43:
	v_mov_b32_e32 v4, 0
	global_load_b64 v[1:2], v4, s[8:9] offset:56
	s_and_saveexec_b32 s6, s0
	s_cbranch_execz .LBB664_45
; %bb.44:
	s_add_i32 s16, s11, 32
	s_mov_b32 s17, 0
	s_delay_alu instid0(SALU_CYCLE_1) | instskip(NEXT) | instid1(SALU_CYCLE_1)
	s_lshl_b64 s[16:17], s[16:17], 4
	s_add_u32 s16, s14, s16
	s_addc_u32 s17, s15, s17
	v_mov_b32_e32 v5, s16
	v_dual_mov_b32 v3, 1 :: v_dual_mov_b32 v6, s17
	s_waitcnt vmcnt(0)
	;;#ASMSTART
	global_store_dwordx4 v[5:6], v[1:4] off	
s_waitcnt vmcnt(0)
	;;#ASMEND
.LBB664_45:
	s_or_b32 exec_lo, exec_lo, s6
	v_xad_u32 v15, v20, -1, s11
	s_mov_b32 s7, 0
	s_mov_b32 s6, exec_lo
	s_delay_alu instid0(VALU_DEP_1) | instskip(NEXT) | instid1(VALU_DEP_1)
	v_add_nc_u32_e32 v3, 32, v15
	v_lshlrev_b64 v[3:4], 4, v[3:4]
	s_delay_alu instid0(VALU_DEP_1) | instskip(NEXT) | instid1(VALU_DEP_2)
	v_add_co_u32 v3, vcc_lo, s14, v3
	v_add_co_ci_u32_e32 v4, vcc_lo, s15, v4, vcc_lo
	;;#ASMSTART
	global_load_dwordx4 v[5:8], v[3:4] off glc	
s_waitcnt vmcnt(0)
	;;#ASMEND
	v_and_b32_e32 v8, 0xff, v6
	v_and_b32_e32 v16, 0xff00, v6
	v_or3_b32 v5, v5, 0, 0
	v_and_b32_e32 v17, 0xff000000, v6
	v_and_b32_e32 v6, 0xff0000, v6
	s_delay_alu instid0(VALU_DEP_4) | instskip(SKIP_2) | instid1(VALU_DEP_3)
	v_or3_b32 v8, 0, v8, v16
	v_and_b32_e32 v16, 0xff, v7
	v_or3_b32 v5, v5, 0, 0
	v_or3_b32 v6, v8, v6, v17
	s_delay_alu instid0(VALU_DEP_3)
	v_cmpx_eq_u16_e32 0, v16
	s_cbranch_execz .LBB664_51
; %bb.46:
	s_mov_b32 s16, 1
	.p2align	6
.LBB664_47:                             ; =>This Loop Header: Depth=1
                                        ;     Child Loop BB664_48 Depth 2
	s_delay_alu instid0(SALU_CYCLE_1)
	s_max_u32 s17, s16, 1
.LBB664_48:                             ;   Parent Loop BB664_47 Depth=1
                                        ; =>  This Inner Loop Header: Depth=2
	s_delay_alu instid0(SALU_CYCLE_1)
	s_add_i32 s17, s17, -1
	s_sleep 1
	s_cmp_eq_u32 s17, 0
	s_cbranch_scc0 .LBB664_48
; %bb.49:                               ;   in Loop: Header=BB664_47 Depth=1
	;;#ASMSTART
	global_load_dwordx4 v[5:8], v[3:4] off glc	
s_waitcnt vmcnt(0)
	;;#ASMEND
	v_and_b32_e32 v8, 0xff, v7
	s_cmp_lt_u32 s16, 32
	s_cselect_b32 s17, -1, 0
	s_delay_alu instid0(SALU_CYCLE_1) | instskip(NEXT) | instid1(VALU_DEP_1)
	s_cmp_lg_u32 s17, 0
	v_cmp_ne_u16_e32 vcc_lo, 0, v8
	s_addc_u32 s16, s16, 0
	s_or_b32 s7, vcc_lo, s7
	s_delay_alu instid0(SALU_CYCLE_1)
	s_and_not1_b32 exec_lo, exec_lo, s7
	s_cbranch_execnz .LBB664_47
; %bb.50:
	s_or_b32 exec_lo, exec_lo, s7
.LBB664_51:
	s_delay_alu instid0(SALU_CYCLE_1)
	s_or_b32 exec_lo, exec_lo, s6
	v_cmp_ne_u32_e32 vcc_lo, 31, v20
	v_and_b32_e32 v4, 0xff, v7
	v_lshlrev_b32_e64 v25, v20, -1
	s_mov_b32 s6, exec_lo
	v_add_co_ci_u32_e32 v3, vcc_lo, 0, v20, vcc_lo
	s_delay_alu instid0(VALU_DEP_3) | instskip(SKIP_1) | instid1(VALU_DEP_3)
	v_cmp_eq_u16_e32 vcc_lo, 2, v4
	v_mov_b32_e32 v4, v5
	v_lshlrev_b32_e32 v24, 2, v3
	v_and_or_b32 v3, vcc_lo, v25, 0x80000000
	ds_bpermute_b32 v16, v24, v5
	ds_bpermute_b32 v8, v24, v6
	v_ctz_i32_b32_e32 v3, v3
	s_delay_alu instid0(VALU_DEP_1)
	v_cmpx_lt_u32_e64 v20, v3
	s_cbranch_execz .LBB664_53
; %bb.52:
	s_waitcnt lgkmcnt(1)
	v_add_co_u32 v4, vcc_lo, v5, v16
	v_add_co_ci_u32_e32 v6, vcc_lo, 0, v6, vcc_lo
	s_delay_alu instid0(VALU_DEP_2) | instskip(SKIP_1) | instid1(VALU_DEP_2)
	v_add_co_u32 v5, vcc_lo, 0, v4
	s_waitcnt lgkmcnt(0)
	v_add_co_ci_u32_e32 v6, vcc_lo, v8, v6, vcc_lo
.LBB664_53:
	s_or_b32 exec_lo, exec_lo, s6
	v_cmp_gt_u32_e32 vcc_lo, 30, v20
	v_add_nc_u32_e32 v27, 2, v20
	s_mov_b32 s6, exec_lo
	s_waitcnt lgkmcnt(0)
	v_cndmask_b32_e64 v8, 0, 1, vcc_lo
	s_delay_alu instid0(VALU_DEP_1) | instskip(NEXT) | instid1(VALU_DEP_1)
	v_lshlrev_b32_e32 v8, 1, v8
	v_add_lshl_u32 v26, v8, v20, 2
	ds_bpermute_b32 v16, v26, v4
	ds_bpermute_b32 v8, v26, v6
	v_cmpx_le_u32_e64 v27, v3
	s_cbranch_execz .LBB664_55
; %bb.54:
	s_waitcnt lgkmcnt(1)
	v_add_co_u32 v4, vcc_lo, v5, v16
	v_add_co_ci_u32_e32 v6, vcc_lo, 0, v6, vcc_lo
	s_delay_alu instid0(VALU_DEP_2) | instskip(SKIP_1) | instid1(VALU_DEP_2)
	v_add_co_u32 v5, vcc_lo, 0, v4
	s_waitcnt lgkmcnt(0)
	v_add_co_ci_u32_e32 v6, vcc_lo, v8, v6, vcc_lo
.LBB664_55:
	s_or_b32 exec_lo, exec_lo, s6
	v_cmp_gt_u32_e32 vcc_lo, 28, v20
	v_add_nc_u32_e32 v29, 4, v20
	s_mov_b32 s6, exec_lo
	s_waitcnt lgkmcnt(0)
	v_cndmask_b32_e64 v8, 0, 1, vcc_lo
	s_delay_alu instid0(VALU_DEP_1) | instskip(NEXT) | instid1(VALU_DEP_1)
	v_lshlrev_b32_e32 v8, 2, v8
	v_add_lshl_u32 v28, v8, v20, 2
	ds_bpermute_b32 v16, v28, v4
	ds_bpermute_b32 v8, v28, v6
	v_cmpx_le_u32_e64 v29, v3
	;; [unrolled: 22-line block ×4, first 2 shown]
	s_cbranch_execz .LBB664_61
; %bb.60:
	s_waitcnt lgkmcnt(1)
	v_add_co_u32 v3, vcc_lo, v5, v8
	v_add_co_ci_u32_e32 v6, vcc_lo, 0, v6, vcc_lo
	s_delay_alu instid0(VALU_DEP_2) | instskip(SKIP_1) | instid1(VALU_DEP_2)
	v_add_co_u32 v5, vcc_lo, v3, 0
	s_waitcnt lgkmcnt(0)
	v_add_co_ci_u32_e32 v6, vcc_lo, v6, v4, vcc_lo
.LBB664_61:
	s_or_b32 exec_lo, exec_lo, s6
	v_mov_b32_e32 v16, 0
	s_branch .LBB664_63
.LBB664_62:                             ;   in Loop: Header=BB664_63 Depth=1
	s_or_b32 exec_lo, exec_lo, s6
	v_add_co_u32 v5, vcc_lo, v5, v3
	v_subrev_nc_u32_e32 v15, 32, v15
	v_add_co_ci_u32_e32 v6, vcc_lo, v6, v4, vcc_lo
.LBB664_63:                             ; =>This Loop Header: Depth=1
                                        ;     Child Loop BB664_66 Depth 2
                                        ;       Child Loop BB664_67 Depth 3
	v_and_b32_e32 v3, 0xff, v7
	s_delay_alu instid0(VALU_DEP_1) | instskip(SKIP_2) | instid1(VALU_DEP_1)
	v_cmp_ne_u16_e32 vcc_lo, 2, v3
	v_cndmask_b32_e64 v3, 0, 1, vcc_lo
	;;#ASMSTART
	;;#ASMEND
	v_cmp_ne_u32_e32 vcc_lo, 0, v3
	s_waitcnt lgkmcnt(0)
	v_dual_mov_b32 v3, v5 :: v_dual_mov_b32 v4, v6
	s_cmp_lg_u32 vcc_lo, exec_lo
	s_cbranch_scc1 .LBB664_80
; %bb.64:                               ;   in Loop: Header=BB664_63 Depth=1
	v_lshlrev_b64 v[5:6], 4, v[15:16]
	s_mov_b32 s6, exec_lo
	s_delay_alu instid0(VALU_DEP_1) | instskip(NEXT) | instid1(VALU_DEP_2)
	v_add_co_u32 v17, vcc_lo, s14, v5
	v_add_co_ci_u32_e32 v18, vcc_lo, s15, v6, vcc_lo
	;;#ASMSTART
	global_load_dwordx4 v[5:8], v[17:18] off glc	
s_waitcnt vmcnt(0)
	;;#ASMEND
	v_and_b32_e32 v8, 0xff, v6
	v_and_b32_e32 v34, 0xff00, v6
	v_or3_b32 v5, v5, 0, 0
	v_and_b32_e32 v35, 0xff000000, v6
	v_and_b32_e32 v6, 0xff0000, v6
	s_delay_alu instid0(VALU_DEP_4) | instskip(SKIP_2) | instid1(VALU_DEP_3)
	v_or3_b32 v8, 0, v8, v34
	v_and_b32_e32 v34, 0xff, v7
	v_or3_b32 v5, v5, 0, 0
	v_or3_b32 v6, v8, v6, v35
	s_delay_alu instid0(VALU_DEP_3)
	v_cmpx_eq_u16_e32 0, v34
	s_cbranch_execz .LBB664_70
; %bb.65:                               ;   in Loop: Header=BB664_63 Depth=1
	s_mov_b32 s16, 1
	s_mov_b32 s7, 0
	.p2align	6
.LBB664_66:                             ;   Parent Loop BB664_63 Depth=1
                                        ; =>  This Loop Header: Depth=2
                                        ;       Child Loop BB664_67 Depth 3
	s_max_u32 s17, s16, 1
.LBB664_67:                             ;   Parent Loop BB664_63 Depth=1
                                        ;     Parent Loop BB664_66 Depth=2
                                        ; =>    This Inner Loop Header: Depth=3
	s_delay_alu instid0(SALU_CYCLE_1)
	s_add_i32 s17, s17, -1
	s_sleep 1
	s_cmp_eq_u32 s17, 0
	s_cbranch_scc0 .LBB664_67
; %bb.68:                               ;   in Loop: Header=BB664_66 Depth=2
	;;#ASMSTART
	global_load_dwordx4 v[5:8], v[17:18] off glc	
s_waitcnt vmcnt(0)
	;;#ASMEND
	v_and_b32_e32 v8, 0xff, v7
	s_cmp_lt_u32 s16, 32
	s_cselect_b32 s17, -1, 0
	s_delay_alu instid0(SALU_CYCLE_1) | instskip(NEXT) | instid1(VALU_DEP_1)
	s_cmp_lg_u32 s17, 0
	v_cmp_ne_u16_e32 vcc_lo, 0, v8
	s_addc_u32 s16, s16, 0
	s_or_b32 s7, vcc_lo, s7
	s_delay_alu instid0(SALU_CYCLE_1)
	s_and_not1_b32 exec_lo, exec_lo, s7
	s_cbranch_execnz .LBB664_66
; %bb.69:                               ;   in Loop: Header=BB664_63 Depth=1
	s_or_b32 exec_lo, exec_lo, s7
.LBB664_70:                             ;   in Loop: Header=BB664_63 Depth=1
	s_delay_alu instid0(SALU_CYCLE_1)
	s_or_b32 exec_lo, exec_lo, s6
	v_dual_mov_b32 v17, v5 :: v_dual_and_b32 v8, 0xff, v7
	ds_bpermute_b32 v34, v24, v5
	ds_bpermute_b32 v18, v24, v6
	s_mov_b32 s6, exec_lo
	v_cmp_eq_u16_e32 vcc_lo, 2, v8
	v_and_or_b32 v8, vcc_lo, v25, 0x80000000
	s_delay_alu instid0(VALU_DEP_1) | instskip(NEXT) | instid1(VALU_DEP_1)
	v_ctz_i32_b32_e32 v8, v8
	v_cmpx_lt_u32_e64 v20, v8
	s_cbranch_execz .LBB664_72
; %bb.71:                               ;   in Loop: Header=BB664_63 Depth=1
	s_waitcnt lgkmcnt(1)
	v_add_co_u32 v17, vcc_lo, v5, v34
	v_add_co_ci_u32_e32 v6, vcc_lo, 0, v6, vcc_lo
	s_delay_alu instid0(VALU_DEP_2) | instskip(SKIP_1) | instid1(VALU_DEP_2)
	v_add_co_u32 v5, vcc_lo, 0, v17
	s_waitcnt lgkmcnt(0)
	v_add_co_ci_u32_e32 v6, vcc_lo, v18, v6, vcc_lo
.LBB664_72:                             ;   in Loop: Header=BB664_63 Depth=1
	s_or_b32 exec_lo, exec_lo, s6
	s_waitcnt lgkmcnt(1)
	ds_bpermute_b32 v34, v26, v17
	s_waitcnt lgkmcnt(1)
	ds_bpermute_b32 v18, v26, v6
	s_mov_b32 s6, exec_lo
	v_cmpx_le_u32_e64 v27, v8
	s_cbranch_execz .LBB664_74
; %bb.73:                               ;   in Loop: Header=BB664_63 Depth=1
	s_waitcnt lgkmcnt(1)
	v_add_co_u32 v17, vcc_lo, v5, v34
	v_add_co_ci_u32_e32 v6, vcc_lo, 0, v6, vcc_lo
	s_delay_alu instid0(VALU_DEP_2) | instskip(SKIP_1) | instid1(VALU_DEP_2)
	v_add_co_u32 v5, vcc_lo, 0, v17
	s_waitcnt lgkmcnt(0)
	v_add_co_ci_u32_e32 v6, vcc_lo, v18, v6, vcc_lo
.LBB664_74:                             ;   in Loop: Header=BB664_63 Depth=1
	s_or_b32 exec_lo, exec_lo, s6
	s_waitcnt lgkmcnt(1)
	ds_bpermute_b32 v34, v28, v17
	s_waitcnt lgkmcnt(1)
	ds_bpermute_b32 v18, v28, v6
	s_mov_b32 s6, exec_lo
	v_cmpx_le_u32_e64 v29, v8
	;; [unrolled: 17-line block ×3, first 2 shown]
	s_cbranch_execz .LBB664_78
; %bb.77:                               ;   in Loop: Header=BB664_63 Depth=1
	s_waitcnt lgkmcnt(1)
	v_add_co_u32 v17, vcc_lo, v5, v34
	v_add_co_ci_u32_e32 v6, vcc_lo, 0, v6, vcc_lo
	s_delay_alu instid0(VALU_DEP_2) | instskip(SKIP_1) | instid1(VALU_DEP_2)
	v_add_co_u32 v5, vcc_lo, 0, v17
	s_waitcnt lgkmcnt(0)
	v_add_co_ci_u32_e32 v6, vcc_lo, v18, v6, vcc_lo
.LBB664_78:                             ;   in Loop: Header=BB664_63 Depth=1
	s_or_b32 exec_lo, exec_lo, s6
	s_waitcnt lgkmcnt(0)
	ds_bpermute_b32 v18, v32, v17
	ds_bpermute_b32 v17, v32, v6
	s_mov_b32 s6, exec_lo
	v_cmpx_le_u32_e64 v33, v8
	s_cbranch_execz .LBB664_62
; %bb.79:                               ;   in Loop: Header=BB664_63 Depth=1
	s_waitcnt lgkmcnt(1)
	v_add_co_u32 v5, vcc_lo, v5, v18
	v_add_co_ci_u32_e32 v6, vcc_lo, 0, v6, vcc_lo
	s_delay_alu instid0(VALU_DEP_2) | instskip(SKIP_1) | instid1(VALU_DEP_2)
	v_add_co_u32 v5, vcc_lo, v5, 0
	s_waitcnt lgkmcnt(0)
	v_add_co_ci_u32_e32 v6, vcc_lo, v6, v17, vcc_lo
	s_branch .LBB664_62
.LBB664_80:                             ;   in Loop: Header=BB664_63 Depth=1
                                        ; implicit-def: $vgpr5_vgpr6
	s_cbranch_execz .LBB664_63
; %bb.81:
	s_and_saveexec_b32 s6, s0
	s_cbranch_execz .LBB664_83
; %bb.82:
	s_add_i32 s16, s11, 32
	s_mov_b32 s17, 0
	s_waitcnt vmcnt(0)
	v_add_co_u32 v5, vcc_lo, v3, v1
	s_lshl_b64 s[16:17], s[16:17], 4
	v_dual_mov_b32 v7, 2 :: v_dual_mov_b32 v8, 0
	s_add_u32 s16, s14, s16
	s_addc_u32 s17, s15, s17
	v_add_co_ci_u32_e32 v6, vcc_lo, v4, v2, vcc_lo
	v_dual_mov_b32 v15, s16 :: v_dual_mov_b32 v16, s17
	;;#ASMSTART
	global_store_dwordx4 v[15:16], v[5:8] off	
s_waitcnt vmcnt(0)
	;;#ASMEND
	ds_store_b128 v8, v[1:4]
.LBB664_83:
	s_or_b32 exec_lo, exec_lo, s6
	s_delay_alu instid0(SALU_CYCLE_1)
	s_and_b32 exec_lo, exec_lo, s2
	s_cbranch_execz .LBB664_85
; %bb.84:
	s_waitcnt vmcnt(0)
	v_mov_b32_e32 v1, 0
	global_store_b64 v1, v[3:4], s[8:9] offset:56
.LBB664_85:
	s_or_b32 exec_lo, exec_lo, s1
	s_waitcnt vmcnt(0)
	v_mov_b32_e32 v1, 0
	s_waitcnt lgkmcnt(0)
	s_waitcnt_vscnt null, 0x0
	s_barrier
	buffer_gl0_inv
	v_cndmask_b32_e64 v8, v23, v14, s0
	global_load_b64 v[6:7], v1, s[8:9] offset:56
	s_waitcnt vmcnt(0)
	s_barrier
	buffer_gl0_inv
	ds_load_b128 v[2:5], v1
	v_cndmask_b32_e64 v1, v22, v13, s0
	v_cndmask_b32_e64 v8, v8, 0, s2
	s_delay_alu instid0(VALU_DEP_2) | instskip(NEXT) | instid1(VALU_DEP_1)
	v_cndmask_b32_e64 v1, v1, 0, s2
	v_add_co_u32 v6, vcc_lo, v6, v1
	s_delay_alu instid0(VALU_DEP_3)
	v_add_co_ci_u32_e32 v7, vcc_lo, v7, v8, vcc_lo
.LBB664_86:
	s_waitcnt lgkmcnt(0)
	v_cmp_gt_u64_e32 vcc_lo, 0x101, v[2:3]
	s_mov_b32 s0, -1
	s_cbranch_vccnz .LBB664_116
.LBB664_87:
	s_and_not1_b32 vcc_lo, exec_lo, s0
	s_cbranch_vccz .LBB664_120
.LBB664_88:
	s_and_b32 s0, s2, s3
	s_delay_alu instid0(SALU_CYCLE_1)
	s_and_saveexec_b32 s1, s0
	s_cbranch_execnz .LBB664_126
.LBB664_89:
	s_nop 0
	s_sendmsg sendmsg(MSG_DEALLOC_VGPRS)
	s_endpgm
.LBB664_90:
                                        ; implicit-def: $vgpr4_vgpr5
                                        ; implicit-def: $vgpr6_vgpr7
	s_cbranch_execz .LBB664_86
; %bb.91:
	s_waitcnt lgkmcnt(0)
	v_dual_mov_b32 v4, 0 :: v_dual_and_b32 v5, 15, v20
	v_mov_b32_dpp v3, v21 row_shr:1 row_mask:0xf bank_mask:0xf
	v_dual_mov_b32 v1, v11 :: v_dual_mov_b32 v2, v12
	s_delay_alu instid0(VALU_DEP_3)
	v_mov_b32_dpp v6, v4 row_shr:1 row_mask:0xf bank_mask:0xf
	s_mov_b32 s0, exec_lo
	v_cmpx_ne_u32_e32 0, v5
; %bb.92:
	v_add_co_u32 v21, s1, v3, v11
	s_delay_alu instid0(VALU_DEP_1) | instskip(NEXT) | instid1(VALU_DEP_2)
	v_add_co_ci_u32_e64 v1, null, 0, 0, s1
	v_add_co_u32 v3, vcc_lo, 0, v21
	s_delay_alu instid0(VALU_DEP_2) | instskip(NEXT) | instid1(VALU_DEP_1)
	v_add_co_ci_u32_e32 v4, vcc_lo, v6, v1, vcc_lo
	v_dual_mov_b32 v1, v3 :: v_dual_mov_b32 v2, v4
; %bb.93:
	s_or_b32 exec_lo, exec_lo, s0
	v_mov_b32_dpp v3, v21 row_shr:2 row_mask:0xf bank_mask:0xf
	v_mov_b32_dpp v6, v4 row_shr:2 row_mask:0xf bank_mask:0xf
	s_mov_b32 s0, exec_lo
	v_cmpx_lt_u32_e32 1, v5
; %bb.94:
	s_delay_alu instid0(VALU_DEP_3) | instskip(SKIP_1) | instid1(VALU_DEP_2)
	v_add_co_u32 v21, vcc_lo, v1, v3
	v_add_co_ci_u32_e32 v1, vcc_lo, 0, v2, vcc_lo
	v_add_co_u32 v3, vcc_lo, 0, v21
	s_delay_alu instid0(VALU_DEP_2) | instskip(NEXT) | instid1(VALU_DEP_1)
	v_add_co_ci_u32_e32 v4, vcc_lo, v6, v1, vcc_lo
	v_dual_mov_b32 v1, v3 :: v_dual_mov_b32 v2, v4
; %bb.95:
	s_or_b32 exec_lo, exec_lo, s0
	v_mov_b32_dpp v3, v21 row_shr:4 row_mask:0xf bank_mask:0xf
	v_mov_b32_dpp v6, v4 row_shr:4 row_mask:0xf bank_mask:0xf
	s_mov_b32 s0, exec_lo
	v_cmpx_lt_u32_e32 3, v5
; %bb.96:
	s_delay_alu instid0(VALU_DEP_3) | instskip(SKIP_1) | instid1(VALU_DEP_2)
	v_add_co_u32 v21, vcc_lo, v1, v3
	v_add_co_ci_u32_e32 v1, vcc_lo, 0, v2, vcc_lo
	;; [unrolled: 14-line block ×3, first 2 shown]
	v_add_co_u32 v1, vcc_lo, 0, v21
	s_delay_alu instid0(VALU_DEP_2) | instskip(NEXT) | instid1(VALU_DEP_1)
	v_add_co_ci_u32_e32 v2, vcc_lo, v3, v2, vcc_lo
	v_mov_b32_e32 v4, v2
; %bb.99:
	s_or_b32 exec_lo, exec_lo, s0
	ds_swizzle_b32 v3, v21 offset:swizzle(BROADCAST,32,15)
	ds_swizzle_b32 v5, v4 offset:swizzle(BROADCAST,32,15)
	v_and_b32_e32 v6, 16, v20
	s_mov_b32 s0, exec_lo
	s_delay_alu instid0(VALU_DEP_1)
	v_cmpx_ne_u32_e32 0, v6
	s_cbranch_execz .LBB664_101
; %bb.100:
	s_waitcnt lgkmcnt(1)
	v_add_co_u32 v21, vcc_lo, v1, v3
	v_add_co_ci_u32_e32 v1, vcc_lo, 0, v2, vcc_lo
	s_delay_alu instid0(VALU_DEP_2) | instskip(SKIP_1) | instid1(VALU_DEP_2)
	v_add_co_u32 v3, vcc_lo, 0, v21
	s_waitcnt lgkmcnt(0)
	v_add_co_ci_u32_e32 v4, vcc_lo, v5, v1, vcc_lo
	s_delay_alu instid0(VALU_DEP_1)
	v_dual_mov_b32 v1, v3 :: v_dual_mov_b32 v2, v4
.LBB664_101:
	s_or_b32 exec_lo, exec_lo, s0
	s_waitcnt lgkmcnt(0)
	v_or_b32_e32 v5, 31, v0
	v_lshrrev_b32_e32 v3, 5, v0
	s_mov_b32 s0, exec_lo
	s_delay_alu instid0(VALU_DEP_2)
	v_cmpx_eq_u32_e64 v5, v0
	s_cbranch_execz .LBB664_103
; %bb.102:
	s_delay_alu instid0(VALU_DEP_2)
	v_lshlrev_b32_e32 v5, 3, v3
	global_store_b64 v5, v[1:2], s[8:9]
.LBB664_103:
	s_or_b32 exec_lo, exec_lo, s0
	s_delay_alu instid0(SALU_CYCLE_1)
	s_mov_b32 s0, exec_lo
	s_waitcnt_vscnt null, 0x0
	s_barrier
	buffer_gl0_inv
	v_cmpx_gt_u32_e32 8, v0
	s_cbranch_execz .LBB664_111
; %bb.104:
	v_lshlrev_b32_e32 v5, 3, v0
	v_and_b32_e32 v7, 7, v20
	s_mov_b32 s1, exec_lo
	global_load_b64 v[1:2], v5, s[8:9]
	s_waitcnt vmcnt(0)
	v_mov_b32_e32 v8, v1
	v_mov_b32_dpp v12, v1 row_shr:1 row_mask:0xf bank_mask:0xf
	v_mov_b32_dpp v6, v2 row_shr:1 row_mask:0xf bank_mask:0xf
	v_cmpx_ne_u32_e32 0, v7
; %bb.105:
	s_delay_alu instid0(VALU_DEP_3) | instskip(SKIP_1) | instid1(VALU_DEP_2)
	v_add_co_u32 v8, vcc_lo, v1, v12
	v_add_co_ci_u32_e32 v2, vcc_lo, 0, v2, vcc_lo
	v_add_co_u32 v1, vcc_lo, 0, v8
	s_delay_alu instid0(VALU_DEP_2)
	v_add_co_ci_u32_e32 v2, vcc_lo, v6, v2, vcc_lo
; %bb.106:
	s_or_b32 exec_lo, exec_lo, s1
	v_add_co_u32 v5, s1, s8, v5
	s_delay_alu instid0(VALU_DEP_1)
	v_add_co_ci_u32_e64 v6, null, s9, 0, s1
	v_mov_b32_dpp v13, v8 row_shr:2 row_mask:0xf bank_mask:0xf
	v_mov_b32_dpp v12, v2 row_shr:2 row_mask:0xf bank_mask:0xf
	s_mov_b32 s1, exec_lo
	v_cmpx_lt_u32_e32 1, v7
; %bb.107:
	s_delay_alu instid0(VALU_DEP_3) | instskip(SKIP_1) | instid1(VALU_DEP_2)
	v_add_co_u32 v8, vcc_lo, v1, v13
	v_add_co_ci_u32_e32 v2, vcc_lo, 0, v2, vcc_lo
	v_add_co_u32 v1, vcc_lo, 0, v8
	s_delay_alu instid0(VALU_DEP_2)
	v_add_co_ci_u32_e32 v2, vcc_lo, v12, v2, vcc_lo
; %bb.108:
	s_or_b32 exec_lo, exec_lo, s1
	v_mov_b32_dpp v12, v8 row_shr:4 row_mask:0xf bank_mask:0xf
	s_delay_alu instid0(VALU_DEP_2)
	v_mov_b32_dpp v8, v2 row_shr:4 row_mask:0xf bank_mask:0xf
	s_mov_b32 s1, exec_lo
	v_cmpx_lt_u32_e32 3, v7
; %bb.109:
	s_delay_alu instid0(VALU_DEP_3) | instskip(SKIP_1) | instid1(VALU_DEP_2)
	v_add_co_u32 v1, vcc_lo, v1, v12
	v_add_co_ci_u32_e32 v2, vcc_lo, 0, v2, vcc_lo
	v_add_co_u32 v1, vcc_lo, v1, 0
	s_delay_alu instid0(VALU_DEP_2)
	v_add_co_ci_u32_e32 v2, vcc_lo, v2, v8, vcc_lo
; %bb.110:
	s_or_b32 exec_lo, exec_lo, s1
	global_store_b64 v[5:6], v[1:2], off
.LBB664_111:
	s_or_b32 exec_lo, exec_lo, s0
	v_mov_b32_e32 v6, 0
	v_mov_b32_e32 v7, 0
	s_mov_b32 s0, exec_lo
	s_waitcnt_vscnt null, 0x0
	s_barrier
	buffer_gl0_inv
	v_cmpx_lt_u32_e32 31, v0
	s_cbranch_execz .LBB664_113
; %bb.112:
	v_dual_mov_b32 v2, 0 :: v_dual_add_nc_u32 v1, -1, v3
	s_delay_alu instid0(VALU_DEP_1) | instskip(NEXT) | instid1(VALU_DEP_1)
	v_lshlrev_b64 v[1:2], 3, v[1:2]
	v_add_co_u32 v1, vcc_lo, s8, v1
	s_delay_alu instid0(VALU_DEP_2)
	v_add_co_ci_u32_e32 v2, vcc_lo, s9, v2, vcc_lo
	global_load_b64 v[6:7], v[1:2], off
.LBB664_113:
	s_or_b32 exec_lo, exec_lo, s0
	v_add_nc_u32_e32 v1, -1, v20
	s_delay_alu instid0(VALU_DEP_1) | instskip(SKIP_1) | instid1(VALU_DEP_1)
	v_cmp_gt_i32_e32 vcc_lo, 0, v1
	v_cndmask_b32_e32 v1, v1, v20, vcc_lo
	v_dual_mov_b32 v5, 0 :: v_dual_lshlrev_b32 v8, 2, v1
	global_load_b64 v[2:3], v5, s[8:9] offset:56
	s_waitcnt vmcnt(1)
	v_add_co_u32 v1, vcc_lo, v21, v6
	v_add_co_ci_u32_e32 v4, vcc_lo, v4, v7, vcc_lo
	ds_bpermute_b32 v1, v8, v1
	ds_bpermute_b32 v8, v8, v4
	s_and_saveexec_b32 s0, s2
	s_cbranch_execz .LBB664_115
; %bb.114:
	s_add_u32 s6, s14, 0x200
	s_addc_u32 s7, s15, 0
	s_delay_alu instid0(SALU_CYCLE_1)
	v_dual_mov_b32 v4, 2 :: v_dual_mov_b32 v13, s7
	v_mov_b32_e32 v12, s6
	s_waitcnt vmcnt(0)
	;;#ASMSTART
	global_store_dwordx4 v[12:13], v[2:5] off	
s_waitcnt vmcnt(0)
	;;#ASMEND
.LBB664_115:
	s_or_b32 exec_lo, exec_lo, s0
	v_cmp_eq_u32_e32 vcc_lo, 0, v20
	s_waitcnt vmcnt(0) lgkmcnt(0)
	s_barrier
	buffer_gl0_inv
	v_dual_mov_b32 v4, 0 :: v_dual_cndmask_b32 v7, v8, v7
	v_dual_mov_b32 v5, 0 :: v_dual_cndmask_b32 v6, v1, v6
	v_cmp_gt_u64_e32 vcc_lo, 0x101, v[2:3]
	s_mov_b32 s0, -1
	s_cbranch_vccz .LBB664_87
.LBB664_116:
	v_add_co_u32 v12, vcc_lo, v4, v2
	v_add_co_ci_u32_e32 v13, vcc_lo, v5, v3, vcc_lo
	s_delay_alu instid0(VALU_DEP_1) | instskip(SKIP_1) | instid1(SALU_CYCLE_1)
	v_cmp_gt_u64_e32 vcc_lo, v[12:13], v[6:7]
	s_or_b32 s1, s10, vcc_lo
	s_and_saveexec_b32 s0, s1
	s_cbranch_execz .LBB664_119
; %bb.117:
	v_cmp_eq_u32_e32 vcc_lo, 1, v11
	s_and_b32 exec_lo, exec_lo, vcc_lo
	s_cbranch_execz .LBB664_119
; %bb.118:
	v_lshlrev_b64 v[12:13], 9, v[9:10]
	v_lshlrev_b64 v[7:8], 9, v[6:7]
	s_delay_alu instid0(VALU_DEP_2) | instskip(NEXT) | instid1(VALU_DEP_3)
	v_add_co_u32 v1, vcc_lo, s12, v12
	v_add_co_ci_u32_e32 v12, vcc_lo, s13, v13, vcc_lo
	s_delay_alu instid0(VALU_DEP_2) | instskip(NEXT) | instid1(VALU_DEP_2)
	v_add_co_u32 v7, vcc_lo, v1, v7
	v_add_co_ci_u32_e32 v8, vcc_lo, v12, v8, vcc_lo
	global_store_b8 v[7:8], v19, off
.LBB664_119:
	s_or_b32 exec_lo, exec_lo, s0
	s_cbranch_execnz .LBB664_88
.LBB664_120:
	s_mov_b32 s0, exec_lo
	v_cmpx_eq_u32_e32 1, v11
	s_cbranch_execz .LBB664_122
; %bb.121:
	v_sub_nc_u32_e32 v6, v6, v4
	v_mov_b32_e32 v7, 0
	s_delay_alu instid0(VALU_DEP_1) | instskip(NEXT) | instid1(VALU_DEP_1)
	v_lshlrev_b64 v[6:7], 9, v[6:7]
	v_add_co_u32 v6, vcc_lo, s8, v6
	s_delay_alu instid0(VALU_DEP_2)
	v_add_co_ci_u32_e32 v7, vcc_lo, s9, v7, vcc_lo
	global_store_b8 v[6:7], v19, off
.LBB664_122:
	s_or_b32 exec_lo, exec_lo, s0
	v_mov_b32_e32 v1, 0
	s_mov_b32 s1, exec_lo
	s_waitcnt_vscnt null, 0x0
	s_barrier
	buffer_gl0_inv
	v_cmpx_gt_u64_e64 v[2:3], v[0:1]
	s_cbranch_execz .LBB664_125
; %bb.123:
	v_lshlrev_b64 v[6:7], 9, v[4:5]
	v_lshlrev_b64 v[11:12], 9, v[9:10]
	s_mov_b32 s6, 0
	s_delay_alu instid0(VALU_DEP_2) | instskip(NEXT) | instid1(VALU_DEP_3)
	v_add_co_u32 v8, vcc_lo, s12, v6
	v_add_co_ci_u32_e32 v13, vcc_lo, s13, v7, vcc_lo
	v_dual_mov_b32 v7, v1 :: v_dual_mov_b32 v6, v0
	s_delay_alu instid0(VALU_DEP_3) | instskip(NEXT) | instid1(VALU_DEP_3)
	v_add_co_u32 v8, vcc_lo, v8, v11
	v_add_co_ci_u32_e32 v11, vcc_lo, v13, v12, vcc_lo
	v_or_b32_e32 v0, 0x100, v0
	.p2align	6
.LBB664_124:                            ; =>This Inner Loop Header: Depth=1
	s_delay_alu instid0(VALU_DEP_4) | instskip(NEXT) | instid1(VALU_DEP_1)
	v_lshlrev_b64 v[12:13], 9, v[6:7]
	v_add_co_u32 v6, vcc_lo, s8, v12
	s_delay_alu instid0(VALU_DEP_2) | instskip(NEXT) | instid1(VALU_DEP_4)
	v_add_co_ci_u32_e32 v7, vcc_lo, s9, v13, vcc_lo
	v_cmp_le_u64_e32 vcc_lo, v[2:3], v[0:1]
	v_add_co_u32 v12, s0, v8, v12
	global_load_u8 v14, v[6:7], off
	v_dual_mov_b32 v7, v1 :: v_dual_mov_b32 v6, v0
	v_add_co_ci_u32_e64 v13, s0, v11, v13, s0
	v_add_nc_u32_e32 v0, 0x100, v0
	s_or_b32 s6, vcc_lo, s6
	s_waitcnt vmcnt(0)
	global_store_b8 v[12:13], v14, off
	s_and_not1_b32 exec_lo, exec_lo, s6
	s_cbranch_execnz .LBB664_124
.LBB664_125:
	s_or_b32 exec_lo, exec_lo, s1
	s_and_b32 s0, s2, s3
	s_delay_alu instid0(SALU_CYCLE_1)
	s_and_saveexec_b32 s1, s0
	s_cbranch_execz .LBB664_89
.LBB664_126:
	v_add_co_u32 v0, vcc_lo, v4, v2
	v_add_co_ci_u32_e32 v1, vcc_lo, v5, v3, vcc_lo
	v_mov_b32_e32 v2, 0
	s_delay_alu instid0(VALU_DEP_3) | instskip(NEXT) | instid1(VALU_DEP_3)
	v_add_co_u32 v0, vcc_lo, v0, v9
	v_add_co_ci_u32_e32 v1, vcc_lo, v1, v10, vcc_lo
	global_store_b64 v2, v[0:1], s[4:5]
	s_nop 0
	s_sendmsg sendmsg(MSG_DEALLOC_VGPRS)
	s_endpgm
	.section	.rodata,"a",@progbits
	.p2align	6, 0x0
	.amdhsa_kernel _ZN7rocprim17ROCPRIM_400000_NS6detail17trampoline_kernelINS0_14default_configENS1_25partition_config_selectorILNS1_17partition_subalgoE5E10large_dataNS0_10empty_typeEbEEZZNS1_14partition_implILS5_5ELb0ES3_mN6thrust23THRUST_200600_302600_NS6detail15normal_iteratorINSB_10device_ptrIS6_EEEEPS7_NSB_18transform_iteratorI7is_evenIS6_ESG_NSB_11use_defaultESL_EENS0_5tupleIJSG_S7_EEENSN_IJSH_SH_EEES7_PlJS7_EEE10hipError_tPvRmT3_T4_T5_T6_T7_T9_mT8_P12ihipStream_tbDpT10_ENKUlT_T0_E_clISt17integral_constantIbLb1EES1A_EEDaS15_S16_EUlS15_E_NS1_11comp_targetILNS1_3genE9ELNS1_11target_archE1100ELNS1_3gpuE3ELNS1_3repE0EEENS1_30default_config_static_selectorELNS0_4arch9wavefront6targetE0EEEvT1_
		.amdhsa_group_segment_fixed_size 16
		.amdhsa_private_segment_fixed_size 0
		.amdhsa_kernarg_size 136
		.amdhsa_user_sgpr_count 15
		.amdhsa_user_sgpr_dispatch_ptr 0
		.amdhsa_user_sgpr_queue_ptr 0
		.amdhsa_user_sgpr_kernarg_segment_ptr 1
		.amdhsa_user_sgpr_dispatch_id 0
		.amdhsa_user_sgpr_private_segment_size 0
		.amdhsa_wavefront_size32 1
		.amdhsa_uses_dynamic_stack 0
		.amdhsa_enable_private_segment 0
		.amdhsa_system_sgpr_workgroup_id_x 1
		.amdhsa_system_sgpr_workgroup_id_y 0
		.amdhsa_system_sgpr_workgroup_id_z 0
		.amdhsa_system_sgpr_workgroup_info 0
		.amdhsa_system_vgpr_workitem_id 0
		.amdhsa_next_free_vgpr 36
		.amdhsa_next_free_sgpr 26
		.amdhsa_reserve_vcc 1
		.amdhsa_float_round_mode_32 0
		.amdhsa_float_round_mode_16_64 0
		.amdhsa_float_denorm_mode_32 3
		.amdhsa_float_denorm_mode_16_64 3
		.amdhsa_dx10_clamp 1
		.amdhsa_ieee_mode 1
		.amdhsa_fp16_overflow 0
		.amdhsa_workgroup_processor_mode 1
		.amdhsa_memory_ordered 1
		.amdhsa_forward_progress 0
		.amdhsa_shared_vgpr_count 0
		.amdhsa_exception_fp_ieee_invalid_op 0
		.amdhsa_exception_fp_denorm_src 0
		.amdhsa_exception_fp_ieee_div_zero 0
		.amdhsa_exception_fp_ieee_overflow 0
		.amdhsa_exception_fp_ieee_underflow 0
		.amdhsa_exception_fp_ieee_inexact 0
		.amdhsa_exception_int_div_zero 0
	.end_amdhsa_kernel
	.section	.text._ZN7rocprim17ROCPRIM_400000_NS6detail17trampoline_kernelINS0_14default_configENS1_25partition_config_selectorILNS1_17partition_subalgoE5E10large_dataNS0_10empty_typeEbEEZZNS1_14partition_implILS5_5ELb0ES3_mN6thrust23THRUST_200600_302600_NS6detail15normal_iteratorINSB_10device_ptrIS6_EEEEPS7_NSB_18transform_iteratorI7is_evenIS6_ESG_NSB_11use_defaultESL_EENS0_5tupleIJSG_S7_EEENSN_IJSH_SH_EEES7_PlJS7_EEE10hipError_tPvRmT3_T4_T5_T6_T7_T9_mT8_P12ihipStream_tbDpT10_ENKUlT_T0_E_clISt17integral_constantIbLb1EES1A_EEDaS15_S16_EUlS15_E_NS1_11comp_targetILNS1_3genE9ELNS1_11target_archE1100ELNS1_3gpuE3ELNS1_3repE0EEENS1_30default_config_static_selectorELNS0_4arch9wavefront6targetE0EEEvT1_,"axG",@progbits,_ZN7rocprim17ROCPRIM_400000_NS6detail17trampoline_kernelINS0_14default_configENS1_25partition_config_selectorILNS1_17partition_subalgoE5E10large_dataNS0_10empty_typeEbEEZZNS1_14partition_implILS5_5ELb0ES3_mN6thrust23THRUST_200600_302600_NS6detail15normal_iteratorINSB_10device_ptrIS6_EEEEPS7_NSB_18transform_iteratorI7is_evenIS6_ESG_NSB_11use_defaultESL_EENS0_5tupleIJSG_S7_EEENSN_IJSH_SH_EEES7_PlJS7_EEE10hipError_tPvRmT3_T4_T5_T6_T7_T9_mT8_P12ihipStream_tbDpT10_ENKUlT_T0_E_clISt17integral_constantIbLb1EES1A_EEDaS15_S16_EUlS15_E_NS1_11comp_targetILNS1_3genE9ELNS1_11target_archE1100ELNS1_3gpuE3ELNS1_3repE0EEENS1_30default_config_static_selectorELNS0_4arch9wavefront6targetE0EEEvT1_,comdat
.Lfunc_end664:
	.size	_ZN7rocprim17ROCPRIM_400000_NS6detail17trampoline_kernelINS0_14default_configENS1_25partition_config_selectorILNS1_17partition_subalgoE5E10large_dataNS0_10empty_typeEbEEZZNS1_14partition_implILS5_5ELb0ES3_mN6thrust23THRUST_200600_302600_NS6detail15normal_iteratorINSB_10device_ptrIS6_EEEEPS7_NSB_18transform_iteratorI7is_evenIS6_ESG_NSB_11use_defaultESL_EENS0_5tupleIJSG_S7_EEENSN_IJSH_SH_EEES7_PlJS7_EEE10hipError_tPvRmT3_T4_T5_T6_T7_T9_mT8_P12ihipStream_tbDpT10_ENKUlT_T0_E_clISt17integral_constantIbLb1EES1A_EEDaS15_S16_EUlS15_E_NS1_11comp_targetILNS1_3genE9ELNS1_11target_archE1100ELNS1_3gpuE3ELNS1_3repE0EEENS1_30default_config_static_selectorELNS0_4arch9wavefront6targetE0EEEvT1_, .Lfunc_end664-_ZN7rocprim17ROCPRIM_400000_NS6detail17trampoline_kernelINS0_14default_configENS1_25partition_config_selectorILNS1_17partition_subalgoE5E10large_dataNS0_10empty_typeEbEEZZNS1_14partition_implILS5_5ELb0ES3_mN6thrust23THRUST_200600_302600_NS6detail15normal_iteratorINSB_10device_ptrIS6_EEEEPS7_NSB_18transform_iteratorI7is_evenIS6_ESG_NSB_11use_defaultESL_EENS0_5tupleIJSG_S7_EEENSN_IJSH_SH_EEES7_PlJS7_EEE10hipError_tPvRmT3_T4_T5_T6_T7_T9_mT8_P12ihipStream_tbDpT10_ENKUlT_T0_E_clISt17integral_constantIbLb1EES1A_EEDaS15_S16_EUlS15_E_NS1_11comp_targetILNS1_3genE9ELNS1_11target_archE1100ELNS1_3gpuE3ELNS1_3repE0EEENS1_30default_config_static_selectorELNS0_4arch9wavefront6targetE0EEEvT1_
                                        ; -- End function
	.section	.AMDGPU.csdata,"",@progbits
; Kernel info:
; codeLenInByte = 5360
; NumSgprs: 28
; NumVgprs: 36
; ScratchSize: 0
; MemoryBound: 0
; FloatMode: 240
; IeeeMode: 1
; LDSByteSize: 16 bytes/workgroup (compile time only)
; SGPRBlocks: 3
; VGPRBlocks: 4
; NumSGPRsForWavesPerEU: 28
; NumVGPRsForWavesPerEU: 36
; Occupancy: 16
; WaveLimiterHint : 1
; COMPUTE_PGM_RSRC2:SCRATCH_EN: 0
; COMPUTE_PGM_RSRC2:USER_SGPR: 15
; COMPUTE_PGM_RSRC2:TRAP_HANDLER: 0
; COMPUTE_PGM_RSRC2:TGID_X_EN: 1
; COMPUTE_PGM_RSRC2:TGID_Y_EN: 0
; COMPUTE_PGM_RSRC2:TGID_Z_EN: 0
; COMPUTE_PGM_RSRC2:TIDIG_COMP_CNT: 0
	.section	.text._ZN7rocprim17ROCPRIM_400000_NS6detail17trampoline_kernelINS0_14default_configENS1_25partition_config_selectorILNS1_17partition_subalgoE5E10large_dataNS0_10empty_typeEbEEZZNS1_14partition_implILS5_5ELb0ES3_mN6thrust23THRUST_200600_302600_NS6detail15normal_iteratorINSB_10device_ptrIS6_EEEEPS7_NSB_18transform_iteratorI7is_evenIS6_ESG_NSB_11use_defaultESL_EENS0_5tupleIJSG_S7_EEENSN_IJSH_SH_EEES7_PlJS7_EEE10hipError_tPvRmT3_T4_T5_T6_T7_T9_mT8_P12ihipStream_tbDpT10_ENKUlT_T0_E_clISt17integral_constantIbLb1EES1A_EEDaS15_S16_EUlS15_E_NS1_11comp_targetILNS1_3genE8ELNS1_11target_archE1030ELNS1_3gpuE2ELNS1_3repE0EEENS1_30default_config_static_selectorELNS0_4arch9wavefront6targetE0EEEvT1_,"axG",@progbits,_ZN7rocprim17ROCPRIM_400000_NS6detail17trampoline_kernelINS0_14default_configENS1_25partition_config_selectorILNS1_17partition_subalgoE5E10large_dataNS0_10empty_typeEbEEZZNS1_14partition_implILS5_5ELb0ES3_mN6thrust23THRUST_200600_302600_NS6detail15normal_iteratorINSB_10device_ptrIS6_EEEEPS7_NSB_18transform_iteratorI7is_evenIS6_ESG_NSB_11use_defaultESL_EENS0_5tupleIJSG_S7_EEENSN_IJSH_SH_EEES7_PlJS7_EEE10hipError_tPvRmT3_T4_T5_T6_T7_T9_mT8_P12ihipStream_tbDpT10_ENKUlT_T0_E_clISt17integral_constantIbLb1EES1A_EEDaS15_S16_EUlS15_E_NS1_11comp_targetILNS1_3genE8ELNS1_11target_archE1030ELNS1_3gpuE2ELNS1_3repE0EEENS1_30default_config_static_selectorELNS0_4arch9wavefront6targetE0EEEvT1_,comdat
	.protected	_ZN7rocprim17ROCPRIM_400000_NS6detail17trampoline_kernelINS0_14default_configENS1_25partition_config_selectorILNS1_17partition_subalgoE5E10large_dataNS0_10empty_typeEbEEZZNS1_14partition_implILS5_5ELb0ES3_mN6thrust23THRUST_200600_302600_NS6detail15normal_iteratorINSB_10device_ptrIS6_EEEEPS7_NSB_18transform_iteratorI7is_evenIS6_ESG_NSB_11use_defaultESL_EENS0_5tupleIJSG_S7_EEENSN_IJSH_SH_EEES7_PlJS7_EEE10hipError_tPvRmT3_T4_T5_T6_T7_T9_mT8_P12ihipStream_tbDpT10_ENKUlT_T0_E_clISt17integral_constantIbLb1EES1A_EEDaS15_S16_EUlS15_E_NS1_11comp_targetILNS1_3genE8ELNS1_11target_archE1030ELNS1_3gpuE2ELNS1_3repE0EEENS1_30default_config_static_selectorELNS0_4arch9wavefront6targetE0EEEvT1_ ; -- Begin function _ZN7rocprim17ROCPRIM_400000_NS6detail17trampoline_kernelINS0_14default_configENS1_25partition_config_selectorILNS1_17partition_subalgoE5E10large_dataNS0_10empty_typeEbEEZZNS1_14partition_implILS5_5ELb0ES3_mN6thrust23THRUST_200600_302600_NS6detail15normal_iteratorINSB_10device_ptrIS6_EEEEPS7_NSB_18transform_iteratorI7is_evenIS6_ESG_NSB_11use_defaultESL_EENS0_5tupleIJSG_S7_EEENSN_IJSH_SH_EEES7_PlJS7_EEE10hipError_tPvRmT3_T4_T5_T6_T7_T9_mT8_P12ihipStream_tbDpT10_ENKUlT_T0_E_clISt17integral_constantIbLb1EES1A_EEDaS15_S16_EUlS15_E_NS1_11comp_targetILNS1_3genE8ELNS1_11target_archE1030ELNS1_3gpuE2ELNS1_3repE0EEENS1_30default_config_static_selectorELNS0_4arch9wavefront6targetE0EEEvT1_
	.globl	_ZN7rocprim17ROCPRIM_400000_NS6detail17trampoline_kernelINS0_14default_configENS1_25partition_config_selectorILNS1_17partition_subalgoE5E10large_dataNS0_10empty_typeEbEEZZNS1_14partition_implILS5_5ELb0ES3_mN6thrust23THRUST_200600_302600_NS6detail15normal_iteratorINSB_10device_ptrIS6_EEEEPS7_NSB_18transform_iteratorI7is_evenIS6_ESG_NSB_11use_defaultESL_EENS0_5tupleIJSG_S7_EEENSN_IJSH_SH_EEES7_PlJS7_EEE10hipError_tPvRmT3_T4_T5_T6_T7_T9_mT8_P12ihipStream_tbDpT10_ENKUlT_T0_E_clISt17integral_constantIbLb1EES1A_EEDaS15_S16_EUlS15_E_NS1_11comp_targetILNS1_3genE8ELNS1_11target_archE1030ELNS1_3gpuE2ELNS1_3repE0EEENS1_30default_config_static_selectorELNS0_4arch9wavefront6targetE0EEEvT1_
	.p2align	8
	.type	_ZN7rocprim17ROCPRIM_400000_NS6detail17trampoline_kernelINS0_14default_configENS1_25partition_config_selectorILNS1_17partition_subalgoE5E10large_dataNS0_10empty_typeEbEEZZNS1_14partition_implILS5_5ELb0ES3_mN6thrust23THRUST_200600_302600_NS6detail15normal_iteratorINSB_10device_ptrIS6_EEEEPS7_NSB_18transform_iteratorI7is_evenIS6_ESG_NSB_11use_defaultESL_EENS0_5tupleIJSG_S7_EEENSN_IJSH_SH_EEES7_PlJS7_EEE10hipError_tPvRmT3_T4_T5_T6_T7_T9_mT8_P12ihipStream_tbDpT10_ENKUlT_T0_E_clISt17integral_constantIbLb1EES1A_EEDaS15_S16_EUlS15_E_NS1_11comp_targetILNS1_3genE8ELNS1_11target_archE1030ELNS1_3gpuE2ELNS1_3repE0EEENS1_30default_config_static_selectorELNS0_4arch9wavefront6targetE0EEEvT1_,@function
_ZN7rocprim17ROCPRIM_400000_NS6detail17trampoline_kernelINS0_14default_configENS1_25partition_config_selectorILNS1_17partition_subalgoE5E10large_dataNS0_10empty_typeEbEEZZNS1_14partition_implILS5_5ELb0ES3_mN6thrust23THRUST_200600_302600_NS6detail15normal_iteratorINSB_10device_ptrIS6_EEEEPS7_NSB_18transform_iteratorI7is_evenIS6_ESG_NSB_11use_defaultESL_EENS0_5tupleIJSG_S7_EEENSN_IJSH_SH_EEES7_PlJS7_EEE10hipError_tPvRmT3_T4_T5_T6_T7_T9_mT8_P12ihipStream_tbDpT10_ENKUlT_T0_E_clISt17integral_constantIbLb1EES1A_EEDaS15_S16_EUlS15_E_NS1_11comp_targetILNS1_3genE8ELNS1_11target_archE1030ELNS1_3gpuE2ELNS1_3repE0EEENS1_30default_config_static_selectorELNS0_4arch9wavefront6targetE0EEEvT1_: ; @_ZN7rocprim17ROCPRIM_400000_NS6detail17trampoline_kernelINS0_14default_configENS1_25partition_config_selectorILNS1_17partition_subalgoE5E10large_dataNS0_10empty_typeEbEEZZNS1_14partition_implILS5_5ELb0ES3_mN6thrust23THRUST_200600_302600_NS6detail15normal_iteratorINSB_10device_ptrIS6_EEEEPS7_NSB_18transform_iteratorI7is_evenIS6_ESG_NSB_11use_defaultESL_EENS0_5tupleIJSG_S7_EEENSN_IJSH_SH_EEES7_PlJS7_EEE10hipError_tPvRmT3_T4_T5_T6_T7_T9_mT8_P12ihipStream_tbDpT10_ENKUlT_T0_E_clISt17integral_constantIbLb1EES1A_EEDaS15_S16_EUlS15_E_NS1_11comp_targetILNS1_3genE8ELNS1_11target_archE1030ELNS1_3gpuE2ELNS1_3repE0EEENS1_30default_config_static_selectorELNS0_4arch9wavefront6targetE0EEEvT1_
; %bb.0:
	.section	.rodata,"a",@progbits
	.p2align	6, 0x0
	.amdhsa_kernel _ZN7rocprim17ROCPRIM_400000_NS6detail17trampoline_kernelINS0_14default_configENS1_25partition_config_selectorILNS1_17partition_subalgoE5E10large_dataNS0_10empty_typeEbEEZZNS1_14partition_implILS5_5ELb0ES3_mN6thrust23THRUST_200600_302600_NS6detail15normal_iteratorINSB_10device_ptrIS6_EEEEPS7_NSB_18transform_iteratorI7is_evenIS6_ESG_NSB_11use_defaultESL_EENS0_5tupleIJSG_S7_EEENSN_IJSH_SH_EEES7_PlJS7_EEE10hipError_tPvRmT3_T4_T5_T6_T7_T9_mT8_P12ihipStream_tbDpT10_ENKUlT_T0_E_clISt17integral_constantIbLb1EES1A_EEDaS15_S16_EUlS15_E_NS1_11comp_targetILNS1_3genE8ELNS1_11target_archE1030ELNS1_3gpuE2ELNS1_3repE0EEENS1_30default_config_static_selectorELNS0_4arch9wavefront6targetE0EEEvT1_
		.amdhsa_group_segment_fixed_size 0
		.amdhsa_private_segment_fixed_size 0
		.amdhsa_kernarg_size 136
		.amdhsa_user_sgpr_count 15
		.amdhsa_user_sgpr_dispatch_ptr 0
		.amdhsa_user_sgpr_queue_ptr 0
		.amdhsa_user_sgpr_kernarg_segment_ptr 1
		.amdhsa_user_sgpr_dispatch_id 0
		.amdhsa_user_sgpr_private_segment_size 0
		.amdhsa_wavefront_size32 1
		.amdhsa_uses_dynamic_stack 0
		.amdhsa_enable_private_segment 0
		.amdhsa_system_sgpr_workgroup_id_x 1
		.amdhsa_system_sgpr_workgroup_id_y 0
		.amdhsa_system_sgpr_workgroup_id_z 0
		.amdhsa_system_sgpr_workgroup_info 0
		.amdhsa_system_vgpr_workitem_id 0
		.amdhsa_next_free_vgpr 1
		.amdhsa_next_free_sgpr 1
		.amdhsa_reserve_vcc 0
		.amdhsa_float_round_mode_32 0
		.amdhsa_float_round_mode_16_64 0
		.amdhsa_float_denorm_mode_32 3
		.amdhsa_float_denorm_mode_16_64 3
		.amdhsa_dx10_clamp 1
		.amdhsa_ieee_mode 1
		.amdhsa_fp16_overflow 0
		.amdhsa_workgroup_processor_mode 1
		.amdhsa_memory_ordered 1
		.amdhsa_forward_progress 0
		.amdhsa_shared_vgpr_count 0
		.amdhsa_exception_fp_ieee_invalid_op 0
		.amdhsa_exception_fp_denorm_src 0
		.amdhsa_exception_fp_ieee_div_zero 0
		.amdhsa_exception_fp_ieee_overflow 0
		.amdhsa_exception_fp_ieee_underflow 0
		.amdhsa_exception_fp_ieee_inexact 0
		.amdhsa_exception_int_div_zero 0
	.end_amdhsa_kernel
	.section	.text._ZN7rocprim17ROCPRIM_400000_NS6detail17trampoline_kernelINS0_14default_configENS1_25partition_config_selectorILNS1_17partition_subalgoE5E10large_dataNS0_10empty_typeEbEEZZNS1_14partition_implILS5_5ELb0ES3_mN6thrust23THRUST_200600_302600_NS6detail15normal_iteratorINSB_10device_ptrIS6_EEEEPS7_NSB_18transform_iteratorI7is_evenIS6_ESG_NSB_11use_defaultESL_EENS0_5tupleIJSG_S7_EEENSN_IJSH_SH_EEES7_PlJS7_EEE10hipError_tPvRmT3_T4_T5_T6_T7_T9_mT8_P12ihipStream_tbDpT10_ENKUlT_T0_E_clISt17integral_constantIbLb1EES1A_EEDaS15_S16_EUlS15_E_NS1_11comp_targetILNS1_3genE8ELNS1_11target_archE1030ELNS1_3gpuE2ELNS1_3repE0EEENS1_30default_config_static_selectorELNS0_4arch9wavefront6targetE0EEEvT1_,"axG",@progbits,_ZN7rocprim17ROCPRIM_400000_NS6detail17trampoline_kernelINS0_14default_configENS1_25partition_config_selectorILNS1_17partition_subalgoE5E10large_dataNS0_10empty_typeEbEEZZNS1_14partition_implILS5_5ELb0ES3_mN6thrust23THRUST_200600_302600_NS6detail15normal_iteratorINSB_10device_ptrIS6_EEEEPS7_NSB_18transform_iteratorI7is_evenIS6_ESG_NSB_11use_defaultESL_EENS0_5tupleIJSG_S7_EEENSN_IJSH_SH_EEES7_PlJS7_EEE10hipError_tPvRmT3_T4_T5_T6_T7_T9_mT8_P12ihipStream_tbDpT10_ENKUlT_T0_E_clISt17integral_constantIbLb1EES1A_EEDaS15_S16_EUlS15_E_NS1_11comp_targetILNS1_3genE8ELNS1_11target_archE1030ELNS1_3gpuE2ELNS1_3repE0EEENS1_30default_config_static_selectorELNS0_4arch9wavefront6targetE0EEEvT1_,comdat
.Lfunc_end665:
	.size	_ZN7rocprim17ROCPRIM_400000_NS6detail17trampoline_kernelINS0_14default_configENS1_25partition_config_selectorILNS1_17partition_subalgoE5E10large_dataNS0_10empty_typeEbEEZZNS1_14partition_implILS5_5ELb0ES3_mN6thrust23THRUST_200600_302600_NS6detail15normal_iteratorINSB_10device_ptrIS6_EEEEPS7_NSB_18transform_iteratorI7is_evenIS6_ESG_NSB_11use_defaultESL_EENS0_5tupleIJSG_S7_EEENSN_IJSH_SH_EEES7_PlJS7_EEE10hipError_tPvRmT3_T4_T5_T6_T7_T9_mT8_P12ihipStream_tbDpT10_ENKUlT_T0_E_clISt17integral_constantIbLb1EES1A_EEDaS15_S16_EUlS15_E_NS1_11comp_targetILNS1_3genE8ELNS1_11target_archE1030ELNS1_3gpuE2ELNS1_3repE0EEENS1_30default_config_static_selectorELNS0_4arch9wavefront6targetE0EEEvT1_, .Lfunc_end665-_ZN7rocprim17ROCPRIM_400000_NS6detail17trampoline_kernelINS0_14default_configENS1_25partition_config_selectorILNS1_17partition_subalgoE5E10large_dataNS0_10empty_typeEbEEZZNS1_14partition_implILS5_5ELb0ES3_mN6thrust23THRUST_200600_302600_NS6detail15normal_iteratorINSB_10device_ptrIS6_EEEEPS7_NSB_18transform_iteratorI7is_evenIS6_ESG_NSB_11use_defaultESL_EENS0_5tupleIJSG_S7_EEENSN_IJSH_SH_EEES7_PlJS7_EEE10hipError_tPvRmT3_T4_T5_T6_T7_T9_mT8_P12ihipStream_tbDpT10_ENKUlT_T0_E_clISt17integral_constantIbLb1EES1A_EEDaS15_S16_EUlS15_E_NS1_11comp_targetILNS1_3genE8ELNS1_11target_archE1030ELNS1_3gpuE2ELNS1_3repE0EEENS1_30default_config_static_selectorELNS0_4arch9wavefront6targetE0EEEvT1_
                                        ; -- End function
	.section	.AMDGPU.csdata,"",@progbits
; Kernel info:
; codeLenInByte = 0
; NumSgprs: 0
; NumVgprs: 0
; ScratchSize: 0
; MemoryBound: 0
; FloatMode: 240
; IeeeMode: 1
; LDSByteSize: 0 bytes/workgroup (compile time only)
; SGPRBlocks: 0
; VGPRBlocks: 0
; NumSGPRsForWavesPerEU: 1
; NumVGPRsForWavesPerEU: 1
; Occupancy: 16
; WaveLimiterHint : 0
; COMPUTE_PGM_RSRC2:SCRATCH_EN: 0
; COMPUTE_PGM_RSRC2:USER_SGPR: 15
; COMPUTE_PGM_RSRC2:TRAP_HANDLER: 0
; COMPUTE_PGM_RSRC2:TGID_X_EN: 1
; COMPUTE_PGM_RSRC2:TGID_Y_EN: 0
; COMPUTE_PGM_RSRC2:TGID_Z_EN: 0
; COMPUTE_PGM_RSRC2:TIDIG_COMP_CNT: 0
	.section	.text._ZN7rocprim17ROCPRIM_400000_NS6detail17trampoline_kernelINS0_14default_configENS1_25partition_config_selectorILNS1_17partition_subalgoE5E10large_dataNS0_10empty_typeEbEEZZNS1_14partition_implILS5_5ELb0ES3_mN6thrust23THRUST_200600_302600_NS6detail15normal_iteratorINSB_10device_ptrIS6_EEEEPS7_NSB_18transform_iteratorI7is_evenIS6_ESG_NSB_11use_defaultESL_EENS0_5tupleIJSG_S7_EEENSN_IJSH_SH_EEES7_PlJS7_EEE10hipError_tPvRmT3_T4_T5_T6_T7_T9_mT8_P12ihipStream_tbDpT10_ENKUlT_T0_E_clISt17integral_constantIbLb1EES19_IbLb0EEEEDaS15_S16_EUlS15_E_NS1_11comp_targetILNS1_3genE0ELNS1_11target_archE4294967295ELNS1_3gpuE0ELNS1_3repE0EEENS1_30default_config_static_selectorELNS0_4arch9wavefront6targetE0EEEvT1_,"axG",@progbits,_ZN7rocprim17ROCPRIM_400000_NS6detail17trampoline_kernelINS0_14default_configENS1_25partition_config_selectorILNS1_17partition_subalgoE5E10large_dataNS0_10empty_typeEbEEZZNS1_14partition_implILS5_5ELb0ES3_mN6thrust23THRUST_200600_302600_NS6detail15normal_iteratorINSB_10device_ptrIS6_EEEEPS7_NSB_18transform_iteratorI7is_evenIS6_ESG_NSB_11use_defaultESL_EENS0_5tupleIJSG_S7_EEENSN_IJSH_SH_EEES7_PlJS7_EEE10hipError_tPvRmT3_T4_T5_T6_T7_T9_mT8_P12ihipStream_tbDpT10_ENKUlT_T0_E_clISt17integral_constantIbLb1EES19_IbLb0EEEEDaS15_S16_EUlS15_E_NS1_11comp_targetILNS1_3genE0ELNS1_11target_archE4294967295ELNS1_3gpuE0ELNS1_3repE0EEENS1_30default_config_static_selectorELNS0_4arch9wavefront6targetE0EEEvT1_,comdat
	.protected	_ZN7rocprim17ROCPRIM_400000_NS6detail17trampoline_kernelINS0_14default_configENS1_25partition_config_selectorILNS1_17partition_subalgoE5E10large_dataNS0_10empty_typeEbEEZZNS1_14partition_implILS5_5ELb0ES3_mN6thrust23THRUST_200600_302600_NS6detail15normal_iteratorINSB_10device_ptrIS6_EEEEPS7_NSB_18transform_iteratorI7is_evenIS6_ESG_NSB_11use_defaultESL_EENS0_5tupleIJSG_S7_EEENSN_IJSH_SH_EEES7_PlJS7_EEE10hipError_tPvRmT3_T4_T5_T6_T7_T9_mT8_P12ihipStream_tbDpT10_ENKUlT_T0_E_clISt17integral_constantIbLb1EES19_IbLb0EEEEDaS15_S16_EUlS15_E_NS1_11comp_targetILNS1_3genE0ELNS1_11target_archE4294967295ELNS1_3gpuE0ELNS1_3repE0EEENS1_30default_config_static_selectorELNS0_4arch9wavefront6targetE0EEEvT1_ ; -- Begin function _ZN7rocprim17ROCPRIM_400000_NS6detail17trampoline_kernelINS0_14default_configENS1_25partition_config_selectorILNS1_17partition_subalgoE5E10large_dataNS0_10empty_typeEbEEZZNS1_14partition_implILS5_5ELb0ES3_mN6thrust23THRUST_200600_302600_NS6detail15normal_iteratorINSB_10device_ptrIS6_EEEEPS7_NSB_18transform_iteratorI7is_evenIS6_ESG_NSB_11use_defaultESL_EENS0_5tupleIJSG_S7_EEENSN_IJSH_SH_EEES7_PlJS7_EEE10hipError_tPvRmT3_T4_T5_T6_T7_T9_mT8_P12ihipStream_tbDpT10_ENKUlT_T0_E_clISt17integral_constantIbLb1EES19_IbLb0EEEEDaS15_S16_EUlS15_E_NS1_11comp_targetILNS1_3genE0ELNS1_11target_archE4294967295ELNS1_3gpuE0ELNS1_3repE0EEENS1_30default_config_static_selectorELNS0_4arch9wavefront6targetE0EEEvT1_
	.globl	_ZN7rocprim17ROCPRIM_400000_NS6detail17trampoline_kernelINS0_14default_configENS1_25partition_config_selectorILNS1_17partition_subalgoE5E10large_dataNS0_10empty_typeEbEEZZNS1_14partition_implILS5_5ELb0ES3_mN6thrust23THRUST_200600_302600_NS6detail15normal_iteratorINSB_10device_ptrIS6_EEEEPS7_NSB_18transform_iteratorI7is_evenIS6_ESG_NSB_11use_defaultESL_EENS0_5tupleIJSG_S7_EEENSN_IJSH_SH_EEES7_PlJS7_EEE10hipError_tPvRmT3_T4_T5_T6_T7_T9_mT8_P12ihipStream_tbDpT10_ENKUlT_T0_E_clISt17integral_constantIbLb1EES19_IbLb0EEEEDaS15_S16_EUlS15_E_NS1_11comp_targetILNS1_3genE0ELNS1_11target_archE4294967295ELNS1_3gpuE0ELNS1_3repE0EEENS1_30default_config_static_selectorELNS0_4arch9wavefront6targetE0EEEvT1_
	.p2align	8
	.type	_ZN7rocprim17ROCPRIM_400000_NS6detail17trampoline_kernelINS0_14default_configENS1_25partition_config_selectorILNS1_17partition_subalgoE5E10large_dataNS0_10empty_typeEbEEZZNS1_14partition_implILS5_5ELb0ES3_mN6thrust23THRUST_200600_302600_NS6detail15normal_iteratorINSB_10device_ptrIS6_EEEEPS7_NSB_18transform_iteratorI7is_evenIS6_ESG_NSB_11use_defaultESL_EENS0_5tupleIJSG_S7_EEENSN_IJSH_SH_EEES7_PlJS7_EEE10hipError_tPvRmT3_T4_T5_T6_T7_T9_mT8_P12ihipStream_tbDpT10_ENKUlT_T0_E_clISt17integral_constantIbLb1EES19_IbLb0EEEEDaS15_S16_EUlS15_E_NS1_11comp_targetILNS1_3genE0ELNS1_11target_archE4294967295ELNS1_3gpuE0ELNS1_3repE0EEENS1_30default_config_static_selectorELNS0_4arch9wavefront6targetE0EEEvT1_,@function
_ZN7rocprim17ROCPRIM_400000_NS6detail17trampoline_kernelINS0_14default_configENS1_25partition_config_selectorILNS1_17partition_subalgoE5E10large_dataNS0_10empty_typeEbEEZZNS1_14partition_implILS5_5ELb0ES3_mN6thrust23THRUST_200600_302600_NS6detail15normal_iteratorINSB_10device_ptrIS6_EEEEPS7_NSB_18transform_iteratorI7is_evenIS6_ESG_NSB_11use_defaultESL_EENS0_5tupleIJSG_S7_EEENSN_IJSH_SH_EEES7_PlJS7_EEE10hipError_tPvRmT3_T4_T5_T6_T7_T9_mT8_P12ihipStream_tbDpT10_ENKUlT_T0_E_clISt17integral_constantIbLb1EES19_IbLb0EEEEDaS15_S16_EUlS15_E_NS1_11comp_targetILNS1_3genE0ELNS1_11target_archE4294967295ELNS1_3gpuE0ELNS1_3repE0EEENS1_30default_config_static_selectorELNS0_4arch9wavefront6targetE0EEEvT1_: ; @_ZN7rocprim17ROCPRIM_400000_NS6detail17trampoline_kernelINS0_14default_configENS1_25partition_config_selectorILNS1_17partition_subalgoE5E10large_dataNS0_10empty_typeEbEEZZNS1_14partition_implILS5_5ELb0ES3_mN6thrust23THRUST_200600_302600_NS6detail15normal_iteratorINSB_10device_ptrIS6_EEEEPS7_NSB_18transform_iteratorI7is_evenIS6_ESG_NSB_11use_defaultESL_EENS0_5tupleIJSG_S7_EEENSN_IJSH_SH_EEES7_PlJS7_EEE10hipError_tPvRmT3_T4_T5_T6_T7_T9_mT8_P12ihipStream_tbDpT10_ENKUlT_T0_E_clISt17integral_constantIbLb1EES19_IbLb0EEEEDaS15_S16_EUlS15_E_NS1_11comp_targetILNS1_3genE0ELNS1_11target_archE4294967295ELNS1_3gpuE0ELNS1_3repE0EEENS1_30default_config_static_selectorELNS0_4arch9wavefront6targetE0EEEvT1_
; %bb.0:
	.section	.rodata,"a",@progbits
	.p2align	6, 0x0
	.amdhsa_kernel _ZN7rocprim17ROCPRIM_400000_NS6detail17trampoline_kernelINS0_14default_configENS1_25partition_config_selectorILNS1_17partition_subalgoE5E10large_dataNS0_10empty_typeEbEEZZNS1_14partition_implILS5_5ELb0ES3_mN6thrust23THRUST_200600_302600_NS6detail15normal_iteratorINSB_10device_ptrIS6_EEEEPS7_NSB_18transform_iteratorI7is_evenIS6_ESG_NSB_11use_defaultESL_EENS0_5tupleIJSG_S7_EEENSN_IJSH_SH_EEES7_PlJS7_EEE10hipError_tPvRmT3_T4_T5_T6_T7_T9_mT8_P12ihipStream_tbDpT10_ENKUlT_T0_E_clISt17integral_constantIbLb1EES19_IbLb0EEEEDaS15_S16_EUlS15_E_NS1_11comp_targetILNS1_3genE0ELNS1_11target_archE4294967295ELNS1_3gpuE0ELNS1_3repE0EEENS1_30default_config_static_selectorELNS0_4arch9wavefront6targetE0EEEvT1_
		.amdhsa_group_segment_fixed_size 0
		.amdhsa_private_segment_fixed_size 0
		.amdhsa_kernarg_size 120
		.amdhsa_user_sgpr_count 15
		.amdhsa_user_sgpr_dispatch_ptr 0
		.amdhsa_user_sgpr_queue_ptr 0
		.amdhsa_user_sgpr_kernarg_segment_ptr 1
		.amdhsa_user_sgpr_dispatch_id 0
		.amdhsa_user_sgpr_private_segment_size 0
		.amdhsa_wavefront_size32 1
		.amdhsa_uses_dynamic_stack 0
		.amdhsa_enable_private_segment 0
		.amdhsa_system_sgpr_workgroup_id_x 1
		.amdhsa_system_sgpr_workgroup_id_y 0
		.amdhsa_system_sgpr_workgroup_id_z 0
		.amdhsa_system_sgpr_workgroup_info 0
		.amdhsa_system_vgpr_workitem_id 0
		.amdhsa_next_free_vgpr 1
		.amdhsa_next_free_sgpr 1
		.amdhsa_reserve_vcc 0
		.amdhsa_float_round_mode_32 0
		.amdhsa_float_round_mode_16_64 0
		.amdhsa_float_denorm_mode_32 3
		.amdhsa_float_denorm_mode_16_64 3
		.amdhsa_dx10_clamp 1
		.amdhsa_ieee_mode 1
		.amdhsa_fp16_overflow 0
		.amdhsa_workgroup_processor_mode 1
		.amdhsa_memory_ordered 1
		.amdhsa_forward_progress 0
		.amdhsa_shared_vgpr_count 0
		.amdhsa_exception_fp_ieee_invalid_op 0
		.amdhsa_exception_fp_denorm_src 0
		.amdhsa_exception_fp_ieee_div_zero 0
		.amdhsa_exception_fp_ieee_overflow 0
		.amdhsa_exception_fp_ieee_underflow 0
		.amdhsa_exception_fp_ieee_inexact 0
		.amdhsa_exception_int_div_zero 0
	.end_amdhsa_kernel
	.section	.text._ZN7rocprim17ROCPRIM_400000_NS6detail17trampoline_kernelINS0_14default_configENS1_25partition_config_selectorILNS1_17partition_subalgoE5E10large_dataNS0_10empty_typeEbEEZZNS1_14partition_implILS5_5ELb0ES3_mN6thrust23THRUST_200600_302600_NS6detail15normal_iteratorINSB_10device_ptrIS6_EEEEPS7_NSB_18transform_iteratorI7is_evenIS6_ESG_NSB_11use_defaultESL_EENS0_5tupleIJSG_S7_EEENSN_IJSH_SH_EEES7_PlJS7_EEE10hipError_tPvRmT3_T4_T5_T6_T7_T9_mT8_P12ihipStream_tbDpT10_ENKUlT_T0_E_clISt17integral_constantIbLb1EES19_IbLb0EEEEDaS15_S16_EUlS15_E_NS1_11comp_targetILNS1_3genE0ELNS1_11target_archE4294967295ELNS1_3gpuE0ELNS1_3repE0EEENS1_30default_config_static_selectorELNS0_4arch9wavefront6targetE0EEEvT1_,"axG",@progbits,_ZN7rocprim17ROCPRIM_400000_NS6detail17trampoline_kernelINS0_14default_configENS1_25partition_config_selectorILNS1_17partition_subalgoE5E10large_dataNS0_10empty_typeEbEEZZNS1_14partition_implILS5_5ELb0ES3_mN6thrust23THRUST_200600_302600_NS6detail15normal_iteratorINSB_10device_ptrIS6_EEEEPS7_NSB_18transform_iteratorI7is_evenIS6_ESG_NSB_11use_defaultESL_EENS0_5tupleIJSG_S7_EEENSN_IJSH_SH_EEES7_PlJS7_EEE10hipError_tPvRmT3_T4_T5_T6_T7_T9_mT8_P12ihipStream_tbDpT10_ENKUlT_T0_E_clISt17integral_constantIbLb1EES19_IbLb0EEEEDaS15_S16_EUlS15_E_NS1_11comp_targetILNS1_3genE0ELNS1_11target_archE4294967295ELNS1_3gpuE0ELNS1_3repE0EEENS1_30default_config_static_selectorELNS0_4arch9wavefront6targetE0EEEvT1_,comdat
.Lfunc_end666:
	.size	_ZN7rocprim17ROCPRIM_400000_NS6detail17trampoline_kernelINS0_14default_configENS1_25partition_config_selectorILNS1_17partition_subalgoE5E10large_dataNS0_10empty_typeEbEEZZNS1_14partition_implILS5_5ELb0ES3_mN6thrust23THRUST_200600_302600_NS6detail15normal_iteratorINSB_10device_ptrIS6_EEEEPS7_NSB_18transform_iteratorI7is_evenIS6_ESG_NSB_11use_defaultESL_EENS0_5tupleIJSG_S7_EEENSN_IJSH_SH_EEES7_PlJS7_EEE10hipError_tPvRmT3_T4_T5_T6_T7_T9_mT8_P12ihipStream_tbDpT10_ENKUlT_T0_E_clISt17integral_constantIbLb1EES19_IbLb0EEEEDaS15_S16_EUlS15_E_NS1_11comp_targetILNS1_3genE0ELNS1_11target_archE4294967295ELNS1_3gpuE0ELNS1_3repE0EEENS1_30default_config_static_selectorELNS0_4arch9wavefront6targetE0EEEvT1_, .Lfunc_end666-_ZN7rocprim17ROCPRIM_400000_NS6detail17trampoline_kernelINS0_14default_configENS1_25partition_config_selectorILNS1_17partition_subalgoE5E10large_dataNS0_10empty_typeEbEEZZNS1_14partition_implILS5_5ELb0ES3_mN6thrust23THRUST_200600_302600_NS6detail15normal_iteratorINSB_10device_ptrIS6_EEEEPS7_NSB_18transform_iteratorI7is_evenIS6_ESG_NSB_11use_defaultESL_EENS0_5tupleIJSG_S7_EEENSN_IJSH_SH_EEES7_PlJS7_EEE10hipError_tPvRmT3_T4_T5_T6_T7_T9_mT8_P12ihipStream_tbDpT10_ENKUlT_T0_E_clISt17integral_constantIbLb1EES19_IbLb0EEEEDaS15_S16_EUlS15_E_NS1_11comp_targetILNS1_3genE0ELNS1_11target_archE4294967295ELNS1_3gpuE0ELNS1_3repE0EEENS1_30default_config_static_selectorELNS0_4arch9wavefront6targetE0EEEvT1_
                                        ; -- End function
	.section	.AMDGPU.csdata,"",@progbits
; Kernel info:
; codeLenInByte = 0
; NumSgprs: 0
; NumVgprs: 0
; ScratchSize: 0
; MemoryBound: 0
; FloatMode: 240
; IeeeMode: 1
; LDSByteSize: 0 bytes/workgroup (compile time only)
; SGPRBlocks: 0
; VGPRBlocks: 0
; NumSGPRsForWavesPerEU: 1
; NumVGPRsForWavesPerEU: 1
; Occupancy: 16
; WaveLimiterHint : 0
; COMPUTE_PGM_RSRC2:SCRATCH_EN: 0
; COMPUTE_PGM_RSRC2:USER_SGPR: 15
; COMPUTE_PGM_RSRC2:TRAP_HANDLER: 0
; COMPUTE_PGM_RSRC2:TGID_X_EN: 1
; COMPUTE_PGM_RSRC2:TGID_Y_EN: 0
; COMPUTE_PGM_RSRC2:TGID_Z_EN: 0
; COMPUTE_PGM_RSRC2:TIDIG_COMP_CNT: 0
	.section	.text._ZN7rocprim17ROCPRIM_400000_NS6detail17trampoline_kernelINS0_14default_configENS1_25partition_config_selectorILNS1_17partition_subalgoE5E10large_dataNS0_10empty_typeEbEEZZNS1_14partition_implILS5_5ELb0ES3_mN6thrust23THRUST_200600_302600_NS6detail15normal_iteratorINSB_10device_ptrIS6_EEEEPS7_NSB_18transform_iteratorI7is_evenIS6_ESG_NSB_11use_defaultESL_EENS0_5tupleIJSG_S7_EEENSN_IJSH_SH_EEES7_PlJS7_EEE10hipError_tPvRmT3_T4_T5_T6_T7_T9_mT8_P12ihipStream_tbDpT10_ENKUlT_T0_E_clISt17integral_constantIbLb1EES19_IbLb0EEEEDaS15_S16_EUlS15_E_NS1_11comp_targetILNS1_3genE5ELNS1_11target_archE942ELNS1_3gpuE9ELNS1_3repE0EEENS1_30default_config_static_selectorELNS0_4arch9wavefront6targetE0EEEvT1_,"axG",@progbits,_ZN7rocprim17ROCPRIM_400000_NS6detail17trampoline_kernelINS0_14default_configENS1_25partition_config_selectorILNS1_17partition_subalgoE5E10large_dataNS0_10empty_typeEbEEZZNS1_14partition_implILS5_5ELb0ES3_mN6thrust23THRUST_200600_302600_NS6detail15normal_iteratorINSB_10device_ptrIS6_EEEEPS7_NSB_18transform_iteratorI7is_evenIS6_ESG_NSB_11use_defaultESL_EENS0_5tupleIJSG_S7_EEENSN_IJSH_SH_EEES7_PlJS7_EEE10hipError_tPvRmT3_T4_T5_T6_T7_T9_mT8_P12ihipStream_tbDpT10_ENKUlT_T0_E_clISt17integral_constantIbLb1EES19_IbLb0EEEEDaS15_S16_EUlS15_E_NS1_11comp_targetILNS1_3genE5ELNS1_11target_archE942ELNS1_3gpuE9ELNS1_3repE0EEENS1_30default_config_static_selectorELNS0_4arch9wavefront6targetE0EEEvT1_,comdat
	.protected	_ZN7rocprim17ROCPRIM_400000_NS6detail17trampoline_kernelINS0_14default_configENS1_25partition_config_selectorILNS1_17partition_subalgoE5E10large_dataNS0_10empty_typeEbEEZZNS1_14partition_implILS5_5ELb0ES3_mN6thrust23THRUST_200600_302600_NS6detail15normal_iteratorINSB_10device_ptrIS6_EEEEPS7_NSB_18transform_iteratorI7is_evenIS6_ESG_NSB_11use_defaultESL_EENS0_5tupleIJSG_S7_EEENSN_IJSH_SH_EEES7_PlJS7_EEE10hipError_tPvRmT3_T4_T5_T6_T7_T9_mT8_P12ihipStream_tbDpT10_ENKUlT_T0_E_clISt17integral_constantIbLb1EES19_IbLb0EEEEDaS15_S16_EUlS15_E_NS1_11comp_targetILNS1_3genE5ELNS1_11target_archE942ELNS1_3gpuE9ELNS1_3repE0EEENS1_30default_config_static_selectorELNS0_4arch9wavefront6targetE0EEEvT1_ ; -- Begin function _ZN7rocprim17ROCPRIM_400000_NS6detail17trampoline_kernelINS0_14default_configENS1_25partition_config_selectorILNS1_17partition_subalgoE5E10large_dataNS0_10empty_typeEbEEZZNS1_14partition_implILS5_5ELb0ES3_mN6thrust23THRUST_200600_302600_NS6detail15normal_iteratorINSB_10device_ptrIS6_EEEEPS7_NSB_18transform_iteratorI7is_evenIS6_ESG_NSB_11use_defaultESL_EENS0_5tupleIJSG_S7_EEENSN_IJSH_SH_EEES7_PlJS7_EEE10hipError_tPvRmT3_T4_T5_T6_T7_T9_mT8_P12ihipStream_tbDpT10_ENKUlT_T0_E_clISt17integral_constantIbLb1EES19_IbLb0EEEEDaS15_S16_EUlS15_E_NS1_11comp_targetILNS1_3genE5ELNS1_11target_archE942ELNS1_3gpuE9ELNS1_3repE0EEENS1_30default_config_static_selectorELNS0_4arch9wavefront6targetE0EEEvT1_
	.globl	_ZN7rocprim17ROCPRIM_400000_NS6detail17trampoline_kernelINS0_14default_configENS1_25partition_config_selectorILNS1_17partition_subalgoE5E10large_dataNS0_10empty_typeEbEEZZNS1_14partition_implILS5_5ELb0ES3_mN6thrust23THRUST_200600_302600_NS6detail15normal_iteratorINSB_10device_ptrIS6_EEEEPS7_NSB_18transform_iteratorI7is_evenIS6_ESG_NSB_11use_defaultESL_EENS0_5tupleIJSG_S7_EEENSN_IJSH_SH_EEES7_PlJS7_EEE10hipError_tPvRmT3_T4_T5_T6_T7_T9_mT8_P12ihipStream_tbDpT10_ENKUlT_T0_E_clISt17integral_constantIbLb1EES19_IbLb0EEEEDaS15_S16_EUlS15_E_NS1_11comp_targetILNS1_3genE5ELNS1_11target_archE942ELNS1_3gpuE9ELNS1_3repE0EEENS1_30default_config_static_selectorELNS0_4arch9wavefront6targetE0EEEvT1_
	.p2align	8
	.type	_ZN7rocprim17ROCPRIM_400000_NS6detail17trampoline_kernelINS0_14default_configENS1_25partition_config_selectorILNS1_17partition_subalgoE5E10large_dataNS0_10empty_typeEbEEZZNS1_14partition_implILS5_5ELb0ES3_mN6thrust23THRUST_200600_302600_NS6detail15normal_iteratorINSB_10device_ptrIS6_EEEEPS7_NSB_18transform_iteratorI7is_evenIS6_ESG_NSB_11use_defaultESL_EENS0_5tupleIJSG_S7_EEENSN_IJSH_SH_EEES7_PlJS7_EEE10hipError_tPvRmT3_T4_T5_T6_T7_T9_mT8_P12ihipStream_tbDpT10_ENKUlT_T0_E_clISt17integral_constantIbLb1EES19_IbLb0EEEEDaS15_S16_EUlS15_E_NS1_11comp_targetILNS1_3genE5ELNS1_11target_archE942ELNS1_3gpuE9ELNS1_3repE0EEENS1_30default_config_static_selectorELNS0_4arch9wavefront6targetE0EEEvT1_,@function
_ZN7rocprim17ROCPRIM_400000_NS6detail17trampoline_kernelINS0_14default_configENS1_25partition_config_selectorILNS1_17partition_subalgoE5E10large_dataNS0_10empty_typeEbEEZZNS1_14partition_implILS5_5ELb0ES3_mN6thrust23THRUST_200600_302600_NS6detail15normal_iteratorINSB_10device_ptrIS6_EEEEPS7_NSB_18transform_iteratorI7is_evenIS6_ESG_NSB_11use_defaultESL_EENS0_5tupleIJSG_S7_EEENSN_IJSH_SH_EEES7_PlJS7_EEE10hipError_tPvRmT3_T4_T5_T6_T7_T9_mT8_P12ihipStream_tbDpT10_ENKUlT_T0_E_clISt17integral_constantIbLb1EES19_IbLb0EEEEDaS15_S16_EUlS15_E_NS1_11comp_targetILNS1_3genE5ELNS1_11target_archE942ELNS1_3gpuE9ELNS1_3repE0EEENS1_30default_config_static_selectorELNS0_4arch9wavefront6targetE0EEEvT1_: ; @_ZN7rocprim17ROCPRIM_400000_NS6detail17trampoline_kernelINS0_14default_configENS1_25partition_config_selectorILNS1_17partition_subalgoE5E10large_dataNS0_10empty_typeEbEEZZNS1_14partition_implILS5_5ELb0ES3_mN6thrust23THRUST_200600_302600_NS6detail15normal_iteratorINSB_10device_ptrIS6_EEEEPS7_NSB_18transform_iteratorI7is_evenIS6_ESG_NSB_11use_defaultESL_EENS0_5tupleIJSG_S7_EEENSN_IJSH_SH_EEES7_PlJS7_EEE10hipError_tPvRmT3_T4_T5_T6_T7_T9_mT8_P12ihipStream_tbDpT10_ENKUlT_T0_E_clISt17integral_constantIbLb1EES19_IbLb0EEEEDaS15_S16_EUlS15_E_NS1_11comp_targetILNS1_3genE5ELNS1_11target_archE942ELNS1_3gpuE9ELNS1_3repE0EEENS1_30default_config_static_selectorELNS0_4arch9wavefront6targetE0EEEvT1_
; %bb.0:
	.section	.rodata,"a",@progbits
	.p2align	6, 0x0
	.amdhsa_kernel _ZN7rocprim17ROCPRIM_400000_NS6detail17trampoline_kernelINS0_14default_configENS1_25partition_config_selectorILNS1_17partition_subalgoE5E10large_dataNS0_10empty_typeEbEEZZNS1_14partition_implILS5_5ELb0ES3_mN6thrust23THRUST_200600_302600_NS6detail15normal_iteratorINSB_10device_ptrIS6_EEEEPS7_NSB_18transform_iteratorI7is_evenIS6_ESG_NSB_11use_defaultESL_EENS0_5tupleIJSG_S7_EEENSN_IJSH_SH_EEES7_PlJS7_EEE10hipError_tPvRmT3_T4_T5_T6_T7_T9_mT8_P12ihipStream_tbDpT10_ENKUlT_T0_E_clISt17integral_constantIbLb1EES19_IbLb0EEEEDaS15_S16_EUlS15_E_NS1_11comp_targetILNS1_3genE5ELNS1_11target_archE942ELNS1_3gpuE9ELNS1_3repE0EEENS1_30default_config_static_selectorELNS0_4arch9wavefront6targetE0EEEvT1_
		.amdhsa_group_segment_fixed_size 0
		.amdhsa_private_segment_fixed_size 0
		.amdhsa_kernarg_size 120
		.amdhsa_user_sgpr_count 15
		.amdhsa_user_sgpr_dispatch_ptr 0
		.amdhsa_user_sgpr_queue_ptr 0
		.amdhsa_user_sgpr_kernarg_segment_ptr 1
		.amdhsa_user_sgpr_dispatch_id 0
		.amdhsa_user_sgpr_private_segment_size 0
		.amdhsa_wavefront_size32 1
		.amdhsa_uses_dynamic_stack 0
		.amdhsa_enable_private_segment 0
		.amdhsa_system_sgpr_workgroup_id_x 1
		.amdhsa_system_sgpr_workgroup_id_y 0
		.amdhsa_system_sgpr_workgroup_id_z 0
		.amdhsa_system_sgpr_workgroup_info 0
		.amdhsa_system_vgpr_workitem_id 0
		.amdhsa_next_free_vgpr 1
		.amdhsa_next_free_sgpr 1
		.amdhsa_reserve_vcc 0
		.amdhsa_float_round_mode_32 0
		.amdhsa_float_round_mode_16_64 0
		.amdhsa_float_denorm_mode_32 3
		.amdhsa_float_denorm_mode_16_64 3
		.amdhsa_dx10_clamp 1
		.amdhsa_ieee_mode 1
		.amdhsa_fp16_overflow 0
		.amdhsa_workgroup_processor_mode 1
		.amdhsa_memory_ordered 1
		.amdhsa_forward_progress 0
		.amdhsa_shared_vgpr_count 0
		.amdhsa_exception_fp_ieee_invalid_op 0
		.amdhsa_exception_fp_denorm_src 0
		.amdhsa_exception_fp_ieee_div_zero 0
		.amdhsa_exception_fp_ieee_overflow 0
		.amdhsa_exception_fp_ieee_underflow 0
		.amdhsa_exception_fp_ieee_inexact 0
		.amdhsa_exception_int_div_zero 0
	.end_amdhsa_kernel
	.section	.text._ZN7rocprim17ROCPRIM_400000_NS6detail17trampoline_kernelINS0_14default_configENS1_25partition_config_selectorILNS1_17partition_subalgoE5E10large_dataNS0_10empty_typeEbEEZZNS1_14partition_implILS5_5ELb0ES3_mN6thrust23THRUST_200600_302600_NS6detail15normal_iteratorINSB_10device_ptrIS6_EEEEPS7_NSB_18transform_iteratorI7is_evenIS6_ESG_NSB_11use_defaultESL_EENS0_5tupleIJSG_S7_EEENSN_IJSH_SH_EEES7_PlJS7_EEE10hipError_tPvRmT3_T4_T5_T6_T7_T9_mT8_P12ihipStream_tbDpT10_ENKUlT_T0_E_clISt17integral_constantIbLb1EES19_IbLb0EEEEDaS15_S16_EUlS15_E_NS1_11comp_targetILNS1_3genE5ELNS1_11target_archE942ELNS1_3gpuE9ELNS1_3repE0EEENS1_30default_config_static_selectorELNS0_4arch9wavefront6targetE0EEEvT1_,"axG",@progbits,_ZN7rocprim17ROCPRIM_400000_NS6detail17trampoline_kernelINS0_14default_configENS1_25partition_config_selectorILNS1_17partition_subalgoE5E10large_dataNS0_10empty_typeEbEEZZNS1_14partition_implILS5_5ELb0ES3_mN6thrust23THRUST_200600_302600_NS6detail15normal_iteratorINSB_10device_ptrIS6_EEEEPS7_NSB_18transform_iteratorI7is_evenIS6_ESG_NSB_11use_defaultESL_EENS0_5tupleIJSG_S7_EEENSN_IJSH_SH_EEES7_PlJS7_EEE10hipError_tPvRmT3_T4_T5_T6_T7_T9_mT8_P12ihipStream_tbDpT10_ENKUlT_T0_E_clISt17integral_constantIbLb1EES19_IbLb0EEEEDaS15_S16_EUlS15_E_NS1_11comp_targetILNS1_3genE5ELNS1_11target_archE942ELNS1_3gpuE9ELNS1_3repE0EEENS1_30default_config_static_selectorELNS0_4arch9wavefront6targetE0EEEvT1_,comdat
.Lfunc_end667:
	.size	_ZN7rocprim17ROCPRIM_400000_NS6detail17trampoline_kernelINS0_14default_configENS1_25partition_config_selectorILNS1_17partition_subalgoE5E10large_dataNS0_10empty_typeEbEEZZNS1_14partition_implILS5_5ELb0ES3_mN6thrust23THRUST_200600_302600_NS6detail15normal_iteratorINSB_10device_ptrIS6_EEEEPS7_NSB_18transform_iteratorI7is_evenIS6_ESG_NSB_11use_defaultESL_EENS0_5tupleIJSG_S7_EEENSN_IJSH_SH_EEES7_PlJS7_EEE10hipError_tPvRmT3_T4_T5_T6_T7_T9_mT8_P12ihipStream_tbDpT10_ENKUlT_T0_E_clISt17integral_constantIbLb1EES19_IbLb0EEEEDaS15_S16_EUlS15_E_NS1_11comp_targetILNS1_3genE5ELNS1_11target_archE942ELNS1_3gpuE9ELNS1_3repE0EEENS1_30default_config_static_selectorELNS0_4arch9wavefront6targetE0EEEvT1_, .Lfunc_end667-_ZN7rocprim17ROCPRIM_400000_NS6detail17trampoline_kernelINS0_14default_configENS1_25partition_config_selectorILNS1_17partition_subalgoE5E10large_dataNS0_10empty_typeEbEEZZNS1_14partition_implILS5_5ELb0ES3_mN6thrust23THRUST_200600_302600_NS6detail15normal_iteratorINSB_10device_ptrIS6_EEEEPS7_NSB_18transform_iteratorI7is_evenIS6_ESG_NSB_11use_defaultESL_EENS0_5tupleIJSG_S7_EEENSN_IJSH_SH_EEES7_PlJS7_EEE10hipError_tPvRmT3_T4_T5_T6_T7_T9_mT8_P12ihipStream_tbDpT10_ENKUlT_T0_E_clISt17integral_constantIbLb1EES19_IbLb0EEEEDaS15_S16_EUlS15_E_NS1_11comp_targetILNS1_3genE5ELNS1_11target_archE942ELNS1_3gpuE9ELNS1_3repE0EEENS1_30default_config_static_selectorELNS0_4arch9wavefront6targetE0EEEvT1_
                                        ; -- End function
	.section	.AMDGPU.csdata,"",@progbits
; Kernel info:
; codeLenInByte = 0
; NumSgprs: 0
; NumVgprs: 0
; ScratchSize: 0
; MemoryBound: 0
; FloatMode: 240
; IeeeMode: 1
; LDSByteSize: 0 bytes/workgroup (compile time only)
; SGPRBlocks: 0
; VGPRBlocks: 0
; NumSGPRsForWavesPerEU: 1
; NumVGPRsForWavesPerEU: 1
; Occupancy: 16
; WaveLimiterHint : 0
; COMPUTE_PGM_RSRC2:SCRATCH_EN: 0
; COMPUTE_PGM_RSRC2:USER_SGPR: 15
; COMPUTE_PGM_RSRC2:TRAP_HANDLER: 0
; COMPUTE_PGM_RSRC2:TGID_X_EN: 1
; COMPUTE_PGM_RSRC2:TGID_Y_EN: 0
; COMPUTE_PGM_RSRC2:TGID_Z_EN: 0
; COMPUTE_PGM_RSRC2:TIDIG_COMP_CNT: 0
	.section	.text._ZN7rocprim17ROCPRIM_400000_NS6detail17trampoline_kernelINS0_14default_configENS1_25partition_config_selectorILNS1_17partition_subalgoE5E10large_dataNS0_10empty_typeEbEEZZNS1_14partition_implILS5_5ELb0ES3_mN6thrust23THRUST_200600_302600_NS6detail15normal_iteratorINSB_10device_ptrIS6_EEEEPS7_NSB_18transform_iteratorI7is_evenIS6_ESG_NSB_11use_defaultESL_EENS0_5tupleIJSG_S7_EEENSN_IJSH_SH_EEES7_PlJS7_EEE10hipError_tPvRmT3_T4_T5_T6_T7_T9_mT8_P12ihipStream_tbDpT10_ENKUlT_T0_E_clISt17integral_constantIbLb1EES19_IbLb0EEEEDaS15_S16_EUlS15_E_NS1_11comp_targetILNS1_3genE4ELNS1_11target_archE910ELNS1_3gpuE8ELNS1_3repE0EEENS1_30default_config_static_selectorELNS0_4arch9wavefront6targetE0EEEvT1_,"axG",@progbits,_ZN7rocprim17ROCPRIM_400000_NS6detail17trampoline_kernelINS0_14default_configENS1_25partition_config_selectorILNS1_17partition_subalgoE5E10large_dataNS0_10empty_typeEbEEZZNS1_14partition_implILS5_5ELb0ES3_mN6thrust23THRUST_200600_302600_NS6detail15normal_iteratorINSB_10device_ptrIS6_EEEEPS7_NSB_18transform_iteratorI7is_evenIS6_ESG_NSB_11use_defaultESL_EENS0_5tupleIJSG_S7_EEENSN_IJSH_SH_EEES7_PlJS7_EEE10hipError_tPvRmT3_T4_T5_T6_T7_T9_mT8_P12ihipStream_tbDpT10_ENKUlT_T0_E_clISt17integral_constantIbLb1EES19_IbLb0EEEEDaS15_S16_EUlS15_E_NS1_11comp_targetILNS1_3genE4ELNS1_11target_archE910ELNS1_3gpuE8ELNS1_3repE0EEENS1_30default_config_static_selectorELNS0_4arch9wavefront6targetE0EEEvT1_,comdat
	.protected	_ZN7rocprim17ROCPRIM_400000_NS6detail17trampoline_kernelINS0_14default_configENS1_25partition_config_selectorILNS1_17partition_subalgoE5E10large_dataNS0_10empty_typeEbEEZZNS1_14partition_implILS5_5ELb0ES3_mN6thrust23THRUST_200600_302600_NS6detail15normal_iteratorINSB_10device_ptrIS6_EEEEPS7_NSB_18transform_iteratorI7is_evenIS6_ESG_NSB_11use_defaultESL_EENS0_5tupleIJSG_S7_EEENSN_IJSH_SH_EEES7_PlJS7_EEE10hipError_tPvRmT3_T4_T5_T6_T7_T9_mT8_P12ihipStream_tbDpT10_ENKUlT_T0_E_clISt17integral_constantIbLb1EES19_IbLb0EEEEDaS15_S16_EUlS15_E_NS1_11comp_targetILNS1_3genE4ELNS1_11target_archE910ELNS1_3gpuE8ELNS1_3repE0EEENS1_30default_config_static_selectorELNS0_4arch9wavefront6targetE0EEEvT1_ ; -- Begin function _ZN7rocprim17ROCPRIM_400000_NS6detail17trampoline_kernelINS0_14default_configENS1_25partition_config_selectorILNS1_17partition_subalgoE5E10large_dataNS0_10empty_typeEbEEZZNS1_14partition_implILS5_5ELb0ES3_mN6thrust23THRUST_200600_302600_NS6detail15normal_iteratorINSB_10device_ptrIS6_EEEEPS7_NSB_18transform_iteratorI7is_evenIS6_ESG_NSB_11use_defaultESL_EENS0_5tupleIJSG_S7_EEENSN_IJSH_SH_EEES7_PlJS7_EEE10hipError_tPvRmT3_T4_T5_T6_T7_T9_mT8_P12ihipStream_tbDpT10_ENKUlT_T0_E_clISt17integral_constantIbLb1EES19_IbLb0EEEEDaS15_S16_EUlS15_E_NS1_11comp_targetILNS1_3genE4ELNS1_11target_archE910ELNS1_3gpuE8ELNS1_3repE0EEENS1_30default_config_static_selectorELNS0_4arch9wavefront6targetE0EEEvT1_
	.globl	_ZN7rocprim17ROCPRIM_400000_NS6detail17trampoline_kernelINS0_14default_configENS1_25partition_config_selectorILNS1_17partition_subalgoE5E10large_dataNS0_10empty_typeEbEEZZNS1_14partition_implILS5_5ELb0ES3_mN6thrust23THRUST_200600_302600_NS6detail15normal_iteratorINSB_10device_ptrIS6_EEEEPS7_NSB_18transform_iteratorI7is_evenIS6_ESG_NSB_11use_defaultESL_EENS0_5tupleIJSG_S7_EEENSN_IJSH_SH_EEES7_PlJS7_EEE10hipError_tPvRmT3_T4_T5_T6_T7_T9_mT8_P12ihipStream_tbDpT10_ENKUlT_T0_E_clISt17integral_constantIbLb1EES19_IbLb0EEEEDaS15_S16_EUlS15_E_NS1_11comp_targetILNS1_3genE4ELNS1_11target_archE910ELNS1_3gpuE8ELNS1_3repE0EEENS1_30default_config_static_selectorELNS0_4arch9wavefront6targetE0EEEvT1_
	.p2align	8
	.type	_ZN7rocprim17ROCPRIM_400000_NS6detail17trampoline_kernelINS0_14default_configENS1_25partition_config_selectorILNS1_17partition_subalgoE5E10large_dataNS0_10empty_typeEbEEZZNS1_14partition_implILS5_5ELb0ES3_mN6thrust23THRUST_200600_302600_NS6detail15normal_iteratorINSB_10device_ptrIS6_EEEEPS7_NSB_18transform_iteratorI7is_evenIS6_ESG_NSB_11use_defaultESL_EENS0_5tupleIJSG_S7_EEENSN_IJSH_SH_EEES7_PlJS7_EEE10hipError_tPvRmT3_T4_T5_T6_T7_T9_mT8_P12ihipStream_tbDpT10_ENKUlT_T0_E_clISt17integral_constantIbLb1EES19_IbLb0EEEEDaS15_S16_EUlS15_E_NS1_11comp_targetILNS1_3genE4ELNS1_11target_archE910ELNS1_3gpuE8ELNS1_3repE0EEENS1_30default_config_static_selectorELNS0_4arch9wavefront6targetE0EEEvT1_,@function
_ZN7rocprim17ROCPRIM_400000_NS6detail17trampoline_kernelINS0_14default_configENS1_25partition_config_selectorILNS1_17partition_subalgoE5E10large_dataNS0_10empty_typeEbEEZZNS1_14partition_implILS5_5ELb0ES3_mN6thrust23THRUST_200600_302600_NS6detail15normal_iteratorINSB_10device_ptrIS6_EEEEPS7_NSB_18transform_iteratorI7is_evenIS6_ESG_NSB_11use_defaultESL_EENS0_5tupleIJSG_S7_EEENSN_IJSH_SH_EEES7_PlJS7_EEE10hipError_tPvRmT3_T4_T5_T6_T7_T9_mT8_P12ihipStream_tbDpT10_ENKUlT_T0_E_clISt17integral_constantIbLb1EES19_IbLb0EEEEDaS15_S16_EUlS15_E_NS1_11comp_targetILNS1_3genE4ELNS1_11target_archE910ELNS1_3gpuE8ELNS1_3repE0EEENS1_30default_config_static_selectorELNS0_4arch9wavefront6targetE0EEEvT1_: ; @_ZN7rocprim17ROCPRIM_400000_NS6detail17trampoline_kernelINS0_14default_configENS1_25partition_config_selectorILNS1_17partition_subalgoE5E10large_dataNS0_10empty_typeEbEEZZNS1_14partition_implILS5_5ELb0ES3_mN6thrust23THRUST_200600_302600_NS6detail15normal_iteratorINSB_10device_ptrIS6_EEEEPS7_NSB_18transform_iteratorI7is_evenIS6_ESG_NSB_11use_defaultESL_EENS0_5tupleIJSG_S7_EEENSN_IJSH_SH_EEES7_PlJS7_EEE10hipError_tPvRmT3_T4_T5_T6_T7_T9_mT8_P12ihipStream_tbDpT10_ENKUlT_T0_E_clISt17integral_constantIbLb1EES19_IbLb0EEEEDaS15_S16_EUlS15_E_NS1_11comp_targetILNS1_3genE4ELNS1_11target_archE910ELNS1_3gpuE8ELNS1_3repE0EEENS1_30default_config_static_selectorELNS0_4arch9wavefront6targetE0EEEvT1_
; %bb.0:
	.section	.rodata,"a",@progbits
	.p2align	6, 0x0
	.amdhsa_kernel _ZN7rocprim17ROCPRIM_400000_NS6detail17trampoline_kernelINS0_14default_configENS1_25partition_config_selectorILNS1_17partition_subalgoE5E10large_dataNS0_10empty_typeEbEEZZNS1_14partition_implILS5_5ELb0ES3_mN6thrust23THRUST_200600_302600_NS6detail15normal_iteratorINSB_10device_ptrIS6_EEEEPS7_NSB_18transform_iteratorI7is_evenIS6_ESG_NSB_11use_defaultESL_EENS0_5tupleIJSG_S7_EEENSN_IJSH_SH_EEES7_PlJS7_EEE10hipError_tPvRmT3_T4_T5_T6_T7_T9_mT8_P12ihipStream_tbDpT10_ENKUlT_T0_E_clISt17integral_constantIbLb1EES19_IbLb0EEEEDaS15_S16_EUlS15_E_NS1_11comp_targetILNS1_3genE4ELNS1_11target_archE910ELNS1_3gpuE8ELNS1_3repE0EEENS1_30default_config_static_selectorELNS0_4arch9wavefront6targetE0EEEvT1_
		.amdhsa_group_segment_fixed_size 0
		.amdhsa_private_segment_fixed_size 0
		.amdhsa_kernarg_size 120
		.amdhsa_user_sgpr_count 15
		.amdhsa_user_sgpr_dispatch_ptr 0
		.amdhsa_user_sgpr_queue_ptr 0
		.amdhsa_user_sgpr_kernarg_segment_ptr 1
		.amdhsa_user_sgpr_dispatch_id 0
		.amdhsa_user_sgpr_private_segment_size 0
		.amdhsa_wavefront_size32 1
		.amdhsa_uses_dynamic_stack 0
		.amdhsa_enable_private_segment 0
		.amdhsa_system_sgpr_workgroup_id_x 1
		.amdhsa_system_sgpr_workgroup_id_y 0
		.amdhsa_system_sgpr_workgroup_id_z 0
		.amdhsa_system_sgpr_workgroup_info 0
		.amdhsa_system_vgpr_workitem_id 0
		.amdhsa_next_free_vgpr 1
		.amdhsa_next_free_sgpr 1
		.amdhsa_reserve_vcc 0
		.amdhsa_float_round_mode_32 0
		.amdhsa_float_round_mode_16_64 0
		.amdhsa_float_denorm_mode_32 3
		.amdhsa_float_denorm_mode_16_64 3
		.amdhsa_dx10_clamp 1
		.amdhsa_ieee_mode 1
		.amdhsa_fp16_overflow 0
		.amdhsa_workgroup_processor_mode 1
		.amdhsa_memory_ordered 1
		.amdhsa_forward_progress 0
		.amdhsa_shared_vgpr_count 0
		.amdhsa_exception_fp_ieee_invalid_op 0
		.amdhsa_exception_fp_denorm_src 0
		.amdhsa_exception_fp_ieee_div_zero 0
		.amdhsa_exception_fp_ieee_overflow 0
		.amdhsa_exception_fp_ieee_underflow 0
		.amdhsa_exception_fp_ieee_inexact 0
		.amdhsa_exception_int_div_zero 0
	.end_amdhsa_kernel
	.section	.text._ZN7rocprim17ROCPRIM_400000_NS6detail17trampoline_kernelINS0_14default_configENS1_25partition_config_selectorILNS1_17partition_subalgoE5E10large_dataNS0_10empty_typeEbEEZZNS1_14partition_implILS5_5ELb0ES3_mN6thrust23THRUST_200600_302600_NS6detail15normal_iteratorINSB_10device_ptrIS6_EEEEPS7_NSB_18transform_iteratorI7is_evenIS6_ESG_NSB_11use_defaultESL_EENS0_5tupleIJSG_S7_EEENSN_IJSH_SH_EEES7_PlJS7_EEE10hipError_tPvRmT3_T4_T5_T6_T7_T9_mT8_P12ihipStream_tbDpT10_ENKUlT_T0_E_clISt17integral_constantIbLb1EES19_IbLb0EEEEDaS15_S16_EUlS15_E_NS1_11comp_targetILNS1_3genE4ELNS1_11target_archE910ELNS1_3gpuE8ELNS1_3repE0EEENS1_30default_config_static_selectorELNS0_4arch9wavefront6targetE0EEEvT1_,"axG",@progbits,_ZN7rocprim17ROCPRIM_400000_NS6detail17trampoline_kernelINS0_14default_configENS1_25partition_config_selectorILNS1_17partition_subalgoE5E10large_dataNS0_10empty_typeEbEEZZNS1_14partition_implILS5_5ELb0ES3_mN6thrust23THRUST_200600_302600_NS6detail15normal_iteratorINSB_10device_ptrIS6_EEEEPS7_NSB_18transform_iteratorI7is_evenIS6_ESG_NSB_11use_defaultESL_EENS0_5tupleIJSG_S7_EEENSN_IJSH_SH_EEES7_PlJS7_EEE10hipError_tPvRmT3_T4_T5_T6_T7_T9_mT8_P12ihipStream_tbDpT10_ENKUlT_T0_E_clISt17integral_constantIbLb1EES19_IbLb0EEEEDaS15_S16_EUlS15_E_NS1_11comp_targetILNS1_3genE4ELNS1_11target_archE910ELNS1_3gpuE8ELNS1_3repE0EEENS1_30default_config_static_selectorELNS0_4arch9wavefront6targetE0EEEvT1_,comdat
.Lfunc_end668:
	.size	_ZN7rocprim17ROCPRIM_400000_NS6detail17trampoline_kernelINS0_14default_configENS1_25partition_config_selectorILNS1_17partition_subalgoE5E10large_dataNS0_10empty_typeEbEEZZNS1_14partition_implILS5_5ELb0ES3_mN6thrust23THRUST_200600_302600_NS6detail15normal_iteratorINSB_10device_ptrIS6_EEEEPS7_NSB_18transform_iteratorI7is_evenIS6_ESG_NSB_11use_defaultESL_EENS0_5tupleIJSG_S7_EEENSN_IJSH_SH_EEES7_PlJS7_EEE10hipError_tPvRmT3_T4_T5_T6_T7_T9_mT8_P12ihipStream_tbDpT10_ENKUlT_T0_E_clISt17integral_constantIbLb1EES19_IbLb0EEEEDaS15_S16_EUlS15_E_NS1_11comp_targetILNS1_3genE4ELNS1_11target_archE910ELNS1_3gpuE8ELNS1_3repE0EEENS1_30default_config_static_selectorELNS0_4arch9wavefront6targetE0EEEvT1_, .Lfunc_end668-_ZN7rocprim17ROCPRIM_400000_NS6detail17trampoline_kernelINS0_14default_configENS1_25partition_config_selectorILNS1_17partition_subalgoE5E10large_dataNS0_10empty_typeEbEEZZNS1_14partition_implILS5_5ELb0ES3_mN6thrust23THRUST_200600_302600_NS6detail15normal_iteratorINSB_10device_ptrIS6_EEEEPS7_NSB_18transform_iteratorI7is_evenIS6_ESG_NSB_11use_defaultESL_EENS0_5tupleIJSG_S7_EEENSN_IJSH_SH_EEES7_PlJS7_EEE10hipError_tPvRmT3_T4_T5_T6_T7_T9_mT8_P12ihipStream_tbDpT10_ENKUlT_T0_E_clISt17integral_constantIbLb1EES19_IbLb0EEEEDaS15_S16_EUlS15_E_NS1_11comp_targetILNS1_3genE4ELNS1_11target_archE910ELNS1_3gpuE8ELNS1_3repE0EEENS1_30default_config_static_selectorELNS0_4arch9wavefront6targetE0EEEvT1_
                                        ; -- End function
	.section	.AMDGPU.csdata,"",@progbits
; Kernel info:
; codeLenInByte = 0
; NumSgprs: 0
; NumVgprs: 0
; ScratchSize: 0
; MemoryBound: 0
; FloatMode: 240
; IeeeMode: 1
; LDSByteSize: 0 bytes/workgroup (compile time only)
; SGPRBlocks: 0
; VGPRBlocks: 0
; NumSGPRsForWavesPerEU: 1
; NumVGPRsForWavesPerEU: 1
; Occupancy: 16
; WaveLimiterHint : 0
; COMPUTE_PGM_RSRC2:SCRATCH_EN: 0
; COMPUTE_PGM_RSRC2:USER_SGPR: 15
; COMPUTE_PGM_RSRC2:TRAP_HANDLER: 0
; COMPUTE_PGM_RSRC2:TGID_X_EN: 1
; COMPUTE_PGM_RSRC2:TGID_Y_EN: 0
; COMPUTE_PGM_RSRC2:TGID_Z_EN: 0
; COMPUTE_PGM_RSRC2:TIDIG_COMP_CNT: 0
	.section	.text._ZN7rocprim17ROCPRIM_400000_NS6detail17trampoline_kernelINS0_14default_configENS1_25partition_config_selectorILNS1_17partition_subalgoE5E10large_dataNS0_10empty_typeEbEEZZNS1_14partition_implILS5_5ELb0ES3_mN6thrust23THRUST_200600_302600_NS6detail15normal_iteratorINSB_10device_ptrIS6_EEEEPS7_NSB_18transform_iteratorI7is_evenIS6_ESG_NSB_11use_defaultESL_EENS0_5tupleIJSG_S7_EEENSN_IJSH_SH_EEES7_PlJS7_EEE10hipError_tPvRmT3_T4_T5_T6_T7_T9_mT8_P12ihipStream_tbDpT10_ENKUlT_T0_E_clISt17integral_constantIbLb1EES19_IbLb0EEEEDaS15_S16_EUlS15_E_NS1_11comp_targetILNS1_3genE3ELNS1_11target_archE908ELNS1_3gpuE7ELNS1_3repE0EEENS1_30default_config_static_selectorELNS0_4arch9wavefront6targetE0EEEvT1_,"axG",@progbits,_ZN7rocprim17ROCPRIM_400000_NS6detail17trampoline_kernelINS0_14default_configENS1_25partition_config_selectorILNS1_17partition_subalgoE5E10large_dataNS0_10empty_typeEbEEZZNS1_14partition_implILS5_5ELb0ES3_mN6thrust23THRUST_200600_302600_NS6detail15normal_iteratorINSB_10device_ptrIS6_EEEEPS7_NSB_18transform_iteratorI7is_evenIS6_ESG_NSB_11use_defaultESL_EENS0_5tupleIJSG_S7_EEENSN_IJSH_SH_EEES7_PlJS7_EEE10hipError_tPvRmT3_T4_T5_T6_T7_T9_mT8_P12ihipStream_tbDpT10_ENKUlT_T0_E_clISt17integral_constantIbLb1EES19_IbLb0EEEEDaS15_S16_EUlS15_E_NS1_11comp_targetILNS1_3genE3ELNS1_11target_archE908ELNS1_3gpuE7ELNS1_3repE0EEENS1_30default_config_static_selectorELNS0_4arch9wavefront6targetE0EEEvT1_,comdat
	.protected	_ZN7rocprim17ROCPRIM_400000_NS6detail17trampoline_kernelINS0_14default_configENS1_25partition_config_selectorILNS1_17partition_subalgoE5E10large_dataNS0_10empty_typeEbEEZZNS1_14partition_implILS5_5ELb0ES3_mN6thrust23THRUST_200600_302600_NS6detail15normal_iteratorINSB_10device_ptrIS6_EEEEPS7_NSB_18transform_iteratorI7is_evenIS6_ESG_NSB_11use_defaultESL_EENS0_5tupleIJSG_S7_EEENSN_IJSH_SH_EEES7_PlJS7_EEE10hipError_tPvRmT3_T4_T5_T6_T7_T9_mT8_P12ihipStream_tbDpT10_ENKUlT_T0_E_clISt17integral_constantIbLb1EES19_IbLb0EEEEDaS15_S16_EUlS15_E_NS1_11comp_targetILNS1_3genE3ELNS1_11target_archE908ELNS1_3gpuE7ELNS1_3repE0EEENS1_30default_config_static_selectorELNS0_4arch9wavefront6targetE0EEEvT1_ ; -- Begin function _ZN7rocprim17ROCPRIM_400000_NS6detail17trampoline_kernelINS0_14default_configENS1_25partition_config_selectorILNS1_17partition_subalgoE5E10large_dataNS0_10empty_typeEbEEZZNS1_14partition_implILS5_5ELb0ES3_mN6thrust23THRUST_200600_302600_NS6detail15normal_iteratorINSB_10device_ptrIS6_EEEEPS7_NSB_18transform_iteratorI7is_evenIS6_ESG_NSB_11use_defaultESL_EENS0_5tupleIJSG_S7_EEENSN_IJSH_SH_EEES7_PlJS7_EEE10hipError_tPvRmT3_T4_T5_T6_T7_T9_mT8_P12ihipStream_tbDpT10_ENKUlT_T0_E_clISt17integral_constantIbLb1EES19_IbLb0EEEEDaS15_S16_EUlS15_E_NS1_11comp_targetILNS1_3genE3ELNS1_11target_archE908ELNS1_3gpuE7ELNS1_3repE0EEENS1_30default_config_static_selectorELNS0_4arch9wavefront6targetE0EEEvT1_
	.globl	_ZN7rocprim17ROCPRIM_400000_NS6detail17trampoline_kernelINS0_14default_configENS1_25partition_config_selectorILNS1_17partition_subalgoE5E10large_dataNS0_10empty_typeEbEEZZNS1_14partition_implILS5_5ELb0ES3_mN6thrust23THRUST_200600_302600_NS6detail15normal_iteratorINSB_10device_ptrIS6_EEEEPS7_NSB_18transform_iteratorI7is_evenIS6_ESG_NSB_11use_defaultESL_EENS0_5tupleIJSG_S7_EEENSN_IJSH_SH_EEES7_PlJS7_EEE10hipError_tPvRmT3_T4_T5_T6_T7_T9_mT8_P12ihipStream_tbDpT10_ENKUlT_T0_E_clISt17integral_constantIbLb1EES19_IbLb0EEEEDaS15_S16_EUlS15_E_NS1_11comp_targetILNS1_3genE3ELNS1_11target_archE908ELNS1_3gpuE7ELNS1_3repE0EEENS1_30default_config_static_selectorELNS0_4arch9wavefront6targetE0EEEvT1_
	.p2align	8
	.type	_ZN7rocprim17ROCPRIM_400000_NS6detail17trampoline_kernelINS0_14default_configENS1_25partition_config_selectorILNS1_17partition_subalgoE5E10large_dataNS0_10empty_typeEbEEZZNS1_14partition_implILS5_5ELb0ES3_mN6thrust23THRUST_200600_302600_NS6detail15normal_iteratorINSB_10device_ptrIS6_EEEEPS7_NSB_18transform_iteratorI7is_evenIS6_ESG_NSB_11use_defaultESL_EENS0_5tupleIJSG_S7_EEENSN_IJSH_SH_EEES7_PlJS7_EEE10hipError_tPvRmT3_T4_T5_T6_T7_T9_mT8_P12ihipStream_tbDpT10_ENKUlT_T0_E_clISt17integral_constantIbLb1EES19_IbLb0EEEEDaS15_S16_EUlS15_E_NS1_11comp_targetILNS1_3genE3ELNS1_11target_archE908ELNS1_3gpuE7ELNS1_3repE0EEENS1_30default_config_static_selectorELNS0_4arch9wavefront6targetE0EEEvT1_,@function
_ZN7rocprim17ROCPRIM_400000_NS6detail17trampoline_kernelINS0_14default_configENS1_25partition_config_selectorILNS1_17partition_subalgoE5E10large_dataNS0_10empty_typeEbEEZZNS1_14partition_implILS5_5ELb0ES3_mN6thrust23THRUST_200600_302600_NS6detail15normal_iteratorINSB_10device_ptrIS6_EEEEPS7_NSB_18transform_iteratorI7is_evenIS6_ESG_NSB_11use_defaultESL_EENS0_5tupleIJSG_S7_EEENSN_IJSH_SH_EEES7_PlJS7_EEE10hipError_tPvRmT3_T4_T5_T6_T7_T9_mT8_P12ihipStream_tbDpT10_ENKUlT_T0_E_clISt17integral_constantIbLb1EES19_IbLb0EEEEDaS15_S16_EUlS15_E_NS1_11comp_targetILNS1_3genE3ELNS1_11target_archE908ELNS1_3gpuE7ELNS1_3repE0EEENS1_30default_config_static_selectorELNS0_4arch9wavefront6targetE0EEEvT1_: ; @_ZN7rocprim17ROCPRIM_400000_NS6detail17trampoline_kernelINS0_14default_configENS1_25partition_config_selectorILNS1_17partition_subalgoE5E10large_dataNS0_10empty_typeEbEEZZNS1_14partition_implILS5_5ELb0ES3_mN6thrust23THRUST_200600_302600_NS6detail15normal_iteratorINSB_10device_ptrIS6_EEEEPS7_NSB_18transform_iteratorI7is_evenIS6_ESG_NSB_11use_defaultESL_EENS0_5tupleIJSG_S7_EEENSN_IJSH_SH_EEES7_PlJS7_EEE10hipError_tPvRmT3_T4_T5_T6_T7_T9_mT8_P12ihipStream_tbDpT10_ENKUlT_T0_E_clISt17integral_constantIbLb1EES19_IbLb0EEEEDaS15_S16_EUlS15_E_NS1_11comp_targetILNS1_3genE3ELNS1_11target_archE908ELNS1_3gpuE7ELNS1_3repE0EEENS1_30default_config_static_selectorELNS0_4arch9wavefront6targetE0EEEvT1_
; %bb.0:
	.section	.rodata,"a",@progbits
	.p2align	6, 0x0
	.amdhsa_kernel _ZN7rocprim17ROCPRIM_400000_NS6detail17trampoline_kernelINS0_14default_configENS1_25partition_config_selectorILNS1_17partition_subalgoE5E10large_dataNS0_10empty_typeEbEEZZNS1_14partition_implILS5_5ELb0ES3_mN6thrust23THRUST_200600_302600_NS6detail15normal_iteratorINSB_10device_ptrIS6_EEEEPS7_NSB_18transform_iteratorI7is_evenIS6_ESG_NSB_11use_defaultESL_EENS0_5tupleIJSG_S7_EEENSN_IJSH_SH_EEES7_PlJS7_EEE10hipError_tPvRmT3_T4_T5_T6_T7_T9_mT8_P12ihipStream_tbDpT10_ENKUlT_T0_E_clISt17integral_constantIbLb1EES19_IbLb0EEEEDaS15_S16_EUlS15_E_NS1_11comp_targetILNS1_3genE3ELNS1_11target_archE908ELNS1_3gpuE7ELNS1_3repE0EEENS1_30default_config_static_selectorELNS0_4arch9wavefront6targetE0EEEvT1_
		.amdhsa_group_segment_fixed_size 0
		.amdhsa_private_segment_fixed_size 0
		.amdhsa_kernarg_size 120
		.amdhsa_user_sgpr_count 15
		.amdhsa_user_sgpr_dispatch_ptr 0
		.amdhsa_user_sgpr_queue_ptr 0
		.amdhsa_user_sgpr_kernarg_segment_ptr 1
		.amdhsa_user_sgpr_dispatch_id 0
		.amdhsa_user_sgpr_private_segment_size 0
		.amdhsa_wavefront_size32 1
		.amdhsa_uses_dynamic_stack 0
		.amdhsa_enable_private_segment 0
		.amdhsa_system_sgpr_workgroup_id_x 1
		.amdhsa_system_sgpr_workgroup_id_y 0
		.amdhsa_system_sgpr_workgroup_id_z 0
		.amdhsa_system_sgpr_workgroup_info 0
		.amdhsa_system_vgpr_workitem_id 0
		.amdhsa_next_free_vgpr 1
		.amdhsa_next_free_sgpr 1
		.amdhsa_reserve_vcc 0
		.amdhsa_float_round_mode_32 0
		.amdhsa_float_round_mode_16_64 0
		.amdhsa_float_denorm_mode_32 3
		.amdhsa_float_denorm_mode_16_64 3
		.amdhsa_dx10_clamp 1
		.amdhsa_ieee_mode 1
		.amdhsa_fp16_overflow 0
		.amdhsa_workgroup_processor_mode 1
		.amdhsa_memory_ordered 1
		.amdhsa_forward_progress 0
		.amdhsa_shared_vgpr_count 0
		.amdhsa_exception_fp_ieee_invalid_op 0
		.amdhsa_exception_fp_denorm_src 0
		.amdhsa_exception_fp_ieee_div_zero 0
		.amdhsa_exception_fp_ieee_overflow 0
		.amdhsa_exception_fp_ieee_underflow 0
		.amdhsa_exception_fp_ieee_inexact 0
		.amdhsa_exception_int_div_zero 0
	.end_amdhsa_kernel
	.section	.text._ZN7rocprim17ROCPRIM_400000_NS6detail17trampoline_kernelINS0_14default_configENS1_25partition_config_selectorILNS1_17partition_subalgoE5E10large_dataNS0_10empty_typeEbEEZZNS1_14partition_implILS5_5ELb0ES3_mN6thrust23THRUST_200600_302600_NS6detail15normal_iteratorINSB_10device_ptrIS6_EEEEPS7_NSB_18transform_iteratorI7is_evenIS6_ESG_NSB_11use_defaultESL_EENS0_5tupleIJSG_S7_EEENSN_IJSH_SH_EEES7_PlJS7_EEE10hipError_tPvRmT3_T4_T5_T6_T7_T9_mT8_P12ihipStream_tbDpT10_ENKUlT_T0_E_clISt17integral_constantIbLb1EES19_IbLb0EEEEDaS15_S16_EUlS15_E_NS1_11comp_targetILNS1_3genE3ELNS1_11target_archE908ELNS1_3gpuE7ELNS1_3repE0EEENS1_30default_config_static_selectorELNS0_4arch9wavefront6targetE0EEEvT1_,"axG",@progbits,_ZN7rocprim17ROCPRIM_400000_NS6detail17trampoline_kernelINS0_14default_configENS1_25partition_config_selectorILNS1_17partition_subalgoE5E10large_dataNS0_10empty_typeEbEEZZNS1_14partition_implILS5_5ELb0ES3_mN6thrust23THRUST_200600_302600_NS6detail15normal_iteratorINSB_10device_ptrIS6_EEEEPS7_NSB_18transform_iteratorI7is_evenIS6_ESG_NSB_11use_defaultESL_EENS0_5tupleIJSG_S7_EEENSN_IJSH_SH_EEES7_PlJS7_EEE10hipError_tPvRmT3_T4_T5_T6_T7_T9_mT8_P12ihipStream_tbDpT10_ENKUlT_T0_E_clISt17integral_constantIbLb1EES19_IbLb0EEEEDaS15_S16_EUlS15_E_NS1_11comp_targetILNS1_3genE3ELNS1_11target_archE908ELNS1_3gpuE7ELNS1_3repE0EEENS1_30default_config_static_selectorELNS0_4arch9wavefront6targetE0EEEvT1_,comdat
.Lfunc_end669:
	.size	_ZN7rocprim17ROCPRIM_400000_NS6detail17trampoline_kernelINS0_14default_configENS1_25partition_config_selectorILNS1_17partition_subalgoE5E10large_dataNS0_10empty_typeEbEEZZNS1_14partition_implILS5_5ELb0ES3_mN6thrust23THRUST_200600_302600_NS6detail15normal_iteratorINSB_10device_ptrIS6_EEEEPS7_NSB_18transform_iteratorI7is_evenIS6_ESG_NSB_11use_defaultESL_EENS0_5tupleIJSG_S7_EEENSN_IJSH_SH_EEES7_PlJS7_EEE10hipError_tPvRmT3_T4_T5_T6_T7_T9_mT8_P12ihipStream_tbDpT10_ENKUlT_T0_E_clISt17integral_constantIbLb1EES19_IbLb0EEEEDaS15_S16_EUlS15_E_NS1_11comp_targetILNS1_3genE3ELNS1_11target_archE908ELNS1_3gpuE7ELNS1_3repE0EEENS1_30default_config_static_selectorELNS0_4arch9wavefront6targetE0EEEvT1_, .Lfunc_end669-_ZN7rocprim17ROCPRIM_400000_NS6detail17trampoline_kernelINS0_14default_configENS1_25partition_config_selectorILNS1_17partition_subalgoE5E10large_dataNS0_10empty_typeEbEEZZNS1_14partition_implILS5_5ELb0ES3_mN6thrust23THRUST_200600_302600_NS6detail15normal_iteratorINSB_10device_ptrIS6_EEEEPS7_NSB_18transform_iteratorI7is_evenIS6_ESG_NSB_11use_defaultESL_EENS0_5tupleIJSG_S7_EEENSN_IJSH_SH_EEES7_PlJS7_EEE10hipError_tPvRmT3_T4_T5_T6_T7_T9_mT8_P12ihipStream_tbDpT10_ENKUlT_T0_E_clISt17integral_constantIbLb1EES19_IbLb0EEEEDaS15_S16_EUlS15_E_NS1_11comp_targetILNS1_3genE3ELNS1_11target_archE908ELNS1_3gpuE7ELNS1_3repE0EEENS1_30default_config_static_selectorELNS0_4arch9wavefront6targetE0EEEvT1_
                                        ; -- End function
	.section	.AMDGPU.csdata,"",@progbits
; Kernel info:
; codeLenInByte = 0
; NumSgprs: 0
; NumVgprs: 0
; ScratchSize: 0
; MemoryBound: 0
; FloatMode: 240
; IeeeMode: 1
; LDSByteSize: 0 bytes/workgroup (compile time only)
; SGPRBlocks: 0
; VGPRBlocks: 0
; NumSGPRsForWavesPerEU: 1
; NumVGPRsForWavesPerEU: 1
; Occupancy: 16
; WaveLimiterHint : 0
; COMPUTE_PGM_RSRC2:SCRATCH_EN: 0
; COMPUTE_PGM_RSRC2:USER_SGPR: 15
; COMPUTE_PGM_RSRC2:TRAP_HANDLER: 0
; COMPUTE_PGM_RSRC2:TGID_X_EN: 1
; COMPUTE_PGM_RSRC2:TGID_Y_EN: 0
; COMPUTE_PGM_RSRC2:TGID_Z_EN: 0
; COMPUTE_PGM_RSRC2:TIDIG_COMP_CNT: 0
	.section	.text._ZN7rocprim17ROCPRIM_400000_NS6detail17trampoline_kernelINS0_14default_configENS1_25partition_config_selectorILNS1_17partition_subalgoE5E10large_dataNS0_10empty_typeEbEEZZNS1_14partition_implILS5_5ELb0ES3_mN6thrust23THRUST_200600_302600_NS6detail15normal_iteratorINSB_10device_ptrIS6_EEEEPS7_NSB_18transform_iteratorI7is_evenIS6_ESG_NSB_11use_defaultESL_EENS0_5tupleIJSG_S7_EEENSN_IJSH_SH_EEES7_PlJS7_EEE10hipError_tPvRmT3_T4_T5_T6_T7_T9_mT8_P12ihipStream_tbDpT10_ENKUlT_T0_E_clISt17integral_constantIbLb1EES19_IbLb0EEEEDaS15_S16_EUlS15_E_NS1_11comp_targetILNS1_3genE2ELNS1_11target_archE906ELNS1_3gpuE6ELNS1_3repE0EEENS1_30default_config_static_selectorELNS0_4arch9wavefront6targetE0EEEvT1_,"axG",@progbits,_ZN7rocprim17ROCPRIM_400000_NS6detail17trampoline_kernelINS0_14default_configENS1_25partition_config_selectorILNS1_17partition_subalgoE5E10large_dataNS0_10empty_typeEbEEZZNS1_14partition_implILS5_5ELb0ES3_mN6thrust23THRUST_200600_302600_NS6detail15normal_iteratorINSB_10device_ptrIS6_EEEEPS7_NSB_18transform_iteratorI7is_evenIS6_ESG_NSB_11use_defaultESL_EENS0_5tupleIJSG_S7_EEENSN_IJSH_SH_EEES7_PlJS7_EEE10hipError_tPvRmT3_T4_T5_T6_T7_T9_mT8_P12ihipStream_tbDpT10_ENKUlT_T0_E_clISt17integral_constantIbLb1EES19_IbLb0EEEEDaS15_S16_EUlS15_E_NS1_11comp_targetILNS1_3genE2ELNS1_11target_archE906ELNS1_3gpuE6ELNS1_3repE0EEENS1_30default_config_static_selectorELNS0_4arch9wavefront6targetE0EEEvT1_,comdat
	.protected	_ZN7rocprim17ROCPRIM_400000_NS6detail17trampoline_kernelINS0_14default_configENS1_25partition_config_selectorILNS1_17partition_subalgoE5E10large_dataNS0_10empty_typeEbEEZZNS1_14partition_implILS5_5ELb0ES3_mN6thrust23THRUST_200600_302600_NS6detail15normal_iteratorINSB_10device_ptrIS6_EEEEPS7_NSB_18transform_iteratorI7is_evenIS6_ESG_NSB_11use_defaultESL_EENS0_5tupleIJSG_S7_EEENSN_IJSH_SH_EEES7_PlJS7_EEE10hipError_tPvRmT3_T4_T5_T6_T7_T9_mT8_P12ihipStream_tbDpT10_ENKUlT_T0_E_clISt17integral_constantIbLb1EES19_IbLb0EEEEDaS15_S16_EUlS15_E_NS1_11comp_targetILNS1_3genE2ELNS1_11target_archE906ELNS1_3gpuE6ELNS1_3repE0EEENS1_30default_config_static_selectorELNS0_4arch9wavefront6targetE0EEEvT1_ ; -- Begin function _ZN7rocprim17ROCPRIM_400000_NS6detail17trampoline_kernelINS0_14default_configENS1_25partition_config_selectorILNS1_17partition_subalgoE5E10large_dataNS0_10empty_typeEbEEZZNS1_14partition_implILS5_5ELb0ES3_mN6thrust23THRUST_200600_302600_NS6detail15normal_iteratorINSB_10device_ptrIS6_EEEEPS7_NSB_18transform_iteratorI7is_evenIS6_ESG_NSB_11use_defaultESL_EENS0_5tupleIJSG_S7_EEENSN_IJSH_SH_EEES7_PlJS7_EEE10hipError_tPvRmT3_T4_T5_T6_T7_T9_mT8_P12ihipStream_tbDpT10_ENKUlT_T0_E_clISt17integral_constantIbLb1EES19_IbLb0EEEEDaS15_S16_EUlS15_E_NS1_11comp_targetILNS1_3genE2ELNS1_11target_archE906ELNS1_3gpuE6ELNS1_3repE0EEENS1_30default_config_static_selectorELNS0_4arch9wavefront6targetE0EEEvT1_
	.globl	_ZN7rocprim17ROCPRIM_400000_NS6detail17trampoline_kernelINS0_14default_configENS1_25partition_config_selectorILNS1_17partition_subalgoE5E10large_dataNS0_10empty_typeEbEEZZNS1_14partition_implILS5_5ELb0ES3_mN6thrust23THRUST_200600_302600_NS6detail15normal_iteratorINSB_10device_ptrIS6_EEEEPS7_NSB_18transform_iteratorI7is_evenIS6_ESG_NSB_11use_defaultESL_EENS0_5tupleIJSG_S7_EEENSN_IJSH_SH_EEES7_PlJS7_EEE10hipError_tPvRmT3_T4_T5_T6_T7_T9_mT8_P12ihipStream_tbDpT10_ENKUlT_T0_E_clISt17integral_constantIbLb1EES19_IbLb0EEEEDaS15_S16_EUlS15_E_NS1_11comp_targetILNS1_3genE2ELNS1_11target_archE906ELNS1_3gpuE6ELNS1_3repE0EEENS1_30default_config_static_selectorELNS0_4arch9wavefront6targetE0EEEvT1_
	.p2align	8
	.type	_ZN7rocprim17ROCPRIM_400000_NS6detail17trampoline_kernelINS0_14default_configENS1_25partition_config_selectorILNS1_17partition_subalgoE5E10large_dataNS0_10empty_typeEbEEZZNS1_14partition_implILS5_5ELb0ES3_mN6thrust23THRUST_200600_302600_NS6detail15normal_iteratorINSB_10device_ptrIS6_EEEEPS7_NSB_18transform_iteratorI7is_evenIS6_ESG_NSB_11use_defaultESL_EENS0_5tupleIJSG_S7_EEENSN_IJSH_SH_EEES7_PlJS7_EEE10hipError_tPvRmT3_T4_T5_T6_T7_T9_mT8_P12ihipStream_tbDpT10_ENKUlT_T0_E_clISt17integral_constantIbLb1EES19_IbLb0EEEEDaS15_S16_EUlS15_E_NS1_11comp_targetILNS1_3genE2ELNS1_11target_archE906ELNS1_3gpuE6ELNS1_3repE0EEENS1_30default_config_static_selectorELNS0_4arch9wavefront6targetE0EEEvT1_,@function
_ZN7rocprim17ROCPRIM_400000_NS6detail17trampoline_kernelINS0_14default_configENS1_25partition_config_selectorILNS1_17partition_subalgoE5E10large_dataNS0_10empty_typeEbEEZZNS1_14partition_implILS5_5ELb0ES3_mN6thrust23THRUST_200600_302600_NS6detail15normal_iteratorINSB_10device_ptrIS6_EEEEPS7_NSB_18transform_iteratorI7is_evenIS6_ESG_NSB_11use_defaultESL_EENS0_5tupleIJSG_S7_EEENSN_IJSH_SH_EEES7_PlJS7_EEE10hipError_tPvRmT3_T4_T5_T6_T7_T9_mT8_P12ihipStream_tbDpT10_ENKUlT_T0_E_clISt17integral_constantIbLb1EES19_IbLb0EEEEDaS15_S16_EUlS15_E_NS1_11comp_targetILNS1_3genE2ELNS1_11target_archE906ELNS1_3gpuE6ELNS1_3repE0EEENS1_30default_config_static_selectorELNS0_4arch9wavefront6targetE0EEEvT1_: ; @_ZN7rocprim17ROCPRIM_400000_NS6detail17trampoline_kernelINS0_14default_configENS1_25partition_config_selectorILNS1_17partition_subalgoE5E10large_dataNS0_10empty_typeEbEEZZNS1_14partition_implILS5_5ELb0ES3_mN6thrust23THRUST_200600_302600_NS6detail15normal_iteratorINSB_10device_ptrIS6_EEEEPS7_NSB_18transform_iteratorI7is_evenIS6_ESG_NSB_11use_defaultESL_EENS0_5tupleIJSG_S7_EEENSN_IJSH_SH_EEES7_PlJS7_EEE10hipError_tPvRmT3_T4_T5_T6_T7_T9_mT8_P12ihipStream_tbDpT10_ENKUlT_T0_E_clISt17integral_constantIbLb1EES19_IbLb0EEEEDaS15_S16_EUlS15_E_NS1_11comp_targetILNS1_3genE2ELNS1_11target_archE906ELNS1_3gpuE6ELNS1_3repE0EEENS1_30default_config_static_selectorELNS0_4arch9wavefront6targetE0EEEvT1_
; %bb.0:
	.section	.rodata,"a",@progbits
	.p2align	6, 0x0
	.amdhsa_kernel _ZN7rocprim17ROCPRIM_400000_NS6detail17trampoline_kernelINS0_14default_configENS1_25partition_config_selectorILNS1_17partition_subalgoE5E10large_dataNS0_10empty_typeEbEEZZNS1_14partition_implILS5_5ELb0ES3_mN6thrust23THRUST_200600_302600_NS6detail15normal_iteratorINSB_10device_ptrIS6_EEEEPS7_NSB_18transform_iteratorI7is_evenIS6_ESG_NSB_11use_defaultESL_EENS0_5tupleIJSG_S7_EEENSN_IJSH_SH_EEES7_PlJS7_EEE10hipError_tPvRmT3_T4_T5_T6_T7_T9_mT8_P12ihipStream_tbDpT10_ENKUlT_T0_E_clISt17integral_constantIbLb1EES19_IbLb0EEEEDaS15_S16_EUlS15_E_NS1_11comp_targetILNS1_3genE2ELNS1_11target_archE906ELNS1_3gpuE6ELNS1_3repE0EEENS1_30default_config_static_selectorELNS0_4arch9wavefront6targetE0EEEvT1_
		.amdhsa_group_segment_fixed_size 0
		.amdhsa_private_segment_fixed_size 0
		.amdhsa_kernarg_size 120
		.amdhsa_user_sgpr_count 15
		.amdhsa_user_sgpr_dispatch_ptr 0
		.amdhsa_user_sgpr_queue_ptr 0
		.amdhsa_user_sgpr_kernarg_segment_ptr 1
		.amdhsa_user_sgpr_dispatch_id 0
		.amdhsa_user_sgpr_private_segment_size 0
		.amdhsa_wavefront_size32 1
		.amdhsa_uses_dynamic_stack 0
		.amdhsa_enable_private_segment 0
		.amdhsa_system_sgpr_workgroup_id_x 1
		.amdhsa_system_sgpr_workgroup_id_y 0
		.amdhsa_system_sgpr_workgroup_id_z 0
		.amdhsa_system_sgpr_workgroup_info 0
		.amdhsa_system_vgpr_workitem_id 0
		.amdhsa_next_free_vgpr 1
		.amdhsa_next_free_sgpr 1
		.amdhsa_reserve_vcc 0
		.amdhsa_float_round_mode_32 0
		.amdhsa_float_round_mode_16_64 0
		.amdhsa_float_denorm_mode_32 3
		.amdhsa_float_denorm_mode_16_64 3
		.amdhsa_dx10_clamp 1
		.amdhsa_ieee_mode 1
		.amdhsa_fp16_overflow 0
		.amdhsa_workgroup_processor_mode 1
		.amdhsa_memory_ordered 1
		.amdhsa_forward_progress 0
		.amdhsa_shared_vgpr_count 0
		.amdhsa_exception_fp_ieee_invalid_op 0
		.amdhsa_exception_fp_denorm_src 0
		.amdhsa_exception_fp_ieee_div_zero 0
		.amdhsa_exception_fp_ieee_overflow 0
		.amdhsa_exception_fp_ieee_underflow 0
		.amdhsa_exception_fp_ieee_inexact 0
		.amdhsa_exception_int_div_zero 0
	.end_amdhsa_kernel
	.section	.text._ZN7rocprim17ROCPRIM_400000_NS6detail17trampoline_kernelINS0_14default_configENS1_25partition_config_selectorILNS1_17partition_subalgoE5E10large_dataNS0_10empty_typeEbEEZZNS1_14partition_implILS5_5ELb0ES3_mN6thrust23THRUST_200600_302600_NS6detail15normal_iteratorINSB_10device_ptrIS6_EEEEPS7_NSB_18transform_iteratorI7is_evenIS6_ESG_NSB_11use_defaultESL_EENS0_5tupleIJSG_S7_EEENSN_IJSH_SH_EEES7_PlJS7_EEE10hipError_tPvRmT3_T4_T5_T6_T7_T9_mT8_P12ihipStream_tbDpT10_ENKUlT_T0_E_clISt17integral_constantIbLb1EES19_IbLb0EEEEDaS15_S16_EUlS15_E_NS1_11comp_targetILNS1_3genE2ELNS1_11target_archE906ELNS1_3gpuE6ELNS1_3repE0EEENS1_30default_config_static_selectorELNS0_4arch9wavefront6targetE0EEEvT1_,"axG",@progbits,_ZN7rocprim17ROCPRIM_400000_NS6detail17trampoline_kernelINS0_14default_configENS1_25partition_config_selectorILNS1_17partition_subalgoE5E10large_dataNS0_10empty_typeEbEEZZNS1_14partition_implILS5_5ELb0ES3_mN6thrust23THRUST_200600_302600_NS6detail15normal_iteratorINSB_10device_ptrIS6_EEEEPS7_NSB_18transform_iteratorI7is_evenIS6_ESG_NSB_11use_defaultESL_EENS0_5tupleIJSG_S7_EEENSN_IJSH_SH_EEES7_PlJS7_EEE10hipError_tPvRmT3_T4_T5_T6_T7_T9_mT8_P12ihipStream_tbDpT10_ENKUlT_T0_E_clISt17integral_constantIbLb1EES19_IbLb0EEEEDaS15_S16_EUlS15_E_NS1_11comp_targetILNS1_3genE2ELNS1_11target_archE906ELNS1_3gpuE6ELNS1_3repE0EEENS1_30default_config_static_selectorELNS0_4arch9wavefront6targetE0EEEvT1_,comdat
.Lfunc_end670:
	.size	_ZN7rocprim17ROCPRIM_400000_NS6detail17trampoline_kernelINS0_14default_configENS1_25partition_config_selectorILNS1_17partition_subalgoE5E10large_dataNS0_10empty_typeEbEEZZNS1_14partition_implILS5_5ELb0ES3_mN6thrust23THRUST_200600_302600_NS6detail15normal_iteratorINSB_10device_ptrIS6_EEEEPS7_NSB_18transform_iteratorI7is_evenIS6_ESG_NSB_11use_defaultESL_EENS0_5tupleIJSG_S7_EEENSN_IJSH_SH_EEES7_PlJS7_EEE10hipError_tPvRmT3_T4_T5_T6_T7_T9_mT8_P12ihipStream_tbDpT10_ENKUlT_T0_E_clISt17integral_constantIbLb1EES19_IbLb0EEEEDaS15_S16_EUlS15_E_NS1_11comp_targetILNS1_3genE2ELNS1_11target_archE906ELNS1_3gpuE6ELNS1_3repE0EEENS1_30default_config_static_selectorELNS0_4arch9wavefront6targetE0EEEvT1_, .Lfunc_end670-_ZN7rocprim17ROCPRIM_400000_NS6detail17trampoline_kernelINS0_14default_configENS1_25partition_config_selectorILNS1_17partition_subalgoE5E10large_dataNS0_10empty_typeEbEEZZNS1_14partition_implILS5_5ELb0ES3_mN6thrust23THRUST_200600_302600_NS6detail15normal_iteratorINSB_10device_ptrIS6_EEEEPS7_NSB_18transform_iteratorI7is_evenIS6_ESG_NSB_11use_defaultESL_EENS0_5tupleIJSG_S7_EEENSN_IJSH_SH_EEES7_PlJS7_EEE10hipError_tPvRmT3_T4_T5_T6_T7_T9_mT8_P12ihipStream_tbDpT10_ENKUlT_T0_E_clISt17integral_constantIbLb1EES19_IbLb0EEEEDaS15_S16_EUlS15_E_NS1_11comp_targetILNS1_3genE2ELNS1_11target_archE906ELNS1_3gpuE6ELNS1_3repE0EEENS1_30default_config_static_selectorELNS0_4arch9wavefront6targetE0EEEvT1_
                                        ; -- End function
	.section	.AMDGPU.csdata,"",@progbits
; Kernel info:
; codeLenInByte = 0
; NumSgprs: 0
; NumVgprs: 0
; ScratchSize: 0
; MemoryBound: 0
; FloatMode: 240
; IeeeMode: 1
; LDSByteSize: 0 bytes/workgroup (compile time only)
; SGPRBlocks: 0
; VGPRBlocks: 0
; NumSGPRsForWavesPerEU: 1
; NumVGPRsForWavesPerEU: 1
; Occupancy: 16
; WaveLimiterHint : 0
; COMPUTE_PGM_RSRC2:SCRATCH_EN: 0
; COMPUTE_PGM_RSRC2:USER_SGPR: 15
; COMPUTE_PGM_RSRC2:TRAP_HANDLER: 0
; COMPUTE_PGM_RSRC2:TGID_X_EN: 1
; COMPUTE_PGM_RSRC2:TGID_Y_EN: 0
; COMPUTE_PGM_RSRC2:TGID_Z_EN: 0
; COMPUTE_PGM_RSRC2:TIDIG_COMP_CNT: 0
	.section	.text._ZN7rocprim17ROCPRIM_400000_NS6detail17trampoline_kernelINS0_14default_configENS1_25partition_config_selectorILNS1_17partition_subalgoE5E10large_dataNS0_10empty_typeEbEEZZNS1_14partition_implILS5_5ELb0ES3_mN6thrust23THRUST_200600_302600_NS6detail15normal_iteratorINSB_10device_ptrIS6_EEEEPS7_NSB_18transform_iteratorI7is_evenIS6_ESG_NSB_11use_defaultESL_EENS0_5tupleIJSG_S7_EEENSN_IJSH_SH_EEES7_PlJS7_EEE10hipError_tPvRmT3_T4_T5_T6_T7_T9_mT8_P12ihipStream_tbDpT10_ENKUlT_T0_E_clISt17integral_constantIbLb1EES19_IbLb0EEEEDaS15_S16_EUlS15_E_NS1_11comp_targetILNS1_3genE10ELNS1_11target_archE1200ELNS1_3gpuE4ELNS1_3repE0EEENS1_30default_config_static_selectorELNS0_4arch9wavefront6targetE0EEEvT1_,"axG",@progbits,_ZN7rocprim17ROCPRIM_400000_NS6detail17trampoline_kernelINS0_14default_configENS1_25partition_config_selectorILNS1_17partition_subalgoE5E10large_dataNS0_10empty_typeEbEEZZNS1_14partition_implILS5_5ELb0ES3_mN6thrust23THRUST_200600_302600_NS6detail15normal_iteratorINSB_10device_ptrIS6_EEEEPS7_NSB_18transform_iteratorI7is_evenIS6_ESG_NSB_11use_defaultESL_EENS0_5tupleIJSG_S7_EEENSN_IJSH_SH_EEES7_PlJS7_EEE10hipError_tPvRmT3_T4_T5_T6_T7_T9_mT8_P12ihipStream_tbDpT10_ENKUlT_T0_E_clISt17integral_constantIbLb1EES19_IbLb0EEEEDaS15_S16_EUlS15_E_NS1_11comp_targetILNS1_3genE10ELNS1_11target_archE1200ELNS1_3gpuE4ELNS1_3repE0EEENS1_30default_config_static_selectorELNS0_4arch9wavefront6targetE0EEEvT1_,comdat
	.protected	_ZN7rocprim17ROCPRIM_400000_NS6detail17trampoline_kernelINS0_14default_configENS1_25partition_config_selectorILNS1_17partition_subalgoE5E10large_dataNS0_10empty_typeEbEEZZNS1_14partition_implILS5_5ELb0ES3_mN6thrust23THRUST_200600_302600_NS6detail15normal_iteratorINSB_10device_ptrIS6_EEEEPS7_NSB_18transform_iteratorI7is_evenIS6_ESG_NSB_11use_defaultESL_EENS0_5tupleIJSG_S7_EEENSN_IJSH_SH_EEES7_PlJS7_EEE10hipError_tPvRmT3_T4_T5_T6_T7_T9_mT8_P12ihipStream_tbDpT10_ENKUlT_T0_E_clISt17integral_constantIbLb1EES19_IbLb0EEEEDaS15_S16_EUlS15_E_NS1_11comp_targetILNS1_3genE10ELNS1_11target_archE1200ELNS1_3gpuE4ELNS1_3repE0EEENS1_30default_config_static_selectorELNS0_4arch9wavefront6targetE0EEEvT1_ ; -- Begin function _ZN7rocprim17ROCPRIM_400000_NS6detail17trampoline_kernelINS0_14default_configENS1_25partition_config_selectorILNS1_17partition_subalgoE5E10large_dataNS0_10empty_typeEbEEZZNS1_14partition_implILS5_5ELb0ES3_mN6thrust23THRUST_200600_302600_NS6detail15normal_iteratorINSB_10device_ptrIS6_EEEEPS7_NSB_18transform_iteratorI7is_evenIS6_ESG_NSB_11use_defaultESL_EENS0_5tupleIJSG_S7_EEENSN_IJSH_SH_EEES7_PlJS7_EEE10hipError_tPvRmT3_T4_T5_T6_T7_T9_mT8_P12ihipStream_tbDpT10_ENKUlT_T0_E_clISt17integral_constantIbLb1EES19_IbLb0EEEEDaS15_S16_EUlS15_E_NS1_11comp_targetILNS1_3genE10ELNS1_11target_archE1200ELNS1_3gpuE4ELNS1_3repE0EEENS1_30default_config_static_selectorELNS0_4arch9wavefront6targetE0EEEvT1_
	.globl	_ZN7rocprim17ROCPRIM_400000_NS6detail17trampoline_kernelINS0_14default_configENS1_25partition_config_selectorILNS1_17partition_subalgoE5E10large_dataNS0_10empty_typeEbEEZZNS1_14partition_implILS5_5ELb0ES3_mN6thrust23THRUST_200600_302600_NS6detail15normal_iteratorINSB_10device_ptrIS6_EEEEPS7_NSB_18transform_iteratorI7is_evenIS6_ESG_NSB_11use_defaultESL_EENS0_5tupleIJSG_S7_EEENSN_IJSH_SH_EEES7_PlJS7_EEE10hipError_tPvRmT3_T4_T5_T6_T7_T9_mT8_P12ihipStream_tbDpT10_ENKUlT_T0_E_clISt17integral_constantIbLb1EES19_IbLb0EEEEDaS15_S16_EUlS15_E_NS1_11comp_targetILNS1_3genE10ELNS1_11target_archE1200ELNS1_3gpuE4ELNS1_3repE0EEENS1_30default_config_static_selectorELNS0_4arch9wavefront6targetE0EEEvT1_
	.p2align	8
	.type	_ZN7rocprim17ROCPRIM_400000_NS6detail17trampoline_kernelINS0_14default_configENS1_25partition_config_selectorILNS1_17partition_subalgoE5E10large_dataNS0_10empty_typeEbEEZZNS1_14partition_implILS5_5ELb0ES3_mN6thrust23THRUST_200600_302600_NS6detail15normal_iteratorINSB_10device_ptrIS6_EEEEPS7_NSB_18transform_iteratorI7is_evenIS6_ESG_NSB_11use_defaultESL_EENS0_5tupleIJSG_S7_EEENSN_IJSH_SH_EEES7_PlJS7_EEE10hipError_tPvRmT3_T4_T5_T6_T7_T9_mT8_P12ihipStream_tbDpT10_ENKUlT_T0_E_clISt17integral_constantIbLb1EES19_IbLb0EEEEDaS15_S16_EUlS15_E_NS1_11comp_targetILNS1_3genE10ELNS1_11target_archE1200ELNS1_3gpuE4ELNS1_3repE0EEENS1_30default_config_static_selectorELNS0_4arch9wavefront6targetE0EEEvT1_,@function
_ZN7rocprim17ROCPRIM_400000_NS6detail17trampoline_kernelINS0_14default_configENS1_25partition_config_selectorILNS1_17partition_subalgoE5E10large_dataNS0_10empty_typeEbEEZZNS1_14partition_implILS5_5ELb0ES3_mN6thrust23THRUST_200600_302600_NS6detail15normal_iteratorINSB_10device_ptrIS6_EEEEPS7_NSB_18transform_iteratorI7is_evenIS6_ESG_NSB_11use_defaultESL_EENS0_5tupleIJSG_S7_EEENSN_IJSH_SH_EEES7_PlJS7_EEE10hipError_tPvRmT3_T4_T5_T6_T7_T9_mT8_P12ihipStream_tbDpT10_ENKUlT_T0_E_clISt17integral_constantIbLb1EES19_IbLb0EEEEDaS15_S16_EUlS15_E_NS1_11comp_targetILNS1_3genE10ELNS1_11target_archE1200ELNS1_3gpuE4ELNS1_3repE0EEENS1_30default_config_static_selectorELNS0_4arch9wavefront6targetE0EEEvT1_: ; @_ZN7rocprim17ROCPRIM_400000_NS6detail17trampoline_kernelINS0_14default_configENS1_25partition_config_selectorILNS1_17partition_subalgoE5E10large_dataNS0_10empty_typeEbEEZZNS1_14partition_implILS5_5ELb0ES3_mN6thrust23THRUST_200600_302600_NS6detail15normal_iteratorINSB_10device_ptrIS6_EEEEPS7_NSB_18transform_iteratorI7is_evenIS6_ESG_NSB_11use_defaultESL_EENS0_5tupleIJSG_S7_EEENSN_IJSH_SH_EEES7_PlJS7_EEE10hipError_tPvRmT3_T4_T5_T6_T7_T9_mT8_P12ihipStream_tbDpT10_ENKUlT_T0_E_clISt17integral_constantIbLb1EES19_IbLb0EEEEDaS15_S16_EUlS15_E_NS1_11comp_targetILNS1_3genE10ELNS1_11target_archE1200ELNS1_3gpuE4ELNS1_3repE0EEENS1_30default_config_static_selectorELNS0_4arch9wavefront6targetE0EEEvT1_
; %bb.0:
	.section	.rodata,"a",@progbits
	.p2align	6, 0x0
	.amdhsa_kernel _ZN7rocprim17ROCPRIM_400000_NS6detail17trampoline_kernelINS0_14default_configENS1_25partition_config_selectorILNS1_17partition_subalgoE5E10large_dataNS0_10empty_typeEbEEZZNS1_14partition_implILS5_5ELb0ES3_mN6thrust23THRUST_200600_302600_NS6detail15normal_iteratorINSB_10device_ptrIS6_EEEEPS7_NSB_18transform_iteratorI7is_evenIS6_ESG_NSB_11use_defaultESL_EENS0_5tupleIJSG_S7_EEENSN_IJSH_SH_EEES7_PlJS7_EEE10hipError_tPvRmT3_T4_T5_T6_T7_T9_mT8_P12ihipStream_tbDpT10_ENKUlT_T0_E_clISt17integral_constantIbLb1EES19_IbLb0EEEEDaS15_S16_EUlS15_E_NS1_11comp_targetILNS1_3genE10ELNS1_11target_archE1200ELNS1_3gpuE4ELNS1_3repE0EEENS1_30default_config_static_selectorELNS0_4arch9wavefront6targetE0EEEvT1_
		.amdhsa_group_segment_fixed_size 0
		.amdhsa_private_segment_fixed_size 0
		.amdhsa_kernarg_size 120
		.amdhsa_user_sgpr_count 15
		.amdhsa_user_sgpr_dispatch_ptr 0
		.amdhsa_user_sgpr_queue_ptr 0
		.amdhsa_user_sgpr_kernarg_segment_ptr 1
		.amdhsa_user_sgpr_dispatch_id 0
		.amdhsa_user_sgpr_private_segment_size 0
		.amdhsa_wavefront_size32 1
		.amdhsa_uses_dynamic_stack 0
		.amdhsa_enable_private_segment 0
		.amdhsa_system_sgpr_workgroup_id_x 1
		.amdhsa_system_sgpr_workgroup_id_y 0
		.amdhsa_system_sgpr_workgroup_id_z 0
		.amdhsa_system_sgpr_workgroup_info 0
		.amdhsa_system_vgpr_workitem_id 0
		.amdhsa_next_free_vgpr 1
		.amdhsa_next_free_sgpr 1
		.amdhsa_reserve_vcc 0
		.amdhsa_float_round_mode_32 0
		.amdhsa_float_round_mode_16_64 0
		.amdhsa_float_denorm_mode_32 3
		.amdhsa_float_denorm_mode_16_64 3
		.amdhsa_dx10_clamp 1
		.amdhsa_ieee_mode 1
		.amdhsa_fp16_overflow 0
		.amdhsa_workgroup_processor_mode 1
		.amdhsa_memory_ordered 1
		.amdhsa_forward_progress 0
		.amdhsa_shared_vgpr_count 0
		.amdhsa_exception_fp_ieee_invalid_op 0
		.amdhsa_exception_fp_denorm_src 0
		.amdhsa_exception_fp_ieee_div_zero 0
		.amdhsa_exception_fp_ieee_overflow 0
		.amdhsa_exception_fp_ieee_underflow 0
		.amdhsa_exception_fp_ieee_inexact 0
		.amdhsa_exception_int_div_zero 0
	.end_amdhsa_kernel
	.section	.text._ZN7rocprim17ROCPRIM_400000_NS6detail17trampoline_kernelINS0_14default_configENS1_25partition_config_selectorILNS1_17partition_subalgoE5E10large_dataNS0_10empty_typeEbEEZZNS1_14partition_implILS5_5ELb0ES3_mN6thrust23THRUST_200600_302600_NS6detail15normal_iteratorINSB_10device_ptrIS6_EEEEPS7_NSB_18transform_iteratorI7is_evenIS6_ESG_NSB_11use_defaultESL_EENS0_5tupleIJSG_S7_EEENSN_IJSH_SH_EEES7_PlJS7_EEE10hipError_tPvRmT3_T4_T5_T6_T7_T9_mT8_P12ihipStream_tbDpT10_ENKUlT_T0_E_clISt17integral_constantIbLb1EES19_IbLb0EEEEDaS15_S16_EUlS15_E_NS1_11comp_targetILNS1_3genE10ELNS1_11target_archE1200ELNS1_3gpuE4ELNS1_3repE0EEENS1_30default_config_static_selectorELNS0_4arch9wavefront6targetE0EEEvT1_,"axG",@progbits,_ZN7rocprim17ROCPRIM_400000_NS6detail17trampoline_kernelINS0_14default_configENS1_25partition_config_selectorILNS1_17partition_subalgoE5E10large_dataNS0_10empty_typeEbEEZZNS1_14partition_implILS5_5ELb0ES3_mN6thrust23THRUST_200600_302600_NS6detail15normal_iteratorINSB_10device_ptrIS6_EEEEPS7_NSB_18transform_iteratorI7is_evenIS6_ESG_NSB_11use_defaultESL_EENS0_5tupleIJSG_S7_EEENSN_IJSH_SH_EEES7_PlJS7_EEE10hipError_tPvRmT3_T4_T5_T6_T7_T9_mT8_P12ihipStream_tbDpT10_ENKUlT_T0_E_clISt17integral_constantIbLb1EES19_IbLb0EEEEDaS15_S16_EUlS15_E_NS1_11comp_targetILNS1_3genE10ELNS1_11target_archE1200ELNS1_3gpuE4ELNS1_3repE0EEENS1_30default_config_static_selectorELNS0_4arch9wavefront6targetE0EEEvT1_,comdat
.Lfunc_end671:
	.size	_ZN7rocprim17ROCPRIM_400000_NS6detail17trampoline_kernelINS0_14default_configENS1_25partition_config_selectorILNS1_17partition_subalgoE5E10large_dataNS0_10empty_typeEbEEZZNS1_14partition_implILS5_5ELb0ES3_mN6thrust23THRUST_200600_302600_NS6detail15normal_iteratorINSB_10device_ptrIS6_EEEEPS7_NSB_18transform_iteratorI7is_evenIS6_ESG_NSB_11use_defaultESL_EENS0_5tupleIJSG_S7_EEENSN_IJSH_SH_EEES7_PlJS7_EEE10hipError_tPvRmT3_T4_T5_T6_T7_T9_mT8_P12ihipStream_tbDpT10_ENKUlT_T0_E_clISt17integral_constantIbLb1EES19_IbLb0EEEEDaS15_S16_EUlS15_E_NS1_11comp_targetILNS1_3genE10ELNS1_11target_archE1200ELNS1_3gpuE4ELNS1_3repE0EEENS1_30default_config_static_selectorELNS0_4arch9wavefront6targetE0EEEvT1_, .Lfunc_end671-_ZN7rocprim17ROCPRIM_400000_NS6detail17trampoline_kernelINS0_14default_configENS1_25partition_config_selectorILNS1_17partition_subalgoE5E10large_dataNS0_10empty_typeEbEEZZNS1_14partition_implILS5_5ELb0ES3_mN6thrust23THRUST_200600_302600_NS6detail15normal_iteratorINSB_10device_ptrIS6_EEEEPS7_NSB_18transform_iteratorI7is_evenIS6_ESG_NSB_11use_defaultESL_EENS0_5tupleIJSG_S7_EEENSN_IJSH_SH_EEES7_PlJS7_EEE10hipError_tPvRmT3_T4_T5_T6_T7_T9_mT8_P12ihipStream_tbDpT10_ENKUlT_T0_E_clISt17integral_constantIbLb1EES19_IbLb0EEEEDaS15_S16_EUlS15_E_NS1_11comp_targetILNS1_3genE10ELNS1_11target_archE1200ELNS1_3gpuE4ELNS1_3repE0EEENS1_30default_config_static_selectorELNS0_4arch9wavefront6targetE0EEEvT1_
                                        ; -- End function
	.section	.AMDGPU.csdata,"",@progbits
; Kernel info:
; codeLenInByte = 0
; NumSgprs: 0
; NumVgprs: 0
; ScratchSize: 0
; MemoryBound: 0
; FloatMode: 240
; IeeeMode: 1
; LDSByteSize: 0 bytes/workgroup (compile time only)
; SGPRBlocks: 0
; VGPRBlocks: 0
; NumSGPRsForWavesPerEU: 1
; NumVGPRsForWavesPerEU: 1
; Occupancy: 16
; WaveLimiterHint : 0
; COMPUTE_PGM_RSRC2:SCRATCH_EN: 0
; COMPUTE_PGM_RSRC2:USER_SGPR: 15
; COMPUTE_PGM_RSRC2:TRAP_HANDLER: 0
; COMPUTE_PGM_RSRC2:TGID_X_EN: 1
; COMPUTE_PGM_RSRC2:TGID_Y_EN: 0
; COMPUTE_PGM_RSRC2:TGID_Z_EN: 0
; COMPUTE_PGM_RSRC2:TIDIG_COMP_CNT: 0
	.section	.text._ZN7rocprim17ROCPRIM_400000_NS6detail17trampoline_kernelINS0_14default_configENS1_25partition_config_selectorILNS1_17partition_subalgoE5E10large_dataNS0_10empty_typeEbEEZZNS1_14partition_implILS5_5ELb0ES3_mN6thrust23THRUST_200600_302600_NS6detail15normal_iteratorINSB_10device_ptrIS6_EEEEPS7_NSB_18transform_iteratorI7is_evenIS6_ESG_NSB_11use_defaultESL_EENS0_5tupleIJSG_S7_EEENSN_IJSH_SH_EEES7_PlJS7_EEE10hipError_tPvRmT3_T4_T5_T6_T7_T9_mT8_P12ihipStream_tbDpT10_ENKUlT_T0_E_clISt17integral_constantIbLb1EES19_IbLb0EEEEDaS15_S16_EUlS15_E_NS1_11comp_targetILNS1_3genE9ELNS1_11target_archE1100ELNS1_3gpuE3ELNS1_3repE0EEENS1_30default_config_static_selectorELNS0_4arch9wavefront6targetE0EEEvT1_,"axG",@progbits,_ZN7rocprim17ROCPRIM_400000_NS6detail17trampoline_kernelINS0_14default_configENS1_25partition_config_selectorILNS1_17partition_subalgoE5E10large_dataNS0_10empty_typeEbEEZZNS1_14partition_implILS5_5ELb0ES3_mN6thrust23THRUST_200600_302600_NS6detail15normal_iteratorINSB_10device_ptrIS6_EEEEPS7_NSB_18transform_iteratorI7is_evenIS6_ESG_NSB_11use_defaultESL_EENS0_5tupleIJSG_S7_EEENSN_IJSH_SH_EEES7_PlJS7_EEE10hipError_tPvRmT3_T4_T5_T6_T7_T9_mT8_P12ihipStream_tbDpT10_ENKUlT_T0_E_clISt17integral_constantIbLb1EES19_IbLb0EEEEDaS15_S16_EUlS15_E_NS1_11comp_targetILNS1_3genE9ELNS1_11target_archE1100ELNS1_3gpuE3ELNS1_3repE0EEENS1_30default_config_static_selectorELNS0_4arch9wavefront6targetE0EEEvT1_,comdat
	.protected	_ZN7rocprim17ROCPRIM_400000_NS6detail17trampoline_kernelINS0_14default_configENS1_25partition_config_selectorILNS1_17partition_subalgoE5E10large_dataNS0_10empty_typeEbEEZZNS1_14partition_implILS5_5ELb0ES3_mN6thrust23THRUST_200600_302600_NS6detail15normal_iteratorINSB_10device_ptrIS6_EEEEPS7_NSB_18transform_iteratorI7is_evenIS6_ESG_NSB_11use_defaultESL_EENS0_5tupleIJSG_S7_EEENSN_IJSH_SH_EEES7_PlJS7_EEE10hipError_tPvRmT3_T4_T5_T6_T7_T9_mT8_P12ihipStream_tbDpT10_ENKUlT_T0_E_clISt17integral_constantIbLb1EES19_IbLb0EEEEDaS15_S16_EUlS15_E_NS1_11comp_targetILNS1_3genE9ELNS1_11target_archE1100ELNS1_3gpuE3ELNS1_3repE0EEENS1_30default_config_static_selectorELNS0_4arch9wavefront6targetE0EEEvT1_ ; -- Begin function _ZN7rocprim17ROCPRIM_400000_NS6detail17trampoline_kernelINS0_14default_configENS1_25partition_config_selectorILNS1_17partition_subalgoE5E10large_dataNS0_10empty_typeEbEEZZNS1_14partition_implILS5_5ELb0ES3_mN6thrust23THRUST_200600_302600_NS6detail15normal_iteratorINSB_10device_ptrIS6_EEEEPS7_NSB_18transform_iteratorI7is_evenIS6_ESG_NSB_11use_defaultESL_EENS0_5tupleIJSG_S7_EEENSN_IJSH_SH_EEES7_PlJS7_EEE10hipError_tPvRmT3_T4_T5_T6_T7_T9_mT8_P12ihipStream_tbDpT10_ENKUlT_T0_E_clISt17integral_constantIbLb1EES19_IbLb0EEEEDaS15_S16_EUlS15_E_NS1_11comp_targetILNS1_3genE9ELNS1_11target_archE1100ELNS1_3gpuE3ELNS1_3repE0EEENS1_30default_config_static_selectorELNS0_4arch9wavefront6targetE0EEEvT1_
	.globl	_ZN7rocprim17ROCPRIM_400000_NS6detail17trampoline_kernelINS0_14default_configENS1_25partition_config_selectorILNS1_17partition_subalgoE5E10large_dataNS0_10empty_typeEbEEZZNS1_14partition_implILS5_5ELb0ES3_mN6thrust23THRUST_200600_302600_NS6detail15normal_iteratorINSB_10device_ptrIS6_EEEEPS7_NSB_18transform_iteratorI7is_evenIS6_ESG_NSB_11use_defaultESL_EENS0_5tupleIJSG_S7_EEENSN_IJSH_SH_EEES7_PlJS7_EEE10hipError_tPvRmT3_T4_T5_T6_T7_T9_mT8_P12ihipStream_tbDpT10_ENKUlT_T0_E_clISt17integral_constantIbLb1EES19_IbLb0EEEEDaS15_S16_EUlS15_E_NS1_11comp_targetILNS1_3genE9ELNS1_11target_archE1100ELNS1_3gpuE3ELNS1_3repE0EEENS1_30default_config_static_selectorELNS0_4arch9wavefront6targetE0EEEvT1_
	.p2align	8
	.type	_ZN7rocprim17ROCPRIM_400000_NS6detail17trampoline_kernelINS0_14default_configENS1_25partition_config_selectorILNS1_17partition_subalgoE5E10large_dataNS0_10empty_typeEbEEZZNS1_14partition_implILS5_5ELb0ES3_mN6thrust23THRUST_200600_302600_NS6detail15normal_iteratorINSB_10device_ptrIS6_EEEEPS7_NSB_18transform_iteratorI7is_evenIS6_ESG_NSB_11use_defaultESL_EENS0_5tupleIJSG_S7_EEENSN_IJSH_SH_EEES7_PlJS7_EEE10hipError_tPvRmT3_T4_T5_T6_T7_T9_mT8_P12ihipStream_tbDpT10_ENKUlT_T0_E_clISt17integral_constantIbLb1EES19_IbLb0EEEEDaS15_S16_EUlS15_E_NS1_11comp_targetILNS1_3genE9ELNS1_11target_archE1100ELNS1_3gpuE3ELNS1_3repE0EEENS1_30default_config_static_selectorELNS0_4arch9wavefront6targetE0EEEvT1_,@function
_ZN7rocprim17ROCPRIM_400000_NS6detail17trampoline_kernelINS0_14default_configENS1_25partition_config_selectorILNS1_17partition_subalgoE5E10large_dataNS0_10empty_typeEbEEZZNS1_14partition_implILS5_5ELb0ES3_mN6thrust23THRUST_200600_302600_NS6detail15normal_iteratorINSB_10device_ptrIS6_EEEEPS7_NSB_18transform_iteratorI7is_evenIS6_ESG_NSB_11use_defaultESL_EENS0_5tupleIJSG_S7_EEENSN_IJSH_SH_EEES7_PlJS7_EEE10hipError_tPvRmT3_T4_T5_T6_T7_T9_mT8_P12ihipStream_tbDpT10_ENKUlT_T0_E_clISt17integral_constantIbLb1EES19_IbLb0EEEEDaS15_S16_EUlS15_E_NS1_11comp_targetILNS1_3genE9ELNS1_11target_archE1100ELNS1_3gpuE3ELNS1_3repE0EEENS1_30default_config_static_selectorELNS0_4arch9wavefront6targetE0EEEvT1_: ; @_ZN7rocprim17ROCPRIM_400000_NS6detail17trampoline_kernelINS0_14default_configENS1_25partition_config_selectorILNS1_17partition_subalgoE5E10large_dataNS0_10empty_typeEbEEZZNS1_14partition_implILS5_5ELb0ES3_mN6thrust23THRUST_200600_302600_NS6detail15normal_iteratorINSB_10device_ptrIS6_EEEEPS7_NSB_18transform_iteratorI7is_evenIS6_ESG_NSB_11use_defaultESL_EENS0_5tupleIJSG_S7_EEENSN_IJSH_SH_EEES7_PlJS7_EEE10hipError_tPvRmT3_T4_T5_T6_T7_T9_mT8_P12ihipStream_tbDpT10_ENKUlT_T0_E_clISt17integral_constantIbLb1EES19_IbLb0EEEEDaS15_S16_EUlS15_E_NS1_11comp_targetILNS1_3genE9ELNS1_11target_archE1100ELNS1_3gpuE3ELNS1_3repE0EEENS1_30default_config_static_selectorELNS0_4arch9wavefront6targetE0EEEvT1_
; %bb.0:
	s_clause 0x4
	s_load_b128 s[8:11], s[0:1], 0x0
	s_load_b64 s[16:17], s[0:1], 0x10
	s_load_b32 s18, s[0:1], 0x70
	s_load_b128 s[4:7], s[0:1], 0x48
	s_load_b64 s[20:21], s[0:1], 0x58
	s_mov_b32 s12, s15
	s_mov_b32 s13, 0
	s_mov_b32 s26, -1
	s_lshl_b64 s[2:3], s[12:13], 18
	s_waitcnt lgkmcnt(0)
	s_add_u32 s8, s8, s2
	s_addc_u32 s9, s9, s3
	s_lshl_b64 s[14:15], s[16:17], 9
	s_load_b64 s[2:3], s[6:7], 0x0
	s_add_u32 s23, s10, s14
	s_addc_u32 s24, s11, s15
	s_add_i32 s10, s18, -1
	s_lshl_b32 s7, s18, 8
	s_lshl_b32 s6, s10, 8
	s_delay_alu instid0(SALU_CYCLE_1)
	s_add_i32 s25, s16, s6
	s_add_u32 s6, s16, s7
	s_addc_u32 s7, s17, 0
	s_cmp_eq_u32 s12, s10
	v_cmp_ge_u64_e64 s6, s[6:7], s[20:21]
	s_cselect_b32 s21, -1, 0
	s_lshl_b32 s16, s12, 8
	s_delay_alu instid0(VALU_DEP_1) | instskip(NEXT) | instid1(SALU_CYCLE_1)
	s_and_b32 s6, s21, s6
	s_xor_b32 s22, s6, -1
	s_delay_alu instid0(SALU_CYCLE_1)
	s_and_b32 vcc_lo, exec_lo, s22
	s_cbranch_vccz .LBB672_2
; %bb.1:
	s_mov_b32 s17, s13
	v_lshlrev_b32_e32 v3, 9, v0
	s_lshl_b64 s[6:7], s[16:17], 9
	s_mov_b32 s26, 0
	s_add_u32 s6, s23, s6
	s_addc_u32 s7, s24, s7
	v_add_co_u32 v1, s6, s6, v3
	s_delay_alu instid0(VALU_DEP_1) | instskip(SKIP_2) | instid1(VALU_DEP_1)
	v_add_co_ci_u32_e64 v2, null, s7, 0, s6
	flat_load_u8 v4, v[1:2]
	v_add_co_u32 v1, s6, s8, v3
	v_add_co_ci_u32_e64 v2, null, s9, 0, s6
	s_waitcnt vmcnt(0) lgkmcnt(0)
	global_store_b8 v3, v4, s[8:9]
	s_waitcnt_vscnt null, 0x0
	s_barrier
	s_branch .LBB672_3
.LBB672_2:
                                        ; implicit-def: $vgpr1_vgpr2
.LBB672_3:
	s_clause 0x2
	s_load_b64 s[18:19], s[0:1], 0x20
	s_load_b64 s[6:7], s[0:1], 0x30
	;; [unrolled: 1-line block ×3, first 2 shown]
	v_dual_mov_b32 v3, s16 :: v_dual_mov_b32 v4, s17
	s_and_not1_b32 vcc_lo, exec_lo, s26
	s_sub_i32 s0, s20, s25
	s_cbranch_vccnz .LBB672_9
; %bb.4:
	s_mov_b32 s1, exec_lo
	v_cmpx_le_u32_e64 s0, v0
	s_xor_b32 s1, exec_lo, s1
; %bb.5:
	v_mov_b32_e32 v1, 0
	s_mov_b32 s17, 0
; %bb.6:
	s_or_saveexec_b32 s1, s1
	v_dual_mov_b32 v3, s16 :: v_dual_mov_b32 v4, s17
	v_mov_b32_e32 v5, s17
	s_xor_b32 exec_lo, exec_lo, s1
	s_cbranch_execz .LBB672_8
; %bb.7:
	s_mov_b32 s17, 0
	v_lshlrev_b32_e32 v1, 9, v0
	s_lshl_b64 s[26:27], s[16:17], 9
	v_dual_mov_b32 v3, s16 :: v_dual_mov_b32 v4, s17
	s_add_u32 s13, s23, s26
	s_addc_u32 s20, s24, s27
	v_add_co_u32 v1, s13, s13, v1
	s_delay_alu instid0(VALU_DEP_1)
	v_add_co_ci_u32_e64 v2, null, s20, 0, s13
	flat_load_u8 v5, v[1:2]
	v_mov_b32_e32 v1, 0
.LBB672_8:
	s_or_b32 exec_lo, exec_lo, s1
	s_delay_alu instid0(VALU_DEP_1) | instskip(NEXT) | instid1(VALU_DEP_1)
	v_lshlrev_b64 v[1:2], 9, v[0:1]
	v_add_co_u32 v1, vcc_lo, s8, v1
	s_delay_alu instid0(VALU_DEP_2)
	v_add_co_ci_u32_e32 v2, vcc_lo, s9, v2, vcc_lo
	s_waitcnt vmcnt(0) lgkmcnt(0)
	global_store_b8 v[1:2], v5, off
	s_waitcnt_vscnt null, 0x0
	s_barrier
.LBB672_9:
	s_waitcnt lgkmcnt(0)
	buffer_gl0_inv
	global_load_u8 v17, v[1:2], off
	v_lshlrev_b64 v[1:2], 9, v[3:4]
	s_add_u32 s1, s18, s14
	s_addc_u32 s13, s19, s15
	s_waitcnt vmcnt(0)
	s_barrier
	buffer_gl0_inv
	v_add_co_u32 v3, vcc_lo, s1, v1
	v_add_co_ci_u32_e32 v4, vcc_lo, s13, v2, vcc_lo
	s_and_b32 vcc_lo, exec_lo, s22
	s_cbranch_vccz .LBB672_11
; %bb.10:
	v_lshlrev_b32_e32 v1, 9, v0
	s_delay_alu instid0(VALU_DEP_1) | instskip(SKIP_4) | instid1(VALU_DEP_1)
	v_add_co_u32 v1, vcc_lo, v3, v1
	v_add_co_ci_u32_e32 v2, vcc_lo, 0, v4, vcc_lo
	global_load_u8 v1, v[1:2], off
	s_waitcnt vmcnt(0)
	v_xor_b32_e32 v1, -1, v1
	v_and_b32_e32 v5, 1, v1
	v_add_co_u32 v1, s1, s8, v0
	s_delay_alu instid0(VALU_DEP_1)
	v_add_co_ci_u32_e64 v2, null, s9, 0, s1
	global_store_b8 v0, v5, s[8:9]
	s_waitcnt_vscnt null, 0x0
	s_barrier
	s_cbranch_execz .LBB672_12
	s_branch .LBB672_15
.LBB672_11:
                                        ; implicit-def: $vgpr1_vgpr2
.LBB672_12:
	v_cmp_gt_u32_e32 vcc_lo, s0, v0
	v_mov_b32_e32 v5, 0
	s_and_saveexec_b32 s0, vcc_lo
	s_cbranch_execz .LBB672_14
; %bb.13:
	v_lshlrev_b32_e32 v1, 9, v0
	s_delay_alu instid0(VALU_DEP_1) | instskip(SKIP_4) | instid1(VALU_DEP_1)
	v_add_co_u32 v1, vcc_lo, v3, v1
	v_add_co_ci_u32_e32 v2, vcc_lo, 0, v4, vcc_lo
	global_load_u8 v1, v[1:2], off
	s_waitcnt vmcnt(0)
	v_xor_b32_e32 v1, -1, v1
	v_and_b32_e32 v5, 1, v1
.LBB672_14:
	s_or_b32 exec_lo, exec_lo, s0
	v_add_co_u32 v1, s0, s8, v0
	s_delay_alu instid0(VALU_DEP_1)
	v_add_co_ci_u32_e64 v2, null, s9, 0, s0
	global_store_b8 v[1:2], v5, off
	s_waitcnt_vscnt null, 0x0
	s_barrier
.LBB672_15:
	buffer_gl0_inv
	global_load_u8 v1, v[1:2], off
	v_mov_b32_e32 v10, 0
	v_mbcnt_lo_u32_b32 v18, -1, 0
	s_cmp_lg_u32 s12, 0
	s_waitcnt vmcnt(0)
	s_barrier
	buffer_gl0_inv
	v_and_b32_e32 v9, 1, v1
	v_and_b32_e32 v19, 0xff, v1
	s_cbranch_scc0 .LBB672_86
; %bb.16:
	v_dual_mov_b32 v2, v10 :: v_dual_and_b32 v7, 0xff, v1
	s_delay_alu instid0(VALU_DEP_3) | instskip(SKIP_2) | instid1(VALU_DEP_4)
	v_mov_b32_e32 v3, v9
	v_dual_mov_b32 v4, v10 :: v_dual_and_b32 v5, 15, v18
	v_mov_b32_dpp v6, v10 row_shr:1 row_mask:0xf bank_mask:0xf
	v_mov_b32_dpp v1, v7 row_shr:1 row_mask:0xf bank_mask:0xf
	s_mov_b32 s0, exec_lo
	s_delay_alu instid0(VALU_DEP_3)
	v_cmpx_ne_u32_e32 0, v5
; %bb.17:
	s_delay_alu instid0(VALU_DEP_2) | instskip(NEXT) | instid1(VALU_DEP_1)
	v_add_co_u32 v7, s1, v1, v9
	v_add_co_ci_u32_e64 v2, null, 0, 0, s1
	s_delay_alu instid0(VALU_DEP_2) | instskip(NEXT) | instid1(VALU_DEP_2)
	v_add_co_u32 v1, vcc_lo, 0, v7
	v_add_co_ci_u32_e32 v2, vcc_lo, v6, v2, vcc_lo
	s_delay_alu instid0(VALU_DEP_1)
	v_dual_mov_b32 v4, v2 :: v_dual_mov_b32 v3, v1
; %bb.18:
	s_or_b32 exec_lo, exec_lo, s0
	v_mov_b32_dpp v1, v7 row_shr:2 row_mask:0xf bank_mask:0xf
	v_mov_b32_dpp v6, v2 row_shr:2 row_mask:0xf bank_mask:0xf
	s_mov_b32 s0, exec_lo
	v_cmpx_lt_u32_e32 1, v5
; %bb.19:
	s_delay_alu instid0(VALU_DEP_3) | instskip(SKIP_1) | instid1(VALU_DEP_2)
	v_add_co_u32 v7, vcc_lo, v3, v1
	v_add_co_ci_u32_e32 v2, vcc_lo, 0, v4, vcc_lo
	v_add_co_u32 v1, vcc_lo, 0, v7
	s_delay_alu instid0(VALU_DEP_2) | instskip(NEXT) | instid1(VALU_DEP_1)
	v_add_co_ci_u32_e32 v2, vcc_lo, v6, v2, vcc_lo
	v_dual_mov_b32 v4, v2 :: v_dual_mov_b32 v3, v1
; %bb.20:
	s_or_b32 exec_lo, exec_lo, s0
	v_mov_b32_dpp v1, v7 row_shr:4 row_mask:0xf bank_mask:0xf
	v_mov_b32_dpp v6, v2 row_shr:4 row_mask:0xf bank_mask:0xf
	s_mov_b32 s0, exec_lo
	v_cmpx_lt_u32_e32 3, v5
; %bb.21:
	s_delay_alu instid0(VALU_DEP_3) | instskip(SKIP_1) | instid1(VALU_DEP_2)
	v_add_co_u32 v7, vcc_lo, v3, v1
	v_add_co_ci_u32_e32 v2, vcc_lo, 0, v4, vcc_lo
	v_add_co_u32 v1, vcc_lo, 0, v7
	s_delay_alu instid0(VALU_DEP_2) | instskip(NEXT) | instid1(VALU_DEP_1)
	v_add_co_ci_u32_e32 v2, vcc_lo, v6, v2, vcc_lo
	;; [unrolled: 14-line block ×3, first 2 shown]
	v_mov_b32_e32 v2, v4
; %bb.24:
	s_or_b32 exec_lo, exec_lo, s0
	ds_swizzle_b32 v1, v7 offset:swizzle(BROADCAST,32,15)
	ds_swizzle_b32 v5, v2 offset:swizzle(BROADCAST,32,15)
	v_and_b32_e32 v6, 16, v18
	s_mov_b32 s0, exec_lo
	s_delay_alu instid0(VALU_DEP_1)
	v_cmpx_ne_u32_e32 0, v6
	s_cbranch_execz .LBB672_26
; %bb.25:
	s_waitcnt lgkmcnt(1)
	v_add_co_u32 v7, vcc_lo, v3, v1
	v_add_co_ci_u32_e32 v2, vcc_lo, 0, v4, vcc_lo
	s_delay_alu instid0(VALU_DEP_2) | instskip(SKIP_1) | instid1(VALU_DEP_2)
	v_add_co_u32 v1, vcc_lo, 0, v7
	s_waitcnt lgkmcnt(0)
	v_add_co_ci_u32_e32 v2, vcc_lo, v5, v2, vcc_lo
	s_delay_alu instid0(VALU_DEP_1)
	v_dual_mov_b32 v4, v2 :: v_dual_mov_b32 v3, v1
.LBB672_26:
	s_or_b32 exec_lo, exec_lo, s0
	s_waitcnt lgkmcnt(0)
	v_or_b32_e32 v5, 31, v0
	v_lshrrev_b32_e32 v1, 5, v0
	s_mov_b32 s0, exec_lo
	s_delay_alu instid0(VALU_DEP_2)
	v_cmpx_eq_u32_e64 v5, v0
	s_cbranch_execz .LBB672_28
; %bb.27:
	s_delay_alu instid0(VALU_DEP_2)
	v_lshlrev_b32_e32 v5, 3, v1
	global_store_b64 v5, v[3:4], s[8:9]
.LBB672_28:
	s_or_b32 exec_lo, exec_lo, s0
	s_delay_alu instid0(SALU_CYCLE_1)
	s_mov_b32 s0, exec_lo
	s_waitcnt_vscnt null, 0x0
	s_barrier
	buffer_gl0_inv
	v_cmpx_gt_u32_e32 8, v0
	s_cbranch_execz .LBB672_36
; %bb.29:
	v_lshlrev_b32_e32 v5, 3, v0
	s_mov_b32 s1, exec_lo
	global_load_b64 v[3:4], v5, s[8:9]
	s_waitcnt vmcnt(0)
	v_dual_mov_b32 v11, v3 :: v_dual_and_b32 v8, 7, v18
	v_mov_b32_dpp v12, v3 row_shr:1 row_mask:0xf bank_mask:0xf
	v_mov_b32_dpp v6, v4 row_shr:1 row_mask:0xf bank_mask:0xf
	s_delay_alu instid0(VALU_DEP_3)
	v_cmpx_ne_u32_e32 0, v8
; %bb.30:
	s_delay_alu instid0(VALU_DEP_3) | instskip(SKIP_1) | instid1(VALU_DEP_2)
	v_add_co_u32 v11, vcc_lo, v3, v12
	v_add_co_ci_u32_e32 v4, vcc_lo, 0, v4, vcc_lo
	v_add_co_u32 v3, vcc_lo, 0, v11
	s_delay_alu instid0(VALU_DEP_2)
	v_add_co_ci_u32_e32 v4, vcc_lo, v6, v4, vcc_lo
; %bb.31:
	s_or_b32 exec_lo, exec_lo, s1
	v_add_co_u32 v5, s1, s8, v5
	s_delay_alu instid0(VALU_DEP_1)
	v_add_co_ci_u32_e64 v6, null, s9, 0, s1
	v_mov_b32_dpp v13, v11 row_shr:2 row_mask:0xf bank_mask:0xf
	v_mov_b32_dpp v12, v4 row_shr:2 row_mask:0xf bank_mask:0xf
	s_mov_b32 s1, exec_lo
	v_cmpx_lt_u32_e32 1, v8
; %bb.32:
	s_delay_alu instid0(VALU_DEP_3) | instskip(SKIP_1) | instid1(VALU_DEP_2)
	v_add_co_u32 v11, vcc_lo, v3, v13
	v_add_co_ci_u32_e32 v4, vcc_lo, 0, v4, vcc_lo
	v_add_co_u32 v3, vcc_lo, 0, v11
	s_delay_alu instid0(VALU_DEP_2)
	v_add_co_ci_u32_e32 v4, vcc_lo, v12, v4, vcc_lo
; %bb.33:
	s_or_b32 exec_lo, exec_lo, s1
	v_mov_b32_dpp v12, v11 row_shr:4 row_mask:0xf bank_mask:0xf
	s_delay_alu instid0(VALU_DEP_2)
	v_mov_b32_dpp v11, v4 row_shr:4 row_mask:0xf bank_mask:0xf
	s_mov_b32 s1, exec_lo
	v_cmpx_lt_u32_e32 3, v8
; %bb.34:
	s_delay_alu instid0(VALU_DEP_3) | instskip(SKIP_1) | instid1(VALU_DEP_2)
	v_add_co_u32 v3, vcc_lo, v3, v12
	v_add_co_ci_u32_e32 v4, vcc_lo, 0, v4, vcc_lo
	v_add_co_u32 v3, vcc_lo, v3, 0
	s_delay_alu instid0(VALU_DEP_2)
	v_add_co_ci_u32_e32 v4, vcc_lo, v4, v11, vcc_lo
; %bb.35:
	s_or_b32 exec_lo, exec_lo, s1
	global_store_b64 v[5:6], v[3:4], off
.LBB672_36:
	s_or_b32 exec_lo, exec_lo, s0
	v_cmp_gt_u32_e32 vcc_lo, 32, v0
	s_mov_b32 s1, exec_lo
	s_waitcnt_vscnt null, 0x0
	s_barrier
	buffer_gl0_inv
                                        ; implicit-def: $vgpr11_vgpr12
	v_cmpx_lt_u32_e32 31, v0
	s_cbranch_execz .LBB672_38
; %bb.37:
	v_dual_mov_b32 v4, 0 :: v_dual_add_nc_u32 v3, -1, v1
	s_delay_alu instid0(VALU_DEP_1) | instskip(NEXT) | instid1(VALU_DEP_1)
	v_lshlrev_b64 v[3:4], 3, v[3:4]
	v_add_co_u32 v3, s0, s8, v3
	s_delay_alu instid0(VALU_DEP_1) | instskip(SKIP_3) | instid1(VALU_DEP_1)
	v_add_co_ci_u32_e64 v4, s0, s9, v4, s0
	global_load_b64 v[11:12], v[3:4], off
	s_waitcnt vmcnt(0)
	v_add_co_u32 v7, s0, v7, v11
	v_add_co_ci_u32_e64 v2, s0, v2, v12, s0
.LBB672_38:
	s_or_b32 exec_lo, exec_lo, s1
	v_add_nc_u32_e32 v1, -1, v18
	s_delay_alu instid0(VALU_DEP_1) | instskip(NEXT) | instid1(VALU_DEP_1)
	v_cmp_gt_i32_e64 s0, 0, v1
	v_cndmask_b32_e64 v1, v1, v18, s0
	v_cmp_eq_u32_e64 s0, 0, v18
	s_delay_alu instid0(VALU_DEP_2)
	v_lshlrev_b32_e32 v1, 2, v1
	ds_bpermute_b32 v20, v1, v7
	ds_bpermute_b32 v21, v1, v2
	s_and_saveexec_b32 s1, vcc_lo
	s_cbranch_execz .LBB672_81
; %bb.39:
	v_mov_b32_e32 v4, 0
	global_load_b64 v[1:2], v4, s[8:9] offset:56
	s_and_saveexec_b32 s13, s0
	s_cbranch_execz .LBB672_41
; %bb.40:
	s_add_i32 s14, s12, 32
	s_mov_b32 s15, 0
	s_delay_alu instid0(SALU_CYCLE_1) | instskip(NEXT) | instid1(SALU_CYCLE_1)
	s_lshl_b64 s[14:15], s[14:15], 4
	s_add_u32 s14, s10, s14
	s_addc_u32 s15, s11, s15
	v_mov_b32_e32 v5, s14
	v_dual_mov_b32 v3, 1 :: v_dual_mov_b32 v6, s15
	s_waitcnt vmcnt(0)
	;;#ASMSTART
	global_store_dwordx4 v[5:6], v[1:4] off	
s_waitcnt vmcnt(0)
	;;#ASMEND
.LBB672_41:
	s_or_b32 exec_lo, exec_lo, s13
	v_xad_u32 v13, v18, -1, s12
	s_mov_b32 s14, 0
	s_mov_b32 s13, exec_lo
	s_delay_alu instid0(VALU_DEP_1) | instskip(NEXT) | instid1(VALU_DEP_1)
	v_add_nc_u32_e32 v3, 32, v13
	v_lshlrev_b64 v[3:4], 4, v[3:4]
	s_delay_alu instid0(VALU_DEP_1) | instskip(NEXT) | instid1(VALU_DEP_2)
	v_add_co_u32 v3, vcc_lo, s10, v3
	v_add_co_ci_u32_e32 v4, vcc_lo, s11, v4, vcc_lo
	;;#ASMSTART
	global_load_dwordx4 v[5:8], v[3:4] off glc	
s_waitcnt vmcnt(0)
	;;#ASMEND
	v_and_b32_e32 v8, 0xff, v6
	v_and_b32_e32 v14, 0xff00, v6
	v_or3_b32 v5, v5, 0, 0
	v_and_b32_e32 v15, 0xff000000, v6
	v_and_b32_e32 v6, 0xff0000, v6
	s_delay_alu instid0(VALU_DEP_4) | instskip(SKIP_2) | instid1(VALU_DEP_3)
	v_or3_b32 v8, 0, v8, v14
	v_and_b32_e32 v14, 0xff, v7
	v_or3_b32 v5, v5, 0, 0
	v_or3_b32 v6, v8, v6, v15
	s_delay_alu instid0(VALU_DEP_3)
	v_cmpx_eq_u16_e32 0, v14
	s_cbranch_execz .LBB672_47
; %bb.42:
	s_mov_b32 s15, 1
	.p2align	6
.LBB672_43:                             ; =>This Loop Header: Depth=1
                                        ;     Child Loop BB672_44 Depth 2
	s_delay_alu instid0(SALU_CYCLE_1)
	s_max_u32 s16, s15, 1
.LBB672_44:                             ;   Parent Loop BB672_43 Depth=1
                                        ; =>  This Inner Loop Header: Depth=2
	s_delay_alu instid0(SALU_CYCLE_1)
	s_add_i32 s16, s16, -1
	s_sleep 1
	s_cmp_eq_u32 s16, 0
	s_cbranch_scc0 .LBB672_44
; %bb.45:                               ;   in Loop: Header=BB672_43 Depth=1
	;;#ASMSTART
	global_load_dwordx4 v[5:8], v[3:4] off glc	
s_waitcnt vmcnt(0)
	;;#ASMEND
	v_and_b32_e32 v8, 0xff, v7
	s_cmp_lt_u32 s15, 32
	s_cselect_b32 s16, -1, 0
	s_delay_alu instid0(SALU_CYCLE_1) | instskip(NEXT) | instid1(VALU_DEP_1)
	s_cmp_lg_u32 s16, 0
	v_cmp_ne_u16_e32 vcc_lo, 0, v8
	s_addc_u32 s15, s15, 0
	s_or_b32 s14, vcc_lo, s14
	s_delay_alu instid0(SALU_CYCLE_1)
	s_and_not1_b32 exec_lo, exec_lo, s14
	s_cbranch_execnz .LBB672_43
; %bb.46:
	s_or_b32 exec_lo, exec_lo, s14
.LBB672_47:
	s_delay_alu instid0(SALU_CYCLE_1)
	s_or_b32 exec_lo, exec_lo, s13
	v_cmp_ne_u32_e32 vcc_lo, 31, v18
	v_and_b32_e32 v4, 0xff, v7
	v_lshlrev_b32_e64 v23, v18, -1
	s_mov_b32 s13, exec_lo
	v_add_co_ci_u32_e32 v3, vcc_lo, 0, v18, vcc_lo
	s_delay_alu instid0(VALU_DEP_3) | instskip(SKIP_1) | instid1(VALU_DEP_3)
	v_cmp_eq_u16_e32 vcc_lo, 2, v4
	v_mov_b32_e32 v4, v5
	v_lshlrev_b32_e32 v22, 2, v3
	v_and_or_b32 v3, vcc_lo, v23, 0x80000000
	ds_bpermute_b32 v14, v22, v5
	ds_bpermute_b32 v8, v22, v6
	v_ctz_i32_b32_e32 v3, v3
	s_delay_alu instid0(VALU_DEP_1)
	v_cmpx_lt_u32_e64 v18, v3
	s_cbranch_execz .LBB672_49
; %bb.48:
	s_waitcnt lgkmcnt(1)
	v_add_co_u32 v4, vcc_lo, v5, v14
	v_add_co_ci_u32_e32 v6, vcc_lo, 0, v6, vcc_lo
	s_delay_alu instid0(VALU_DEP_2) | instskip(SKIP_1) | instid1(VALU_DEP_2)
	v_add_co_u32 v5, vcc_lo, 0, v4
	s_waitcnt lgkmcnt(0)
	v_add_co_ci_u32_e32 v6, vcc_lo, v8, v6, vcc_lo
.LBB672_49:
	s_or_b32 exec_lo, exec_lo, s13
	v_cmp_gt_u32_e32 vcc_lo, 30, v18
	v_add_nc_u32_e32 v25, 2, v18
	s_mov_b32 s13, exec_lo
	s_waitcnt lgkmcnt(0)
	v_cndmask_b32_e64 v8, 0, 1, vcc_lo
	s_delay_alu instid0(VALU_DEP_1) | instskip(NEXT) | instid1(VALU_DEP_1)
	v_lshlrev_b32_e32 v8, 1, v8
	v_add_lshl_u32 v24, v8, v18, 2
	ds_bpermute_b32 v14, v24, v4
	ds_bpermute_b32 v8, v24, v6
	v_cmpx_le_u32_e64 v25, v3
	s_cbranch_execz .LBB672_51
; %bb.50:
	s_waitcnt lgkmcnt(1)
	v_add_co_u32 v4, vcc_lo, v5, v14
	v_add_co_ci_u32_e32 v6, vcc_lo, 0, v6, vcc_lo
	s_delay_alu instid0(VALU_DEP_2) | instskip(SKIP_1) | instid1(VALU_DEP_2)
	v_add_co_u32 v5, vcc_lo, 0, v4
	s_waitcnt lgkmcnt(0)
	v_add_co_ci_u32_e32 v6, vcc_lo, v8, v6, vcc_lo
.LBB672_51:
	s_or_b32 exec_lo, exec_lo, s13
	v_cmp_gt_u32_e32 vcc_lo, 28, v18
	v_add_nc_u32_e32 v27, 4, v18
	s_mov_b32 s13, exec_lo
	s_waitcnt lgkmcnt(0)
	v_cndmask_b32_e64 v8, 0, 1, vcc_lo
	s_delay_alu instid0(VALU_DEP_1) | instskip(NEXT) | instid1(VALU_DEP_1)
	v_lshlrev_b32_e32 v8, 2, v8
	v_add_lshl_u32 v26, v8, v18, 2
	ds_bpermute_b32 v14, v26, v4
	ds_bpermute_b32 v8, v26, v6
	v_cmpx_le_u32_e64 v27, v3
	;; [unrolled: 22-line block ×4, first 2 shown]
	s_cbranch_execz .LBB672_57
; %bb.56:
	s_waitcnt lgkmcnt(1)
	v_add_co_u32 v3, vcc_lo, v5, v8
	v_add_co_ci_u32_e32 v6, vcc_lo, 0, v6, vcc_lo
	s_delay_alu instid0(VALU_DEP_2) | instskip(SKIP_1) | instid1(VALU_DEP_2)
	v_add_co_u32 v5, vcc_lo, v3, 0
	s_waitcnt lgkmcnt(0)
	v_add_co_ci_u32_e32 v6, vcc_lo, v6, v4, vcc_lo
.LBB672_57:
	s_or_b32 exec_lo, exec_lo, s13
	v_mov_b32_e32 v14, 0
	s_branch .LBB672_59
.LBB672_58:                             ;   in Loop: Header=BB672_59 Depth=1
	s_or_b32 exec_lo, exec_lo, s13
	v_add_co_u32 v5, vcc_lo, v5, v3
	v_subrev_nc_u32_e32 v13, 32, v13
	v_add_co_ci_u32_e32 v6, vcc_lo, v6, v4, vcc_lo
.LBB672_59:                             ; =>This Loop Header: Depth=1
                                        ;     Child Loop BB672_62 Depth 2
                                        ;       Child Loop BB672_63 Depth 3
	v_and_b32_e32 v3, 0xff, v7
	s_delay_alu instid0(VALU_DEP_1) | instskip(SKIP_2) | instid1(VALU_DEP_1)
	v_cmp_ne_u16_e32 vcc_lo, 2, v3
	v_cndmask_b32_e64 v3, 0, 1, vcc_lo
	;;#ASMSTART
	;;#ASMEND
	v_cmp_ne_u32_e32 vcc_lo, 0, v3
	s_waitcnt lgkmcnt(0)
	v_dual_mov_b32 v3, v5 :: v_dual_mov_b32 v4, v6
	s_cmp_lg_u32 vcc_lo, exec_lo
	s_cbranch_scc1 .LBB672_76
; %bb.60:                               ;   in Loop: Header=BB672_59 Depth=1
	v_lshlrev_b64 v[5:6], 4, v[13:14]
	s_mov_b32 s13, exec_lo
	s_delay_alu instid0(VALU_DEP_1) | instskip(NEXT) | instid1(VALU_DEP_2)
	v_add_co_u32 v15, vcc_lo, s10, v5
	v_add_co_ci_u32_e32 v16, vcc_lo, s11, v6, vcc_lo
	;;#ASMSTART
	global_load_dwordx4 v[5:8], v[15:16] off glc	
s_waitcnt vmcnt(0)
	;;#ASMEND
	v_and_b32_e32 v8, 0xff, v6
	v_and_b32_e32 v32, 0xff00, v6
	v_or3_b32 v5, v5, 0, 0
	v_and_b32_e32 v33, 0xff000000, v6
	v_and_b32_e32 v6, 0xff0000, v6
	s_delay_alu instid0(VALU_DEP_4) | instskip(SKIP_2) | instid1(VALU_DEP_3)
	v_or3_b32 v8, 0, v8, v32
	v_and_b32_e32 v32, 0xff, v7
	v_or3_b32 v5, v5, 0, 0
	v_or3_b32 v6, v8, v6, v33
	s_delay_alu instid0(VALU_DEP_3)
	v_cmpx_eq_u16_e32 0, v32
	s_cbranch_execz .LBB672_66
; %bb.61:                               ;   in Loop: Header=BB672_59 Depth=1
	s_mov_b32 s15, 1
	s_mov_b32 s14, 0
	.p2align	6
.LBB672_62:                             ;   Parent Loop BB672_59 Depth=1
                                        ; =>  This Loop Header: Depth=2
                                        ;       Child Loop BB672_63 Depth 3
	s_max_u32 s16, s15, 1
.LBB672_63:                             ;   Parent Loop BB672_59 Depth=1
                                        ;     Parent Loop BB672_62 Depth=2
                                        ; =>    This Inner Loop Header: Depth=3
	s_delay_alu instid0(SALU_CYCLE_1)
	s_add_i32 s16, s16, -1
	s_sleep 1
	s_cmp_eq_u32 s16, 0
	s_cbranch_scc0 .LBB672_63
; %bb.64:                               ;   in Loop: Header=BB672_62 Depth=2
	;;#ASMSTART
	global_load_dwordx4 v[5:8], v[15:16] off glc	
s_waitcnt vmcnt(0)
	;;#ASMEND
	v_and_b32_e32 v8, 0xff, v7
	s_cmp_lt_u32 s15, 32
	s_cselect_b32 s16, -1, 0
	s_delay_alu instid0(SALU_CYCLE_1) | instskip(NEXT) | instid1(VALU_DEP_1)
	s_cmp_lg_u32 s16, 0
	v_cmp_ne_u16_e32 vcc_lo, 0, v8
	s_addc_u32 s15, s15, 0
	s_or_b32 s14, vcc_lo, s14
	s_delay_alu instid0(SALU_CYCLE_1)
	s_and_not1_b32 exec_lo, exec_lo, s14
	s_cbranch_execnz .LBB672_62
; %bb.65:                               ;   in Loop: Header=BB672_59 Depth=1
	s_or_b32 exec_lo, exec_lo, s14
.LBB672_66:                             ;   in Loop: Header=BB672_59 Depth=1
	s_delay_alu instid0(SALU_CYCLE_1)
	s_or_b32 exec_lo, exec_lo, s13
	v_dual_mov_b32 v15, v5 :: v_dual_and_b32 v8, 0xff, v7
	ds_bpermute_b32 v32, v22, v5
	ds_bpermute_b32 v16, v22, v6
	s_mov_b32 s13, exec_lo
	v_cmp_eq_u16_e32 vcc_lo, 2, v8
	v_and_or_b32 v8, vcc_lo, v23, 0x80000000
	s_delay_alu instid0(VALU_DEP_1) | instskip(NEXT) | instid1(VALU_DEP_1)
	v_ctz_i32_b32_e32 v8, v8
	v_cmpx_lt_u32_e64 v18, v8
	s_cbranch_execz .LBB672_68
; %bb.67:                               ;   in Loop: Header=BB672_59 Depth=1
	s_waitcnt lgkmcnt(1)
	v_add_co_u32 v15, vcc_lo, v5, v32
	v_add_co_ci_u32_e32 v6, vcc_lo, 0, v6, vcc_lo
	s_delay_alu instid0(VALU_DEP_2) | instskip(SKIP_1) | instid1(VALU_DEP_2)
	v_add_co_u32 v5, vcc_lo, 0, v15
	s_waitcnt lgkmcnt(0)
	v_add_co_ci_u32_e32 v6, vcc_lo, v16, v6, vcc_lo
.LBB672_68:                             ;   in Loop: Header=BB672_59 Depth=1
	s_or_b32 exec_lo, exec_lo, s13
	s_waitcnt lgkmcnt(1)
	ds_bpermute_b32 v32, v24, v15
	s_waitcnt lgkmcnt(1)
	ds_bpermute_b32 v16, v24, v6
	s_mov_b32 s13, exec_lo
	v_cmpx_le_u32_e64 v25, v8
	s_cbranch_execz .LBB672_70
; %bb.69:                               ;   in Loop: Header=BB672_59 Depth=1
	s_waitcnt lgkmcnt(1)
	v_add_co_u32 v15, vcc_lo, v5, v32
	v_add_co_ci_u32_e32 v6, vcc_lo, 0, v6, vcc_lo
	s_delay_alu instid0(VALU_DEP_2) | instskip(SKIP_1) | instid1(VALU_DEP_2)
	v_add_co_u32 v5, vcc_lo, 0, v15
	s_waitcnt lgkmcnt(0)
	v_add_co_ci_u32_e32 v6, vcc_lo, v16, v6, vcc_lo
.LBB672_70:                             ;   in Loop: Header=BB672_59 Depth=1
	s_or_b32 exec_lo, exec_lo, s13
	s_waitcnt lgkmcnt(1)
	ds_bpermute_b32 v32, v26, v15
	s_waitcnt lgkmcnt(1)
	ds_bpermute_b32 v16, v26, v6
	s_mov_b32 s13, exec_lo
	v_cmpx_le_u32_e64 v27, v8
	;; [unrolled: 17-line block ×3, first 2 shown]
	s_cbranch_execz .LBB672_74
; %bb.73:                               ;   in Loop: Header=BB672_59 Depth=1
	s_waitcnt lgkmcnt(1)
	v_add_co_u32 v15, vcc_lo, v5, v32
	v_add_co_ci_u32_e32 v6, vcc_lo, 0, v6, vcc_lo
	s_delay_alu instid0(VALU_DEP_2) | instskip(SKIP_1) | instid1(VALU_DEP_2)
	v_add_co_u32 v5, vcc_lo, 0, v15
	s_waitcnt lgkmcnt(0)
	v_add_co_ci_u32_e32 v6, vcc_lo, v16, v6, vcc_lo
.LBB672_74:                             ;   in Loop: Header=BB672_59 Depth=1
	s_or_b32 exec_lo, exec_lo, s13
	s_waitcnt lgkmcnt(0)
	ds_bpermute_b32 v16, v30, v15
	ds_bpermute_b32 v15, v30, v6
	s_mov_b32 s13, exec_lo
	v_cmpx_le_u32_e64 v31, v8
	s_cbranch_execz .LBB672_58
; %bb.75:                               ;   in Loop: Header=BB672_59 Depth=1
	s_waitcnt lgkmcnt(1)
	v_add_co_u32 v5, vcc_lo, v5, v16
	v_add_co_ci_u32_e32 v6, vcc_lo, 0, v6, vcc_lo
	s_delay_alu instid0(VALU_DEP_2) | instskip(SKIP_1) | instid1(VALU_DEP_2)
	v_add_co_u32 v5, vcc_lo, v5, 0
	s_waitcnt lgkmcnt(0)
	v_add_co_ci_u32_e32 v6, vcc_lo, v6, v15, vcc_lo
	s_branch .LBB672_58
.LBB672_76:                             ;   in Loop: Header=BB672_59 Depth=1
                                        ; implicit-def: $vgpr5_vgpr6
	s_cbranch_execz .LBB672_59
; %bb.77:
	s_and_saveexec_b32 s13, s0
	s_cbranch_execz .LBB672_79
; %bb.78:
	s_add_i32 s14, s12, 32
	s_mov_b32 s15, 0
	s_waitcnt vmcnt(0)
	v_add_co_u32 v5, vcc_lo, v3, v1
	s_lshl_b64 s[14:15], s[14:15], 4
	v_dual_mov_b32 v7, 2 :: v_dual_mov_b32 v8, 0
	s_add_u32 s14, s10, s14
	s_addc_u32 s15, s11, s15
	v_add_co_ci_u32_e32 v6, vcc_lo, v4, v2, vcc_lo
	v_dual_mov_b32 v13, s14 :: v_dual_mov_b32 v14, s15
	;;#ASMSTART
	global_store_dwordx4 v[13:14], v[5:8] off	
s_waitcnt vmcnt(0)
	;;#ASMEND
	ds_store_b128 v8, v[1:4]
.LBB672_79:
	s_or_b32 exec_lo, exec_lo, s13
	v_cmp_eq_u32_e32 vcc_lo, 0, v0
	s_and_b32 exec_lo, exec_lo, vcc_lo
	s_cbranch_execz .LBB672_81
; %bb.80:
	s_waitcnt vmcnt(0)
	v_mov_b32_e32 v1, 0
	global_store_b64 v1, v[3:4], s[8:9] offset:56
.LBB672_81:
	s_or_b32 exec_lo, exec_lo, s1
	s_waitcnt lgkmcnt(0)
	v_cndmask_b32_e64 v8, v21, v12, s0
	v_cmp_ne_u32_e32 vcc_lo, 0, v0
	s_waitcnt vmcnt(0)
	v_mov_b32_e32 v1, 0
	s_waitcnt_vscnt null, 0x0
	s_barrier
	buffer_gl0_inv
	v_cndmask_b32_e32 v8, 0, v8, vcc_lo
	global_load_b64 v[6:7], v1, s[8:9] offset:56
	s_waitcnt vmcnt(0)
	s_barrier
	buffer_gl0_inv
	ds_load_b128 v[2:5], v1
	v_cndmask_b32_e64 v1, v20, v11, s0
	s_delay_alu instid0(VALU_DEP_1) | instskip(NEXT) | instid1(VALU_DEP_1)
	v_cndmask_b32_e32 v1, 0, v1, vcc_lo
	v_add_co_u32 v6, vcc_lo, v6, v1
	v_add_co_ci_u32_e32 v7, vcc_lo, v7, v8, vcc_lo
.LBB672_82:
	s_waitcnt lgkmcnt(0)
	v_cmp_gt_u64_e32 vcc_lo, 0x101, v[2:3]
	s_mov_b32 s0, -1
	s_cbranch_vccnz .LBB672_112
.LBB672_83:
	s_and_not1_b32 vcc_lo, exec_lo, s0
	s_cbranch_vccz .LBB672_116
.LBB672_84:
	v_cmp_eq_u32_e32 vcc_lo, 0, v0
	s_and_b32 s0, vcc_lo, s21
	s_delay_alu instid0(SALU_CYCLE_1)
	s_and_saveexec_b32 s1, s0
	s_cbranch_execnz .LBB672_122
.LBB672_85:
	s_nop 0
	s_sendmsg sendmsg(MSG_DEALLOC_VGPRS)
	s_endpgm
.LBB672_86:
                                        ; implicit-def: $vgpr4_vgpr5
                                        ; implicit-def: $vgpr6_vgpr7
	s_cbranch_execz .LBB672_82
; %bb.87:
	s_waitcnt lgkmcnt(0)
	v_dual_mov_b32 v4, 0 :: v_dual_and_b32 v5, 15, v18
	v_mov_b32_dpp v3, v19 row_shr:1 row_mask:0xf bank_mask:0xf
	v_dual_mov_b32 v1, v9 :: v_dual_mov_b32 v2, v10
	s_delay_alu instid0(VALU_DEP_3)
	v_mov_b32_dpp v6, v4 row_shr:1 row_mask:0xf bank_mask:0xf
	s_mov_b32 s0, exec_lo
	v_cmpx_ne_u32_e32 0, v5
; %bb.88:
	v_add_co_u32 v19, s1, v3, v9
	s_delay_alu instid0(VALU_DEP_1) | instskip(NEXT) | instid1(VALU_DEP_2)
	v_add_co_ci_u32_e64 v1, null, 0, 0, s1
	v_add_co_u32 v3, vcc_lo, 0, v19
	s_delay_alu instid0(VALU_DEP_2) | instskip(NEXT) | instid1(VALU_DEP_1)
	v_add_co_ci_u32_e32 v4, vcc_lo, v6, v1, vcc_lo
	v_dual_mov_b32 v1, v3 :: v_dual_mov_b32 v2, v4
; %bb.89:
	s_or_b32 exec_lo, exec_lo, s0
	v_mov_b32_dpp v3, v19 row_shr:2 row_mask:0xf bank_mask:0xf
	v_mov_b32_dpp v6, v4 row_shr:2 row_mask:0xf bank_mask:0xf
	s_mov_b32 s0, exec_lo
	v_cmpx_lt_u32_e32 1, v5
; %bb.90:
	s_delay_alu instid0(VALU_DEP_3) | instskip(SKIP_1) | instid1(VALU_DEP_2)
	v_add_co_u32 v19, vcc_lo, v1, v3
	v_add_co_ci_u32_e32 v1, vcc_lo, 0, v2, vcc_lo
	v_add_co_u32 v3, vcc_lo, 0, v19
	s_delay_alu instid0(VALU_DEP_2) | instskip(NEXT) | instid1(VALU_DEP_1)
	v_add_co_ci_u32_e32 v4, vcc_lo, v6, v1, vcc_lo
	v_dual_mov_b32 v1, v3 :: v_dual_mov_b32 v2, v4
; %bb.91:
	s_or_b32 exec_lo, exec_lo, s0
	v_mov_b32_dpp v3, v19 row_shr:4 row_mask:0xf bank_mask:0xf
	v_mov_b32_dpp v6, v4 row_shr:4 row_mask:0xf bank_mask:0xf
	s_mov_b32 s0, exec_lo
	v_cmpx_lt_u32_e32 3, v5
; %bb.92:
	s_delay_alu instid0(VALU_DEP_3) | instskip(SKIP_1) | instid1(VALU_DEP_2)
	v_add_co_u32 v19, vcc_lo, v1, v3
	v_add_co_ci_u32_e32 v1, vcc_lo, 0, v2, vcc_lo
	;; [unrolled: 14-line block ×3, first 2 shown]
	v_add_co_u32 v1, vcc_lo, 0, v19
	s_delay_alu instid0(VALU_DEP_2) | instskip(NEXT) | instid1(VALU_DEP_1)
	v_add_co_ci_u32_e32 v2, vcc_lo, v3, v2, vcc_lo
	v_mov_b32_e32 v4, v2
; %bb.95:
	s_or_b32 exec_lo, exec_lo, s0
	ds_swizzle_b32 v3, v19 offset:swizzle(BROADCAST,32,15)
	ds_swizzle_b32 v5, v4 offset:swizzle(BROADCAST,32,15)
	v_and_b32_e32 v6, 16, v18
	s_mov_b32 s0, exec_lo
	s_delay_alu instid0(VALU_DEP_1)
	v_cmpx_ne_u32_e32 0, v6
	s_cbranch_execz .LBB672_97
; %bb.96:
	s_waitcnt lgkmcnt(1)
	v_add_co_u32 v19, vcc_lo, v1, v3
	v_add_co_ci_u32_e32 v1, vcc_lo, 0, v2, vcc_lo
	s_delay_alu instid0(VALU_DEP_2) | instskip(SKIP_1) | instid1(VALU_DEP_2)
	v_add_co_u32 v3, vcc_lo, 0, v19
	s_waitcnt lgkmcnt(0)
	v_add_co_ci_u32_e32 v4, vcc_lo, v5, v1, vcc_lo
	s_delay_alu instid0(VALU_DEP_1)
	v_dual_mov_b32 v1, v3 :: v_dual_mov_b32 v2, v4
.LBB672_97:
	s_or_b32 exec_lo, exec_lo, s0
	s_waitcnt lgkmcnt(0)
	v_or_b32_e32 v5, 31, v0
	v_lshrrev_b32_e32 v3, 5, v0
	s_mov_b32 s0, exec_lo
	s_delay_alu instid0(VALU_DEP_2)
	v_cmpx_eq_u32_e64 v5, v0
	s_cbranch_execz .LBB672_99
; %bb.98:
	s_delay_alu instid0(VALU_DEP_2)
	v_lshlrev_b32_e32 v5, 3, v3
	global_store_b64 v5, v[1:2], s[8:9]
.LBB672_99:
	s_or_b32 exec_lo, exec_lo, s0
	s_delay_alu instid0(SALU_CYCLE_1)
	s_mov_b32 s0, exec_lo
	s_waitcnt_vscnt null, 0x0
	s_barrier
	buffer_gl0_inv
	v_cmpx_gt_u32_e32 8, v0
	s_cbranch_execz .LBB672_107
; %bb.100:
	v_lshlrev_b32_e32 v5, 3, v0
	v_and_b32_e32 v7, 7, v18
	s_mov_b32 s1, exec_lo
	global_load_b64 v[1:2], v5, s[8:9]
	s_waitcnt vmcnt(0)
	v_mov_b32_e32 v8, v1
	v_mov_b32_dpp v10, v1 row_shr:1 row_mask:0xf bank_mask:0xf
	v_mov_b32_dpp v6, v2 row_shr:1 row_mask:0xf bank_mask:0xf
	v_cmpx_ne_u32_e32 0, v7
; %bb.101:
	s_delay_alu instid0(VALU_DEP_3) | instskip(SKIP_1) | instid1(VALU_DEP_2)
	v_add_co_u32 v8, vcc_lo, v1, v10
	v_add_co_ci_u32_e32 v2, vcc_lo, 0, v2, vcc_lo
	v_add_co_u32 v1, vcc_lo, 0, v8
	s_delay_alu instid0(VALU_DEP_2)
	v_add_co_ci_u32_e32 v2, vcc_lo, v6, v2, vcc_lo
; %bb.102:
	s_or_b32 exec_lo, exec_lo, s1
	v_add_co_u32 v5, s1, s8, v5
	s_delay_alu instid0(VALU_DEP_1)
	v_add_co_ci_u32_e64 v6, null, s9, 0, s1
	v_mov_b32_dpp v11, v8 row_shr:2 row_mask:0xf bank_mask:0xf
	v_mov_b32_dpp v10, v2 row_shr:2 row_mask:0xf bank_mask:0xf
	s_mov_b32 s1, exec_lo
	v_cmpx_lt_u32_e32 1, v7
; %bb.103:
	s_delay_alu instid0(VALU_DEP_3) | instskip(SKIP_1) | instid1(VALU_DEP_2)
	v_add_co_u32 v8, vcc_lo, v1, v11
	v_add_co_ci_u32_e32 v2, vcc_lo, 0, v2, vcc_lo
	v_add_co_u32 v1, vcc_lo, 0, v8
	s_delay_alu instid0(VALU_DEP_2)
	v_add_co_ci_u32_e32 v2, vcc_lo, v10, v2, vcc_lo
; %bb.104:
	s_or_b32 exec_lo, exec_lo, s1
	v_mov_b32_dpp v10, v8 row_shr:4 row_mask:0xf bank_mask:0xf
	s_delay_alu instid0(VALU_DEP_2)
	v_mov_b32_dpp v8, v2 row_shr:4 row_mask:0xf bank_mask:0xf
	s_mov_b32 s1, exec_lo
	v_cmpx_lt_u32_e32 3, v7
; %bb.105:
	s_delay_alu instid0(VALU_DEP_3) | instskip(SKIP_1) | instid1(VALU_DEP_2)
	v_add_co_u32 v1, vcc_lo, v1, v10
	v_add_co_ci_u32_e32 v2, vcc_lo, 0, v2, vcc_lo
	v_add_co_u32 v1, vcc_lo, v1, 0
	s_delay_alu instid0(VALU_DEP_2)
	v_add_co_ci_u32_e32 v2, vcc_lo, v2, v8, vcc_lo
; %bb.106:
	s_or_b32 exec_lo, exec_lo, s1
	global_store_b64 v[5:6], v[1:2], off
.LBB672_107:
	s_or_b32 exec_lo, exec_lo, s0
	v_mov_b32_e32 v6, 0
	v_mov_b32_e32 v7, 0
	s_mov_b32 s0, exec_lo
	s_waitcnt_vscnt null, 0x0
	s_barrier
	buffer_gl0_inv
	v_cmpx_lt_u32_e32 31, v0
	s_cbranch_execz .LBB672_109
; %bb.108:
	v_dual_mov_b32 v2, 0 :: v_dual_add_nc_u32 v1, -1, v3
	s_delay_alu instid0(VALU_DEP_1) | instskip(NEXT) | instid1(VALU_DEP_1)
	v_lshlrev_b64 v[1:2], 3, v[1:2]
	v_add_co_u32 v1, vcc_lo, s8, v1
	s_delay_alu instid0(VALU_DEP_2)
	v_add_co_ci_u32_e32 v2, vcc_lo, s9, v2, vcc_lo
	global_load_b64 v[6:7], v[1:2], off
.LBB672_109:
	s_or_b32 exec_lo, exec_lo, s0
	v_add_nc_u32_e32 v1, -1, v18
	s_mov_b32 s0, exec_lo
	s_delay_alu instid0(VALU_DEP_1) | instskip(SKIP_1) | instid1(VALU_DEP_1)
	v_cmp_gt_i32_e32 vcc_lo, 0, v1
	v_cndmask_b32_e32 v1, v1, v18, vcc_lo
	v_dual_mov_b32 v5, 0 :: v_dual_lshlrev_b32 v8, 2, v1
	global_load_b64 v[2:3], v5, s[8:9] offset:56
	s_waitcnt vmcnt(1)
	v_add_co_u32 v1, vcc_lo, v19, v6
	v_add_co_ci_u32_e32 v4, vcc_lo, v4, v7, vcc_lo
	ds_bpermute_b32 v1, v8, v1
	ds_bpermute_b32 v8, v8, v4
	v_cmpx_eq_u32_e32 0, v0
	s_cbranch_execz .LBB672_111
; %bb.110:
	s_add_u32 s10, s10, 0x200
	s_addc_u32 s11, s11, 0
	v_mov_b32_e32 v10, s10
	v_dual_mov_b32 v4, 2 :: v_dual_mov_b32 v11, s11
	s_waitcnt vmcnt(0)
	;;#ASMSTART
	global_store_dwordx4 v[10:11], v[2:5] off	
s_waitcnt vmcnt(0)
	;;#ASMEND
.LBB672_111:
	s_or_b32 exec_lo, exec_lo, s0
	v_cmp_eq_u32_e32 vcc_lo, 0, v18
	s_waitcnt vmcnt(0) lgkmcnt(0)
	s_barrier
	buffer_gl0_inv
	v_dual_mov_b32 v4, 0 :: v_dual_cndmask_b32 v7, v8, v7
	v_dual_mov_b32 v5, 0 :: v_dual_cndmask_b32 v6, v1, v6
	v_cmp_gt_u64_e32 vcc_lo, 0x101, v[2:3]
	s_mov_b32 s0, -1
	s_cbranch_vccz .LBB672_83
.LBB672_112:
	v_add_co_u32 v10, vcc_lo, v4, v2
	v_add_co_ci_u32_e32 v11, vcc_lo, v5, v3, vcc_lo
	s_delay_alu instid0(VALU_DEP_1) | instskip(SKIP_1) | instid1(SALU_CYCLE_1)
	v_cmp_gt_u64_e32 vcc_lo, v[10:11], v[6:7]
	s_or_b32 s1, s22, vcc_lo
	s_and_saveexec_b32 s0, s1
	s_cbranch_execz .LBB672_115
; %bb.113:
	v_cmp_eq_u32_e32 vcc_lo, 1, v9
	s_and_b32 exec_lo, exec_lo, vcc_lo
	s_cbranch_execz .LBB672_115
; %bb.114:
	v_lshlrev_b64 v[7:8], 9, v[6:7]
	s_lshl_b64 s[10:11], s[2:3], 9
	s_delay_alu instid0(SALU_CYCLE_1) | instskip(SKIP_1) | instid1(VALU_DEP_1)
	s_add_u32 s1, s6, s10
	s_addc_u32 s10, s7, s11
	v_add_co_u32 v7, vcc_lo, s1, v7
	s_delay_alu instid0(VALU_DEP_2)
	v_add_co_ci_u32_e32 v8, vcc_lo, s10, v8, vcc_lo
	global_store_b8 v[7:8], v17, off
.LBB672_115:
	s_or_b32 exec_lo, exec_lo, s0
	s_cbranch_execnz .LBB672_84
.LBB672_116:
	s_mov_b32 s0, exec_lo
	v_cmpx_eq_u32_e32 1, v9
	s_cbranch_execz .LBB672_118
; %bb.117:
	v_sub_nc_u32_e32 v6, v6, v4
	v_mov_b32_e32 v7, 0
	s_delay_alu instid0(VALU_DEP_1) | instskip(NEXT) | instid1(VALU_DEP_1)
	v_lshlrev_b64 v[6:7], 9, v[6:7]
	v_add_co_u32 v6, vcc_lo, s8, v6
	s_delay_alu instid0(VALU_DEP_2)
	v_add_co_ci_u32_e32 v7, vcc_lo, s9, v7, vcc_lo
	global_store_b8 v[6:7], v17, off
.LBB672_118:
	s_or_b32 exec_lo, exec_lo, s0
	v_mov_b32_e32 v7, 0
	s_mov_b32 s1, exec_lo
	s_waitcnt_vscnt null, 0x0
	s_barrier
	buffer_gl0_inv
	v_mov_b32_e32 v1, v7
	s_delay_alu instid0(VALU_DEP_1)
	v_cmpx_gt_u64_e64 v[2:3], v[0:1]
	s_cbranch_execz .LBB672_121
; %bb.119:
	v_lshlrev_b64 v[8:9], 9, v[4:5]
	s_lshl_b64 s[10:11], s[2:3], 9
	v_or_b32_e32 v6, 0x100, v0
	s_delay_alu instid0(VALU_DEP_2) | instskip(NEXT) | instid1(VALU_DEP_3)
	v_add_co_u32 v8, vcc_lo, s6, v8
	v_add_co_ci_u32_e32 v9, vcc_lo, s7, v9, vcc_lo
	s_mov_b32 s6, 0
	s_delay_alu instid0(VALU_DEP_2) | instskip(NEXT) | instid1(VALU_DEP_2)
	v_add_co_u32 v10, vcc_lo, v8, s10
	v_add_co_ci_u32_e32 v11, vcc_lo, s11, v9, vcc_lo
	v_dual_mov_b32 v9, v1 :: v_dual_mov_b32 v8, v0
	.p2align	6
.LBB672_120:                            ; =>This Inner Loop Header: Depth=1
	s_delay_alu instid0(VALU_DEP_1) | instskip(NEXT) | instid1(VALU_DEP_1)
	v_lshlrev_b64 v[12:13], 9, v[8:9]
	v_add_co_u32 v8, vcc_lo, s8, v12
	s_delay_alu instid0(VALU_DEP_2)
	v_add_co_ci_u32_e32 v9, vcc_lo, s9, v13, vcc_lo
	v_cmp_le_u64_e32 vcc_lo, v[2:3], v[6:7]
	v_add_co_u32 v12, s0, v10, v12
	global_load_u8 v1, v[8:9], off
	v_dual_mov_b32 v9, v7 :: v_dual_mov_b32 v8, v6
	v_add_co_ci_u32_e64 v13, s0, v11, v13, s0
	v_add_nc_u32_e32 v6, 0x100, v6
	s_or_b32 s6, vcc_lo, s6
	s_waitcnt vmcnt(0)
	global_store_b8 v[12:13], v1, off
	s_and_not1_b32 exec_lo, exec_lo, s6
	s_cbranch_execnz .LBB672_120
.LBB672_121:
	s_or_b32 exec_lo, exec_lo, s1
	v_cmp_eq_u32_e32 vcc_lo, 0, v0
	s_and_b32 s0, vcc_lo, s21
	s_delay_alu instid0(SALU_CYCLE_1)
	s_and_saveexec_b32 s1, s0
	s_cbranch_execz .LBB672_85
.LBB672_122:
	v_add_co_u32 v0, vcc_lo, v4, v2
	v_add_co_ci_u32_e32 v1, vcc_lo, v5, v3, vcc_lo
	v_mov_b32_e32 v2, 0
	s_delay_alu instid0(VALU_DEP_3) | instskip(NEXT) | instid1(VALU_DEP_3)
	v_add_co_u32 v0, vcc_lo, v0, s2
	v_add_co_ci_u32_e32 v1, vcc_lo, s3, v1, vcc_lo
	global_store_b64 v2, v[0:1], s[4:5]
	s_nop 0
	s_sendmsg sendmsg(MSG_DEALLOC_VGPRS)
	s_endpgm
	.section	.rodata,"a",@progbits
	.p2align	6, 0x0
	.amdhsa_kernel _ZN7rocprim17ROCPRIM_400000_NS6detail17trampoline_kernelINS0_14default_configENS1_25partition_config_selectorILNS1_17partition_subalgoE5E10large_dataNS0_10empty_typeEbEEZZNS1_14partition_implILS5_5ELb0ES3_mN6thrust23THRUST_200600_302600_NS6detail15normal_iteratorINSB_10device_ptrIS6_EEEEPS7_NSB_18transform_iteratorI7is_evenIS6_ESG_NSB_11use_defaultESL_EENS0_5tupleIJSG_S7_EEENSN_IJSH_SH_EEES7_PlJS7_EEE10hipError_tPvRmT3_T4_T5_T6_T7_T9_mT8_P12ihipStream_tbDpT10_ENKUlT_T0_E_clISt17integral_constantIbLb1EES19_IbLb0EEEEDaS15_S16_EUlS15_E_NS1_11comp_targetILNS1_3genE9ELNS1_11target_archE1100ELNS1_3gpuE3ELNS1_3repE0EEENS1_30default_config_static_selectorELNS0_4arch9wavefront6targetE0EEEvT1_
		.amdhsa_group_segment_fixed_size 16
		.amdhsa_private_segment_fixed_size 0
		.amdhsa_kernarg_size 120
		.amdhsa_user_sgpr_count 15
		.amdhsa_user_sgpr_dispatch_ptr 0
		.amdhsa_user_sgpr_queue_ptr 0
		.amdhsa_user_sgpr_kernarg_segment_ptr 1
		.amdhsa_user_sgpr_dispatch_id 0
		.amdhsa_user_sgpr_private_segment_size 0
		.amdhsa_wavefront_size32 1
		.amdhsa_uses_dynamic_stack 0
		.amdhsa_enable_private_segment 0
		.amdhsa_system_sgpr_workgroup_id_x 1
		.amdhsa_system_sgpr_workgroup_id_y 0
		.amdhsa_system_sgpr_workgroup_id_z 0
		.amdhsa_system_sgpr_workgroup_info 0
		.amdhsa_system_vgpr_workitem_id 0
		.amdhsa_next_free_vgpr 34
		.amdhsa_next_free_sgpr 28
		.amdhsa_reserve_vcc 1
		.amdhsa_float_round_mode_32 0
		.amdhsa_float_round_mode_16_64 0
		.amdhsa_float_denorm_mode_32 3
		.amdhsa_float_denorm_mode_16_64 3
		.amdhsa_dx10_clamp 1
		.amdhsa_ieee_mode 1
		.amdhsa_fp16_overflow 0
		.amdhsa_workgroup_processor_mode 1
		.amdhsa_memory_ordered 1
		.amdhsa_forward_progress 0
		.amdhsa_shared_vgpr_count 0
		.amdhsa_exception_fp_ieee_invalid_op 0
		.amdhsa_exception_fp_denorm_src 0
		.amdhsa_exception_fp_ieee_div_zero 0
		.amdhsa_exception_fp_ieee_overflow 0
		.amdhsa_exception_fp_ieee_underflow 0
		.amdhsa_exception_fp_ieee_inexact 0
		.amdhsa_exception_int_div_zero 0
	.end_amdhsa_kernel
	.section	.text._ZN7rocprim17ROCPRIM_400000_NS6detail17trampoline_kernelINS0_14default_configENS1_25partition_config_selectorILNS1_17partition_subalgoE5E10large_dataNS0_10empty_typeEbEEZZNS1_14partition_implILS5_5ELb0ES3_mN6thrust23THRUST_200600_302600_NS6detail15normal_iteratorINSB_10device_ptrIS6_EEEEPS7_NSB_18transform_iteratorI7is_evenIS6_ESG_NSB_11use_defaultESL_EENS0_5tupleIJSG_S7_EEENSN_IJSH_SH_EEES7_PlJS7_EEE10hipError_tPvRmT3_T4_T5_T6_T7_T9_mT8_P12ihipStream_tbDpT10_ENKUlT_T0_E_clISt17integral_constantIbLb1EES19_IbLb0EEEEDaS15_S16_EUlS15_E_NS1_11comp_targetILNS1_3genE9ELNS1_11target_archE1100ELNS1_3gpuE3ELNS1_3repE0EEENS1_30default_config_static_selectorELNS0_4arch9wavefront6targetE0EEEvT1_,"axG",@progbits,_ZN7rocprim17ROCPRIM_400000_NS6detail17trampoline_kernelINS0_14default_configENS1_25partition_config_selectorILNS1_17partition_subalgoE5E10large_dataNS0_10empty_typeEbEEZZNS1_14partition_implILS5_5ELb0ES3_mN6thrust23THRUST_200600_302600_NS6detail15normal_iteratorINSB_10device_ptrIS6_EEEEPS7_NSB_18transform_iteratorI7is_evenIS6_ESG_NSB_11use_defaultESL_EENS0_5tupleIJSG_S7_EEENSN_IJSH_SH_EEES7_PlJS7_EEE10hipError_tPvRmT3_T4_T5_T6_T7_T9_mT8_P12ihipStream_tbDpT10_ENKUlT_T0_E_clISt17integral_constantIbLb1EES19_IbLb0EEEEDaS15_S16_EUlS15_E_NS1_11comp_targetILNS1_3genE9ELNS1_11target_archE1100ELNS1_3gpuE3ELNS1_3repE0EEENS1_30default_config_static_selectorELNS0_4arch9wavefront6targetE0EEEvT1_,comdat
.Lfunc_end672:
	.size	_ZN7rocprim17ROCPRIM_400000_NS6detail17trampoline_kernelINS0_14default_configENS1_25partition_config_selectorILNS1_17partition_subalgoE5E10large_dataNS0_10empty_typeEbEEZZNS1_14partition_implILS5_5ELb0ES3_mN6thrust23THRUST_200600_302600_NS6detail15normal_iteratorINSB_10device_ptrIS6_EEEEPS7_NSB_18transform_iteratorI7is_evenIS6_ESG_NSB_11use_defaultESL_EENS0_5tupleIJSG_S7_EEENSN_IJSH_SH_EEES7_PlJS7_EEE10hipError_tPvRmT3_T4_T5_T6_T7_T9_mT8_P12ihipStream_tbDpT10_ENKUlT_T0_E_clISt17integral_constantIbLb1EES19_IbLb0EEEEDaS15_S16_EUlS15_E_NS1_11comp_targetILNS1_3genE9ELNS1_11target_archE1100ELNS1_3gpuE3ELNS1_3repE0EEENS1_30default_config_static_selectorELNS0_4arch9wavefront6targetE0EEEvT1_, .Lfunc_end672-_ZN7rocprim17ROCPRIM_400000_NS6detail17trampoline_kernelINS0_14default_configENS1_25partition_config_selectorILNS1_17partition_subalgoE5E10large_dataNS0_10empty_typeEbEEZZNS1_14partition_implILS5_5ELb0ES3_mN6thrust23THRUST_200600_302600_NS6detail15normal_iteratorINSB_10device_ptrIS6_EEEEPS7_NSB_18transform_iteratorI7is_evenIS6_ESG_NSB_11use_defaultESL_EENS0_5tupleIJSG_S7_EEENSN_IJSH_SH_EEES7_PlJS7_EEE10hipError_tPvRmT3_T4_T5_T6_T7_T9_mT8_P12ihipStream_tbDpT10_ENKUlT_T0_E_clISt17integral_constantIbLb1EES19_IbLb0EEEEDaS15_S16_EUlS15_E_NS1_11comp_targetILNS1_3genE9ELNS1_11target_archE1100ELNS1_3gpuE3ELNS1_3repE0EEENS1_30default_config_static_selectorELNS0_4arch9wavefront6targetE0EEEvT1_
                                        ; -- End function
	.section	.AMDGPU.csdata,"",@progbits
; Kernel info:
; codeLenInByte = 5184
; NumSgprs: 30
; NumVgprs: 34
; ScratchSize: 0
; MemoryBound: 0
; FloatMode: 240
; IeeeMode: 1
; LDSByteSize: 16 bytes/workgroup (compile time only)
; SGPRBlocks: 3
; VGPRBlocks: 4
; NumSGPRsForWavesPerEU: 30
; NumVGPRsForWavesPerEU: 34
; Occupancy: 16
; WaveLimiterHint : 1
; COMPUTE_PGM_RSRC2:SCRATCH_EN: 0
; COMPUTE_PGM_RSRC2:USER_SGPR: 15
; COMPUTE_PGM_RSRC2:TRAP_HANDLER: 0
; COMPUTE_PGM_RSRC2:TGID_X_EN: 1
; COMPUTE_PGM_RSRC2:TGID_Y_EN: 0
; COMPUTE_PGM_RSRC2:TGID_Z_EN: 0
; COMPUTE_PGM_RSRC2:TIDIG_COMP_CNT: 0
	.section	.text._ZN7rocprim17ROCPRIM_400000_NS6detail17trampoline_kernelINS0_14default_configENS1_25partition_config_selectorILNS1_17partition_subalgoE5E10large_dataNS0_10empty_typeEbEEZZNS1_14partition_implILS5_5ELb0ES3_mN6thrust23THRUST_200600_302600_NS6detail15normal_iteratorINSB_10device_ptrIS6_EEEEPS7_NSB_18transform_iteratorI7is_evenIS6_ESG_NSB_11use_defaultESL_EENS0_5tupleIJSG_S7_EEENSN_IJSH_SH_EEES7_PlJS7_EEE10hipError_tPvRmT3_T4_T5_T6_T7_T9_mT8_P12ihipStream_tbDpT10_ENKUlT_T0_E_clISt17integral_constantIbLb1EES19_IbLb0EEEEDaS15_S16_EUlS15_E_NS1_11comp_targetILNS1_3genE8ELNS1_11target_archE1030ELNS1_3gpuE2ELNS1_3repE0EEENS1_30default_config_static_selectorELNS0_4arch9wavefront6targetE0EEEvT1_,"axG",@progbits,_ZN7rocprim17ROCPRIM_400000_NS6detail17trampoline_kernelINS0_14default_configENS1_25partition_config_selectorILNS1_17partition_subalgoE5E10large_dataNS0_10empty_typeEbEEZZNS1_14partition_implILS5_5ELb0ES3_mN6thrust23THRUST_200600_302600_NS6detail15normal_iteratorINSB_10device_ptrIS6_EEEEPS7_NSB_18transform_iteratorI7is_evenIS6_ESG_NSB_11use_defaultESL_EENS0_5tupleIJSG_S7_EEENSN_IJSH_SH_EEES7_PlJS7_EEE10hipError_tPvRmT3_T4_T5_T6_T7_T9_mT8_P12ihipStream_tbDpT10_ENKUlT_T0_E_clISt17integral_constantIbLb1EES19_IbLb0EEEEDaS15_S16_EUlS15_E_NS1_11comp_targetILNS1_3genE8ELNS1_11target_archE1030ELNS1_3gpuE2ELNS1_3repE0EEENS1_30default_config_static_selectorELNS0_4arch9wavefront6targetE0EEEvT1_,comdat
	.protected	_ZN7rocprim17ROCPRIM_400000_NS6detail17trampoline_kernelINS0_14default_configENS1_25partition_config_selectorILNS1_17partition_subalgoE5E10large_dataNS0_10empty_typeEbEEZZNS1_14partition_implILS5_5ELb0ES3_mN6thrust23THRUST_200600_302600_NS6detail15normal_iteratorINSB_10device_ptrIS6_EEEEPS7_NSB_18transform_iteratorI7is_evenIS6_ESG_NSB_11use_defaultESL_EENS0_5tupleIJSG_S7_EEENSN_IJSH_SH_EEES7_PlJS7_EEE10hipError_tPvRmT3_T4_T5_T6_T7_T9_mT8_P12ihipStream_tbDpT10_ENKUlT_T0_E_clISt17integral_constantIbLb1EES19_IbLb0EEEEDaS15_S16_EUlS15_E_NS1_11comp_targetILNS1_3genE8ELNS1_11target_archE1030ELNS1_3gpuE2ELNS1_3repE0EEENS1_30default_config_static_selectorELNS0_4arch9wavefront6targetE0EEEvT1_ ; -- Begin function _ZN7rocprim17ROCPRIM_400000_NS6detail17trampoline_kernelINS0_14default_configENS1_25partition_config_selectorILNS1_17partition_subalgoE5E10large_dataNS0_10empty_typeEbEEZZNS1_14partition_implILS5_5ELb0ES3_mN6thrust23THRUST_200600_302600_NS6detail15normal_iteratorINSB_10device_ptrIS6_EEEEPS7_NSB_18transform_iteratorI7is_evenIS6_ESG_NSB_11use_defaultESL_EENS0_5tupleIJSG_S7_EEENSN_IJSH_SH_EEES7_PlJS7_EEE10hipError_tPvRmT3_T4_T5_T6_T7_T9_mT8_P12ihipStream_tbDpT10_ENKUlT_T0_E_clISt17integral_constantIbLb1EES19_IbLb0EEEEDaS15_S16_EUlS15_E_NS1_11comp_targetILNS1_3genE8ELNS1_11target_archE1030ELNS1_3gpuE2ELNS1_3repE0EEENS1_30default_config_static_selectorELNS0_4arch9wavefront6targetE0EEEvT1_
	.globl	_ZN7rocprim17ROCPRIM_400000_NS6detail17trampoline_kernelINS0_14default_configENS1_25partition_config_selectorILNS1_17partition_subalgoE5E10large_dataNS0_10empty_typeEbEEZZNS1_14partition_implILS5_5ELb0ES3_mN6thrust23THRUST_200600_302600_NS6detail15normal_iteratorINSB_10device_ptrIS6_EEEEPS7_NSB_18transform_iteratorI7is_evenIS6_ESG_NSB_11use_defaultESL_EENS0_5tupleIJSG_S7_EEENSN_IJSH_SH_EEES7_PlJS7_EEE10hipError_tPvRmT3_T4_T5_T6_T7_T9_mT8_P12ihipStream_tbDpT10_ENKUlT_T0_E_clISt17integral_constantIbLb1EES19_IbLb0EEEEDaS15_S16_EUlS15_E_NS1_11comp_targetILNS1_3genE8ELNS1_11target_archE1030ELNS1_3gpuE2ELNS1_3repE0EEENS1_30default_config_static_selectorELNS0_4arch9wavefront6targetE0EEEvT1_
	.p2align	8
	.type	_ZN7rocprim17ROCPRIM_400000_NS6detail17trampoline_kernelINS0_14default_configENS1_25partition_config_selectorILNS1_17partition_subalgoE5E10large_dataNS0_10empty_typeEbEEZZNS1_14partition_implILS5_5ELb0ES3_mN6thrust23THRUST_200600_302600_NS6detail15normal_iteratorINSB_10device_ptrIS6_EEEEPS7_NSB_18transform_iteratorI7is_evenIS6_ESG_NSB_11use_defaultESL_EENS0_5tupleIJSG_S7_EEENSN_IJSH_SH_EEES7_PlJS7_EEE10hipError_tPvRmT3_T4_T5_T6_T7_T9_mT8_P12ihipStream_tbDpT10_ENKUlT_T0_E_clISt17integral_constantIbLb1EES19_IbLb0EEEEDaS15_S16_EUlS15_E_NS1_11comp_targetILNS1_3genE8ELNS1_11target_archE1030ELNS1_3gpuE2ELNS1_3repE0EEENS1_30default_config_static_selectorELNS0_4arch9wavefront6targetE0EEEvT1_,@function
_ZN7rocprim17ROCPRIM_400000_NS6detail17trampoline_kernelINS0_14default_configENS1_25partition_config_selectorILNS1_17partition_subalgoE5E10large_dataNS0_10empty_typeEbEEZZNS1_14partition_implILS5_5ELb0ES3_mN6thrust23THRUST_200600_302600_NS6detail15normal_iteratorINSB_10device_ptrIS6_EEEEPS7_NSB_18transform_iteratorI7is_evenIS6_ESG_NSB_11use_defaultESL_EENS0_5tupleIJSG_S7_EEENSN_IJSH_SH_EEES7_PlJS7_EEE10hipError_tPvRmT3_T4_T5_T6_T7_T9_mT8_P12ihipStream_tbDpT10_ENKUlT_T0_E_clISt17integral_constantIbLb1EES19_IbLb0EEEEDaS15_S16_EUlS15_E_NS1_11comp_targetILNS1_3genE8ELNS1_11target_archE1030ELNS1_3gpuE2ELNS1_3repE0EEENS1_30default_config_static_selectorELNS0_4arch9wavefront6targetE0EEEvT1_: ; @_ZN7rocprim17ROCPRIM_400000_NS6detail17trampoline_kernelINS0_14default_configENS1_25partition_config_selectorILNS1_17partition_subalgoE5E10large_dataNS0_10empty_typeEbEEZZNS1_14partition_implILS5_5ELb0ES3_mN6thrust23THRUST_200600_302600_NS6detail15normal_iteratorINSB_10device_ptrIS6_EEEEPS7_NSB_18transform_iteratorI7is_evenIS6_ESG_NSB_11use_defaultESL_EENS0_5tupleIJSG_S7_EEENSN_IJSH_SH_EEES7_PlJS7_EEE10hipError_tPvRmT3_T4_T5_T6_T7_T9_mT8_P12ihipStream_tbDpT10_ENKUlT_T0_E_clISt17integral_constantIbLb1EES19_IbLb0EEEEDaS15_S16_EUlS15_E_NS1_11comp_targetILNS1_3genE8ELNS1_11target_archE1030ELNS1_3gpuE2ELNS1_3repE0EEENS1_30default_config_static_selectorELNS0_4arch9wavefront6targetE0EEEvT1_
; %bb.0:
	.section	.rodata,"a",@progbits
	.p2align	6, 0x0
	.amdhsa_kernel _ZN7rocprim17ROCPRIM_400000_NS6detail17trampoline_kernelINS0_14default_configENS1_25partition_config_selectorILNS1_17partition_subalgoE5E10large_dataNS0_10empty_typeEbEEZZNS1_14partition_implILS5_5ELb0ES3_mN6thrust23THRUST_200600_302600_NS6detail15normal_iteratorINSB_10device_ptrIS6_EEEEPS7_NSB_18transform_iteratorI7is_evenIS6_ESG_NSB_11use_defaultESL_EENS0_5tupleIJSG_S7_EEENSN_IJSH_SH_EEES7_PlJS7_EEE10hipError_tPvRmT3_T4_T5_T6_T7_T9_mT8_P12ihipStream_tbDpT10_ENKUlT_T0_E_clISt17integral_constantIbLb1EES19_IbLb0EEEEDaS15_S16_EUlS15_E_NS1_11comp_targetILNS1_3genE8ELNS1_11target_archE1030ELNS1_3gpuE2ELNS1_3repE0EEENS1_30default_config_static_selectorELNS0_4arch9wavefront6targetE0EEEvT1_
		.amdhsa_group_segment_fixed_size 0
		.amdhsa_private_segment_fixed_size 0
		.amdhsa_kernarg_size 120
		.amdhsa_user_sgpr_count 15
		.amdhsa_user_sgpr_dispatch_ptr 0
		.amdhsa_user_sgpr_queue_ptr 0
		.amdhsa_user_sgpr_kernarg_segment_ptr 1
		.amdhsa_user_sgpr_dispatch_id 0
		.amdhsa_user_sgpr_private_segment_size 0
		.amdhsa_wavefront_size32 1
		.amdhsa_uses_dynamic_stack 0
		.amdhsa_enable_private_segment 0
		.amdhsa_system_sgpr_workgroup_id_x 1
		.amdhsa_system_sgpr_workgroup_id_y 0
		.amdhsa_system_sgpr_workgroup_id_z 0
		.amdhsa_system_sgpr_workgroup_info 0
		.amdhsa_system_vgpr_workitem_id 0
		.amdhsa_next_free_vgpr 1
		.amdhsa_next_free_sgpr 1
		.amdhsa_reserve_vcc 0
		.amdhsa_float_round_mode_32 0
		.amdhsa_float_round_mode_16_64 0
		.amdhsa_float_denorm_mode_32 3
		.amdhsa_float_denorm_mode_16_64 3
		.amdhsa_dx10_clamp 1
		.amdhsa_ieee_mode 1
		.amdhsa_fp16_overflow 0
		.amdhsa_workgroup_processor_mode 1
		.amdhsa_memory_ordered 1
		.amdhsa_forward_progress 0
		.amdhsa_shared_vgpr_count 0
		.amdhsa_exception_fp_ieee_invalid_op 0
		.amdhsa_exception_fp_denorm_src 0
		.amdhsa_exception_fp_ieee_div_zero 0
		.amdhsa_exception_fp_ieee_overflow 0
		.amdhsa_exception_fp_ieee_underflow 0
		.amdhsa_exception_fp_ieee_inexact 0
		.amdhsa_exception_int_div_zero 0
	.end_amdhsa_kernel
	.section	.text._ZN7rocprim17ROCPRIM_400000_NS6detail17trampoline_kernelINS0_14default_configENS1_25partition_config_selectorILNS1_17partition_subalgoE5E10large_dataNS0_10empty_typeEbEEZZNS1_14partition_implILS5_5ELb0ES3_mN6thrust23THRUST_200600_302600_NS6detail15normal_iteratorINSB_10device_ptrIS6_EEEEPS7_NSB_18transform_iteratorI7is_evenIS6_ESG_NSB_11use_defaultESL_EENS0_5tupleIJSG_S7_EEENSN_IJSH_SH_EEES7_PlJS7_EEE10hipError_tPvRmT3_T4_T5_T6_T7_T9_mT8_P12ihipStream_tbDpT10_ENKUlT_T0_E_clISt17integral_constantIbLb1EES19_IbLb0EEEEDaS15_S16_EUlS15_E_NS1_11comp_targetILNS1_3genE8ELNS1_11target_archE1030ELNS1_3gpuE2ELNS1_3repE0EEENS1_30default_config_static_selectorELNS0_4arch9wavefront6targetE0EEEvT1_,"axG",@progbits,_ZN7rocprim17ROCPRIM_400000_NS6detail17trampoline_kernelINS0_14default_configENS1_25partition_config_selectorILNS1_17partition_subalgoE5E10large_dataNS0_10empty_typeEbEEZZNS1_14partition_implILS5_5ELb0ES3_mN6thrust23THRUST_200600_302600_NS6detail15normal_iteratorINSB_10device_ptrIS6_EEEEPS7_NSB_18transform_iteratorI7is_evenIS6_ESG_NSB_11use_defaultESL_EENS0_5tupleIJSG_S7_EEENSN_IJSH_SH_EEES7_PlJS7_EEE10hipError_tPvRmT3_T4_T5_T6_T7_T9_mT8_P12ihipStream_tbDpT10_ENKUlT_T0_E_clISt17integral_constantIbLb1EES19_IbLb0EEEEDaS15_S16_EUlS15_E_NS1_11comp_targetILNS1_3genE8ELNS1_11target_archE1030ELNS1_3gpuE2ELNS1_3repE0EEENS1_30default_config_static_selectorELNS0_4arch9wavefront6targetE0EEEvT1_,comdat
.Lfunc_end673:
	.size	_ZN7rocprim17ROCPRIM_400000_NS6detail17trampoline_kernelINS0_14default_configENS1_25partition_config_selectorILNS1_17partition_subalgoE5E10large_dataNS0_10empty_typeEbEEZZNS1_14partition_implILS5_5ELb0ES3_mN6thrust23THRUST_200600_302600_NS6detail15normal_iteratorINSB_10device_ptrIS6_EEEEPS7_NSB_18transform_iteratorI7is_evenIS6_ESG_NSB_11use_defaultESL_EENS0_5tupleIJSG_S7_EEENSN_IJSH_SH_EEES7_PlJS7_EEE10hipError_tPvRmT3_T4_T5_T6_T7_T9_mT8_P12ihipStream_tbDpT10_ENKUlT_T0_E_clISt17integral_constantIbLb1EES19_IbLb0EEEEDaS15_S16_EUlS15_E_NS1_11comp_targetILNS1_3genE8ELNS1_11target_archE1030ELNS1_3gpuE2ELNS1_3repE0EEENS1_30default_config_static_selectorELNS0_4arch9wavefront6targetE0EEEvT1_, .Lfunc_end673-_ZN7rocprim17ROCPRIM_400000_NS6detail17trampoline_kernelINS0_14default_configENS1_25partition_config_selectorILNS1_17partition_subalgoE5E10large_dataNS0_10empty_typeEbEEZZNS1_14partition_implILS5_5ELb0ES3_mN6thrust23THRUST_200600_302600_NS6detail15normal_iteratorINSB_10device_ptrIS6_EEEEPS7_NSB_18transform_iteratorI7is_evenIS6_ESG_NSB_11use_defaultESL_EENS0_5tupleIJSG_S7_EEENSN_IJSH_SH_EEES7_PlJS7_EEE10hipError_tPvRmT3_T4_T5_T6_T7_T9_mT8_P12ihipStream_tbDpT10_ENKUlT_T0_E_clISt17integral_constantIbLb1EES19_IbLb0EEEEDaS15_S16_EUlS15_E_NS1_11comp_targetILNS1_3genE8ELNS1_11target_archE1030ELNS1_3gpuE2ELNS1_3repE0EEENS1_30default_config_static_selectorELNS0_4arch9wavefront6targetE0EEEvT1_
                                        ; -- End function
	.section	.AMDGPU.csdata,"",@progbits
; Kernel info:
; codeLenInByte = 0
; NumSgprs: 0
; NumVgprs: 0
; ScratchSize: 0
; MemoryBound: 0
; FloatMode: 240
; IeeeMode: 1
; LDSByteSize: 0 bytes/workgroup (compile time only)
; SGPRBlocks: 0
; VGPRBlocks: 0
; NumSGPRsForWavesPerEU: 1
; NumVGPRsForWavesPerEU: 1
; Occupancy: 16
; WaveLimiterHint : 0
; COMPUTE_PGM_RSRC2:SCRATCH_EN: 0
; COMPUTE_PGM_RSRC2:USER_SGPR: 15
; COMPUTE_PGM_RSRC2:TRAP_HANDLER: 0
; COMPUTE_PGM_RSRC2:TGID_X_EN: 1
; COMPUTE_PGM_RSRC2:TGID_Y_EN: 0
; COMPUTE_PGM_RSRC2:TGID_Z_EN: 0
; COMPUTE_PGM_RSRC2:TIDIG_COMP_CNT: 0
	.section	.text._ZN7rocprim17ROCPRIM_400000_NS6detail17trampoline_kernelINS0_14default_configENS1_25partition_config_selectorILNS1_17partition_subalgoE5E10large_dataNS0_10empty_typeEbEEZZNS1_14partition_implILS5_5ELb0ES3_mN6thrust23THRUST_200600_302600_NS6detail15normal_iteratorINSB_10device_ptrIS6_EEEEPS7_NSB_18transform_iteratorI7is_evenIS6_ESG_NSB_11use_defaultESL_EENS0_5tupleIJSG_S7_EEENSN_IJSH_SH_EEES7_PlJS7_EEE10hipError_tPvRmT3_T4_T5_T6_T7_T9_mT8_P12ihipStream_tbDpT10_ENKUlT_T0_E_clISt17integral_constantIbLb0EES19_IbLb1EEEEDaS15_S16_EUlS15_E_NS1_11comp_targetILNS1_3genE0ELNS1_11target_archE4294967295ELNS1_3gpuE0ELNS1_3repE0EEENS1_30default_config_static_selectorELNS0_4arch9wavefront6targetE0EEEvT1_,"axG",@progbits,_ZN7rocprim17ROCPRIM_400000_NS6detail17trampoline_kernelINS0_14default_configENS1_25partition_config_selectorILNS1_17partition_subalgoE5E10large_dataNS0_10empty_typeEbEEZZNS1_14partition_implILS5_5ELb0ES3_mN6thrust23THRUST_200600_302600_NS6detail15normal_iteratorINSB_10device_ptrIS6_EEEEPS7_NSB_18transform_iteratorI7is_evenIS6_ESG_NSB_11use_defaultESL_EENS0_5tupleIJSG_S7_EEENSN_IJSH_SH_EEES7_PlJS7_EEE10hipError_tPvRmT3_T4_T5_T6_T7_T9_mT8_P12ihipStream_tbDpT10_ENKUlT_T0_E_clISt17integral_constantIbLb0EES19_IbLb1EEEEDaS15_S16_EUlS15_E_NS1_11comp_targetILNS1_3genE0ELNS1_11target_archE4294967295ELNS1_3gpuE0ELNS1_3repE0EEENS1_30default_config_static_selectorELNS0_4arch9wavefront6targetE0EEEvT1_,comdat
	.protected	_ZN7rocprim17ROCPRIM_400000_NS6detail17trampoline_kernelINS0_14default_configENS1_25partition_config_selectorILNS1_17partition_subalgoE5E10large_dataNS0_10empty_typeEbEEZZNS1_14partition_implILS5_5ELb0ES3_mN6thrust23THRUST_200600_302600_NS6detail15normal_iteratorINSB_10device_ptrIS6_EEEEPS7_NSB_18transform_iteratorI7is_evenIS6_ESG_NSB_11use_defaultESL_EENS0_5tupleIJSG_S7_EEENSN_IJSH_SH_EEES7_PlJS7_EEE10hipError_tPvRmT3_T4_T5_T6_T7_T9_mT8_P12ihipStream_tbDpT10_ENKUlT_T0_E_clISt17integral_constantIbLb0EES19_IbLb1EEEEDaS15_S16_EUlS15_E_NS1_11comp_targetILNS1_3genE0ELNS1_11target_archE4294967295ELNS1_3gpuE0ELNS1_3repE0EEENS1_30default_config_static_selectorELNS0_4arch9wavefront6targetE0EEEvT1_ ; -- Begin function _ZN7rocprim17ROCPRIM_400000_NS6detail17trampoline_kernelINS0_14default_configENS1_25partition_config_selectorILNS1_17partition_subalgoE5E10large_dataNS0_10empty_typeEbEEZZNS1_14partition_implILS5_5ELb0ES3_mN6thrust23THRUST_200600_302600_NS6detail15normal_iteratorINSB_10device_ptrIS6_EEEEPS7_NSB_18transform_iteratorI7is_evenIS6_ESG_NSB_11use_defaultESL_EENS0_5tupleIJSG_S7_EEENSN_IJSH_SH_EEES7_PlJS7_EEE10hipError_tPvRmT3_T4_T5_T6_T7_T9_mT8_P12ihipStream_tbDpT10_ENKUlT_T0_E_clISt17integral_constantIbLb0EES19_IbLb1EEEEDaS15_S16_EUlS15_E_NS1_11comp_targetILNS1_3genE0ELNS1_11target_archE4294967295ELNS1_3gpuE0ELNS1_3repE0EEENS1_30default_config_static_selectorELNS0_4arch9wavefront6targetE0EEEvT1_
	.globl	_ZN7rocprim17ROCPRIM_400000_NS6detail17trampoline_kernelINS0_14default_configENS1_25partition_config_selectorILNS1_17partition_subalgoE5E10large_dataNS0_10empty_typeEbEEZZNS1_14partition_implILS5_5ELb0ES3_mN6thrust23THRUST_200600_302600_NS6detail15normal_iteratorINSB_10device_ptrIS6_EEEEPS7_NSB_18transform_iteratorI7is_evenIS6_ESG_NSB_11use_defaultESL_EENS0_5tupleIJSG_S7_EEENSN_IJSH_SH_EEES7_PlJS7_EEE10hipError_tPvRmT3_T4_T5_T6_T7_T9_mT8_P12ihipStream_tbDpT10_ENKUlT_T0_E_clISt17integral_constantIbLb0EES19_IbLb1EEEEDaS15_S16_EUlS15_E_NS1_11comp_targetILNS1_3genE0ELNS1_11target_archE4294967295ELNS1_3gpuE0ELNS1_3repE0EEENS1_30default_config_static_selectorELNS0_4arch9wavefront6targetE0EEEvT1_
	.p2align	8
	.type	_ZN7rocprim17ROCPRIM_400000_NS6detail17trampoline_kernelINS0_14default_configENS1_25partition_config_selectorILNS1_17partition_subalgoE5E10large_dataNS0_10empty_typeEbEEZZNS1_14partition_implILS5_5ELb0ES3_mN6thrust23THRUST_200600_302600_NS6detail15normal_iteratorINSB_10device_ptrIS6_EEEEPS7_NSB_18transform_iteratorI7is_evenIS6_ESG_NSB_11use_defaultESL_EENS0_5tupleIJSG_S7_EEENSN_IJSH_SH_EEES7_PlJS7_EEE10hipError_tPvRmT3_T4_T5_T6_T7_T9_mT8_P12ihipStream_tbDpT10_ENKUlT_T0_E_clISt17integral_constantIbLb0EES19_IbLb1EEEEDaS15_S16_EUlS15_E_NS1_11comp_targetILNS1_3genE0ELNS1_11target_archE4294967295ELNS1_3gpuE0ELNS1_3repE0EEENS1_30default_config_static_selectorELNS0_4arch9wavefront6targetE0EEEvT1_,@function
_ZN7rocprim17ROCPRIM_400000_NS6detail17trampoline_kernelINS0_14default_configENS1_25partition_config_selectorILNS1_17partition_subalgoE5E10large_dataNS0_10empty_typeEbEEZZNS1_14partition_implILS5_5ELb0ES3_mN6thrust23THRUST_200600_302600_NS6detail15normal_iteratorINSB_10device_ptrIS6_EEEEPS7_NSB_18transform_iteratorI7is_evenIS6_ESG_NSB_11use_defaultESL_EENS0_5tupleIJSG_S7_EEENSN_IJSH_SH_EEES7_PlJS7_EEE10hipError_tPvRmT3_T4_T5_T6_T7_T9_mT8_P12ihipStream_tbDpT10_ENKUlT_T0_E_clISt17integral_constantIbLb0EES19_IbLb1EEEEDaS15_S16_EUlS15_E_NS1_11comp_targetILNS1_3genE0ELNS1_11target_archE4294967295ELNS1_3gpuE0ELNS1_3repE0EEENS1_30default_config_static_selectorELNS0_4arch9wavefront6targetE0EEEvT1_: ; @_ZN7rocprim17ROCPRIM_400000_NS6detail17trampoline_kernelINS0_14default_configENS1_25partition_config_selectorILNS1_17partition_subalgoE5E10large_dataNS0_10empty_typeEbEEZZNS1_14partition_implILS5_5ELb0ES3_mN6thrust23THRUST_200600_302600_NS6detail15normal_iteratorINSB_10device_ptrIS6_EEEEPS7_NSB_18transform_iteratorI7is_evenIS6_ESG_NSB_11use_defaultESL_EENS0_5tupleIJSG_S7_EEENSN_IJSH_SH_EEES7_PlJS7_EEE10hipError_tPvRmT3_T4_T5_T6_T7_T9_mT8_P12ihipStream_tbDpT10_ENKUlT_T0_E_clISt17integral_constantIbLb0EES19_IbLb1EEEEDaS15_S16_EUlS15_E_NS1_11comp_targetILNS1_3genE0ELNS1_11target_archE4294967295ELNS1_3gpuE0ELNS1_3repE0EEENS1_30default_config_static_selectorELNS0_4arch9wavefront6targetE0EEEvT1_
; %bb.0:
	.section	.rodata,"a",@progbits
	.p2align	6, 0x0
	.amdhsa_kernel _ZN7rocprim17ROCPRIM_400000_NS6detail17trampoline_kernelINS0_14default_configENS1_25partition_config_selectorILNS1_17partition_subalgoE5E10large_dataNS0_10empty_typeEbEEZZNS1_14partition_implILS5_5ELb0ES3_mN6thrust23THRUST_200600_302600_NS6detail15normal_iteratorINSB_10device_ptrIS6_EEEEPS7_NSB_18transform_iteratorI7is_evenIS6_ESG_NSB_11use_defaultESL_EENS0_5tupleIJSG_S7_EEENSN_IJSH_SH_EEES7_PlJS7_EEE10hipError_tPvRmT3_T4_T5_T6_T7_T9_mT8_P12ihipStream_tbDpT10_ENKUlT_T0_E_clISt17integral_constantIbLb0EES19_IbLb1EEEEDaS15_S16_EUlS15_E_NS1_11comp_targetILNS1_3genE0ELNS1_11target_archE4294967295ELNS1_3gpuE0ELNS1_3repE0EEENS1_30default_config_static_selectorELNS0_4arch9wavefront6targetE0EEEvT1_
		.amdhsa_group_segment_fixed_size 0
		.amdhsa_private_segment_fixed_size 0
		.amdhsa_kernarg_size 136
		.amdhsa_user_sgpr_count 15
		.amdhsa_user_sgpr_dispatch_ptr 0
		.amdhsa_user_sgpr_queue_ptr 0
		.amdhsa_user_sgpr_kernarg_segment_ptr 1
		.amdhsa_user_sgpr_dispatch_id 0
		.amdhsa_user_sgpr_private_segment_size 0
		.amdhsa_wavefront_size32 1
		.amdhsa_uses_dynamic_stack 0
		.amdhsa_enable_private_segment 0
		.amdhsa_system_sgpr_workgroup_id_x 1
		.amdhsa_system_sgpr_workgroup_id_y 0
		.amdhsa_system_sgpr_workgroup_id_z 0
		.amdhsa_system_sgpr_workgroup_info 0
		.amdhsa_system_vgpr_workitem_id 0
		.amdhsa_next_free_vgpr 1
		.amdhsa_next_free_sgpr 1
		.amdhsa_reserve_vcc 0
		.amdhsa_float_round_mode_32 0
		.amdhsa_float_round_mode_16_64 0
		.amdhsa_float_denorm_mode_32 3
		.amdhsa_float_denorm_mode_16_64 3
		.amdhsa_dx10_clamp 1
		.amdhsa_ieee_mode 1
		.amdhsa_fp16_overflow 0
		.amdhsa_workgroup_processor_mode 1
		.amdhsa_memory_ordered 1
		.amdhsa_forward_progress 0
		.amdhsa_shared_vgpr_count 0
		.amdhsa_exception_fp_ieee_invalid_op 0
		.amdhsa_exception_fp_denorm_src 0
		.amdhsa_exception_fp_ieee_div_zero 0
		.amdhsa_exception_fp_ieee_overflow 0
		.amdhsa_exception_fp_ieee_underflow 0
		.amdhsa_exception_fp_ieee_inexact 0
		.amdhsa_exception_int_div_zero 0
	.end_amdhsa_kernel
	.section	.text._ZN7rocprim17ROCPRIM_400000_NS6detail17trampoline_kernelINS0_14default_configENS1_25partition_config_selectorILNS1_17partition_subalgoE5E10large_dataNS0_10empty_typeEbEEZZNS1_14partition_implILS5_5ELb0ES3_mN6thrust23THRUST_200600_302600_NS6detail15normal_iteratorINSB_10device_ptrIS6_EEEEPS7_NSB_18transform_iteratorI7is_evenIS6_ESG_NSB_11use_defaultESL_EENS0_5tupleIJSG_S7_EEENSN_IJSH_SH_EEES7_PlJS7_EEE10hipError_tPvRmT3_T4_T5_T6_T7_T9_mT8_P12ihipStream_tbDpT10_ENKUlT_T0_E_clISt17integral_constantIbLb0EES19_IbLb1EEEEDaS15_S16_EUlS15_E_NS1_11comp_targetILNS1_3genE0ELNS1_11target_archE4294967295ELNS1_3gpuE0ELNS1_3repE0EEENS1_30default_config_static_selectorELNS0_4arch9wavefront6targetE0EEEvT1_,"axG",@progbits,_ZN7rocprim17ROCPRIM_400000_NS6detail17trampoline_kernelINS0_14default_configENS1_25partition_config_selectorILNS1_17partition_subalgoE5E10large_dataNS0_10empty_typeEbEEZZNS1_14partition_implILS5_5ELb0ES3_mN6thrust23THRUST_200600_302600_NS6detail15normal_iteratorINSB_10device_ptrIS6_EEEEPS7_NSB_18transform_iteratorI7is_evenIS6_ESG_NSB_11use_defaultESL_EENS0_5tupleIJSG_S7_EEENSN_IJSH_SH_EEES7_PlJS7_EEE10hipError_tPvRmT3_T4_T5_T6_T7_T9_mT8_P12ihipStream_tbDpT10_ENKUlT_T0_E_clISt17integral_constantIbLb0EES19_IbLb1EEEEDaS15_S16_EUlS15_E_NS1_11comp_targetILNS1_3genE0ELNS1_11target_archE4294967295ELNS1_3gpuE0ELNS1_3repE0EEENS1_30default_config_static_selectorELNS0_4arch9wavefront6targetE0EEEvT1_,comdat
.Lfunc_end674:
	.size	_ZN7rocprim17ROCPRIM_400000_NS6detail17trampoline_kernelINS0_14default_configENS1_25partition_config_selectorILNS1_17partition_subalgoE5E10large_dataNS0_10empty_typeEbEEZZNS1_14partition_implILS5_5ELb0ES3_mN6thrust23THRUST_200600_302600_NS6detail15normal_iteratorINSB_10device_ptrIS6_EEEEPS7_NSB_18transform_iteratorI7is_evenIS6_ESG_NSB_11use_defaultESL_EENS0_5tupleIJSG_S7_EEENSN_IJSH_SH_EEES7_PlJS7_EEE10hipError_tPvRmT3_T4_T5_T6_T7_T9_mT8_P12ihipStream_tbDpT10_ENKUlT_T0_E_clISt17integral_constantIbLb0EES19_IbLb1EEEEDaS15_S16_EUlS15_E_NS1_11comp_targetILNS1_3genE0ELNS1_11target_archE4294967295ELNS1_3gpuE0ELNS1_3repE0EEENS1_30default_config_static_selectorELNS0_4arch9wavefront6targetE0EEEvT1_, .Lfunc_end674-_ZN7rocprim17ROCPRIM_400000_NS6detail17trampoline_kernelINS0_14default_configENS1_25partition_config_selectorILNS1_17partition_subalgoE5E10large_dataNS0_10empty_typeEbEEZZNS1_14partition_implILS5_5ELb0ES3_mN6thrust23THRUST_200600_302600_NS6detail15normal_iteratorINSB_10device_ptrIS6_EEEEPS7_NSB_18transform_iteratorI7is_evenIS6_ESG_NSB_11use_defaultESL_EENS0_5tupleIJSG_S7_EEENSN_IJSH_SH_EEES7_PlJS7_EEE10hipError_tPvRmT3_T4_T5_T6_T7_T9_mT8_P12ihipStream_tbDpT10_ENKUlT_T0_E_clISt17integral_constantIbLb0EES19_IbLb1EEEEDaS15_S16_EUlS15_E_NS1_11comp_targetILNS1_3genE0ELNS1_11target_archE4294967295ELNS1_3gpuE0ELNS1_3repE0EEENS1_30default_config_static_selectorELNS0_4arch9wavefront6targetE0EEEvT1_
                                        ; -- End function
	.section	.AMDGPU.csdata,"",@progbits
; Kernel info:
; codeLenInByte = 0
; NumSgprs: 0
; NumVgprs: 0
; ScratchSize: 0
; MemoryBound: 0
; FloatMode: 240
; IeeeMode: 1
; LDSByteSize: 0 bytes/workgroup (compile time only)
; SGPRBlocks: 0
; VGPRBlocks: 0
; NumSGPRsForWavesPerEU: 1
; NumVGPRsForWavesPerEU: 1
; Occupancy: 16
; WaveLimiterHint : 0
; COMPUTE_PGM_RSRC2:SCRATCH_EN: 0
; COMPUTE_PGM_RSRC2:USER_SGPR: 15
; COMPUTE_PGM_RSRC2:TRAP_HANDLER: 0
; COMPUTE_PGM_RSRC2:TGID_X_EN: 1
; COMPUTE_PGM_RSRC2:TGID_Y_EN: 0
; COMPUTE_PGM_RSRC2:TGID_Z_EN: 0
; COMPUTE_PGM_RSRC2:TIDIG_COMP_CNT: 0
	.section	.text._ZN7rocprim17ROCPRIM_400000_NS6detail17trampoline_kernelINS0_14default_configENS1_25partition_config_selectorILNS1_17partition_subalgoE5E10large_dataNS0_10empty_typeEbEEZZNS1_14partition_implILS5_5ELb0ES3_mN6thrust23THRUST_200600_302600_NS6detail15normal_iteratorINSB_10device_ptrIS6_EEEEPS7_NSB_18transform_iteratorI7is_evenIS6_ESG_NSB_11use_defaultESL_EENS0_5tupleIJSG_S7_EEENSN_IJSH_SH_EEES7_PlJS7_EEE10hipError_tPvRmT3_T4_T5_T6_T7_T9_mT8_P12ihipStream_tbDpT10_ENKUlT_T0_E_clISt17integral_constantIbLb0EES19_IbLb1EEEEDaS15_S16_EUlS15_E_NS1_11comp_targetILNS1_3genE5ELNS1_11target_archE942ELNS1_3gpuE9ELNS1_3repE0EEENS1_30default_config_static_selectorELNS0_4arch9wavefront6targetE0EEEvT1_,"axG",@progbits,_ZN7rocprim17ROCPRIM_400000_NS6detail17trampoline_kernelINS0_14default_configENS1_25partition_config_selectorILNS1_17partition_subalgoE5E10large_dataNS0_10empty_typeEbEEZZNS1_14partition_implILS5_5ELb0ES3_mN6thrust23THRUST_200600_302600_NS6detail15normal_iteratorINSB_10device_ptrIS6_EEEEPS7_NSB_18transform_iteratorI7is_evenIS6_ESG_NSB_11use_defaultESL_EENS0_5tupleIJSG_S7_EEENSN_IJSH_SH_EEES7_PlJS7_EEE10hipError_tPvRmT3_T4_T5_T6_T7_T9_mT8_P12ihipStream_tbDpT10_ENKUlT_T0_E_clISt17integral_constantIbLb0EES19_IbLb1EEEEDaS15_S16_EUlS15_E_NS1_11comp_targetILNS1_3genE5ELNS1_11target_archE942ELNS1_3gpuE9ELNS1_3repE0EEENS1_30default_config_static_selectorELNS0_4arch9wavefront6targetE0EEEvT1_,comdat
	.protected	_ZN7rocprim17ROCPRIM_400000_NS6detail17trampoline_kernelINS0_14default_configENS1_25partition_config_selectorILNS1_17partition_subalgoE5E10large_dataNS0_10empty_typeEbEEZZNS1_14partition_implILS5_5ELb0ES3_mN6thrust23THRUST_200600_302600_NS6detail15normal_iteratorINSB_10device_ptrIS6_EEEEPS7_NSB_18transform_iteratorI7is_evenIS6_ESG_NSB_11use_defaultESL_EENS0_5tupleIJSG_S7_EEENSN_IJSH_SH_EEES7_PlJS7_EEE10hipError_tPvRmT3_T4_T5_T6_T7_T9_mT8_P12ihipStream_tbDpT10_ENKUlT_T0_E_clISt17integral_constantIbLb0EES19_IbLb1EEEEDaS15_S16_EUlS15_E_NS1_11comp_targetILNS1_3genE5ELNS1_11target_archE942ELNS1_3gpuE9ELNS1_3repE0EEENS1_30default_config_static_selectorELNS0_4arch9wavefront6targetE0EEEvT1_ ; -- Begin function _ZN7rocprim17ROCPRIM_400000_NS6detail17trampoline_kernelINS0_14default_configENS1_25partition_config_selectorILNS1_17partition_subalgoE5E10large_dataNS0_10empty_typeEbEEZZNS1_14partition_implILS5_5ELb0ES3_mN6thrust23THRUST_200600_302600_NS6detail15normal_iteratorINSB_10device_ptrIS6_EEEEPS7_NSB_18transform_iteratorI7is_evenIS6_ESG_NSB_11use_defaultESL_EENS0_5tupleIJSG_S7_EEENSN_IJSH_SH_EEES7_PlJS7_EEE10hipError_tPvRmT3_T4_T5_T6_T7_T9_mT8_P12ihipStream_tbDpT10_ENKUlT_T0_E_clISt17integral_constantIbLb0EES19_IbLb1EEEEDaS15_S16_EUlS15_E_NS1_11comp_targetILNS1_3genE5ELNS1_11target_archE942ELNS1_3gpuE9ELNS1_3repE0EEENS1_30default_config_static_selectorELNS0_4arch9wavefront6targetE0EEEvT1_
	.globl	_ZN7rocprim17ROCPRIM_400000_NS6detail17trampoline_kernelINS0_14default_configENS1_25partition_config_selectorILNS1_17partition_subalgoE5E10large_dataNS0_10empty_typeEbEEZZNS1_14partition_implILS5_5ELb0ES3_mN6thrust23THRUST_200600_302600_NS6detail15normal_iteratorINSB_10device_ptrIS6_EEEEPS7_NSB_18transform_iteratorI7is_evenIS6_ESG_NSB_11use_defaultESL_EENS0_5tupleIJSG_S7_EEENSN_IJSH_SH_EEES7_PlJS7_EEE10hipError_tPvRmT3_T4_T5_T6_T7_T9_mT8_P12ihipStream_tbDpT10_ENKUlT_T0_E_clISt17integral_constantIbLb0EES19_IbLb1EEEEDaS15_S16_EUlS15_E_NS1_11comp_targetILNS1_3genE5ELNS1_11target_archE942ELNS1_3gpuE9ELNS1_3repE0EEENS1_30default_config_static_selectorELNS0_4arch9wavefront6targetE0EEEvT1_
	.p2align	8
	.type	_ZN7rocprim17ROCPRIM_400000_NS6detail17trampoline_kernelINS0_14default_configENS1_25partition_config_selectorILNS1_17partition_subalgoE5E10large_dataNS0_10empty_typeEbEEZZNS1_14partition_implILS5_5ELb0ES3_mN6thrust23THRUST_200600_302600_NS6detail15normal_iteratorINSB_10device_ptrIS6_EEEEPS7_NSB_18transform_iteratorI7is_evenIS6_ESG_NSB_11use_defaultESL_EENS0_5tupleIJSG_S7_EEENSN_IJSH_SH_EEES7_PlJS7_EEE10hipError_tPvRmT3_T4_T5_T6_T7_T9_mT8_P12ihipStream_tbDpT10_ENKUlT_T0_E_clISt17integral_constantIbLb0EES19_IbLb1EEEEDaS15_S16_EUlS15_E_NS1_11comp_targetILNS1_3genE5ELNS1_11target_archE942ELNS1_3gpuE9ELNS1_3repE0EEENS1_30default_config_static_selectorELNS0_4arch9wavefront6targetE0EEEvT1_,@function
_ZN7rocprim17ROCPRIM_400000_NS6detail17trampoline_kernelINS0_14default_configENS1_25partition_config_selectorILNS1_17partition_subalgoE5E10large_dataNS0_10empty_typeEbEEZZNS1_14partition_implILS5_5ELb0ES3_mN6thrust23THRUST_200600_302600_NS6detail15normal_iteratorINSB_10device_ptrIS6_EEEEPS7_NSB_18transform_iteratorI7is_evenIS6_ESG_NSB_11use_defaultESL_EENS0_5tupleIJSG_S7_EEENSN_IJSH_SH_EEES7_PlJS7_EEE10hipError_tPvRmT3_T4_T5_T6_T7_T9_mT8_P12ihipStream_tbDpT10_ENKUlT_T0_E_clISt17integral_constantIbLb0EES19_IbLb1EEEEDaS15_S16_EUlS15_E_NS1_11comp_targetILNS1_3genE5ELNS1_11target_archE942ELNS1_3gpuE9ELNS1_3repE0EEENS1_30default_config_static_selectorELNS0_4arch9wavefront6targetE0EEEvT1_: ; @_ZN7rocprim17ROCPRIM_400000_NS6detail17trampoline_kernelINS0_14default_configENS1_25partition_config_selectorILNS1_17partition_subalgoE5E10large_dataNS0_10empty_typeEbEEZZNS1_14partition_implILS5_5ELb0ES3_mN6thrust23THRUST_200600_302600_NS6detail15normal_iteratorINSB_10device_ptrIS6_EEEEPS7_NSB_18transform_iteratorI7is_evenIS6_ESG_NSB_11use_defaultESL_EENS0_5tupleIJSG_S7_EEENSN_IJSH_SH_EEES7_PlJS7_EEE10hipError_tPvRmT3_T4_T5_T6_T7_T9_mT8_P12ihipStream_tbDpT10_ENKUlT_T0_E_clISt17integral_constantIbLb0EES19_IbLb1EEEEDaS15_S16_EUlS15_E_NS1_11comp_targetILNS1_3genE5ELNS1_11target_archE942ELNS1_3gpuE9ELNS1_3repE0EEENS1_30default_config_static_selectorELNS0_4arch9wavefront6targetE0EEEvT1_
; %bb.0:
	.section	.rodata,"a",@progbits
	.p2align	6, 0x0
	.amdhsa_kernel _ZN7rocprim17ROCPRIM_400000_NS6detail17trampoline_kernelINS0_14default_configENS1_25partition_config_selectorILNS1_17partition_subalgoE5E10large_dataNS0_10empty_typeEbEEZZNS1_14partition_implILS5_5ELb0ES3_mN6thrust23THRUST_200600_302600_NS6detail15normal_iteratorINSB_10device_ptrIS6_EEEEPS7_NSB_18transform_iteratorI7is_evenIS6_ESG_NSB_11use_defaultESL_EENS0_5tupleIJSG_S7_EEENSN_IJSH_SH_EEES7_PlJS7_EEE10hipError_tPvRmT3_T4_T5_T6_T7_T9_mT8_P12ihipStream_tbDpT10_ENKUlT_T0_E_clISt17integral_constantIbLb0EES19_IbLb1EEEEDaS15_S16_EUlS15_E_NS1_11comp_targetILNS1_3genE5ELNS1_11target_archE942ELNS1_3gpuE9ELNS1_3repE0EEENS1_30default_config_static_selectorELNS0_4arch9wavefront6targetE0EEEvT1_
		.amdhsa_group_segment_fixed_size 0
		.amdhsa_private_segment_fixed_size 0
		.amdhsa_kernarg_size 136
		.amdhsa_user_sgpr_count 15
		.amdhsa_user_sgpr_dispatch_ptr 0
		.amdhsa_user_sgpr_queue_ptr 0
		.amdhsa_user_sgpr_kernarg_segment_ptr 1
		.amdhsa_user_sgpr_dispatch_id 0
		.amdhsa_user_sgpr_private_segment_size 0
		.amdhsa_wavefront_size32 1
		.amdhsa_uses_dynamic_stack 0
		.amdhsa_enable_private_segment 0
		.amdhsa_system_sgpr_workgroup_id_x 1
		.amdhsa_system_sgpr_workgroup_id_y 0
		.amdhsa_system_sgpr_workgroup_id_z 0
		.amdhsa_system_sgpr_workgroup_info 0
		.amdhsa_system_vgpr_workitem_id 0
		.amdhsa_next_free_vgpr 1
		.amdhsa_next_free_sgpr 1
		.amdhsa_reserve_vcc 0
		.amdhsa_float_round_mode_32 0
		.amdhsa_float_round_mode_16_64 0
		.amdhsa_float_denorm_mode_32 3
		.amdhsa_float_denorm_mode_16_64 3
		.amdhsa_dx10_clamp 1
		.amdhsa_ieee_mode 1
		.amdhsa_fp16_overflow 0
		.amdhsa_workgroup_processor_mode 1
		.amdhsa_memory_ordered 1
		.amdhsa_forward_progress 0
		.amdhsa_shared_vgpr_count 0
		.amdhsa_exception_fp_ieee_invalid_op 0
		.amdhsa_exception_fp_denorm_src 0
		.amdhsa_exception_fp_ieee_div_zero 0
		.amdhsa_exception_fp_ieee_overflow 0
		.amdhsa_exception_fp_ieee_underflow 0
		.amdhsa_exception_fp_ieee_inexact 0
		.amdhsa_exception_int_div_zero 0
	.end_amdhsa_kernel
	.section	.text._ZN7rocprim17ROCPRIM_400000_NS6detail17trampoline_kernelINS0_14default_configENS1_25partition_config_selectorILNS1_17partition_subalgoE5E10large_dataNS0_10empty_typeEbEEZZNS1_14partition_implILS5_5ELb0ES3_mN6thrust23THRUST_200600_302600_NS6detail15normal_iteratorINSB_10device_ptrIS6_EEEEPS7_NSB_18transform_iteratorI7is_evenIS6_ESG_NSB_11use_defaultESL_EENS0_5tupleIJSG_S7_EEENSN_IJSH_SH_EEES7_PlJS7_EEE10hipError_tPvRmT3_T4_T5_T6_T7_T9_mT8_P12ihipStream_tbDpT10_ENKUlT_T0_E_clISt17integral_constantIbLb0EES19_IbLb1EEEEDaS15_S16_EUlS15_E_NS1_11comp_targetILNS1_3genE5ELNS1_11target_archE942ELNS1_3gpuE9ELNS1_3repE0EEENS1_30default_config_static_selectorELNS0_4arch9wavefront6targetE0EEEvT1_,"axG",@progbits,_ZN7rocprim17ROCPRIM_400000_NS6detail17trampoline_kernelINS0_14default_configENS1_25partition_config_selectorILNS1_17partition_subalgoE5E10large_dataNS0_10empty_typeEbEEZZNS1_14partition_implILS5_5ELb0ES3_mN6thrust23THRUST_200600_302600_NS6detail15normal_iteratorINSB_10device_ptrIS6_EEEEPS7_NSB_18transform_iteratorI7is_evenIS6_ESG_NSB_11use_defaultESL_EENS0_5tupleIJSG_S7_EEENSN_IJSH_SH_EEES7_PlJS7_EEE10hipError_tPvRmT3_T4_T5_T6_T7_T9_mT8_P12ihipStream_tbDpT10_ENKUlT_T0_E_clISt17integral_constantIbLb0EES19_IbLb1EEEEDaS15_S16_EUlS15_E_NS1_11comp_targetILNS1_3genE5ELNS1_11target_archE942ELNS1_3gpuE9ELNS1_3repE0EEENS1_30default_config_static_selectorELNS0_4arch9wavefront6targetE0EEEvT1_,comdat
.Lfunc_end675:
	.size	_ZN7rocprim17ROCPRIM_400000_NS6detail17trampoline_kernelINS0_14default_configENS1_25partition_config_selectorILNS1_17partition_subalgoE5E10large_dataNS0_10empty_typeEbEEZZNS1_14partition_implILS5_5ELb0ES3_mN6thrust23THRUST_200600_302600_NS6detail15normal_iteratorINSB_10device_ptrIS6_EEEEPS7_NSB_18transform_iteratorI7is_evenIS6_ESG_NSB_11use_defaultESL_EENS0_5tupleIJSG_S7_EEENSN_IJSH_SH_EEES7_PlJS7_EEE10hipError_tPvRmT3_T4_T5_T6_T7_T9_mT8_P12ihipStream_tbDpT10_ENKUlT_T0_E_clISt17integral_constantIbLb0EES19_IbLb1EEEEDaS15_S16_EUlS15_E_NS1_11comp_targetILNS1_3genE5ELNS1_11target_archE942ELNS1_3gpuE9ELNS1_3repE0EEENS1_30default_config_static_selectorELNS0_4arch9wavefront6targetE0EEEvT1_, .Lfunc_end675-_ZN7rocprim17ROCPRIM_400000_NS6detail17trampoline_kernelINS0_14default_configENS1_25partition_config_selectorILNS1_17partition_subalgoE5E10large_dataNS0_10empty_typeEbEEZZNS1_14partition_implILS5_5ELb0ES3_mN6thrust23THRUST_200600_302600_NS6detail15normal_iteratorINSB_10device_ptrIS6_EEEEPS7_NSB_18transform_iteratorI7is_evenIS6_ESG_NSB_11use_defaultESL_EENS0_5tupleIJSG_S7_EEENSN_IJSH_SH_EEES7_PlJS7_EEE10hipError_tPvRmT3_T4_T5_T6_T7_T9_mT8_P12ihipStream_tbDpT10_ENKUlT_T0_E_clISt17integral_constantIbLb0EES19_IbLb1EEEEDaS15_S16_EUlS15_E_NS1_11comp_targetILNS1_3genE5ELNS1_11target_archE942ELNS1_3gpuE9ELNS1_3repE0EEENS1_30default_config_static_selectorELNS0_4arch9wavefront6targetE0EEEvT1_
                                        ; -- End function
	.section	.AMDGPU.csdata,"",@progbits
; Kernel info:
; codeLenInByte = 0
; NumSgprs: 0
; NumVgprs: 0
; ScratchSize: 0
; MemoryBound: 0
; FloatMode: 240
; IeeeMode: 1
; LDSByteSize: 0 bytes/workgroup (compile time only)
; SGPRBlocks: 0
; VGPRBlocks: 0
; NumSGPRsForWavesPerEU: 1
; NumVGPRsForWavesPerEU: 1
; Occupancy: 16
; WaveLimiterHint : 0
; COMPUTE_PGM_RSRC2:SCRATCH_EN: 0
; COMPUTE_PGM_RSRC2:USER_SGPR: 15
; COMPUTE_PGM_RSRC2:TRAP_HANDLER: 0
; COMPUTE_PGM_RSRC2:TGID_X_EN: 1
; COMPUTE_PGM_RSRC2:TGID_Y_EN: 0
; COMPUTE_PGM_RSRC2:TGID_Z_EN: 0
; COMPUTE_PGM_RSRC2:TIDIG_COMP_CNT: 0
	.section	.text._ZN7rocprim17ROCPRIM_400000_NS6detail17trampoline_kernelINS0_14default_configENS1_25partition_config_selectorILNS1_17partition_subalgoE5E10large_dataNS0_10empty_typeEbEEZZNS1_14partition_implILS5_5ELb0ES3_mN6thrust23THRUST_200600_302600_NS6detail15normal_iteratorINSB_10device_ptrIS6_EEEEPS7_NSB_18transform_iteratorI7is_evenIS6_ESG_NSB_11use_defaultESL_EENS0_5tupleIJSG_S7_EEENSN_IJSH_SH_EEES7_PlJS7_EEE10hipError_tPvRmT3_T4_T5_T6_T7_T9_mT8_P12ihipStream_tbDpT10_ENKUlT_T0_E_clISt17integral_constantIbLb0EES19_IbLb1EEEEDaS15_S16_EUlS15_E_NS1_11comp_targetILNS1_3genE4ELNS1_11target_archE910ELNS1_3gpuE8ELNS1_3repE0EEENS1_30default_config_static_selectorELNS0_4arch9wavefront6targetE0EEEvT1_,"axG",@progbits,_ZN7rocprim17ROCPRIM_400000_NS6detail17trampoline_kernelINS0_14default_configENS1_25partition_config_selectorILNS1_17partition_subalgoE5E10large_dataNS0_10empty_typeEbEEZZNS1_14partition_implILS5_5ELb0ES3_mN6thrust23THRUST_200600_302600_NS6detail15normal_iteratorINSB_10device_ptrIS6_EEEEPS7_NSB_18transform_iteratorI7is_evenIS6_ESG_NSB_11use_defaultESL_EENS0_5tupleIJSG_S7_EEENSN_IJSH_SH_EEES7_PlJS7_EEE10hipError_tPvRmT3_T4_T5_T6_T7_T9_mT8_P12ihipStream_tbDpT10_ENKUlT_T0_E_clISt17integral_constantIbLb0EES19_IbLb1EEEEDaS15_S16_EUlS15_E_NS1_11comp_targetILNS1_3genE4ELNS1_11target_archE910ELNS1_3gpuE8ELNS1_3repE0EEENS1_30default_config_static_selectorELNS0_4arch9wavefront6targetE0EEEvT1_,comdat
	.protected	_ZN7rocprim17ROCPRIM_400000_NS6detail17trampoline_kernelINS0_14default_configENS1_25partition_config_selectorILNS1_17partition_subalgoE5E10large_dataNS0_10empty_typeEbEEZZNS1_14partition_implILS5_5ELb0ES3_mN6thrust23THRUST_200600_302600_NS6detail15normal_iteratorINSB_10device_ptrIS6_EEEEPS7_NSB_18transform_iteratorI7is_evenIS6_ESG_NSB_11use_defaultESL_EENS0_5tupleIJSG_S7_EEENSN_IJSH_SH_EEES7_PlJS7_EEE10hipError_tPvRmT3_T4_T5_T6_T7_T9_mT8_P12ihipStream_tbDpT10_ENKUlT_T0_E_clISt17integral_constantIbLb0EES19_IbLb1EEEEDaS15_S16_EUlS15_E_NS1_11comp_targetILNS1_3genE4ELNS1_11target_archE910ELNS1_3gpuE8ELNS1_3repE0EEENS1_30default_config_static_selectorELNS0_4arch9wavefront6targetE0EEEvT1_ ; -- Begin function _ZN7rocprim17ROCPRIM_400000_NS6detail17trampoline_kernelINS0_14default_configENS1_25partition_config_selectorILNS1_17partition_subalgoE5E10large_dataNS0_10empty_typeEbEEZZNS1_14partition_implILS5_5ELb0ES3_mN6thrust23THRUST_200600_302600_NS6detail15normal_iteratorINSB_10device_ptrIS6_EEEEPS7_NSB_18transform_iteratorI7is_evenIS6_ESG_NSB_11use_defaultESL_EENS0_5tupleIJSG_S7_EEENSN_IJSH_SH_EEES7_PlJS7_EEE10hipError_tPvRmT3_T4_T5_T6_T7_T9_mT8_P12ihipStream_tbDpT10_ENKUlT_T0_E_clISt17integral_constantIbLb0EES19_IbLb1EEEEDaS15_S16_EUlS15_E_NS1_11comp_targetILNS1_3genE4ELNS1_11target_archE910ELNS1_3gpuE8ELNS1_3repE0EEENS1_30default_config_static_selectorELNS0_4arch9wavefront6targetE0EEEvT1_
	.globl	_ZN7rocprim17ROCPRIM_400000_NS6detail17trampoline_kernelINS0_14default_configENS1_25partition_config_selectorILNS1_17partition_subalgoE5E10large_dataNS0_10empty_typeEbEEZZNS1_14partition_implILS5_5ELb0ES3_mN6thrust23THRUST_200600_302600_NS6detail15normal_iteratorINSB_10device_ptrIS6_EEEEPS7_NSB_18transform_iteratorI7is_evenIS6_ESG_NSB_11use_defaultESL_EENS0_5tupleIJSG_S7_EEENSN_IJSH_SH_EEES7_PlJS7_EEE10hipError_tPvRmT3_T4_T5_T6_T7_T9_mT8_P12ihipStream_tbDpT10_ENKUlT_T0_E_clISt17integral_constantIbLb0EES19_IbLb1EEEEDaS15_S16_EUlS15_E_NS1_11comp_targetILNS1_3genE4ELNS1_11target_archE910ELNS1_3gpuE8ELNS1_3repE0EEENS1_30default_config_static_selectorELNS0_4arch9wavefront6targetE0EEEvT1_
	.p2align	8
	.type	_ZN7rocprim17ROCPRIM_400000_NS6detail17trampoline_kernelINS0_14default_configENS1_25partition_config_selectorILNS1_17partition_subalgoE5E10large_dataNS0_10empty_typeEbEEZZNS1_14partition_implILS5_5ELb0ES3_mN6thrust23THRUST_200600_302600_NS6detail15normal_iteratorINSB_10device_ptrIS6_EEEEPS7_NSB_18transform_iteratorI7is_evenIS6_ESG_NSB_11use_defaultESL_EENS0_5tupleIJSG_S7_EEENSN_IJSH_SH_EEES7_PlJS7_EEE10hipError_tPvRmT3_T4_T5_T6_T7_T9_mT8_P12ihipStream_tbDpT10_ENKUlT_T0_E_clISt17integral_constantIbLb0EES19_IbLb1EEEEDaS15_S16_EUlS15_E_NS1_11comp_targetILNS1_3genE4ELNS1_11target_archE910ELNS1_3gpuE8ELNS1_3repE0EEENS1_30default_config_static_selectorELNS0_4arch9wavefront6targetE0EEEvT1_,@function
_ZN7rocprim17ROCPRIM_400000_NS6detail17trampoline_kernelINS0_14default_configENS1_25partition_config_selectorILNS1_17partition_subalgoE5E10large_dataNS0_10empty_typeEbEEZZNS1_14partition_implILS5_5ELb0ES3_mN6thrust23THRUST_200600_302600_NS6detail15normal_iteratorINSB_10device_ptrIS6_EEEEPS7_NSB_18transform_iteratorI7is_evenIS6_ESG_NSB_11use_defaultESL_EENS0_5tupleIJSG_S7_EEENSN_IJSH_SH_EEES7_PlJS7_EEE10hipError_tPvRmT3_T4_T5_T6_T7_T9_mT8_P12ihipStream_tbDpT10_ENKUlT_T0_E_clISt17integral_constantIbLb0EES19_IbLb1EEEEDaS15_S16_EUlS15_E_NS1_11comp_targetILNS1_3genE4ELNS1_11target_archE910ELNS1_3gpuE8ELNS1_3repE0EEENS1_30default_config_static_selectorELNS0_4arch9wavefront6targetE0EEEvT1_: ; @_ZN7rocprim17ROCPRIM_400000_NS6detail17trampoline_kernelINS0_14default_configENS1_25partition_config_selectorILNS1_17partition_subalgoE5E10large_dataNS0_10empty_typeEbEEZZNS1_14partition_implILS5_5ELb0ES3_mN6thrust23THRUST_200600_302600_NS6detail15normal_iteratorINSB_10device_ptrIS6_EEEEPS7_NSB_18transform_iteratorI7is_evenIS6_ESG_NSB_11use_defaultESL_EENS0_5tupleIJSG_S7_EEENSN_IJSH_SH_EEES7_PlJS7_EEE10hipError_tPvRmT3_T4_T5_T6_T7_T9_mT8_P12ihipStream_tbDpT10_ENKUlT_T0_E_clISt17integral_constantIbLb0EES19_IbLb1EEEEDaS15_S16_EUlS15_E_NS1_11comp_targetILNS1_3genE4ELNS1_11target_archE910ELNS1_3gpuE8ELNS1_3repE0EEENS1_30default_config_static_selectorELNS0_4arch9wavefront6targetE0EEEvT1_
; %bb.0:
	.section	.rodata,"a",@progbits
	.p2align	6, 0x0
	.amdhsa_kernel _ZN7rocprim17ROCPRIM_400000_NS6detail17trampoline_kernelINS0_14default_configENS1_25partition_config_selectorILNS1_17partition_subalgoE5E10large_dataNS0_10empty_typeEbEEZZNS1_14partition_implILS5_5ELb0ES3_mN6thrust23THRUST_200600_302600_NS6detail15normal_iteratorINSB_10device_ptrIS6_EEEEPS7_NSB_18transform_iteratorI7is_evenIS6_ESG_NSB_11use_defaultESL_EENS0_5tupleIJSG_S7_EEENSN_IJSH_SH_EEES7_PlJS7_EEE10hipError_tPvRmT3_T4_T5_T6_T7_T9_mT8_P12ihipStream_tbDpT10_ENKUlT_T0_E_clISt17integral_constantIbLb0EES19_IbLb1EEEEDaS15_S16_EUlS15_E_NS1_11comp_targetILNS1_3genE4ELNS1_11target_archE910ELNS1_3gpuE8ELNS1_3repE0EEENS1_30default_config_static_selectorELNS0_4arch9wavefront6targetE0EEEvT1_
		.amdhsa_group_segment_fixed_size 0
		.amdhsa_private_segment_fixed_size 0
		.amdhsa_kernarg_size 136
		.amdhsa_user_sgpr_count 15
		.amdhsa_user_sgpr_dispatch_ptr 0
		.amdhsa_user_sgpr_queue_ptr 0
		.amdhsa_user_sgpr_kernarg_segment_ptr 1
		.amdhsa_user_sgpr_dispatch_id 0
		.amdhsa_user_sgpr_private_segment_size 0
		.amdhsa_wavefront_size32 1
		.amdhsa_uses_dynamic_stack 0
		.amdhsa_enable_private_segment 0
		.amdhsa_system_sgpr_workgroup_id_x 1
		.amdhsa_system_sgpr_workgroup_id_y 0
		.amdhsa_system_sgpr_workgroup_id_z 0
		.amdhsa_system_sgpr_workgroup_info 0
		.amdhsa_system_vgpr_workitem_id 0
		.amdhsa_next_free_vgpr 1
		.amdhsa_next_free_sgpr 1
		.amdhsa_reserve_vcc 0
		.amdhsa_float_round_mode_32 0
		.amdhsa_float_round_mode_16_64 0
		.amdhsa_float_denorm_mode_32 3
		.amdhsa_float_denorm_mode_16_64 3
		.amdhsa_dx10_clamp 1
		.amdhsa_ieee_mode 1
		.amdhsa_fp16_overflow 0
		.amdhsa_workgroup_processor_mode 1
		.amdhsa_memory_ordered 1
		.amdhsa_forward_progress 0
		.amdhsa_shared_vgpr_count 0
		.amdhsa_exception_fp_ieee_invalid_op 0
		.amdhsa_exception_fp_denorm_src 0
		.amdhsa_exception_fp_ieee_div_zero 0
		.amdhsa_exception_fp_ieee_overflow 0
		.amdhsa_exception_fp_ieee_underflow 0
		.amdhsa_exception_fp_ieee_inexact 0
		.amdhsa_exception_int_div_zero 0
	.end_amdhsa_kernel
	.section	.text._ZN7rocprim17ROCPRIM_400000_NS6detail17trampoline_kernelINS0_14default_configENS1_25partition_config_selectorILNS1_17partition_subalgoE5E10large_dataNS0_10empty_typeEbEEZZNS1_14partition_implILS5_5ELb0ES3_mN6thrust23THRUST_200600_302600_NS6detail15normal_iteratorINSB_10device_ptrIS6_EEEEPS7_NSB_18transform_iteratorI7is_evenIS6_ESG_NSB_11use_defaultESL_EENS0_5tupleIJSG_S7_EEENSN_IJSH_SH_EEES7_PlJS7_EEE10hipError_tPvRmT3_T4_T5_T6_T7_T9_mT8_P12ihipStream_tbDpT10_ENKUlT_T0_E_clISt17integral_constantIbLb0EES19_IbLb1EEEEDaS15_S16_EUlS15_E_NS1_11comp_targetILNS1_3genE4ELNS1_11target_archE910ELNS1_3gpuE8ELNS1_3repE0EEENS1_30default_config_static_selectorELNS0_4arch9wavefront6targetE0EEEvT1_,"axG",@progbits,_ZN7rocprim17ROCPRIM_400000_NS6detail17trampoline_kernelINS0_14default_configENS1_25partition_config_selectorILNS1_17partition_subalgoE5E10large_dataNS0_10empty_typeEbEEZZNS1_14partition_implILS5_5ELb0ES3_mN6thrust23THRUST_200600_302600_NS6detail15normal_iteratorINSB_10device_ptrIS6_EEEEPS7_NSB_18transform_iteratorI7is_evenIS6_ESG_NSB_11use_defaultESL_EENS0_5tupleIJSG_S7_EEENSN_IJSH_SH_EEES7_PlJS7_EEE10hipError_tPvRmT3_T4_T5_T6_T7_T9_mT8_P12ihipStream_tbDpT10_ENKUlT_T0_E_clISt17integral_constantIbLb0EES19_IbLb1EEEEDaS15_S16_EUlS15_E_NS1_11comp_targetILNS1_3genE4ELNS1_11target_archE910ELNS1_3gpuE8ELNS1_3repE0EEENS1_30default_config_static_selectorELNS0_4arch9wavefront6targetE0EEEvT1_,comdat
.Lfunc_end676:
	.size	_ZN7rocprim17ROCPRIM_400000_NS6detail17trampoline_kernelINS0_14default_configENS1_25partition_config_selectorILNS1_17partition_subalgoE5E10large_dataNS0_10empty_typeEbEEZZNS1_14partition_implILS5_5ELb0ES3_mN6thrust23THRUST_200600_302600_NS6detail15normal_iteratorINSB_10device_ptrIS6_EEEEPS7_NSB_18transform_iteratorI7is_evenIS6_ESG_NSB_11use_defaultESL_EENS0_5tupleIJSG_S7_EEENSN_IJSH_SH_EEES7_PlJS7_EEE10hipError_tPvRmT3_T4_T5_T6_T7_T9_mT8_P12ihipStream_tbDpT10_ENKUlT_T0_E_clISt17integral_constantIbLb0EES19_IbLb1EEEEDaS15_S16_EUlS15_E_NS1_11comp_targetILNS1_3genE4ELNS1_11target_archE910ELNS1_3gpuE8ELNS1_3repE0EEENS1_30default_config_static_selectorELNS0_4arch9wavefront6targetE0EEEvT1_, .Lfunc_end676-_ZN7rocprim17ROCPRIM_400000_NS6detail17trampoline_kernelINS0_14default_configENS1_25partition_config_selectorILNS1_17partition_subalgoE5E10large_dataNS0_10empty_typeEbEEZZNS1_14partition_implILS5_5ELb0ES3_mN6thrust23THRUST_200600_302600_NS6detail15normal_iteratorINSB_10device_ptrIS6_EEEEPS7_NSB_18transform_iteratorI7is_evenIS6_ESG_NSB_11use_defaultESL_EENS0_5tupleIJSG_S7_EEENSN_IJSH_SH_EEES7_PlJS7_EEE10hipError_tPvRmT3_T4_T5_T6_T7_T9_mT8_P12ihipStream_tbDpT10_ENKUlT_T0_E_clISt17integral_constantIbLb0EES19_IbLb1EEEEDaS15_S16_EUlS15_E_NS1_11comp_targetILNS1_3genE4ELNS1_11target_archE910ELNS1_3gpuE8ELNS1_3repE0EEENS1_30default_config_static_selectorELNS0_4arch9wavefront6targetE0EEEvT1_
                                        ; -- End function
	.section	.AMDGPU.csdata,"",@progbits
; Kernel info:
; codeLenInByte = 0
; NumSgprs: 0
; NumVgprs: 0
; ScratchSize: 0
; MemoryBound: 0
; FloatMode: 240
; IeeeMode: 1
; LDSByteSize: 0 bytes/workgroup (compile time only)
; SGPRBlocks: 0
; VGPRBlocks: 0
; NumSGPRsForWavesPerEU: 1
; NumVGPRsForWavesPerEU: 1
; Occupancy: 16
; WaveLimiterHint : 0
; COMPUTE_PGM_RSRC2:SCRATCH_EN: 0
; COMPUTE_PGM_RSRC2:USER_SGPR: 15
; COMPUTE_PGM_RSRC2:TRAP_HANDLER: 0
; COMPUTE_PGM_RSRC2:TGID_X_EN: 1
; COMPUTE_PGM_RSRC2:TGID_Y_EN: 0
; COMPUTE_PGM_RSRC2:TGID_Z_EN: 0
; COMPUTE_PGM_RSRC2:TIDIG_COMP_CNT: 0
	.section	.text._ZN7rocprim17ROCPRIM_400000_NS6detail17trampoline_kernelINS0_14default_configENS1_25partition_config_selectorILNS1_17partition_subalgoE5E10large_dataNS0_10empty_typeEbEEZZNS1_14partition_implILS5_5ELb0ES3_mN6thrust23THRUST_200600_302600_NS6detail15normal_iteratorINSB_10device_ptrIS6_EEEEPS7_NSB_18transform_iteratorI7is_evenIS6_ESG_NSB_11use_defaultESL_EENS0_5tupleIJSG_S7_EEENSN_IJSH_SH_EEES7_PlJS7_EEE10hipError_tPvRmT3_T4_T5_T6_T7_T9_mT8_P12ihipStream_tbDpT10_ENKUlT_T0_E_clISt17integral_constantIbLb0EES19_IbLb1EEEEDaS15_S16_EUlS15_E_NS1_11comp_targetILNS1_3genE3ELNS1_11target_archE908ELNS1_3gpuE7ELNS1_3repE0EEENS1_30default_config_static_selectorELNS0_4arch9wavefront6targetE0EEEvT1_,"axG",@progbits,_ZN7rocprim17ROCPRIM_400000_NS6detail17trampoline_kernelINS0_14default_configENS1_25partition_config_selectorILNS1_17partition_subalgoE5E10large_dataNS0_10empty_typeEbEEZZNS1_14partition_implILS5_5ELb0ES3_mN6thrust23THRUST_200600_302600_NS6detail15normal_iteratorINSB_10device_ptrIS6_EEEEPS7_NSB_18transform_iteratorI7is_evenIS6_ESG_NSB_11use_defaultESL_EENS0_5tupleIJSG_S7_EEENSN_IJSH_SH_EEES7_PlJS7_EEE10hipError_tPvRmT3_T4_T5_T6_T7_T9_mT8_P12ihipStream_tbDpT10_ENKUlT_T0_E_clISt17integral_constantIbLb0EES19_IbLb1EEEEDaS15_S16_EUlS15_E_NS1_11comp_targetILNS1_3genE3ELNS1_11target_archE908ELNS1_3gpuE7ELNS1_3repE0EEENS1_30default_config_static_selectorELNS0_4arch9wavefront6targetE0EEEvT1_,comdat
	.protected	_ZN7rocprim17ROCPRIM_400000_NS6detail17trampoline_kernelINS0_14default_configENS1_25partition_config_selectorILNS1_17partition_subalgoE5E10large_dataNS0_10empty_typeEbEEZZNS1_14partition_implILS5_5ELb0ES3_mN6thrust23THRUST_200600_302600_NS6detail15normal_iteratorINSB_10device_ptrIS6_EEEEPS7_NSB_18transform_iteratorI7is_evenIS6_ESG_NSB_11use_defaultESL_EENS0_5tupleIJSG_S7_EEENSN_IJSH_SH_EEES7_PlJS7_EEE10hipError_tPvRmT3_T4_T5_T6_T7_T9_mT8_P12ihipStream_tbDpT10_ENKUlT_T0_E_clISt17integral_constantIbLb0EES19_IbLb1EEEEDaS15_S16_EUlS15_E_NS1_11comp_targetILNS1_3genE3ELNS1_11target_archE908ELNS1_3gpuE7ELNS1_3repE0EEENS1_30default_config_static_selectorELNS0_4arch9wavefront6targetE0EEEvT1_ ; -- Begin function _ZN7rocprim17ROCPRIM_400000_NS6detail17trampoline_kernelINS0_14default_configENS1_25partition_config_selectorILNS1_17partition_subalgoE5E10large_dataNS0_10empty_typeEbEEZZNS1_14partition_implILS5_5ELb0ES3_mN6thrust23THRUST_200600_302600_NS6detail15normal_iteratorINSB_10device_ptrIS6_EEEEPS7_NSB_18transform_iteratorI7is_evenIS6_ESG_NSB_11use_defaultESL_EENS0_5tupleIJSG_S7_EEENSN_IJSH_SH_EEES7_PlJS7_EEE10hipError_tPvRmT3_T4_T5_T6_T7_T9_mT8_P12ihipStream_tbDpT10_ENKUlT_T0_E_clISt17integral_constantIbLb0EES19_IbLb1EEEEDaS15_S16_EUlS15_E_NS1_11comp_targetILNS1_3genE3ELNS1_11target_archE908ELNS1_3gpuE7ELNS1_3repE0EEENS1_30default_config_static_selectorELNS0_4arch9wavefront6targetE0EEEvT1_
	.globl	_ZN7rocprim17ROCPRIM_400000_NS6detail17trampoline_kernelINS0_14default_configENS1_25partition_config_selectorILNS1_17partition_subalgoE5E10large_dataNS0_10empty_typeEbEEZZNS1_14partition_implILS5_5ELb0ES3_mN6thrust23THRUST_200600_302600_NS6detail15normal_iteratorINSB_10device_ptrIS6_EEEEPS7_NSB_18transform_iteratorI7is_evenIS6_ESG_NSB_11use_defaultESL_EENS0_5tupleIJSG_S7_EEENSN_IJSH_SH_EEES7_PlJS7_EEE10hipError_tPvRmT3_T4_T5_T6_T7_T9_mT8_P12ihipStream_tbDpT10_ENKUlT_T0_E_clISt17integral_constantIbLb0EES19_IbLb1EEEEDaS15_S16_EUlS15_E_NS1_11comp_targetILNS1_3genE3ELNS1_11target_archE908ELNS1_3gpuE7ELNS1_3repE0EEENS1_30default_config_static_selectorELNS0_4arch9wavefront6targetE0EEEvT1_
	.p2align	8
	.type	_ZN7rocprim17ROCPRIM_400000_NS6detail17trampoline_kernelINS0_14default_configENS1_25partition_config_selectorILNS1_17partition_subalgoE5E10large_dataNS0_10empty_typeEbEEZZNS1_14partition_implILS5_5ELb0ES3_mN6thrust23THRUST_200600_302600_NS6detail15normal_iteratorINSB_10device_ptrIS6_EEEEPS7_NSB_18transform_iteratorI7is_evenIS6_ESG_NSB_11use_defaultESL_EENS0_5tupleIJSG_S7_EEENSN_IJSH_SH_EEES7_PlJS7_EEE10hipError_tPvRmT3_T4_T5_T6_T7_T9_mT8_P12ihipStream_tbDpT10_ENKUlT_T0_E_clISt17integral_constantIbLb0EES19_IbLb1EEEEDaS15_S16_EUlS15_E_NS1_11comp_targetILNS1_3genE3ELNS1_11target_archE908ELNS1_3gpuE7ELNS1_3repE0EEENS1_30default_config_static_selectorELNS0_4arch9wavefront6targetE0EEEvT1_,@function
_ZN7rocprim17ROCPRIM_400000_NS6detail17trampoline_kernelINS0_14default_configENS1_25partition_config_selectorILNS1_17partition_subalgoE5E10large_dataNS0_10empty_typeEbEEZZNS1_14partition_implILS5_5ELb0ES3_mN6thrust23THRUST_200600_302600_NS6detail15normal_iteratorINSB_10device_ptrIS6_EEEEPS7_NSB_18transform_iteratorI7is_evenIS6_ESG_NSB_11use_defaultESL_EENS0_5tupleIJSG_S7_EEENSN_IJSH_SH_EEES7_PlJS7_EEE10hipError_tPvRmT3_T4_T5_T6_T7_T9_mT8_P12ihipStream_tbDpT10_ENKUlT_T0_E_clISt17integral_constantIbLb0EES19_IbLb1EEEEDaS15_S16_EUlS15_E_NS1_11comp_targetILNS1_3genE3ELNS1_11target_archE908ELNS1_3gpuE7ELNS1_3repE0EEENS1_30default_config_static_selectorELNS0_4arch9wavefront6targetE0EEEvT1_: ; @_ZN7rocprim17ROCPRIM_400000_NS6detail17trampoline_kernelINS0_14default_configENS1_25partition_config_selectorILNS1_17partition_subalgoE5E10large_dataNS0_10empty_typeEbEEZZNS1_14partition_implILS5_5ELb0ES3_mN6thrust23THRUST_200600_302600_NS6detail15normal_iteratorINSB_10device_ptrIS6_EEEEPS7_NSB_18transform_iteratorI7is_evenIS6_ESG_NSB_11use_defaultESL_EENS0_5tupleIJSG_S7_EEENSN_IJSH_SH_EEES7_PlJS7_EEE10hipError_tPvRmT3_T4_T5_T6_T7_T9_mT8_P12ihipStream_tbDpT10_ENKUlT_T0_E_clISt17integral_constantIbLb0EES19_IbLb1EEEEDaS15_S16_EUlS15_E_NS1_11comp_targetILNS1_3genE3ELNS1_11target_archE908ELNS1_3gpuE7ELNS1_3repE0EEENS1_30default_config_static_selectorELNS0_4arch9wavefront6targetE0EEEvT1_
; %bb.0:
	.section	.rodata,"a",@progbits
	.p2align	6, 0x0
	.amdhsa_kernel _ZN7rocprim17ROCPRIM_400000_NS6detail17trampoline_kernelINS0_14default_configENS1_25partition_config_selectorILNS1_17partition_subalgoE5E10large_dataNS0_10empty_typeEbEEZZNS1_14partition_implILS5_5ELb0ES3_mN6thrust23THRUST_200600_302600_NS6detail15normal_iteratorINSB_10device_ptrIS6_EEEEPS7_NSB_18transform_iteratorI7is_evenIS6_ESG_NSB_11use_defaultESL_EENS0_5tupleIJSG_S7_EEENSN_IJSH_SH_EEES7_PlJS7_EEE10hipError_tPvRmT3_T4_T5_T6_T7_T9_mT8_P12ihipStream_tbDpT10_ENKUlT_T0_E_clISt17integral_constantIbLb0EES19_IbLb1EEEEDaS15_S16_EUlS15_E_NS1_11comp_targetILNS1_3genE3ELNS1_11target_archE908ELNS1_3gpuE7ELNS1_3repE0EEENS1_30default_config_static_selectorELNS0_4arch9wavefront6targetE0EEEvT1_
		.amdhsa_group_segment_fixed_size 0
		.amdhsa_private_segment_fixed_size 0
		.amdhsa_kernarg_size 136
		.amdhsa_user_sgpr_count 15
		.amdhsa_user_sgpr_dispatch_ptr 0
		.amdhsa_user_sgpr_queue_ptr 0
		.amdhsa_user_sgpr_kernarg_segment_ptr 1
		.amdhsa_user_sgpr_dispatch_id 0
		.amdhsa_user_sgpr_private_segment_size 0
		.amdhsa_wavefront_size32 1
		.amdhsa_uses_dynamic_stack 0
		.amdhsa_enable_private_segment 0
		.amdhsa_system_sgpr_workgroup_id_x 1
		.amdhsa_system_sgpr_workgroup_id_y 0
		.amdhsa_system_sgpr_workgroup_id_z 0
		.amdhsa_system_sgpr_workgroup_info 0
		.amdhsa_system_vgpr_workitem_id 0
		.amdhsa_next_free_vgpr 1
		.amdhsa_next_free_sgpr 1
		.amdhsa_reserve_vcc 0
		.amdhsa_float_round_mode_32 0
		.amdhsa_float_round_mode_16_64 0
		.amdhsa_float_denorm_mode_32 3
		.amdhsa_float_denorm_mode_16_64 3
		.amdhsa_dx10_clamp 1
		.amdhsa_ieee_mode 1
		.amdhsa_fp16_overflow 0
		.amdhsa_workgroup_processor_mode 1
		.amdhsa_memory_ordered 1
		.amdhsa_forward_progress 0
		.amdhsa_shared_vgpr_count 0
		.amdhsa_exception_fp_ieee_invalid_op 0
		.amdhsa_exception_fp_denorm_src 0
		.amdhsa_exception_fp_ieee_div_zero 0
		.amdhsa_exception_fp_ieee_overflow 0
		.amdhsa_exception_fp_ieee_underflow 0
		.amdhsa_exception_fp_ieee_inexact 0
		.amdhsa_exception_int_div_zero 0
	.end_amdhsa_kernel
	.section	.text._ZN7rocprim17ROCPRIM_400000_NS6detail17trampoline_kernelINS0_14default_configENS1_25partition_config_selectorILNS1_17partition_subalgoE5E10large_dataNS0_10empty_typeEbEEZZNS1_14partition_implILS5_5ELb0ES3_mN6thrust23THRUST_200600_302600_NS6detail15normal_iteratorINSB_10device_ptrIS6_EEEEPS7_NSB_18transform_iteratorI7is_evenIS6_ESG_NSB_11use_defaultESL_EENS0_5tupleIJSG_S7_EEENSN_IJSH_SH_EEES7_PlJS7_EEE10hipError_tPvRmT3_T4_T5_T6_T7_T9_mT8_P12ihipStream_tbDpT10_ENKUlT_T0_E_clISt17integral_constantIbLb0EES19_IbLb1EEEEDaS15_S16_EUlS15_E_NS1_11comp_targetILNS1_3genE3ELNS1_11target_archE908ELNS1_3gpuE7ELNS1_3repE0EEENS1_30default_config_static_selectorELNS0_4arch9wavefront6targetE0EEEvT1_,"axG",@progbits,_ZN7rocprim17ROCPRIM_400000_NS6detail17trampoline_kernelINS0_14default_configENS1_25partition_config_selectorILNS1_17partition_subalgoE5E10large_dataNS0_10empty_typeEbEEZZNS1_14partition_implILS5_5ELb0ES3_mN6thrust23THRUST_200600_302600_NS6detail15normal_iteratorINSB_10device_ptrIS6_EEEEPS7_NSB_18transform_iteratorI7is_evenIS6_ESG_NSB_11use_defaultESL_EENS0_5tupleIJSG_S7_EEENSN_IJSH_SH_EEES7_PlJS7_EEE10hipError_tPvRmT3_T4_T5_T6_T7_T9_mT8_P12ihipStream_tbDpT10_ENKUlT_T0_E_clISt17integral_constantIbLb0EES19_IbLb1EEEEDaS15_S16_EUlS15_E_NS1_11comp_targetILNS1_3genE3ELNS1_11target_archE908ELNS1_3gpuE7ELNS1_3repE0EEENS1_30default_config_static_selectorELNS0_4arch9wavefront6targetE0EEEvT1_,comdat
.Lfunc_end677:
	.size	_ZN7rocprim17ROCPRIM_400000_NS6detail17trampoline_kernelINS0_14default_configENS1_25partition_config_selectorILNS1_17partition_subalgoE5E10large_dataNS0_10empty_typeEbEEZZNS1_14partition_implILS5_5ELb0ES3_mN6thrust23THRUST_200600_302600_NS6detail15normal_iteratorINSB_10device_ptrIS6_EEEEPS7_NSB_18transform_iteratorI7is_evenIS6_ESG_NSB_11use_defaultESL_EENS0_5tupleIJSG_S7_EEENSN_IJSH_SH_EEES7_PlJS7_EEE10hipError_tPvRmT3_T4_T5_T6_T7_T9_mT8_P12ihipStream_tbDpT10_ENKUlT_T0_E_clISt17integral_constantIbLb0EES19_IbLb1EEEEDaS15_S16_EUlS15_E_NS1_11comp_targetILNS1_3genE3ELNS1_11target_archE908ELNS1_3gpuE7ELNS1_3repE0EEENS1_30default_config_static_selectorELNS0_4arch9wavefront6targetE0EEEvT1_, .Lfunc_end677-_ZN7rocprim17ROCPRIM_400000_NS6detail17trampoline_kernelINS0_14default_configENS1_25partition_config_selectorILNS1_17partition_subalgoE5E10large_dataNS0_10empty_typeEbEEZZNS1_14partition_implILS5_5ELb0ES3_mN6thrust23THRUST_200600_302600_NS6detail15normal_iteratorINSB_10device_ptrIS6_EEEEPS7_NSB_18transform_iteratorI7is_evenIS6_ESG_NSB_11use_defaultESL_EENS0_5tupleIJSG_S7_EEENSN_IJSH_SH_EEES7_PlJS7_EEE10hipError_tPvRmT3_T4_T5_T6_T7_T9_mT8_P12ihipStream_tbDpT10_ENKUlT_T0_E_clISt17integral_constantIbLb0EES19_IbLb1EEEEDaS15_S16_EUlS15_E_NS1_11comp_targetILNS1_3genE3ELNS1_11target_archE908ELNS1_3gpuE7ELNS1_3repE0EEENS1_30default_config_static_selectorELNS0_4arch9wavefront6targetE0EEEvT1_
                                        ; -- End function
	.section	.AMDGPU.csdata,"",@progbits
; Kernel info:
; codeLenInByte = 0
; NumSgprs: 0
; NumVgprs: 0
; ScratchSize: 0
; MemoryBound: 0
; FloatMode: 240
; IeeeMode: 1
; LDSByteSize: 0 bytes/workgroup (compile time only)
; SGPRBlocks: 0
; VGPRBlocks: 0
; NumSGPRsForWavesPerEU: 1
; NumVGPRsForWavesPerEU: 1
; Occupancy: 16
; WaveLimiterHint : 0
; COMPUTE_PGM_RSRC2:SCRATCH_EN: 0
; COMPUTE_PGM_RSRC2:USER_SGPR: 15
; COMPUTE_PGM_RSRC2:TRAP_HANDLER: 0
; COMPUTE_PGM_RSRC2:TGID_X_EN: 1
; COMPUTE_PGM_RSRC2:TGID_Y_EN: 0
; COMPUTE_PGM_RSRC2:TGID_Z_EN: 0
; COMPUTE_PGM_RSRC2:TIDIG_COMP_CNT: 0
	.section	.text._ZN7rocprim17ROCPRIM_400000_NS6detail17trampoline_kernelINS0_14default_configENS1_25partition_config_selectorILNS1_17partition_subalgoE5E10large_dataNS0_10empty_typeEbEEZZNS1_14partition_implILS5_5ELb0ES3_mN6thrust23THRUST_200600_302600_NS6detail15normal_iteratorINSB_10device_ptrIS6_EEEEPS7_NSB_18transform_iteratorI7is_evenIS6_ESG_NSB_11use_defaultESL_EENS0_5tupleIJSG_S7_EEENSN_IJSH_SH_EEES7_PlJS7_EEE10hipError_tPvRmT3_T4_T5_T6_T7_T9_mT8_P12ihipStream_tbDpT10_ENKUlT_T0_E_clISt17integral_constantIbLb0EES19_IbLb1EEEEDaS15_S16_EUlS15_E_NS1_11comp_targetILNS1_3genE2ELNS1_11target_archE906ELNS1_3gpuE6ELNS1_3repE0EEENS1_30default_config_static_selectorELNS0_4arch9wavefront6targetE0EEEvT1_,"axG",@progbits,_ZN7rocprim17ROCPRIM_400000_NS6detail17trampoline_kernelINS0_14default_configENS1_25partition_config_selectorILNS1_17partition_subalgoE5E10large_dataNS0_10empty_typeEbEEZZNS1_14partition_implILS5_5ELb0ES3_mN6thrust23THRUST_200600_302600_NS6detail15normal_iteratorINSB_10device_ptrIS6_EEEEPS7_NSB_18transform_iteratorI7is_evenIS6_ESG_NSB_11use_defaultESL_EENS0_5tupleIJSG_S7_EEENSN_IJSH_SH_EEES7_PlJS7_EEE10hipError_tPvRmT3_T4_T5_T6_T7_T9_mT8_P12ihipStream_tbDpT10_ENKUlT_T0_E_clISt17integral_constantIbLb0EES19_IbLb1EEEEDaS15_S16_EUlS15_E_NS1_11comp_targetILNS1_3genE2ELNS1_11target_archE906ELNS1_3gpuE6ELNS1_3repE0EEENS1_30default_config_static_selectorELNS0_4arch9wavefront6targetE0EEEvT1_,comdat
	.protected	_ZN7rocprim17ROCPRIM_400000_NS6detail17trampoline_kernelINS0_14default_configENS1_25partition_config_selectorILNS1_17partition_subalgoE5E10large_dataNS0_10empty_typeEbEEZZNS1_14partition_implILS5_5ELb0ES3_mN6thrust23THRUST_200600_302600_NS6detail15normal_iteratorINSB_10device_ptrIS6_EEEEPS7_NSB_18transform_iteratorI7is_evenIS6_ESG_NSB_11use_defaultESL_EENS0_5tupleIJSG_S7_EEENSN_IJSH_SH_EEES7_PlJS7_EEE10hipError_tPvRmT3_T4_T5_T6_T7_T9_mT8_P12ihipStream_tbDpT10_ENKUlT_T0_E_clISt17integral_constantIbLb0EES19_IbLb1EEEEDaS15_S16_EUlS15_E_NS1_11comp_targetILNS1_3genE2ELNS1_11target_archE906ELNS1_3gpuE6ELNS1_3repE0EEENS1_30default_config_static_selectorELNS0_4arch9wavefront6targetE0EEEvT1_ ; -- Begin function _ZN7rocprim17ROCPRIM_400000_NS6detail17trampoline_kernelINS0_14default_configENS1_25partition_config_selectorILNS1_17partition_subalgoE5E10large_dataNS0_10empty_typeEbEEZZNS1_14partition_implILS5_5ELb0ES3_mN6thrust23THRUST_200600_302600_NS6detail15normal_iteratorINSB_10device_ptrIS6_EEEEPS7_NSB_18transform_iteratorI7is_evenIS6_ESG_NSB_11use_defaultESL_EENS0_5tupleIJSG_S7_EEENSN_IJSH_SH_EEES7_PlJS7_EEE10hipError_tPvRmT3_T4_T5_T6_T7_T9_mT8_P12ihipStream_tbDpT10_ENKUlT_T0_E_clISt17integral_constantIbLb0EES19_IbLb1EEEEDaS15_S16_EUlS15_E_NS1_11comp_targetILNS1_3genE2ELNS1_11target_archE906ELNS1_3gpuE6ELNS1_3repE0EEENS1_30default_config_static_selectorELNS0_4arch9wavefront6targetE0EEEvT1_
	.globl	_ZN7rocprim17ROCPRIM_400000_NS6detail17trampoline_kernelINS0_14default_configENS1_25partition_config_selectorILNS1_17partition_subalgoE5E10large_dataNS0_10empty_typeEbEEZZNS1_14partition_implILS5_5ELb0ES3_mN6thrust23THRUST_200600_302600_NS6detail15normal_iteratorINSB_10device_ptrIS6_EEEEPS7_NSB_18transform_iteratorI7is_evenIS6_ESG_NSB_11use_defaultESL_EENS0_5tupleIJSG_S7_EEENSN_IJSH_SH_EEES7_PlJS7_EEE10hipError_tPvRmT3_T4_T5_T6_T7_T9_mT8_P12ihipStream_tbDpT10_ENKUlT_T0_E_clISt17integral_constantIbLb0EES19_IbLb1EEEEDaS15_S16_EUlS15_E_NS1_11comp_targetILNS1_3genE2ELNS1_11target_archE906ELNS1_3gpuE6ELNS1_3repE0EEENS1_30default_config_static_selectorELNS0_4arch9wavefront6targetE0EEEvT1_
	.p2align	8
	.type	_ZN7rocprim17ROCPRIM_400000_NS6detail17trampoline_kernelINS0_14default_configENS1_25partition_config_selectorILNS1_17partition_subalgoE5E10large_dataNS0_10empty_typeEbEEZZNS1_14partition_implILS5_5ELb0ES3_mN6thrust23THRUST_200600_302600_NS6detail15normal_iteratorINSB_10device_ptrIS6_EEEEPS7_NSB_18transform_iteratorI7is_evenIS6_ESG_NSB_11use_defaultESL_EENS0_5tupleIJSG_S7_EEENSN_IJSH_SH_EEES7_PlJS7_EEE10hipError_tPvRmT3_T4_T5_T6_T7_T9_mT8_P12ihipStream_tbDpT10_ENKUlT_T0_E_clISt17integral_constantIbLb0EES19_IbLb1EEEEDaS15_S16_EUlS15_E_NS1_11comp_targetILNS1_3genE2ELNS1_11target_archE906ELNS1_3gpuE6ELNS1_3repE0EEENS1_30default_config_static_selectorELNS0_4arch9wavefront6targetE0EEEvT1_,@function
_ZN7rocprim17ROCPRIM_400000_NS6detail17trampoline_kernelINS0_14default_configENS1_25partition_config_selectorILNS1_17partition_subalgoE5E10large_dataNS0_10empty_typeEbEEZZNS1_14partition_implILS5_5ELb0ES3_mN6thrust23THRUST_200600_302600_NS6detail15normal_iteratorINSB_10device_ptrIS6_EEEEPS7_NSB_18transform_iteratorI7is_evenIS6_ESG_NSB_11use_defaultESL_EENS0_5tupleIJSG_S7_EEENSN_IJSH_SH_EEES7_PlJS7_EEE10hipError_tPvRmT3_T4_T5_T6_T7_T9_mT8_P12ihipStream_tbDpT10_ENKUlT_T0_E_clISt17integral_constantIbLb0EES19_IbLb1EEEEDaS15_S16_EUlS15_E_NS1_11comp_targetILNS1_3genE2ELNS1_11target_archE906ELNS1_3gpuE6ELNS1_3repE0EEENS1_30default_config_static_selectorELNS0_4arch9wavefront6targetE0EEEvT1_: ; @_ZN7rocprim17ROCPRIM_400000_NS6detail17trampoline_kernelINS0_14default_configENS1_25partition_config_selectorILNS1_17partition_subalgoE5E10large_dataNS0_10empty_typeEbEEZZNS1_14partition_implILS5_5ELb0ES3_mN6thrust23THRUST_200600_302600_NS6detail15normal_iteratorINSB_10device_ptrIS6_EEEEPS7_NSB_18transform_iteratorI7is_evenIS6_ESG_NSB_11use_defaultESL_EENS0_5tupleIJSG_S7_EEENSN_IJSH_SH_EEES7_PlJS7_EEE10hipError_tPvRmT3_T4_T5_T6_T7_T9_mT8_P12ihipStream_tbDpT10_ENKUlT_T0_E_clISt17integral_constantIbLb0EES19_IbLb1EEEEDaS15_S16_EUlS15_E_NS1_11comp_targetILNS1_3genE2ELNS1_11target_archE906ELNS1_3gpuE6ELNS1_3repE0EEENS1_30default_config_static_selectorELNS0_4arch9wavefront6targetE0EEEvT1_
; %bb.0:
	.section	.rodata,"a",@progbits
	.p2align	6, 0x0
	.amdhsa_kernel _ZN7rocprim17ROCPRIM_400000_NS6detail17trampoline_kernelINS0_14default_configENS1_25partition_config_selectorILNS1_17partition_subalgoE5E10large_dataNS0_10empty_typeEbEEZZNS1_14partition_implILS5_5ELb0ES3_mN6thrust23THRUST_200600_302600_NS6detail15normal_iteratorINSB_10device_ptrIS6_EEEEPS7_NSB_18transform_iteratorI7is_evenIS6_ESG_NSB_11use_defaultESL_EENS0_5tupleIJSG_S7_EEENSN_IJSH_SH_EEES7_PlJS7_EEE10hipError_tPvRmT3_T4_T5_T6_T7_T9_mT8_P12ihipStream_tbDpT10_ENKUlT_T0_E_clISt17integral_constantIbLb0EES19_IbLb1EEEEDaS15_S16_EUlS15_E_NS1_11comp_targetILNS1_3genE2ELNS1_11target_archE906ELNS1_3gpuE6ELNS1_3repE0EEENS1_30default_config_static_selectorELNS0_4arch9wavefront6targetE0EEEvT1_
		.amdhsa_group_segment_fixed_size 0
		.amdhsa_private_segment_fixed_size 0
		.amdhsa_kernarg_size 136
		.amdhsa_user_sgpr_count 15
		.amdhsa_user_sgpr_dispatch_ptr 0
		.amdhsa_user_sgpr_queue_ptr 0
		.amdhsa_user_sgpr_kernarg_segment_ptr 1
		.amdhsa_user_sgpr_dispatch_id 0
		.amdhsa_user_sgpr_private_segment_size 0
		.amdhsa_wavefront_size32 1
		.amdhsa_uses_dynamic_stack 0
		.amdhsa_enable_private_segment 0
		.amdhsa_system_sgpr_workgroup_id_x 1
		.amdhsa_system_sgpr_workgroup_id_y 0
		.amdhsa_system_sgpr_workgroup_id_z 0
		.amdhsa_system_sgpr_workgroup_info 0
		.amdhsa_system_vgpr_workitem_id 0
		.amdhsa_next_free_vgpr 1
		.amdhsa_next_free_sgpr 1
		.amdhsa_reserve_vcc 0
		.amdhsa_float_round_mode_32 0
		.amdhsa_float_round_mode_16_64 0
		.amdhsa_float_denorm_mode_32 3
		.amdhsa_float_denorm_mode_16_64 3
		.amdhsa_dx10_clamp 1
		.amdhsa_ieee_mode 1
		.amdhsa_fp16_overflow 0
		.amdhsa_workgroup_processor_mode 1
		.amdhsa_memory_ordered 1
		.amdhsa_forward_progress 0
		.amdhsa_shared_vgpr_count 0
		.amdhsa_exception_fp_ieee_invalid_op 0
		.amdhsa_exception_fp_denorm_src 0
		.amdhsa_exception_fp_ieee_div_zero 0
		.amdhsa_exception_fp_ieee_overflow 0
		.amdhsa_exception_fp_ieee_underflow 0
		.amdhsa_exception_fp_ieee_inexact 0
		.amdhsa_exception_int_div_zero 0
	.end_amdhsa_kernel
	.section	.text._ZN7rocprim17ROCPRIM_400000_NS6detail17trampoline_kernelINS0_14default_configENS1_25partition_config_selectorILNS1_17partition_subalgoE5E10large_dataNS0_10empty_typeEbEEZZNS1_14partition_implILS5_5ELb0ES3_mN6thrust23THRUST_200600_302600_NS6detail15normal_iteratorINSB_10device_ptrIS6_EEEEPS7_NSB_18transform_iteratorI7is_evenIS6_ESG_NSB_11use_defaultESL_EENS0_5tupleIJSG_S7_EEENSN_IJSH_SH_EEES7_PlJS7_EEE10hipError_tPvRmT3_T4_T5_T6_T7_T9_mT8_P12ihipStream_tbDpT10_ENKUlT_T0_E_clISt17integral_constantIbLb0EES19_IbLb1EEEEDaS15_S16_EUlS15_E_NS1_11comp_targetILNS1_3genE2ELNS1_11target_archE906ELNS1_3gpuE6ELNS1_3repE0EEENS1_30default_config_static_selectorELNS0_4arch9wavefront6targetE0EEEvT1_,"axG",@progbits,_ZN7rocprim17ROCPRIM_400000_NS6detail17trampoline_kernelINS0_14default_configENS1_25partition_config_selectorILNS1_17partition_subalgoE5E10large_dataNS0_10empty_typeEbEEZZNS1_14partition_implILS5_5ELb0ES3_mN6thrust23THRUST_200600_302600_NS6detail15normal_iteratorINSB_10device_ptrIS6_EEEEPS7_NSB_18transform_iteratorI7is_evenIS6_ESG_NSB_11use_defaultESL_EENS0_5tupleIJSG_S7_EEENSN_IJSH_SH_EEES7_PlJS7_EEE10hipError_tPvRmT3_T4_T5_T6_T7_T9_mT8_P12ihipStream_tbDpT10_ENKUlT_T0_E_clISt17integral_constantIbLb0EES19_IbLb1EEEEDaS15_S16_EUlS15_E_NS1_11comp_targetILNS1_3genE2ELNS1_11target_archE906ELNS1_3gpuE6ELNS1_3repE0EEENS1_30default_config_static_selectorELNS0_4arch9wavefront6targetE0EEEvT1_,comdat
.Lfunc_end678:
	.size	_ZN7rocprim17ROCPRIM_400000_NS6detail17trampoline_kernelINS0_14default_configENS1_25partition_config_selectorILNS1_17partition_subalgoE5E10large_dataNS0_10empty_typeEbEEZZNS1_14partition_implILS5_5ELb0ES3_mN6thrust23THRUST_200600_302600_NS6detail15normal_iteratorINSB_10device_ptrIS6_EEEEPS7_NSB_18transform_iteratorI7is_evenIS6_ESG_NSB_11use_defaultESL_EENS0_5tupleIJSG_S7_EEENSN_IJSH_SH_EEES7_PlJS7_EEE10hipError_tPvRmT3_T4_T5_T6_T7_T9_mT8_P12ihipStream_tbDpT10_ENKUlT_T0_E_clISt17integral_constantIbLb0EES19_IbLb1EEEEDaS15_S16_EUlS15_E_NS1_11comp_targetILNS1_3genE2ELNS1_11target_archE906ELNS1_3gpuE6ELNS1_3repE0EEENS1_30default_config_static_selectorELNS0_4arch9wavefront6targetE0EEEvT1_, .Lfunc_end678-_ZN7rocprim17ROCPRIM_400000_NS6detail17trampoline_kernelINS0_14default_configENS1_25partition_config_selectorILNS1_17partition_subalgoE5E10large_dataNS0_10empty_typeEbEEZZNS1_14partition_implILS5_5ELb0ES3_mN6thrust23THRUST_200600_302600_NS6detail15normal_iteratorINSB_10device_ptrIS6_EEEEPS7_NSB_18transform_iteratorI7is_evenIS6_ESG_NSB_11use_defaultESL_EENS0_5tupleIJSG_S7_EEENSN_IJSH_SH_EEES7_PlJS7_EEE10hipError_tPvRmT3_T4_T5_T6_T7_T9_mT8_P12ihipStream_tbDpT10_ENKUlT_T0_E_clISt17integral_constantIbLb0EES19_IbLb1EEEEDaS15_S16_EUlS15_E_NS1_11comp_targetILNS1_3genE2ELNS1_11target_archE906ELNS1_3gpuE6ELNS1_3repE0EEENS1_30default_config_static_selectorELNS0_4arch9wavefront6targetE0EEEvT1_
                                        ; -- End function
	.section	.AMDGPU.csdata,"",@progbits
; Kernel info:
; codeLenInByte = 0
; NumSgprs: 0
; NumVgprs: 0
; ScratchSize: 0
; MemoryBound: 0
; FloatMode: 240
; IeeeMode: 1
; LDSByteSize: 0 bytes/workgroup (compile time only)
; SGPRBlocks: 0
; VGPRBlocks: 0
; NumSGPRsForWavesPerEU: 1
; NumVGPRsForWavesPerEU: 1
; Occupancy: 16
; WaveLimiterHint : 0
; COMPUTE_PGM_RSRC2:SCRATCH_EN: 0
; COMPUTE_PGM_RSRC2:USER_SGPR: 15
; COMPUTE_PGM_RSRC2:TRAP_HANDLER: 0
; COMPUTE_PGM_RSRC2:TGID_X_EN: 1
; COMPUTE_PGM_RSRC2:TGID_Y_EN: 0
; COMPUTE_PGM_RSRC2:TGID_Z_EN: 0
; COMPUTE_PGM_RSRC2:TIDIG_COMP_CNT: 0
	.section	.text._ZN7rocprim17ROCPRIM_400000_NS6detail17trampoline_kernelINS0_14default_configENS1_25partition_config_selectorILNS1_17partition_subalgoE5E10large_dataNS0_10empty_typeEbEEZZNS1_14partition_implILS5_5ELb0ES3_mN6thrust23THRUST_200600_302600_NS6detail15normal_iteratorINSB_10device_ptrIS6_EEEEPS7_NSB_18transform_iteratorI7is_evenIS6_ESG_NSB_11use_defaultESL_EENS0_5tupleIJSG_S7_EEENSN_IJSH_SH_EEES7_PlJS7_EEE10hipError_tPvRmT3_T4_T5_T6_T7_T9_mT8_P12ihipStream_tbDpT10_ENKUlT_T0_E_clISt17integral_constantIbLb0EES19_IbLb1EEEEDaS15_S16_EUlS15_E_NS1_11comp_targetILNS1_3genE10ELNS1_11target_archE1200ELNS1_3gpuE4ELNS1_3repE0EEENS1_30default_config_static_selectorELNS0_4arch9wavefront6targetE0EEEvT1_,"axG",@progbits,_ZN7rocprim17ROCPRIM_400000_NS6detail17trampoline_kernelINS0_14default_configENS1_25partition_config_selectorILNS1_17partition_subalgoE5E10large_dataNS0_10empty_typeEbEEZZNS1_14partition_implILS5_5ELb0ES3_mN6thrust23THRUST_200600_302600_NS6detail15normal_iteratorINSB_10device_ptrIS6_EEEEPS7_NSB_18transform_iteratorI7is_evenIS6_ESG_NSB_11use_defaultESL_EENS0_5tupleIJSG_S7_EEENSN_IJSH_SH_EEES7_PlJS7_EEE10hipError_tPvRmT3_T4_T5_T6_T7_T9_mT8_P12ihipStream_tbDpT10_ENKUlT_T0_E_clISt17integral_constantIbLb0EES19_IbLb1EEEEDaS15_S16_EUlS15_E_NS1_11comp_targetILNS1_3genE10ELNS1_11target_archE1200ELNS1_3gpuE4ELNS1_3repE0EEENS1_30default_config_static_selectorELNS0_4arch9wavefront6targetE0EEEvT1_,comdat
	.protected	_ZN7rocprim17ROCPRIM_400000_NS6detail17trampoline_kernelINS0_14default_configENS1_25partition_config_selectorILNS1_17partition_subalgoE5E10large_dataNS0_10empty_typeEbEEZZNS1_14partition_implILS5_5ELb0ES3_mN6thrust23THRUST_200600_302600_NS6detail15normal_iteratorINSB_10device_ptrIS6_EEEEPS7_NSB_18transform_iteratorI7is_evenIS6_ESG_NSB_11use_defaultESL_EENS0_5tupleIJSG_S7_EEENSN_IJSH_SH_EEES7_PlJS7_EEE10hipError_tPvRmT3_T4_T5_T6_T7_T9_mT8_P12ihipStream_tbDpT10_ENKUlT_T0_E_clISt17integral_constantIbLb0EES19_IbLb1EEEEDaS15_S16_EUlS15_E_NS1_11comp_targetILNS1_3genE10ELNS1_11target_archE1200ELNS1_3gpuE4ELNS1_3repE0EEENS1_30default_config_static_selectorELNS0_4arch9wavefront6targetE0EEEvT1_ ; -- Begin function _ZN7rocprim17ROCPRIM_400000_NS6detail17trampoline_kernelINS0_14default_configENS1_25partition_config_selectorILNS1_17partition_subalgoE5E10large_dataNS0_10empty_typeEbEEZZNS1_14partition_implILS5_5ELb0ES3_mN6thrust23THRUST_200600_302600_NS6detail15normal_iteratorINSB_10device_ptrIS6_EEEEPS7_NSB_18transform_iteratorI7is_evenIS6_ESG_NSB_11use_defaultESL_EENS0_5tupleIJSG_S7_EEENSN_IJSH_SH_EEES7_PlJS7_EEE10hipError_tPvRmT3_T4_T5_T6_T7_T9_mT8_P12ihipStream_tbDpT10_ENKUlT_T0_E_clISt17integral_constantIbLb0EES19_IbLb1EEEEDaS15_S16_EUlS15_E_NS1_11comp_targetILNS1_3genE10ELNS1_11target_archE1200ELNS1_3gpuE4ELNS1_3repE0EEENS1_30default_config_static_selectorELNS0_4arch9wavefront6targetE0EEEvT1_
	.globl	_ZN7rocprim17ROCPRIM_400000_NS6detail17trampoline_kernelINS0_14default_configENS1_25partition_config_selectorILNS1_17partition_subalgoE5E10large_dataNS0_10empty_typeEbEEZZNS1_14partition_implILS5_5ELb0ES3_mN6thrust23THRUST_200600_302600_NS6detail15normal_iteratorINSB_10device_ptrIS6_EEEEPS7_NSB_18transform_iteratorI7is_evenIS6_ESG_NSB_11use_defaultESL_EENS0_5tupleIJSG_S7_EEENSN_IJSH_SH_EEES7_PlJS7_EEE10hipError_tPvRmT3_T4_T5_T6_T7_T9_mT8_P12ihipStream_tbDpT10_ENKUlT_T0_E_clISt17integral_constantIbLb0EES19_IbLb1EEEEDaS15_S16_EUlS15_E_NS1_11comp_targetILNS1_3genE10ELNS1_11target_archE1200ELNS1_3gpuE4ELNS1_3repE0EEENS1_30default_config_static_selectorELNS0_4arch9wavefront6targetE0EEEvT1_
	.p2align	8
	.type	_ZN7rocprim17ROCPRIM_400000_NS6detail17trampoline_kernelINS0_14default_configENS1_25partition_config_selectorILNS1_17partition_subalgoE5E10large_dataNS0_10empty_typeEbEEZZNS1_14partition_implILS5_5ELb0ES3_mN6thrust23THRUST_200600_302600_NS6detail15normal_iteratorINSB_10device_ptrIS6_EEEEPS7_NSB_18transform_iteratorI7is_evenIS6_ESG_NSB_11use_defaultESL_EENS0_5tupleIJSG_S7_EEENSN_IJSH_SH_EEES7_PlJS7_EEE10hipError_tPvRmT3_T4_T5_T6_T7_T9_mT8_P12ihipStream_tbDpT10_ENKUlT_T0_E_clISt17integral_constantIbLb0EES19_IbLb1EEEEDaS15_S16_EUlS15_E_NS1_11comp_targetILNS1_3genE10ELNS1_11target_archE1200ELNS1_3gpuE4ELNS1_3repE0EEENS1_30default_config_static_selectorELNS0_4arch9wavefront6targetE0EEEvT1_,@function
_ZN7rocprim17ROCPRIM_400000_NS6detail17trampoline_kernelINS0_14default_configENS1_25partition_config_selectorILNS1_17partition_subalgoE5E10large_dataNS0_10empty_typeEbEEZZNS1_14partition_implILS5_5ELb0ES3_mN6thrust23THRUST_200600_302600_NS6detail15normal_iteratorINSB_10device_ptrIS6_EEEEPS7_NSB_18transform_iteratorI7is_evenIS6_ESG_NSB_11use_defaultESL_EENS0_5tupleIJSG_S7_EEENSN_IJSH_SH_EEES7_PlJS7_EEE10hipError_tPvRmT3_T4_T5_T6_T7_T9_mT8_P12ihipStream_tbDpT10_ENKUlT_T0_E_clISt17integral_constantIbLb0EES19_IbLb1EEEEDaS15_S16_EUlS15_E_NS1_11comp_targetILNS1_3genE10ELNS1_11target_archE1200ELNS1_3gpuE4ELNS1_3repE0EEENS1_30default_config_static_selectorELNS0_4arch9wavefront6targetE0EEEvT1_: ; @_ZN7rocprim17ROCPRIM_400000_NS6detail17trampoline_kernelINS0_14default_configENS1_25partition_config_selectorILNS1_17partition_subalgoE5E10large_dataNS0_10empty_typeEbEEZZNS1_14partition_implILS5_5ELb0ES3_mN6thrust23THRUST_200600_302600_NS6detail15normal_iteratorINSB_10device_ptrIS6_EEEEPS7_NSB_18transform_iteratorI7is_evenIS6_ESG_NSB_11use_defaultESL_EENS0_5tupleIJSG_S7_EEENSN_IJSH_SH_EEES7_PlJS7_EEE10hipError_tPvRmT3_T4_T5_T6_T7_T9_mT8_P12ihipStream_tbDpT10_ENKUlT_T0_E_clISt17integral_constantIbLb0EES19_IbLb1EEEEDaS15_S16_EUlS15_E_NS1_11comp_targetILNS1_3genE10ELNS1_11target_archE1200ELNS1_3gpuE4ELNS1_3repE0EEENS1_30default_config_static_selectorELNS0_4arch9wavefront6targetE0EEEvT1_
; %bb.0:
	.section	.rodata,"a",@progbits
	.p2align	6, 0x0
	.amdhsa_kernel _ZN7rocprim17ROCPRIM_400000_NS6detail17trampoline_kernelINS0_14default_configENS1_25partition_config_selectorILNS1_17partition_subalgoE5E10large_dataNS0_10empty_typeEbEEZZNS1_14partition_implILS5_5ELb0ES3_mN6thrust23THRUST_200600_302600_NS6detail15normal_iteratorINSB_10device_ptrIS6_EEEEPS7_NSB_18transform_iteratorI7is_evenIS6_ESG_NSB_11use_defaultESL_EENS0_5tupleIJSG_S7_EEENSN_IJSH_SH_EEES7_PlJS7_EEE10hipError_tPvRmT3_T4_T5_T6_T7_T9_mT8_P12ihipStream_tbDpT10_ENKUlT_T0_E_clISt17integral_constantIbLb0EES19_IbLb1EEEEDaS15_S16_EUlS15_E_NS1_11comp_targetILNS1_3genE10ELNS1_11target_archE1200ELNS1_3gpuE4ELNS1_3repE0EEENS1_30default_config_static_selectorELNS0_4arch9wavefront6targetE0EEEvT1_
		.amdhsa_group_segment_fixed_size 0
		.amdhsa_private_segment_fixed_size 0
		.amdhsa_kernarg_size 136
		.amdhsa_user_sgpr_count 15
		.amdhsa_user_sgpr_dispatch_ptr 0
		.amdhsa_user_sgpr_queue_ptr 0
		.amdhsa_user_sgpr_kernarg_segment_ptr 1
		.amdhsa_user_sgpr_dispatch_id 0
		.amdhsa_user_sgpr_private_segment_size 0
		.amdhsa_wavefront_size32 1
		.amdhsa_uses_dynamic_stack 0
		.amdhsa_enable_private_segment 0
		.amdhsa_system_sgpr_workgroup_id_x 1
		.amdhsa_system_sgpr_workgroup_id_y 0
		.amdhsa_system_sgpr_workgroup_id_z 0
		.amdhsa_system_sgpr_workgroup_info 0
		.amdhsa_system_vgpr_workitem_id 0
		.amdhsa_next_free_vgpr 1
		.amdhsa_next_free_sgpr 1
		.amdhsa_reserve_vcc 0
		.amdhsa_float_round_mode_32 0
		.amdhsa_float_round_mode_16_64 0
		.amdhsa_float_denorm_mode_32 3
		.amdhsa_float_denorm_mode_16_64 3
		.amdhsa_dx10_clamp 1
		.amdhsa_ieee_mode 1
		.amdhsa_fp16_overflow 0
		.amdhsa_workgroup_processor_mode 1
		.amdhsa_memory_ordered 1
		.amdhsa_forward_progress 0
		.amdhsa_shared_vgpr_count 0
		.amdhsa_exception_fp_ieee_invalid_op 0
		.amdhsa_exception_fp_denorm_src 0
		.amdhsa_exception_fp_ieee_div_zero 0
		.amdhsa_exception_fp_ieee_overflow 0
		.amdhsa_exception_fp_ieee_underflow 0
		.amdhsa_exception_fp_ieee_inexact 0
		.amdhsa_exception_int_div_zero 0
	.end_amdhsa_kernel
	.section	.text._ZN7rocprim17ROCPRIM_400000_NS6detail17trampoline_kernelINS0_14default_configENS1_25partition_config_selectorILNS1_17partition_subalgoE5E10large_dataNS0_10empty_typeEbEEZZNS1_14partition_implILS5_5ELb0ES3_mN6thrust23THRUST_200600_302600_NS6detail15normal_iteratorINSB_10device_ptrIS6_EEEEPS7_NSB_18transform_iteratorI7is_evenIS6_ESG_NSB_11use_defaultESL_EENS0_5tupleIJSG_S7_EEENSN_IJSH_SH_EEES7_PlJS7_EEE10hipError_tPvRmT3_T4_T5_T6_T7_T9_mT8_P12ihipStream_tbDpT10_ENKUlT_T0_E_clISt17integral_constantIbLb0EES19_IbLb1EEEEDaS15_S16_EUlS15_E_NS1_11comp_targetILNS1_3genE10ELNS1_11target_archE1200ELNS1_3gpuE4ELNS1_3repE0EEENS1_30default_config_static_selectorELNS0_4arch9wavefront6targetE0EEEvT1_,"axG",@progbits,_ZN7rocprim17ROCPRIM_400000_NS6detail17trampoline_kernelINS0_14default_configENS1_25partition_config_selectorILNS1_17partition_subalgoE5E10large_dataNS0_10empty_typeEbEEZZNS1_14partition_implILS5_5ELb0ES3_mN6thrust23THRUST_200600_302600_NS6detail15normal_iteratorINSB_10device_ptrIS6_EEEEPS7_NSB_18transform_iteratorI7is_evenIS6_ESG_NSB_11use_defaultESL_EENS0_5tupleIJSG_S7_EEENSN_IJSH_SH_EEES7_PlJS7_EEE10hipError_tPvRmT3_T4_T5_T6_T7_T9_mT8_P12ihipStream_tbDpT10_ENKUlT_T0_E_clISt17integral_constantIbLb0EES19_IbLb1EEEEDaS15_S16_EUlS15_E_NS1_11comp_targetILNS1_3genE10ELNS1_11target_archE1200ELNS1_3gpuE4ELNS1_3repE0EEENS1_30default_config_static_selectorELNS0_4arch9wavefront6targetE0EEEvT1_,comdat
.Lfunc_end679:
	.size	_ZN7rocprim17ROCPRIM_400000_NS6detail17trampoline_kernelINS0_14default_configENS1_25partition_config_selectorILNS1_17partition_subalgoE5E10large_dataNS0_10empty_typeEbEEZZNS1_14partition_implILS5_5ELb0ES3_mN6thrust23THRUST_200600_302600_NS6detail15normal_iteratorINSB_10device_ptrIS6_EEEEPS7_NSB_18transform_iteratorI7is_evenIS6_ESG_NSB_11use_defaultESL_EENS0_5tupleIJSG_S7_EEENSN_IJSH_SH_EEES7_PlJS7_EEE10hipError_tPvRmT3_T4_T5_T6_T7_T9_mT8_P12ihipStream_tbDpT10_ENKUlT_T0_E_clISt17integral_constantIbLb0EES19_IbLb1EEEEDaS15_S16_EUlS15_E_NS1_11comp_targetILNS1_3genE10ELNS1_11target_archE1200ELNS1_3gpuE4ELNS1_3repE0EEENS1_30default_config_static_selectorELNS0_4arch9wavefront6targetE0EEEvT1_, .Lfunc_end679-_ZN7rocprim17ROCPRIM_400000_NS6detail17trampoline_kernelINS0_14default_configENS1_25partition_config_selectorILNS1_17partition_subalgoE5E10large_dataNS0_10empty_typeEbEEZZNS1_14partition_implILS5_5ELb0ES3_mN6thrust23THRUST_200600_302600_NS6detail15normal_iteratorINSB_10device_ptrIS6_EEEEPS7_NSB_18transform_iteratorI7is_evenIS6_ESG_NSB_11use_defaultESL_EENS0_5tupleIJSG_S7_EEENSN_IJSH_SH_EEES7_PlJS7_EEE10hipError_tPvRmT3_T4_T5_T6_T7_T9_mT8_P12ihipStream_tbDpT10_ENKUlT_T0_E_clISt17integral_constantIbLb0EES19_IbLb1EEEEDaS15_S16_EUlS15_E_NS1_11comp_targetILNS1_3genE10ELNS1_11target_archE1200ELNS1_3gpuE4ELNS1_3repE0EEENS1_30default_config_static_selectorELNS0_4arch9wavefront6targetE0EEEvT1_
                                        ; -- End function
	.section	.AMDGPU.csdata,"",@progbits
; Kernel info:
; codeLenInByte = 0
; NumSgprs: 0
; NumVgprs: 0
; ScratchSize: 0
; MemoryBound: 0
; FloatMode: 240
; IeeeMode: 1
; LDSByteSize: 0 bytes/workgroup (compile time only)
; SGPRBlocks: 0
; VGPRBlocks: 0
; NumSGPRsForWavesPerEU: 1
; NumVGPRsForWavesPerEU: 1
; Occupancy: 16
; WaveLimiterHint : 0
; COMPUTE_PGM_RSRC2:SCRATCH_EN: 0
; COMPUTE_PGM_RSRC2:USER_SGPR: 15
; COMPUTE_PGM_RSRC2:TRAP_HANDLER: 0
; COMPUTE_PGM_RSRC2:TGID_X_EN: 1
; COMPUTE_PGM_RSRC2:TGID_Y_EN: 0
; COMPUTE_PGM_RSRC2:TGID_Z_EN: 0
; COMPUTE_PGM_RSRC2:TIDIG_COMP_CNT: 0
	.section	.text._ZN7rocprim17ROCPRIM_400000_NS6detail17trampoline_kernelINS0_14default_configENS1_25partition_config_selectorILNS1_17partition_subalgoE5E10large_dataNS0_10empty_typeEbEEZZNS1_14partition_implILS5_5ELb0ES3_mN6thrust23THRUST_200600_302600_NS6detail15normal_iteratorINSB_10device_ptrIS6_EEEEPS7_NSB_18transform_iteratorI7is_evenIS6_ESG_NSB_11use_defaultESL_EENS0_5tupleIJSG_S7_EEENSN_IJSH_SH_EEES7_PlJS7_EEE10hipError_tPvRmT3_T4_T5_T6_T7_T9_mT8_P12ihipStream_tbDpT10_ENKUlT_T0_E_clISt17integral_constantIbLb0EES19_IbLb1EEEEDaS15_S16_EUlS15_E_NS1_11comp_targetILNS1_3genE9ELNS1_11target_archE1100ELNS1_3gpuE3ELNS1_3repE0EEENS1_30default_config_static_selectorELNS0_4arch9wavefront6targetE0EEEvT1_,"axG",@progbits,_ZN7rocprim17ROCPRIM_400000_NS6detail17trampoline_kernelINS0_14default_configENS1_25partition_config_selectorILNS1_17partition_subalgoE5E10large_dataNS0_10empty_typeEbEEZZNS1_14partition_implILS5_5ELb0ES3_mN6thrust23THRUST_200600_302600_NS6detail15normal_iteratorINSB_10device_ptrIS6_EEEEPS7_NSB_18transform_iteratorI7is_evenIS6_ESG_NSB_11use_defaultESL_EENS0_5tupleIJSG_S7_EEENSN_IJSH_SH_EEES7_PlJS7_EEE10hipError_tPvRmT3_T4_T5_T6_T7_T9_mT8_P12ihipStream_tbDpT10_ENKUlT_T0_E_clISt17integral_constantIbLb0EES19_IbLb1EEEEDaS15_S16_EUlS15_E_NS1_11comp_targetILNS1_3genE9ELNS1_11target_archE1100ELNS1_3gpuE3ELNS1_3repE0EEENS1_30default_config_static_selectorELNS0_4arch9wavefront6targetE0EEEvT1_,comdat
	.protected	_ZN7rocprim17ROCPRIM_400000_NS6detail17trampoline_kernelINS0_14default_configENS1_25partition_config_selectorILNS1_17partition_subalgoE5E10large_dataNS0_10empty_typeEbEEZZNS1_14partition_implILS5_5ELb0ES3_mN6thrust23THRUST_200600_302600_NS6detail15normal_iteratorINSB_10device_ptrIS6_EEEEPS7_NSB_18transform_iteratorI7is_evenIS6_ESG_NSB_11use_defaultESL_EENS0_5tupleIJSG_S7_EEENSN_IJSH_SH_EEES7_PlJS7_EEE10hipError_tPvRmT3_T4_T5_T6_T7_T9_mT8_P12ihipStream_tbDpT10_ENKUlT_T0_E_clISt17integral_constantIbLb0EES19_IbLb1EEEEDaS15_S16_EUlS15_E_NS1_11comp_targetILNS1_3genE9ELNS1_11target_archE1100ELNS1_3gpuE3ELNS1_3repE0EEENS1_30default_config_static_selectorELNS0_4arch9wavefront6targetE0EEEvT1_ ; -- Begin function _ZN7rocprim17ROCPRIM_400000_NS6detail17trampoline_kernelINS0_14default_configENS1_25partition_config_selectorILNS1_17partition_subalgoE5E10large_dataNS0_10empty_typeEbEEZZNS1_14partition_implILS5_5ELb0ES3_mN6thrust23THRUST_200600_302600_NS6detail15normal_iteratorINSB_10device_ptrIS6_EEEEPS7_NSB_18transform_iteratorI7is_evenIS6_ESG_NSB_11use_defaultESL_EENS0_5tupleIJSG_S7_EEENSN_IJSH_SH_EEES7_PlJS7_EEE10hipError_tPvRmT3_T4_T5_T6_T7_T9_mT8_P12ihipStream_tbDpT10_ENKUlT_T0_E_clISt17integral_constantIbLb0EES19_IbLb1EEEEDaS15_S16_EUlS15_E_NS1_11comp_targetILNS1_3genE9ELNS1_11target_archE1100ELNS1_3gpuE3ELNS1_3repE0EEENS1_30default_config_static_selectorELNS0_4arch9wavefront6targetE0EEEvT1_
	.globl	_ZN7rocprim17ROCPRIM_400000_NS6detail17trampoline_kernelINS0_14default_configENS1_25partition_config_selectorILNS1_17partition_subalgoE5E10large_dataNS0_10empty_typeEbEEZZNS1_14partition_implILS5_5ELb0ES3_mN6thrust23THRUST_200600_302600_NS6detail15normal_iteratorINSB_10device_ptrIS6_EEEEPS7_NSB_18transform_iteratorI7is_evenIS6_ESG_NSB_11use_defaultESL_EENS0_5tupleIJSG_S7_EEENSN_IJSH_SH_EEES7_PlJS7_EEE10hipError_tPvRmT3_T4_T5_T6_T7_T9_mT8_P12ihipStream_tbDpT10_ENKUlT_T0_E_clISt17integral_constantIbLb0EES19_IbLb1EEEEDaS15_S16_EUlS15_E_NS1_11comp_targetILNS1_3genE9ELNS1_11target_archE1100ELNS1_3gpuE3ELNS1_3repE0EEENS1_30default_config_static_selectorELNS0_4arch9wavefront6targetE0EEEvT1_
	.p2align	8
	.type	_ZN7rocprim17ROCPRIM_400000_NS6detail17trampoline_kernelINS0_14default_configENS1_25partition_config_selectorILNS1_17partition_subalgoE5E10large_dataNS0_10empty_typeEbEEZZNS1_14partition_implILS5_5ELb0ES3_mN6thrust23THRUST_200600_302600_NS6detail15normal_iteratorINSB_10device_ptrIS6_EEEEPS7_NSB_18transform_iteratorI7is_evenIS6_ESG_NSB_11use_defaultESL_EENS0_5tupleIJSG_S7_EEENSN_IJSH_SH_EEES7_PlJS7_EEE10hipError_tPvRmT3_T4_T5_T6_T7_T9_mT8_P12ihipStream_tbDpT10_ENKUlT_T0_E_clISt17integral_constantIbLb0EES19_IbLb1EEEEDaS15_S16_EUlS15_E_NS1_11comp_targetILNS1_3genE9ELNS1_11target_archE1100ELNS1_3gpuE3ELNS1_3repE0EEENS1_30default_config_static_selectorELNS0_4arch9wavefront6targetE0EEEvT1_,@function
_ZN7rocprim17ROCPRIM_400000_NS6detail17trampoline_kernelINS0_14default_configENS1_25partition_config_selectorILNS1_17partition_subalgoE5E10large_dataNS0_10empty_typeEbEEZZNS1_14partition_implILS5_5ELb0ES3_mN6thrust23THRUST_200600_302600_NS6detail15normal_iteratorINSB_10device_ptrIS6_EEEEPS7_NSB_18transform_iteratorI7is_evenIS6_ESG_NSB_11use_defaultESL_EENS0_5tupleIJSG_S7_EEENSN_IJSH_SH_EEES7_PlJS7_EEE10hipError_tPvRmT3_T4_T5_T6_T7_T9_mT8_P12ihipStream_tbDpT10_ENKUlT_T0_E_clISt17integral_constantIbLb0EES19_IbLb1EEEEDaS15_S16_EUlS15_E_NS1_11comp_targetILNS1_3genE9ELNS1_11target_archE1100ELNS1_3gpuE3ELNS1_3repE0EEENS1_30default_config_static_selectorELNS0_4arch9wavefront6targetE0EEEvT1_: ; @_ZN7rocprim17ROCPRIM_400000_NS6detail17trampoline_kernelINS0_14default_configENS1_25partition_config_selectorILNS1_17partition_subalgoE5E10large_dataNS0_10empty_typeEbEEZZNS1_14partition_implILS5_5ELb0ES3_mN6thrust23THRUST_200600_302600_NS6detail15normal_iteratorINSB_10device_ptrIS6_EEEEPS7_NSB_18transform_iteratorI7is_evenIS6_ESG_NSB_11use_defaultESL_EENS0_5tupleIJSG_S7_EEENSN_IJSH_SH_EEES7_PlJS7_EEE10hipError_tPvRmT3_T4_T5_T6_T7_T9_mT8_P12ihipStream_tbDpT10_ENKUlT_T0_E_clISt17integral_constantIbLb0EES19_IbLb1EEEEDaS15_S16_EUlS15_E_NS1_11comp_targetILNS1_3genE9ELNS1_11target_archE1100ELNS1_3gpuE3ELNS1_3repE0EEENS1_30default_config_static_selectorELNS0_4arch9wavefront6targetE0EEEvT1_
; %bb.0:
	s_mov_b32 s2, s15
	s_clause 0x6
	s_load_b128 s[8:11], s[0:1], 0x0
	s_load_b64 s[20:21], s[0:1], 0x10
	s_load_b64 s[16:17], s[0:1], 0x20
	s_load_b64 s[12:13], s[0:1], 0x30
	s_load_b64 s[18:19], s[0:1], 0x58
	s_load_b128 s[4:7], s[0:1], 0x48
	s_load_b64 s[14:15], s[0:1], 0x68
	s_mov_b32 s3, 0
	s_delay_alu instid0(SALU_CYCLE_1) | instskip(SKIP_4) | instid1(VALU_DEP_1)
	s_lshl_b64 s[22:23], s[2:3], 18
	v_cmp_eq_u32_e64 s2, 0, v0
	s_waitcnt lgkmcnt(0)
	s_add_u32 s8, s8, s22
	s_addc_u32 s9, s9, s23
	s_and_saveexec_b32 s3, s2
	s_cbranch_execz .LBB680_4
; %bb.1:
	s_mov_b32 s23, exec_lo
	s_mov_b32 s22, exec_lo
	v_mbcnt_lo_u32_b32 v1, s23, 0
                                        ; implicit-def: $vgpr2
	s_delay_alu instid0(VALU_DEP_1)
	v_cmpx_eq_u32_e32 0, v1
	s_cbranch_execz .LBB680_3
; %bb.2:
	s_load_b64 s[24:25], s[0:1], 0x78
	s_bcnt1_i32_b32 s23, s23
	s_delay_alu instid0(SALU_CYCLE_1)
	v_dual_mov_b32 v2, 0 :: v_dual_mov_b32 v3, s23
	s_waitcnt lgkmcnt(0)
	global_atomic_add_u32 v2, v2, v3, s[24:25] glc
.LBB680_3:
	s_or_b32 exec_lo, exec_lo, s22
	s_waitcnt vmcnt(0)
	v_readfirstlane_b32 s22, v2
	s_delay_alu instid0(VALU_DEP_1)
	v_dual_mov_b32 v2, 0 :: v_dual_add_nc_u32 v1, s22, v1
	global_store_b32 v2, v1, s[8:9]
.LBB680_4:
	s_or_b32 exec_lo, exec_lo, s3
	v_mov_b32_e32 v1, 0
	s_waitcnt_vscnt null, 0x0
	s_barrier
	buffer_gl0_inv
	s_load_b32 s3, s[0:1], 0x70
	global_load_b32 v2, v1, s[8:9]
	s_waitcnt vmcnt(0) lgkmcnt(0)
	s_barrier
	buffer_gl0_inv
	global_load_b64 v[9:10], v1, s[6:7]
	s_lshl_b64 s[0:1], s[20:21], 9
	s_delay_alu instid0(SALU_CYCLE_1) | instskip(SKIP_4) | instid1(SALU_CYCLE_1)
	s_add_u32 s22, s10, s0
	s_addc_u32 s23, s11, s1
	s_add_i32 s10, s3, -1
	s_lshl_b32 s3, s3, 8
	s_lshl_b32 s6, s10, 8
	s_add_i32 s24, s20, s6
	s_add_u32 s6, s20, s3
	s_addc_u32 s7, s21, 0
	s_delay_alu instid0(SALU_CYCLE_1) | instskip(SKIP_3) | instid1(VALU_DEP_1)
	v_cmp_ge_u64_e64 s6, s[6:7], s[18:19]
	s_mov_b32 s19, -1
	s_mov_b32 s7, 0
	v_readfirstlane_b32 s11, v2
	s_cmp_eq_u32 s11, s10
	s_cselect_b32 s3, -1, 0
	s_delay_alu instid0(SALU_CYCLE_1) | instskip(NEXT) | instid1(SALU_CYCLE_1)
	s_and_b32 s6, s6, s3
	s_xor_b32 s10, s6, -1
	s_lshl_b32 s6, s11, 8
	s_and_b32 vcc_lo, exec_lo, s10
	s_cbranch_vccz .LBB680_6
; %bb.5:
	v_lshlrev_b32_e32 v3, 9, v0
	s_lshl_b64 s[20:21], s[6:7], 9
	s_delay_alu instid0(SALU_CYCLE_1) | instskip(SKIP_1) | instid1(VALU_DEP_1)
	s_add_u32 s19, s22, s20
	s_addc_u32 s20, s23, s21
	v_add_co_u32 v1, s19, s19, v3
	s_delay_alu instid0(VALU_DEP_1) | instskip(SKIP_2) | instid1(VALU_DEP_1)
	v_add_co_ci_u32_e64 v2, null, s20, 0, s19
	flat_load_u8 v4, v[1:2]
	v_add_co_u32 v1, s19, s8, v3
	v_add_co_ci_u32_e64 v2, null, s9, 0, s19
	s_mov_b32 s19, 0
	s_waitcnt vmcnt(0) lgkmcnt(0)
	global_store_b8 v3, v4, s[8:9]
	s_waitcnt_vscnt null, 0x0
	s_barrier
	s_branch .LBB680_7
.LBB680_6:
                                        ; implicit-def: $vgpr1_vgpr2
.LBB680_7:
	v_dual_mov_b32 v3, s6 :: v_dual_mov_b32 v4, s7
	s_and_not1_b32 vcc_lo, exec_lo, s19
	s_sub_i32 s18, s18, s24
	s_cbranch_vccnz .LBB680_13
; %bb.8:
	s_mov_b32 s7, exec_lo
	v_cmpx_le_u32_e64 s18, v0
	s_xor_b32 s19, exec_lo, s7
; %bb.9:
	v_mov_b32_e32 v1, 0
	s_mov_b32 s7, 0
; %bb.10:
	s_or_saveexec_b32 s19, s19
	v_dual_mov_b32 v3, s6 :: v_dual_mov_b32 v4, s7
	v_mov_b32_e32 v5, s7
	s_xor_b32 exec_lo, exec_lo, s19
	s_cbranch_execz .LBB680_12
; %bb.11:
	s_mov_b32 s7, 0
	v_lshlrev_b32_e32 v1, 9, v0
	s_lshl_b64 s[20:21], s[6:7], 9
	v_dual_mov_b32 v3, s6 :: v_dual_mov_b32 v4, s7
	s_add_u32 s20, s22, s20
	s_addc_u32 s21, s23, s21
	v_add_co_u32 v1, s20, s20, v1
	s_delay_alu instid0(VALU_DEP_1)
	v_add_co_ci_u32_e64 v2, null, s21, 0, s20
	flat_load_u8 v5, v[1:2]
	v_mov_b32_e32 v1, 0
.LBB680_12:
	s_or_b32 exec_lo, exec_lo, s19
	s_delay_alu instid0(VALU_DEP_1) | instskip(NEXT) | instid1(VALU_DEP_1)
	v_lshlrev_b64 v[1:2], 9, v[0:1]
	v_add_co_u32 v1, vcc_lo, s8, v1
	s_delay_alu instid0(VALU_DEP_2)
	v_add_co_ci_u32_e32 v2, vcc_lo, s9, v2, vcc_lo
	s_waitcnt vmcnt(0) lgkmcnt(0)
	global_store_b8 v[1:2], v5, off
	s_waitcnt_vscnt null, 0x0
	s_barrier
.LBB680_13:
	s_waitcnt vmcnt(0)
	buffer_gl0_inv
	global_load_u8 v19, v[1:2], off
	v_lshlrev_b64 v[1:2], 9, v[3:4]
	s_add_u32 s0, s16, s0
	s_addc_u32 s1, s17, s1
	s_waitcnt vmcnt(0)
	s_barrier
	buffer_gl0_inv
	v_add_co_u32 v3, vcc_lo, s0, v1
	v_add_co_ci_u32_e32 v4, vcc_lo, s1, v2, vcc_lo
	s_and_b32 vcc_lo, exec_lo, s10
	s_cbranch_vccz .LBB680_15
; %bb.14:
	v_lshlrev_b32_e32 v1, 9, v0
	s_delay_alu instid0(VALU_DEP_1) | instskip(SKIP_4) | instid1(VALU_DEP_1)
	v_add_co_u32 v1, vcc_lo, v3, v1
	v_add_co_ci_u32_e32 v2, vcc_lo, 0, v4, vcc_lo
	global_load_u8 v1, v[1:2], off
	s_waitcnt vmcnt(0)
	v_xor_b32_e32 v1, -1, v1
	v_and_b32_e32 v5, 1, v1
	v_add_co_u32 v1, s0, s8, v0
	s_delay_alu instid0(VALU_DEP_1)
	v_add_co_ci_u32_e64 v2, null, s9, 0, s0
	global_store_b8 v0, v5, s[8:9]
	s_waitcnt_vscnt null, 0x0
	s_barrier
	s_cbranch_execz .LBB680_16
	s_branch .LBB680_19
.LBB680_15:
                                        ; implicit-def: $vgpr1_vgpr2
.LBB680_16:
	v_mov_b32_e32 v5, 0
	s_mov_b32 s0, exec_lo
	v_cmpx_gt_u32_e64 s18, v0
	s_cbranch_execz .LBB680_18
; %bb.17:
	v_lshlrev_b32_e32 v1, 9, v0
	s_delay_alu instid0(VALU_DEP_1) | instskip(SKIP_4) | instid1(VALU_DEP_1)
	v_add_co_u32 v1, vcc_lo, v3, v1
	v_add_co_ci_u32_e32 v2, vcc_lo, 0, v4, vcc_lo
	global_load_u8 v1, v[1:2], off
	s_waitcnt vmcnt(0)
	v_xor_b32_e32 v1, -1, v1
	v_and_b32_e32 v5, 1, v1
.LBB680_18:
	s_or_b32 exec_lo, exec_lo, s0
	v_add_co_u32 v1, s0, s8, v0
	s_delay_alu instid0(VALU_DEP_1)
	v_add_co_ci_u32_e64 v2, null, s9, 0, s0
	global_store_b8 v[1:2], v5, off
	s_waitcnt_vscnt null, 0x0
	s_barrier
.LBB680_19:
	buffer_gl0_inv
	global_load_u8 v1, v[1:2], off
	v_mov_b32_e32 v12, 0
	v_mbcnt_lo_u32_b32 v20, -1, 0
	s_cmp_lg_u32 s11, 0
	s_waitcnt vmcnt(0)
	s_barrier
	buffer_gl0_inv
	v_and_b32_e32 v11, 1, v1
	v_and_b32_e32 v21, 0xff, v1
	s_cbranch_scc0 .LBB680_85
; %bb.20:
	v_dual_mov_b32 v2, v12 :: v_dual_and_b32 v7, 0xff, v1
	s_delay_alu instid0(VALU_DEP_3) | instskip(SKIP_2) | instid1(VALU_DEP_4)
	v_mov_b32_e32 v3, v11
	v_dual_mov_b32 v4, v12 :: v_dual_and_b32 v5, 15, v20
	v_mov_b32_dpp v6, v12 row_shr:1 row_mask:0xf bank_mask:0xf
	v_mov_b32_dpp v1, v7 row_shr:1 row_mask:0xf bank_mask:0xf
	s_mov_b32 s0, exec_lo
	s_delay_alu instid0(VALU_DEP_3)
	v_cmpx_ne_u32_e32 0, v5
; %bb.21:
	s_delay_alu instid0(VALU_DEP_2) | instskip(NEXT) | instid1(VALU_DEP_1)
	v_add_co_u32 v7, s1, v1, v11
	v_add_co_ci_u32_e64 v2, null, 0, 0, s1
	s_delay_alu instid0(VALU_DEP_2) | instskip(NEXT) | instid1(VALU_DEP_2)
	v_add_co_u32 v1, vcc_lo, 0, v7
	v_add_co_ci_u32_e32 v2, vcc_lo, v6, v2, vcc_lo
	s_delay_alu instid0(VALU_DEP_1)
	v_dual_mov_b32 v4, v2 :: v_dual_mov_b32 v3, v1
; %bb.22:
	s_or_b32 exec_lo, exec_lo, s0
	v_mov_b32_dpp v1, v7 row_shr:2 row_mask:0xf bank_mask:0xf
	v_mov_b32_dpp v6, v2 row_shr:2 row_mask:0xf bank_mask:0xf
	s_mov_b32 s0, exec_lo
	v_cmpx_lt_u32_e32 1, v5
; %bb.23:
	s_delay_alu instid0(VALU_DEP_3) | instskip(SKIP_1) | instid1(VALU_DEP_2)
	v_add_co_u32 v7, vcc_lo, v3, v1
	v_add_co_ci_u32_e32 v2, vcc_lo, 0, v4, vcc_lo
	v_add_co_u32 v1, vcc_lo, 0, v7
	s_delay_alu instid0(VALU_DEP_2) | instskip(NEXT) | instid1(VALU_DEP_1)
	v_add_co_ci_u32_e32 v2, vcc_lo, v6, v2, vcc_lo
	v_dual_mov_b32 v4, v2 :: v_dual_mov_b32 v3, v1
; %bb.24:
	s_or_b32 exec_lo, exec_lo, s0
	v_mov_b32_dpp v1, v7 row_shr:4 row_mask:0xf bank_mask:0xf
	v_mov_b32_dpp v6, v2 row_shr:4 row_mask:0xf bank_mask:0xf
	s_mov_b32 s0, exec_lo
	v_cmpx_lt_u32_e32 3, v5
; %bb.25:
	s_delay_alu instid0(VALU_DEP_3) | instskip(SKIP_1) | instid1(VALU_DEP_2)
	v_add_co_u32 v7, vcc_lo, v3, v1
	v_add_co_ci_u32_e32 v2, vcc_lo, 0, v4, vcc_lo
	v_add_co_u32 v1, vcc_lo, 0, v7
	s_delay_alu instid0(VALU_DEP_2) | instskip(NEXT) | instid1(VALU_DEP_1)
	v_add_co_ci_u32_e32 v2, vcc_lo, v6, v2, vcc_lo
	;; [unrolled: 14-line block ×3, first 2 shown]
	v_mov_b32_e32 v2, v4
; %bb.28:
	s_or_b32 exec_lo, exec_lo, s0
	ds_swizzle_b32 v1, v7 offset:swizzle(BROADCAST,32,15)
	ds_swizzle_b32 v5, v2 offset:swizzle(BROADCAST,32,15)
	v_and_b32_e32 v6, 16, v20
	s_mov_b32 s0, exec_lo
	s_delay_alu instid0(VALU_DEP_1)
	v_cmpx_ne_u32_e32 0, v6
	s_cbranch_execz .LBB680_30
; %bb.29:
	s_waitcnt lgkmcnt(1)
	v_add_co_u32 v7, vcc_lo, v3, v1
	v_add_co_ci_u32_e32 v2, vcc_lo, 0, v4, vcc_lo
	s_delay_alu instid0(VALU_DEP_2) | instskip(SKIP_1) | instid1(VALU_DEP_2)
	v_add_co_u32 v1, vcc_lo, 0, v7
	s_waitcnt lgkmcnt(0)
	v_add_co_ci_u32_e32 v2, vcc_lo, v5, v2, vcc_lo
	s_delay_alu instid0(VALU_DEP_1)
	v_dual_mov_b32 v4, v2 :: v_dual_mov_b32 v3, v1
.LBB680_30:
	s_or_b32 exec_lo, exec_lo, s0
	s_waitcnt lgkmcnt(0)
	v_or_b32_e32 v5, 31, v0
	v_lshrrev_b32_e32 v1, 5, v0
	s_mov_b32 s0, exec_lo
	s_delay_alu instid0(VALU_DEP_2)
	v_cmpx_eq_u32_e64 v5, v0
	s_cbranch_execz .LBB680_32
; %bb.31:
	s_delay_alu instid0(VALU_DEP_2)
	v_lshlrev_b32_e32 v5, 3, v1
	global_store_b64 v5, v[3:4], s[8:9]
.LBB680_32:
	s_or_b32 exec_lo, exec_lo, s0
	s_delay_alu instid0(SALU_CYCLE_1)
	s_mov_b32 s0, exec_lo
	s_waitcnt_vscnt null, 0x0
	s_barrier
	buffer_gl0_inv
	v_cmpx_gt_u32_e32 8, v0
	s_cbranch_execz .LBB680_40
; %bb.33:
	v_lshlrev_b32_e32 v5, 3, v0
	s_mov_b32 s1, exec_lo
	global_load_b64 v[3:4], v5, s[8:9]
	s_waitcnt vmcnt(0)
	v_dual_mov_b32 v13, v3 :: v_dual_and_b32 v8, 7, v20
	v_mov_b32_dpp v14, v3 row_shr:1 row_mask:0xf bank_mask:0xf
	v_mov_b32_dpp v6, v4 row_shr:1 row_mask:0xf bank_mask:0xf
	s_delay_alu instid0(VALU_DEP_3)
	v_cmpx_ne_u32_e32 0, v8
; %bb.34:
	s_delay_alu instid0(VALU_DEP_3) | instskip(SKIP_1) | instid1(VALU_DEP_2)
	v_add_co_u32 v13, vcc_lo, v3, v14
	v_add_co_ci_u32_e32 v4, vcc_lo, 0, v4, vcc_lo
	v_add_co_u32 v3, vcc_lo, 0, v13
	s_delay_alu instid0(VALU_DEP_2)
	v_add_co_ci_u32_e32 v4, vcc_lo, v6, v4, vcc_lo
; %bb.35:
	s_or_b32 exec_lo, exec_lo, s1
	v_add_co_u32 v5, s1, s8, v5
	s_delay_alu instid0(VALU_DEP_1)
	v_add_co_ci_u32_e64 v6, null, s9, 0, s1
	v_mov_b32_dpp v15, v13 row_shr:2 row_mask:0xf bank_mask:0xf
	v_mov_b32_dpp v14, v4 row_shr:2 row_mask:0xf bank_mask:0xf
	s_mov_b32 s1, exec_lo
	v_cmpx_lt_u32_e32 1, v8
; %bb.36:
	s_delay_alu instid0(VALU_DEP_3) | instskip(SKIP_1) | instid1(VALU_DEP_2)
	v_add_co_u32 v13, vcc_lo, v3, v15
	v_add_co_ci_u32_e32 v4, vcc_lo, 0, v4, vcc_lo
	v_add_co_u32 v3, vcc_lo, 0, v13
	s_delay_alu instid0(VALU_DEP_2)
	v_add_co_ci_u32_e32 v4, vcc_lo, v14, v4, vcc_lo
; %bb.37:
	s_or_b32 exec_lo, exec_lo, s1
	v_mov_b32_dpp v14, v13 row_shr:4 row_mask:0xf bank_mask:0xf
	s_delay_alu instid0(VALU_DEP_2)
	v_mov_b32_dpp v13, v4 row_shr:4 row_mask:0xf bank_mask:0xf
	s_mov_b32 s1, exec_lo
	v_cmpx_lt_u32_e32 3, v8
; %bb.38:
	s_delay_alu instid0(VALU_DEP_3) | instskip(SKIP_1) | instid1(VALU_DEP_2)
	v_add_co_u32 v3, vcc_lo, v3, v14
	v_add_co_ci_u32_e32 v4, vcc_lo, 0, v4, vcc_lo
	v_add_co_u32 v3, vcc_lo, v3, 0
	s_delay_alu instid0(VALU_DEP_2)
	v_add_co_ci_u32_e32 v4, vcc_lo, v4, v13, vcc_lo
; %bb.39:
	s_or_b32 exec_lo, exec_lo, s1
	global_store_b64 v[5:6], v[3:4], off
.LBB680_40:
	s_or_b32 exec_lo, exec_lo, s0
	v_cmp_gt_u32_e32 vcc_lo, 32, v0
	s_mov_b32 s1, exec_lo
	s_waitcnt_vscnt null, 0x0
	s_barrier
	buffer_gl0_inv
                                        ; implicit-def: $vgpr13_vgpr14
	v_cmpx_lt_u32_e32 31, v0
	s_cbranch_execz .LBB680_42
; %bb.41:
	v_dual_mov_b32 v4, 0 :: v_dual_add_nc_u32 v3, -1, v1
	s_delay_alu instid0(VALU_DEP_1) | instskip(NEXT) | instid1(VALU_DEP_1)
	v_lshlrev_b64 v[3:4], 3, v[3:4]
	v_add_co_u32 v3, s0, s8, v3
	s_delay_alu instid0(VALU_DEP_1) | instskip(SKIP_3) | instid1(VALU_DEP_1)
	v_add_co_ci_u32_e64 v4, s0, s9, v4, s0
	global_load_b64 v[13:14], v[3:4], off
	s_waitcnt vmcnt(0)
	v_add_co_u32 v7, s0, v7, v13
	v_add_co_ci_u32_e64 v2, s0, v2, v14, s0
.LBB680_42:
	s_or_b32 exec_lo, exec_lo, s1
	v_add_nc_u32_e32 v1, -1, v20
	s_delay_alu instid0(VALU_DEP_1) | instskip(NEXT) | instid1(VALU_DEP_1)
	v_cmp_gt_i32_e64 s0, 0, v1
	v_cndmask_b32_e64 v1, v1, v20, s0
	v_cmp_eq_u32_e64 s0, 0, v20
	s_delay_alu instid0(VALU_DEP_2)
	v_lshlrev_b32_e32 v1, 2, v1
	ds_bpermute_b32 v22, v1, v7
	ds_bpermute_b32 v23, v1, v2
	s_and_saveexec_b32 s1, vcc_lo
	s_cbranch_execz .LBB680_80
; %bb.43:
	v_mov_b32_e32 v4, 0
	global_load_b64 v[1:2], v4, s[8:9] offset:56
	s_and_saveexec_b32 s6, s0
	s_cbranch_execz .LBB680_45
; %bb.44:
	s_add_i32 s16, s11, 32
	s_mov_b32 s17, 0
	s_delay_alu instid0(SALU_CYCLE_1) | instskip(NEXT) | instid1(SALU_CYCLE_1)
	s_lshl_b64 s[16:17], s[16:17], 4
	s_add_u32 s16, s14, s16
	s_addc_u32 s17, s15, s17
	v_mov_b32_e32 v5, s16
	v_dual_mov_b32 v3, 1 :: v_dual_mov_b32 v6, s17
	s_waitcnt vmcnt(0)
	;;#ASMSTART
	global_store_dwordx4 v[5:6], v[1:4] off	
s_waitcnt vmcnt(0)
	;;#ASMEND
.LBB680_45:
	s_or_b32 exec_lo, exec_lo, s6
	v_xad_u32 v15, v20, -1, s11
	s_mov_b32 s7, 0
	s_mov_b32 s6, exec_lo
	s_delay_alu instid0(VALU_DEP_1) | instskip(NEXT) | instid1(VALU_DEP_1)
	v_add_nc_u32_e32 v3, 32, v15
	v_lshlrev_b64 v[3:4], 4, v[3:4]
	s_delay_alu instid0(VALU_DEP_1) | instskip(NEXT) | instid1(VALU_DEP_2)
	v_add_co_u32 v3, vcc_lo, s14, v3
	v_add_co_ci_u32_e32 v4, vcc_lo, s15, v4, vcc_lo
	;;#ASMSTART
	global_load_dwordx4 v[5:8], v[3:4] off glc	
s_waitcnt vmcnt(0)
	;;#ASMEND
	v_and_b32_e32 v8, 0xff, v6
	v_and_b32_e32 v16, 0xff00, v6
	v_or3_b32 v5, v5, 0, 0
	v_and_b32_e32 v17, 0xff000000, v6
	v_and_b32_e32 v6, 0xff0000, v6
	s_delay_alu instid0(VALU_DEP_4) | instskip(SKIP_2) | instid1(VALU_DEP_3)
	v_or3_b32 v8, 0, v8, v16
	v_and_b32_e32 v16, 0xff, v7
	v_or3_b32 v5, v5, 0, 0
	v_or3_b32 v6, v8, v6, v17
	s_delay_alu instid0(VALU_DEP_3)
	v_cmpx_eq_u16_e32 0, v16
	s_cbranch_execz .LBB680_48
.LBB680_46:                             ; =>This Inner Loop Header: Depth=1
	;;#ASMSTART
	global_load_dwordx4 v[5:8], v[3:4] off glc	
s_waitcnt vmcnt(0)
	;;#ASMEND
	v_and_b32_e32 v8, 0xff, v7
	s_delay_alu instid0(VALU_DEP_1) | instskip(SKIP_1) | instid1(SALU_CYCLE_1)
	v_cmp_ne_u16_e32 vcc_lo, 0, v8
	s_or_b32 s7, vcc_lo, s7
	s_and_not1_b32 exec_lo, exec_lo, s7
	s_cbranch_execnz .LBB680_46
; %bb.47:
	s_or_b32 exec_lo, exec_lo, s7
.LBB680_48:
	s_delay_alu instid0(SALU_CYCLE_1)
	s_or_b32 exec_lo, exec_lo, s6
	v_cmp_ne_u32_e32 vcc_lo, 31, v20
	v_and_b32_e32 v4, 0xff, v7
	v_lshlrev_b32_e64 v25, v20, -1
	s_mov_b32 s6, exec_lo
	v_add_co_ci_u32_e32 v3, vcc_lo, 0, v20, vcc_lo
	s_delay_alu instid0(VALU_DEP_3) | instskip(SKIP_1) | instid1(VALU_DEP_3)
	v_cmp_eq_u16_e32 vcc_lo, 2, v4
	v_mov_b32_e32 v4, v5
	v_lshlrev_b32_e32 v24, 2, v3
	v_and_or_b32 v3, vcc_lo, v25, 0x80000000
	ds_bpermute_b32 v16, v24, v5
	ds_bpermute_b32 v8, v24, v6
	v_ctz_i32_b32_e32 v3, v3
	s_delay_alu instid0(VALU_DEP_1)
	v_cmpx_lt_u32_e64 v20, v3
	s_cbranch_execz .LBB680_50
; %bb.49:
	s_waitcnt lgkmcnt(1)
	v_add_co_u32 v4, vcc_lo, v5, v16
	v_add_co_ci_u32_e32 v6, vcc_lo, 0, v6, vcc_lo
	s_delay_alu instid0(VALU_DEP_2) | instskip(SKIP_1) | instid1(VALU_DEP_2)
	v_add_co_u32 v5, vcc_lo, 0, v4
	s_waitcnt lgkmcnt(0)
	v_add_co_ci_u32_e32 v6, vcc_lo, v8, v6, vcc_lo
.LBB680_50:
	s_or_b32 exec_lo, exec_lo, s6
	v_cmp_gt_u32_e32 vcc_lo, 30, v20
	v_add_nc_u32_e32 v27, 2, v20
	s_mov_b32 s6, exec_lo
	s_waitcnt lgkmcnt(0)
	v_cndmask_b32_e64 v8, 0, 1, vcc_lo
	s_delay_alu instid0(VALU_DEP_1) | instskip(NEXT) | instid1(VALU_DEP_1)
	v_lshlrev_b32_e32 v8, 1, v8
	v_add_lshl_u32 v26, v8, v20, 2
	ds_bpermute_b32 v16, v26, v4
	ds_bpermute_b32 v8, v26, v6
	v_cmpx_le_u32_e64 v27, v3
	s_cbranch_execz .LBB680_52
; %bb.51:
	s_waitcnt lgkmcnt(1)
	v_add_co_u32 v4, vcc_lo, v5, v16
	v_add_co_ci_u32_e32 v6, vcc_lo, 0, v6, vcc_lo
	s_delay_alu instid0(VALU_DEP_2) | instskip(SKIP_1) | instid1(VALU_DEP_2)
	v_add_co_u32 v5, vcc_lo, 0, v4
	s_waitcnt lgkmcnt(0)
	v_add_co_ci_u32_e32 v6, vcc_lo, v8, v6, vcc_lo
.LBB680_52:
	s_or_b32 exec_lo, exec_lo, s6
	v_cmp_gt_u32_e32 vcc_lo, 28, v20
	v_add_nc_u32_e32 v29, 4, v20
	s_mov_b32 s6, exec_lo
	s_waitcnt lgkmcnt(0)
	v_cndmask_b32_e64 v8, 0, 1, vcc_lo
	s_delay_alu instid0(VALU_DEP_1) | instskip(NEXT) | instid1(VALU_DEP_1)
	v_lshlrev_b32_e32 v8, 2, v8
	v_add_lshl_u32 v28, v8, v20, 2
	ds_bpermute_b32 v16, v28, v4
	ds_bpermute_b32 v8, v28, v6
	v_cmpx_le_u32_e64 v29, v3
	;; [unrolled: 22-line block ×4, first 2 shown]
	s_cbranch_execz .LBB680_58
; %bb.57:
	s_waitcnt lgkmcnt(1)
	v_add_co_u32 v3, vcc_lo, v5, v8
	v_add_co_ci_u32_e32 v6, vcc_lo, 0, v6, vcc_lo
	s_delay_alu instid0(VALU_DEP_2) | instskip(SKIP_1) | instid1(VALU_DEP_2)
	v_add_co_u32 v5, vcc_lo, v3, 0
	s_waitcnt lgkmcnt(0)
	v_add_co_ci_u32_e32 v6, vcc_lo, v6, v4, vcc_lo
.LBB680_58:
	s_or_b32 exec_lo, exec_lo, s6
	v_mov_b32_e32 v16, 0
	s_branch .LBB680_60
.LBB680_59:                             ;   in Loop: Header=BB680_60 Depth=1
	s_or_b32 exec_lo, exec_lo, s6
	v_add_co_u32 v5, vcc_lo, v5, v3
	v_subrev_nc_u32_e32 v15, 32, v15
	v_add_co_ci_u32_e32 v6, vcc_lo, v6, v4, vcc_lo
.LBB680_60:                             ; =>This Loop Header: Depth=1
                                        ;     Child Loop BB680_63 Depth 2
	v_and_b32_e32 v3, 0xff, v7
	s_delay_alu instid0(VALU_DEP_1) | instskip(SKIP_2) | instid1(VALU_DEP_1)
	v_cmp_ne_u16_e32 vcc_lo, 2, v3
	v_cndmask_b32_e64 v3, 0, 1, vcc_lo
	;;#ASMSTART
	;;#ASMEND
	v_cmp_ne_u32_e32 vcc_lo, 0, v3
	s_waitcnt lgkmcnt(0)
	v_dual_mov_b32 v3, v5 :: v_dual_mov_b32 v4, v6
	s_cmp_lg_u32 vcc_lo, exec_lo
	s_cbranch_scc1 .LBB680_75
; %bb.61:                               ;   in Loop: Header=BB680_60 Depth=1
	v_lshlrev_b64 v[5:6], 4, v[15:16]
	s_mov_b32 s6, exec_lo
	s_delay_alu instid0(VALU_DEP_1) | instskip(NEXT) | instid1(VALU_DEP_2)
	v_add_co_u32 v17, vcc_lo, s14, v5
	v_add_co_ci_u32_e32 v18, vcc_lo, s15, v6, vcc_lo
	;;#ASMSTART
	global_load_dwordx4 v[5:8], v[17:18] off glc	
s_waitcnt vmcnt(0)
	;;#ASMEND
	v_and_b32_e32 v8, 0xff, v6
	v_and_b32_e32 v34, 0xff00, v6
	v_or3_b32 v5, v5, 0, 0
	v_and_b32_e32 v35, 0xff000000, v6
	v_and_b32_e32 v6, 0xff0000, v6
	s_delay_alu instid0(VALU_DEP_4) | instskip(SKIP_2) | instid1(VALU_DEP_3)
	v_or3_b32 v8, 0, v8, v34
	v_and_b32_e32 v34, 0xff, v7
	v_or3_b32 v5, v5, 0, 0
	v_or3_b32 v6, v8, v6, v35
	s_delay_alu instid0(VALU_DEP_3)
	v_cmpx_eq_u16_e32 0, v34
	s_cbranch_execz .LBB680_65
; %bb.62:                               ;   in Loop: Header=BB680_60 Depth=1
	s_mov_b32 s7, 0
.LBB680_63:                             ;   Parent Loop BB680_60 Depth=1
                                        ; =>  This Inner Loop Header: Depth=2
	;;#ASMSTART
	global_load_dwordx4 v[5:8], v[17:18] off glc	
s_waitcnt vmcnt(0)
	;;#ASMEND
	v_and_b32_e32 v8, 0xff, v7
	s_delay_alu instid0(VALU_DEP_1) | instskip(SKIP_1) | instid1(SALU_CYCLE_1)
	v_cmp_ne_u16_e32 vcc_lo, 0, v8
	s_or_b32 s7, vcc_lo, s7
	s_and_not1_b32 exec_lo, exec_lo, s7
	s_cbranch_execnz .LBB680_63
; %bb.64:                               ;   in Loop: Header=BB680_60 Depth=1
	s_or_b32 exec_lo, exec_lo, s7
.LBB680_65:                             ;   in Loop: Header=BB680_60 Depth=1
	s_delay_alu instid0(SALU_CYCLE_1)
	s_or_b32 exec_lo, exec_lo, s6
	v_dual_mov_b32 v17, v5 :: v_dual_and_b32 v8, 0xff, v7
	ds_bpermute_b32 v34, v24, v5
	ds_bpermute_b32 v18, v24, v6
	s_mov_b32 s6, exec_lo
	v_cmp_eq_u16_e32 vcc_lo, 2, v8
	v_and_or_b32 v8, vcc_lo, v25, 0x80000000
	s_delay_alu instid0(VALU_DEP_1) | instskip(NEXT) | instid1(VALU_DEP_1)
	v_ctz_i32_b32_e32 v8, v8
	v_cmpx_lt_u32_e64 v20, v8
	s_cbranch_execz .LBB680_67
; %bb.66:                               ;   in Loop: Header=BB680_60 Depth=1
	s_waitcnt lgkmcnt(1)
	v_add_co_u32 v17, vcc_lo, v5, v34
	v_add_co_ci_u32_e32 v6, vcc_lo, 0, v6, vcc_lo
	s_delay_alu instid0(VALU_DEP_2) | instskip(SKIP_1) | instid1(VALU_DEP_2)
	v_add_co_u32 v5, vcc_lo, 0, v17
	s_waitcnt lgkmcnt(0)
	v_add_co_ci_u32_e32 v6, vcc_lo, v18, v6, vcc_lo
.LBB680_67:                             ;   in Loop: Header=BB680_60 Depth=1
	s_or_b32 exec_lo, exec_lo, s6
	s_waitcnt lgkmcnt(1)
	ds_bpermute_b32 v34, v26, v17
	s_waitcnt lgkmcnt(1)
	ds_bpermute_b32 v18, v26, v6
	s_mov_b32 s6, exec_lo
	v_cmpx_le_u32_e64 v27, v8
	s_cbranch_execz .LBB680_69
; %bb.68:                               ;   in Loop: Header=BB680_60 Depth=1
	s_waitcnt lgkmcnt(1)
	v_add_co_u32 v17, vcc_lo, v5, v34
	v_add_co_ci_u32_e32 v6, vcc_lo, 0, v6, vcc_lo
	s_delay_alu instid0(VALU_DEP_2) | instskip(SKIP_1) | instid1(VALU_DEP_2)
	v_add_co_u32 v5, vcc_lo, 0, v17
	s_waitcnt lgkmcnt(0)
	v_add_co_ci_u32_e32 v6, vcc_lo, v18, v6, vcc_lo
.LBB680_69:                             ;   in Loop: Header=BB680_60 Depth=1
	s_or_b32 exec_lo, exec_lo, s6
	s_waitcnt lgkmcnt(1)
	ds_bpermute_b32 v34, v28, v17
	s_waitcnt lgkmcnt(1)
	ds_bpermute_b32 v18, v28, v6
	s_mov_b32 s6, exec_lo
	v_cmpx_le_u32_e64 v29, v8
	;; [unrolled: 17-line block ×3, first 2 shown]
	s_cbranch_execz .LBB680_73
; %bb.72:                               ;   in Loop: Header=BB680_60 Depth=1
	s_waitcnt lgkmcnt(1)
	v_add_co_u32 v17, vcc_lo, v5, v34
	v_add_co_ci_u32_e32 v6, vcc_lo, 0, v6, vcc_lo
	s_delay_alu instid0(VALU_DEP_2) | instskip(SKIP_1) | instid1(VALU_DEP_2)
	v_add_co_u32 v5, vcc_lo, 0, v17
	s_waitcnt lgkmcnt(0)
	v_add_co_ci_u32_e32 v6, vcc_lo, v18, v6, vcc_lo
.LBB680_73:                             ;   in Loop: Header=BB680_60 Depth=1
	s_or_b32 exec_lo, exec_lo, s6
	s_waitcnt lgkmcnt(0)
	ds_bpermute_b32 v18, v32, v17
	ds_bpermute_b32 v17, v32, v6
	s_mov_b32 s6, exec_lo
	v_cmpx_le_u32_e64 v33, v8
	s_cbranch_execz .LBB680_59
; %bb.74:                               ;   in Loop: Header=BB680_60 Depth=1
	s_waitcnt lgkmcnt(1)
	v_add_co_u32 v5, vcc_lo, v5, v18
	v_add_co_ci_u32_e32 v6, vcc_lo, 0, v6, vcc_lo
	s_delay_alu instid0(VALU_DEP_2) | instskip(SKIP_1) | instid1(VALU_DEP_2)
	v_add_co_u32 v5, vcc_lo, v5, 0
	s_waitcnt lgkmcnt(0)
	v_add_co_ci_u32_e32 v6, vcc_lo, v6, v17, vcc_lo
	s_branch .LBB680_59
.LBB680_75:                             ;   in Loop: Header=BB680_60 Depth=1
                                        ; implicit-def: $vgpr5_vgpr6
	s_cbranch_execz .LBB680_60
; %bb.76:
	s_and_saveexec_b32 s6, s0
	s_cbranch_execz .LBB680_78
; %bb.77:
	s_add_i32 s16, s11, 32
	s_mov_b32 s17, 0
	s_waitcnt vmcnt(0)
	v_add_co_u32 v5, vcc_lo, v3, v1
	s_lshl_b64 s[16:17], s[16:17], 4
	v_dual_mov_b32 v7, 2 :: v_dual_mov_b32 v8, 0
	s_add_u32 s16, s14, s16
	s_addc_u32 s17, s15, s17
	v_add_co_ci_u32_e32 v6, vcc_lo, v4, v2, vcc_lo
	v_dual_mov_b32 v15, s16 :: v_dual_mov_b32 v16, s17
	;;#ASMSTART
	global_store_dwordx4 v[15:16], v[5:8] off	
s_waitcnt vmcnt(0)
	;;#ASMEND
	ds_store_b128 v8, v[1:4]
.LBB680_78:
	s_or_b32 exec_lo, exec_lo, s6
	s_delay_alu instid0(SALU_CYCLE_1)
	s_and_b32 exec_lo, exec_lo, s2
	s_cbranch_execz .LBB680_80
; %bb.79:
	s_waitcnt vmcnt(0)
	v_mov_b32_e32 v1, 0
	global_store_b64 v1, v[3:4], s[8:9] offset:56
.LBB680_80:
	s_or_b32 exec_lo, exec_lo, s1
	s_waitcnt vmcnt(0)
	v_mov_b32_e32 v1, 0
	s_waitcnt lgkmcnt(0)
	s_waitcnt_vscnt null, 0x0
	s_barrier
	buffer_gl0_inv
	v_cndmask_b32_e64 v8, v23, v14, s0
	global_load_b64 v[6:7], v1, s[8:9] offset:56
	s_waitcnt vmcnt(0)
	s_barrier
	buffer_gl0_inv
	ds_load_b128 v[2:5], v1
	v_cndmask_b32_e64 v1, v22, v13, s0
	v_cndmask_b32_e64 v8, v8, 0, s2
	s_delay_alu instid0(VALU_DEP_2) | instskip(NEXT) | instid1(VALU_DEP_1)
	v_cndmask_b32_e64 v1, v1, 0, s2
	v_add_co_u32 v6, vcc_lo, v6, v1
	s_delay_alu instid0(VALU_DEP_3)
	v_add_co_ci_u32_e32 v7, vcc_lo, v7, v8, vcc_lo
.LBB680_81:
	s_waitcnt lgkmcnt(0)
	v_cmp_gt_u64_e32 vcc_lo, 0x101, v[2:3]
	s_mov_b32 s0, -1
	s_cbranch_vccnz .LBB680_111
.LBB680_82:
	s_and_not1_b32 vcc_lo, exec_lo, s0
	s_cbranch_vccz .LBB680_115
.LBB680_83:
	s_and_b32 s0, s2, s3
	s_delay_alu instid0(SALU_CYCLE_1)
	s_and_saveexec_b32 s1, s0
	s_cbranch_execnz .LBB680_121
.LBB680_84:
	s_nop 0
	s_sendmsg sendmsg(MSG_DEALLOC_VGPRS)
	s_endpgm
.LBB680_85:
                                        ; implicit-def: $vgpr4_vgpr5
                                        ; implicit-def: $vgpr6_vgpr7
	s_cbranch_execz .LBB680_81
; %bb.86:
	s_waitcnt lgkmcnt(0)
	v_dual_mov_b32 v4, 0 :: v_dual_and_b32 v5, 15, v20
	v_mov_b32_dpp v3, v21 row_shr:1 row_mask:0xf bank_mask:0xf
	v_dual_mov_b32 v1, v11 :: v_dual_mov_b32 v2, v12
	s_delay_alu instid0(VALU_DEP_3)
	v_mov_b32_dpp v6, v4 row_shr:1 row_mask:0xf bank_mask:0xf
	s_mov_b32 s0, exec_lo
	v_cmpx_ne_u32_e32 0, v5
; %bb.87:
	v_add_co_u32 v21, s1, v3, v11
	s_delay_alu instid0(VALU_DEP_1) | instskip(NEXT) | instid1(VALU_DEP_2)
	v_add_co_ci_u32_e64 v1, null, 0, 0, s1
	v_add_co_u32 v3, vcc_lo, 0, v21
	s_delay_alu instid0(VALU_DEP_2) | instskip(NEXT) | instid1(VALU_DEP_1)
	v_add_co_ci_u32_e32 v4, vcc_lo, v6, v1, vcc_lo
	v_dual_mov_b32 v1, v3 :: v_dual_mov_b32 v2, v4
; %bb.88:
	s_or_b32 exec_lo, exec_lo, s0
	v_mov_b32_dpp v3, v21 row_shr:2 row_mask:0xf bank_mask:0xf
	v_mov_b32_dpp v6, v4 row_shr:2 row_mask:0xf bank_mask:0xf
	s_mov_b32 s0, exec_lo
	v_cmpx_lt_u32_e32 1, v5
; %bb.89:
	s_delay_alu instid0(VALU_DEP_3) | instskip(SKIP_1) | instid1(VALU_DEP_2)
	v_add_co_u32 v21, vcc_lo, v1, v3
	v_add_co_ci_u32_e32 v1, vcc_lo, 0, v2, vcc_lo
	v_add_co_u32 v3, vcc_lo, 0, v21
	s_delay_alu instid0(VALU_DEP_2) | instskip(NEXT) | instid1(VALU_DEP_1)
	v_add_co_ci_u32_e32 v4, vcc_lo, v6, v1, vcc_lo
	v_dual_mov_b32 v1, v3 :: v_dual_mov_b32 v2, v4
; %bb.90:
	s_or_b32 exec_lo, exec_lo, s0
	v_mov_b32_dpp v3, v21 row_shr:4 row_mask:0xf bank_mask:0xf
	v_mov_b32_dpp v6, v4 row_shr:4 row_mask:0xf bank_mask:0xf
	s_mov_b32 s0, exec_lo
	v_cmpx_lt_u32_e32 3, v5
; %bb.91:
	s_delay_alu instid0(VALU_DEP_3) | instskip(SKIP_1) | instid1(VALU_DEP_2)
	v_add_co_u32 v21, vcc_lo, v1, v3
	v_add_co_ci_u32_e32 v1, vcc_lo, 0, v2, vcc_lo
	;; [unrolled: 14-line block ×3, first 2 shown]
	v_add_co_u32 v1, vcc_lo, 0, v21
	s_delay_alu instid0(VALU_DEP_2) | instskip(NEXT) | instid1(VALU_DEP_1)
	v_add_co_ci_u32_e32 v2, vcc_lo, v3, v2, vcc_lo
	v_mov_b32_e32 v4, v2
; %bb.94:
	s_or_b32 exec_lo, exec_lo, s0
	ds_swizzle_b32 v3, v21 offset:swizzle(BROADCAST,32,15)
	ds_swizzle_b32 v5, v4 offset:swizzle(BROADCAST,32,15)
	v_and_b32_e32 v6, 16, v20
	s_mov_b32 s0, exec_lo
	s_delay_alu instid0(VALU_DEP_1)
	v_cmpx_ne_u32_e32 0, v6
	s_cbranch_execz .LBB680_96
; %bb.95:
	s_waitcnt lgkmcnt(1)
	v_add_co_u32 v21, vcc_lo, v1, v3
	v_add_co_ci_u32_e32 v1, vcc_lo, 0, v2, vcc_lo
	s_delay_alu instid0(VALU_DEP_2) | instskip(SKIP_1) | instid1(VALU_DEP_2)
	v_add_co_u32 v3, vcc_lo, 0, v21
	s_waitcnt lgkmcnt(0)
	v_add_co_ci_u32_e32 v4, vcc_lo, v5, v1, vcc_lo
	s_delay_alu instid0(VALU_DEP_1)
	v_dual_mov_b32 v1, v3 :: v_dual_mov_b32 v2, v4
.LBB680_96:
	s_or_b32 exec_lo, exec_lo, s0
	s_waitcnt lgkmcnt(0)
	v_or_b32_e32 v5, 31, v0
	v_lshrrev_b32_e32 v3, 5, v0
	s_mov_b32 s0, exec_lo
	s_delay_alu instid0(VALU_DEP_2)
	v_cmpx_eq_u32_e64 v5, v0
	s_cbranch_execz .LBB680_98
; %bb.97:
	s_delay_alu instid0(VALU_DEP_2)
	v_lshlrev_b32_e32 v5, 3, v3
	global_store_b64 v5, v[1:2], s[8:9]
.LBB680_98:
	s_or_b32 exec_lo, exec_lo, s0
	s_delay_alu instid0(SALU_CYCLE_1)
	s_mov_b32 s0, exec_lo
	s_waitcnt_vscnt null, 0x0
	s_barrier
	buffer_gl0_inv
	v_cmpx_gt_u32_e32 8, v0
	s_cbranch_execz .LBB680_106
; %bb.99:
	v_lshlrev_b32_e32 v5, 3, v0
	v_and_b32_e32 v7, 7, v20
	s_mov_b32 s1, exec_lo
	global_load_b64 v[1:2], v5, s[8:9]
	s_waitcnt vmcnt(0)
	v_mov_b32_e32 v8, v1
	v_mov_b32_dpp v12, v1 row_shr:1 row_mask:0xf bank_mask:0xf
	v_mov_b32_dpp v6, v2 row_shr:1 row_mask:0xf bank_mask:0xf
	v_cmpx_ne_u32_e32 0, v7
; %bb.100:
	s_delay_alu instid0(VALU_DEP_3) | instskip(SKIP_1) | instid1(VALU_DEP_2)
	v_add_co_u32 v8, vcc_lo, v1, v12
	v_add_co_ci_u32_e32 v2, vcc_lo, 0, v2, vcc_lo
	v_add_co_u32 v1, vcc_lo, 0, v8
	s_delay_alu instid0(VALU_DEP_2)
	v_add_co_ci_u32_e32 v2, vcc_lo, v6, v2, vcc_lo
; %bb.101:
	s_or_b32 exec_lo, exec_lo, s1
	v_add_co_u32 v5, s1, s8, v5
	s_delay_alu instid0(VALU_DEP_1)
	v_add_co_ci_u32_e64 v6, null, s9, 0, s1
	v_mov_b32_dpp v13, v8 row_shr:2 row_mask:0xf bank_mask:0xf
	v_mov_b32_dpp v12, v2 row_shr:2 row_mask:0xf bank_mask:0xf
	s_mov_b32 s1, exec_lo
	v_cmpx_lt_u32_e32 1, v7
; %bb.102:
	s_delay_alu instid0(VALU_DEP_3) | instskip(SKIP_1) | instid1(VALU_DEP_2)
	v_add_co_u32 v8, vcc_lo, v1, v13
	v_add_co_ci_u32_e32 v2, vcc_lo, 0, v2, vcc_lo
	v_add_co_u32 v1, vcc_lo, 0, v8
	s_delay_alu instid0(VALU_DEP_2)
	v_add_co_ci_u32_e32 v2, vcc_lo, v12, v2, vcc_lo
; %bb.103:
	s_or_b32 exec_lo, exec_lo, s1
	v_mov_b32_dpp v12, v8 row_shr:4 row_mask:0xf bank_mask:0xf
	s_delay_alu instid0(VALU_DEP_2)
	v_mov_b32_dpp v8, v2 row_shr:4 row_mask:0xf bank_mask:0xf
	s_mov_b32 s1, exec_lo
	v_cmpx_lt_u32_e32 3, v7
; %bb.104:
	s_delay_alu instid0(VALU_DEP_3) | instskip(SKIP_1) | instid1(VALU_DEP_2)
	v_add_co_u32 v1, vcc_lo, v1, v12
	v_add_co_ci_u32_e32 v2, vcc_lo, 0, v2, vcc_lo
	v_add_co_u32 v1, vcc_lo, v1, 0
	s_delay_alu instid0(VALU_DEP_2)
	v_add_co_ci_u32_e32 v2, vcc_lo, v2, v8, vcc_lo
; %bb.105:
	s_or_b32 exec_lo, exec_lo, s1
	global_store_b64 v[5:6], v[1:2], off
.LBB680_106:
	s_or_b32 exec_lo, exec_lo, s0
	v_mov_b32_e32 v6, 0
	v_mov_b32_e32 v7, 0
	s_mov_b32 s0, exec_lo
	s_waitcnt_vscnt null, 0x0
	s_barrier
	buffer_gl0_inv
	v_cmpx_lt_u32_e32 31, v0
	s_cbranch_execz .LBB680_108
; %bb.107:
	v_dual_mov_b32 v2, 0 :: v_dual_add_nc_u32 v1, -1, v3
	s_delay_alu instid0(VALU_DEP_1) | instskip(NEXT) | instid1(VALU_DEP_1)
	v_lshlrev_b64 v[1:2], 3, v[1:2]
	v_add_co_u32 v1, vcc_lo, s8, v1
	s_delay_alu instid0(VALU_DEP_2)
	v_add_co_ci_u32_e32 v2, vcc_lo, s9, v2, vcc_lo
	global_load_b64 v[6:7], v[1:2], off
.LBB680_108:
	s_or_b32 exec_lo, exec_lo, s0
	v_add_nc_u32_e32 v1, -1, v20
	s_delay_alu instid0(VALU_DEP_1) | instskip(SKIP_1) | instid1(VALU_DEP_1)
	v_cmp_gt_i32_e32 vcc_lo, 0, v1
	v_cndmask_b32_e32 v1, v1, v20, vcc_lo
	v_dual_mov_b32 v5, 0 :: v_dual_lshlrev_b32 v8, 2, v1
	global_load_b64 v[2:3], v5, s[8:9] offset:56
	s_waitcnt vmcnt(1)
	v_add_co_u32 v1, vcc_lo, v21, v6
	v_add_co_ci_u32_e32 v4, vcc_lo, v4, v7, vcc_lo
	ds_bpermute_b32 v1, v8, v1
	ds_bpermute_b32 v8, v8, v4
	s_and_saveexec_b32 s0, s2
	s_cbranch_execz .LBB680_110
; %bb.109:
	s_add_u32 s6, s14, 0x200
	s_addc_u32 s7, s15, 0
	s_delay_alu instid0(SALU_CYCLE_1)
	v_dual_mov_b32 v4, 2 :: v_dual_mov_b32 v13, s7
	v_mov_b32_e32 v12, s6
	s_waitcnt vmcnt(0)
	;;#ASMSTART
	global_store_dwordx4 v[12:13], v[2:5] off	
s_waitcnt vmcnt(0)
	;;#ASMEND
.LBB680_110:
	s_or_b32 exec_lo, exec_lo, s0
	v_cmp_eq_u32_e32 vcc_lo, 0, v20
	s_waitcnt vmcnt(0) lgkmcnt(0)
	s_barrier
	buffer_gl0_inv
	v_dual_mov_b32 v4, 0 :: v_dual_cndmask_b32 v7, v8, v7
	v_dual_mov_b32 v5, 0 :: v_dual_cndmask_b32 v6, v1, v6
	v_cmp_gt_u64_e32 vcc_lo, 0x101, v[2:3]
	s_mov_b32 s0, -1
	s_cbranch_vccz .LBB680_82
.LBB680_111:
	v_add_co_u32 v12, vcc_lo, v4, v2
	v_add_co_ci_u32_e32 v13, vcc_lo, v5, v3, vcc_lo
	s_delay_alu instid0(VALU_DEP_1) | instskip(SKIP_1) | instid1(SALU_CYCLE_1)
	v_cmp_gt_u64_e32 vcc_lo, v[12:13], v[6:7]
	s_or_b32 s1, s10, vcc_lo
	s_and_saveexec_b32 s0, s1
	s_cbranch_execz .LBB680_114
; %bb.112:
	v_cmp_eq_u32_e32 vcc_lo, 1, v11
	s_and_b32 exec_lo, exec_lo, vcc_lo
	s_cbranch_execz .LBB680_114
; %bb.113:
	v_lshlrev_b64 v[12:13], 9, v[9:10]
	v_lshlrev_b64 v[7:8], 9, v[6:7]
	s_delay_alu instid0(VALU_DEP_2) | instskip(NEXT) | instid1(VALU_DEP_3)
	v_add_co_u32 v1, vcc_lo, s12, v12
	v_add_co_ci_u32_e32 v12, vcc_lo, s13, v13, vcc_lo
	s_delay_alu instid0(VALU_DEP_2) | instskip(NEXT) | instid1(VALU_DEP_2)
	v_add_co_u32 v7, vcc_lo, v1, v7
	v_add_co_ci_u32_e32 v8, vcc_lo, v12, v8, vcc_lo
	global_store_b8 v[7:8], v19, off
.LBB680_114:
	s_or_b32 exec_lo, exec_lo, s0
	s_cbranch_execnz .LBB680_83
.LBB680_115:
	s_mov_b32 s0, exec_lo
	v_cmpx_eq_u32_e32 1, v11
	s_cbranch_execz .LBB680_117
; %bb.116:
	v_sub_nc_u32_e32 v6, v6, v4
	v_mov_b32_e32 v7, 0
	s_delay_alu instid0(VALU_DEP_1) | instskip(NEXT) | instid1(VALU_DEP_1)
	v_lshlrev_b64 v[6:7], 9, v[6:7]
	v_add_co_u32 v6, vcc_lo, s8, v6
	s_delay_alu instid0(VALU_DEP_2)
	v_add_co_ci_u32_e32 v7, vcc_lo, s9, v7, vcc_lo
	global_store_b8 v[6:7], v19, off
.LBB680_117:
	s_or_b32 exec_lo, exec_lo, s0
	v_mov_b32_e32 v1, 0
	s_mov_b32 s1, exec_lo
	s_waitcnt_vscnt null, 0x0
	s_barrier
	buffer_gl0_inv
	v_cmpx_gt_u64_e64 v[2:3], v[0:1]
	s_cbranch_execz .LBB680_120
; %bb.118:
	v_lshlrev_b64 v[6:7], 9, v[4:5]
	v_lshlrev_b64 v[11:12], 9, v[9:10]
	s_mov_b32 s6, 0
	s_delay_alu instid0(VALU_DEP_2) | instskip(NEXT) | instid1(VALU_DEP_3)
	v_add_co_u32 v8, vcc_lo, s12, v6
	v_add_co_ci_u32_e32 v13, vcc_lo, s13, v7, vcc_lo
	v_dual_mov_b32 v7, v1 :: v_dual_mov_b32 v6, v0
	s_delay_alu instid0(VALU_DEP_3) | instskip(NEXT) | instid1(VALU_DEP_3)
	v_add_co_u32 v8, vcc_lo, v8, v11
	v_add_co_ci_u32_e32 v11, vcc_lo, v13, v12, vcc_lo
	v_or_b32_e32 v0, 0x100, v0
	.p2align	6
.LBB680_119:                            ; =>This Inner Loop Header: Depth=1
	s_delay_alu instid0(VALU_DEP_4) | instskip(NEXT) | instid1(VALU_DEP_1)
	v_lshlrev_b64 v[12:13], 9, v[6:7]
	v_add_co_u32 v6, vcc_lo, s8, v12
	s_delay_alu instid0(VALU_DEP_2) | instskip(NEXT) | instid1(VALU_DEP_4)
	v_add_co_ci_u32_e32 v7, vcc_lo, s9, v13, vcc_lo
	v_cmp_le_u64_e32 vcc_lo, v[2:3], v[0:1]
	v_add_co_u32 v12, s0, v8, v12
	global_load_u8 v14, v[6:7], off
	v_dual_mov_b32 v7, v1 :: v_dual_mov_b32 v6, v0
	v_add_co_ci_u32_e64 v13, s0, v11, v13, s0
	v_add_nc_u32_e32 v0, 0x100, v0
	s_or_b32 s6, vcc_lo, s6
	s_waitcnt vmcnt(0)
	global_store_b8 v[12:13], v14, off
	s_and_not1_b32 exec_lo, exec_lo, s6
	s_cbranch_execnz .LBB680_119
.LBB680_120:
	s_or_b32 exec_lo, exec_lo, s1
	s_and_b32 s0, s2, s3
	s_delay_alu instid0(SALU_CYCLE_1)
	s_and_saveexec_b32 s1, s0
	s_cbranch_execz .LBB680_84
.LBB680_121:
	v_add_co_u32 v0, vcc_lo, v4, v2
	v_add_co_ci_u32_e32 v1, vcc_lo, v5, v3, vcc_lo
	v_mov_b32_e32 v2, 0
	s_delay_alu instid0(VALU_DEP_3) | instskip(NEXT) | instid1(VALU_DEP_3)
	v_add_co_u32 v0, vcc_lo, v0, v9
	v_add_co_ci_u32_e32 v1, vcc_lo, v1, v10, vcc_lo
	global_store_b64 v2, v[0:1], s[4:5]
	s_nop 0
	s_sendmsg sendmsg(MSG_DEALLOC_VGPRS)
	s_endpgm
	.section	.rodata,"a",@progbits
	.p2align	6, 0x0
	.amdhsa_kernel _ZN7rocprim17ROCPRIM_400000_NS6detail17trampoline_kernelINS0_14default_configENS1_25partition_config_selectorILNS1_17partition_subalgoE5E10large_dataNS0_10empty_typeEbEEZZNS1_14partition_implILS5_5ELb0ES3_mN6thrust23THRUST_200600_302600_NS6detail15normal_iteratorINSB_10device_ptrIS6_EEEEPS7_NSB_18transform_iteratorI7is_evenIS6_ESG_NSB_11use_defaultESL_EENS0_5tupleIJSG_S7_EEENSN_IJSH_SH_EEES7_PlJS7_EEE10hipError_tPvRmT3_T4_T5_T6_T7_T9_mT8_P12ihipStream_tbDpT10_ENKUlT_T0_E_clISt17integral_constantIbLb0EES19_IbLb1EEEEDaS15_S16_EUlS15_E_NS1_11comp_targetILNS1_3genE9ELNS1_11target_archE1100ELNS1_3gpuE3ELNS1_3repE0EEENS1_30default_config_static_selectorELNS0_4arch9wavefront6targetE0EEEvT1_
		.amdhsa_group_segment_fixed_size 16
		.amdhsa_private_segment_fixed_size 0
		.amdhsa_kernarg_size 136
		.amdhsa_user_sgpr_count 15
		.amdhsa_user_sgpr_dispatch_ptr 0
		.amdhsa_user_sgpr_queue_ptr 0
		.amdhsa_user_sgpr_kernarg_segment_ptr 1
		.amdhsa_user_sgpr_dispatch_id 0
		.amdhsa_user_sgpr_private_segment_size 0
		.amdhsa_wavefront_size32 1
		.amdhsa_uses_dynamic_stack 0
		.amdhsa_enable_private_segment 0
		.amdhsa_system_sgpr_workgroup_id_x 1
		.amdhsa_system_sgpr_workgroup_id_y 0
		.amdhsa_system_sgpr_workgroup_id_z 0
		.amdhsa_system_sgpr_workgroup_info 0
		.amdhsa_system_vgpr_workitem_id 0
		.amdhsa_next_free_vgpr 36
		.amdhsa_next_free_sgpr 26
		.amdhsa_reserve_vcc 1
		.amdhsa_float_round_mode_32 0
		.amdhsa_float_round_mode_16_64 0
		.amdhsa_float_denorm_mode_32 3
		.amdhsa_float_denorm_mode_16_64 3
		.amdhsa_dx10_clamp 1
		.amdhsa_ieee_mode 1
		.amdhsa_fp16_overflow 0
		.amdhsa_workgroup_processor_mode 1
		.amdhsa_memory_ordered 1
		.amdhsa_forward_progress 0
		.amdhsa_shared_vgpr_count 0
		.amdhsa_exception_fp_ieee_invalid_op 0
		.amdhsa_exception_fp_denorm_src 0
		.amdhsa_exception_fp_ieee_div_zero 0
		.amdhsa_exception_fp_ieee_overflow 0
		.amdhsa_exception_fp_ieee_underflow 0
		.amdhsa_exception_fp_ieee_inexact 0
		.amdhsa_exception_int_div_zero 0
	.end_amdhsa_kernel
	.section	.text._ZN7rocprim17ROCPRIM_400000_NS6detail17trampoline_kernelINS0_14default_configENS1_25partition_config_selectorILNS1_17partition_subalgoE5E10large_dataNS0_10empty_typeEbEEZZNS1_14partition_implILS5_5ELb0ES3_mN6thrust23THRUST_200600_302600_NS6detail15normal_iteratorINSB_10device_ptrIS6_EEEEPS7_NSB_18transform_iteratorI7is_evenIS6_ESG_NSB_11use_defaultESL_EENS0_5tupleIJSG_S7_EEENSN_IJSH_SH_EEES7_PlJS7_EEE10hipError_tPvRmT3_T4_T5_T6_T7_T9_mT8_P12ihipStream_tbDpT10_ENKUlT_T0_E_clISt17integral_constantIbLb0EES19_IbLb1EEEEDaS15_S16_EUlS15_E_NS1_11comp_targetILNS1_3genE9ELNS1_11target_archE1100ELNS1_3gpuE3ELNS1_3repE0EEENS1_30default_config_static_selectorELNS0_4arch9wavefront6targetE0EEEvT1_,"axG",@progbits,_ZN7rocprim17ROCPRIM_400000_NS6detail17trampoline_kernelINS0_14default_configENS1_25partition_config_selectorILNS1_17partition_subalgoE5E10large_dataNS0_10empty_typeEbEEZZNS1_14partition_implILS5_5ELb0ES3_mN6thrust23THRUST_200600_302600_NS6detail15normal_iteratorINSB_10device_ptrIS6_EEEEPS7_NSB_18transform_iteratorI7is_evenIS6_ESG_NSB_11use_defaultESL_EENS0_5tupleIJSG_S7_EEENSN_IJSH_SH_EEES7_PlJS7_EEE10hipError_tPvRmT3_T4_T5_T6_T7_T9_mT8_P12ihipStream_tbDpT10_ENKUlT_T0_E_clISt17integral_constantIbLb0EES19_IbLb1EEEEDaS15_S16_EUlS15_E_NS1_11comp_targetILNS1_3genE9ELNS1_11target_archE1100ELNS1_3gpuE3ELNS1_3repE0EEENS1_30default_config_static_selectorELNS0_4arch9wavefront6targetE0EEEvT1_,comdat
.Lfunc_end680:
	.size	_ZN7rocprim17ROCPRIM_400000_NS6detail17trampoline_kernelINS0_14default_configENS1_25partition_config_selectorILNS1_17partition_subalgoE5E10large_dataNS0_10empty_typeEbEEZZNS1_14partition_implILS5_5ELb0ES3_mN6thrust23THRUST_200600_302600_NS6detail15normal_iteratorINSB_10device_ptrIS6_EEEEPS7_NSB_18transform_iteratorI7is_evenIS6_ESG_NSB_11use_defaultESL_EENS0_5tupleIJSG_S7_EEENSN_IJSH_SH_EEES7_PlJS7_EEE10hipError_tPvRmT3_T4_T5_T6_T7_T9_mT8_P12ihipStream_tbDpT10_ENKUlT_T0_E_clISt17integral_constantIbLb0EES19_IbLb1EEEEDaS15_S16_EUlS15_E_NS1_11comp_targetILNS1_3genE9ELNS1_11target_archE1100ELNS1_3gpuE3ELNS1_3repE0EEENS1_30default_config_static_selectorELNS0_4arch9wavefront6targetE0EEEvT1_, .Lfunc_end680-_ZN7rocprim17ROCPRIM_400000_NS6detail17trampoline_kernelINS0_14default_configENS1_25partition_config_selectorILNS1_17partition_subalgoE5E10large_dataNS0_10empty_typeEbEEZZNS1_14partition_implILS5_5ELb0ES3_mN6thrust23THRUST_200600_302600_NS6detail15normal_iteratorINSB_10device_ptrIS6_EEEEPS7_NSB_18transform_iteratorI7is_evenIS6_ESG_NSB_11use_defaultESL_EENS0_5tupleIJSG_S7_EEENSN_IJSH_SH_EEES7_PlJS7_EEE10hipError_tPvRmT3_T4_T5_T6_T7_T9_mT8_P12ihipStream_tbDpT10_ENKUlT_T0_E_clISt17integral_constantIbLb0EES19_IbLb1EEEEDaS15_S16_EUlS15_E_NS1_11comp_targetILNS1_3genE9ELNS1_11target_archE1100ELNS1_3gpuE3ELNS1_3repE0EEENS1_30default_config_static_selectorELNS0_4arch9wavefront6targetE0EEEvT1_
                                        ; -- End function
	.section	.AMDGPU.csdata,"",@progbits
; Kernel info:
; codeLenInByte = 5260
; NumSgprs: 28
; NumVgprs: 36
; ScratchSize: 0
; MemoryBound: 0
; FloatMode: 240
; IeeeMode: 1
; LDSByteSize: 16 bytes/workgroup (compile time only)
; SGPRBlocks: 3
; VGPRBlocks: 4
; NumSGPRsForWavesPerEU: 28
; NumVGPRsForWavesPerEU: 36
; Occupancy: 16
; WaveLimiterHint : 1
; COMPUTE_PGM_RSRC2:SCRATCH_EN: 0
; COMPUTE_PGM_RSRC2:USER_SGPR: 15
; COMPUTE_PGM_RSRC2:TRAP_HANDLER: 0
; COMPUTE_PGM_RSRC2:TGID_X_EN: 1
; COMPUTE_PGM_RSRC2:TGID_Y_EN: 0
; COMPUTE_PGM_RSRC2:TGID_Z_EN: 0
; COMPUTE_PGM_RSRC2:TIDIG_COMP_CNT: 0
	.section	.text._ZN7rocprim17ROCPRIM_400000_NS6detail17trampoline_kernelINS0_14default_configENS1_25partition_config_selectorILNS1_17partition_subalgoE5E10large_dataNS0_10empty_typeEbEEZZNS1_14partition_implILS5_5ELb0ES3_mN6thrust23THRUST_200600_302600_NS6detail15normal_iteratorINSB_10device_ptrIS6_EEEEPS7_NSB_18transform_iteratorI7is_evenIS6_ESG_NSB_11use_defaultESL_EENS0_5tupleIJSG_S7_EEENSN_IJSH_SH_EEES7_PlJS7_EEE10hipError_tPvRmT3_T4_T5_T6_T7_T9_mT8_P12ihipStream_tbDpT10_ENKUlT_T0_E_clISt17integral_constantIbLb0EES19_IbLb1EEEEDaS15_S16_EUlS15_E_NS1_11comp_targetILNS1_3genE8ELNS1_11target_archE1030ELNS1_3gpuE2ELNS1_3repE0EEENS1_30default_config_static_selectorELNS0_4arch9wavefront6targetE0EEEvT1_,"axG",@progbits,_ZN7rocprim17ROCPRIM_400000_NS6detail17trampoline_kernelINS0_14default_configENS1_25partition_config_selectorILNS1_17partition_subalgoE5E10large_dataNS0_10empty_typeEbEEZZNS1_14partition_implILS5_5ELb0ES3_mN6thrust23THRUST_200600_302600_NS6detail15normal_iteratorINSB_10device_ptrIS6_EEEEPS7_NSB_18transform_iteratorI7is_evenIS6_ESG_NSB_11use_defaultESL_EENS0_5tupleIJSG_S7_EEENSN_IJSH_SH_EEES7_PlJS7_EEE10hipError_tPvRmT3_T4_T5_T6_T7_T9_mT8_P12ihipStream_tbDpT10_ENKUlT_T0_E_clISt17integral_constantIbLb0EES19_IbLb1EEEEDaS15_S16_EUlS15_E_NS1_11comp_targetILNS1_3genE8ELNS1_11target_archE1030ELNS1_3gpuE2ELNS1_3repE0EEENS1_30default_config_static_selectorELNS0_4arch9wavefront6targetE0EEEvT1_,comdat
	.protected	_ZN7rocprim17ROCPRIM_400000_NS6detail17trampoline_kernelINS0_14default_configENS1_25partition_config_selectorILNS1_17partition_subalgoE5E10large_dataNS0_10empty_typeEbEEZZNS1_14partition_implILS5_5ELb0ES3_mN6thrust23THRUST_200600_302600_NS6detail15normal_iteratorINSB_10device_ptrIS6_EEEEPS7_NSB_18transform_iteratorI7is_evenIS6_ESG_NSB_11use_defaultESL_EENS0_5tupleIJSG_S7_EEENSN_IJSH_SH_EEES7_PlJS7_EEE10hipError_tPvRmT3_T4_T5_T6_T7_T9_mT8_P12ihipStream_tbDpT10_ENKUlT_T0_E_clISt17integral_constantIbLb0EES19_IbLb1EEEEDaS15_S16_EUlS15_E_NS1_11comp_targetILNS1_3genE8ELNS1_11target_archE1030ELNS1_3gpuE2ELNS1_3repE0EEENS1_30default_config_static_selectorELNS0_4arch9wavefront6targetE0EEEvT1_ ; -- Begin function _ZN7rocprim17ROCPRIM_400000_NS6detail17trampoline_kernelINS0_14default_configENS1_25partition_config_selectorILNS1_17partition_subalgoE5E10large_dataNS0_10empty_typeEbEEZZNS1_14partition_implILS5_5ELb0ES3_mN6thrust23THRUST_200600_302600_NS6detail15normal_iteratorINSB_10device_ptrIS6_EEEEPS7_NSB_18transform_iteratorI7is_evenIS6_ESG_NSB_11use_defaultESL_EENS0_5tupleIJSG_S7_EEENSN_IJSH_SH_EEES7_PlJS7_EEE10hipError_tPvRmT3_T4_T5_T6_T7_T9_mT8_P12ihipStream_tbDpT10_ENKUlT_T0_E_clISt17integral_constantIbLb0EES19_IbLb1EEEEDaS15_S16_EUlS15_E_NS1_11comp_targetILNS1_3genE8ELNS1_11target_archE1030ELNS1_3gpuE2ELNS1_3repE0EEENS1_30default_config_static_selectorELNS0_4arch9wavefront6targetE0EEEvT1_
	.globl	_ZN7rocprim17ROCPRIM_400000_NS6detail17trampoline_kernelINS0_14default_configENS1_25partition_config_selectorILNS1_17partition_subalgoE5E10large_dataNS0_10empty_typeEbEEZZNS1_14partition_implILS5_5ELb0ES3_mN6thrust23THRUST_200600_302600_NS6detail15normal_iteratorINSB_10device_ptrIS6_EEEEPS7_NSB_18transform_iteratorI7is_evenIS6_ESG_NSB_11use_defaultESL_EENS0_5tupleIJSG_S7_EEENSN_IJSH_SH_EEES7_PlJS7_EEE10hipError_tPvRmT3_T4_T5_T6_T7_T9_mT8_P12ihipStream_tbDpT10_ENKUlT_T0_E_clISt17integral_constantIbLb0EES19_IbLb1EEEEDaS15_S16_EUlS15_E_NS1_11comp_targetILNS1_3genE8ELNS1_11target_archE1030ELNS1_3gpuE2ELNS1_3repE0EEENS1_30default_config_static_selectorELNS0_4arch9wavefront6targetE0EEEvT1_
	.p2align	8
	.type	_ZN7rocprim17ROCPRIM_400000_NS6detail17trampoline_kernelINS0_14default_configENS1_25partition_config_selectorILNS1_17partition_subalgoE5E10large_dataNS0_10empty_typeEbEEZZNS1_14partition_implILS5_5ELb0ES3_mN6thrust23THRUST_200600_302600_NS6detail15normal_iteratorINSB_10device_ptrIS6_EEEEPS7_NSB_18transform_iteratorI7is_evenIS6_ESG_NSB_11use_defaultESL_EENS0_5tupleIJSG_S7_EEENSN_IJSH_SH_EEES7_PlJS7_EEE10hipError_tPvRmT3_T4_T5_T6_T7_T9_mT8_P12ihipStream_tbDpT10_ENKUlT_T0_E_clISt17integral_constantIbLb0EES19_IbLb1EEEEDaS15_S16_EUlS15_E_NS1_11comp_targetILNS1_3genE8ELNS1_11target_archE1030ELNS1_3gpuE2ELNS1_3repE0EEENS1_30default_config_static_selectorELNS0_4arch9wavefront6targetE0EEEvT1_,@function
_ZN7rocprim17ROCPRIM_400000_NS6detail17trampoline_kernelINS0_14default_configENS1_25partition_config_selectorILNS1_17partition_subalgoE5E10large_dataNS0_10empty_typeEbEEZZNS1_14partition_implILS5_5ELb0ES3_mN6thrust23THRUST_200600_302600_NS6detail15normal_iteratorINSB_10device_ptrIS6_EEEEPS7_NSB_18transform_iteratorI7is_evenIS6_ESG_NSB_11use_defaultESL_EENS0_5tupleIJSG_S7_EEENSN_IJSH_SH_EEES7_PlJS7_EEE10hipError_tPvRmT3_T4_T5_T6_T7_T9_mT8_P12ihipStream_tbDpT10_ENKUlT_T0_E_clISt17integral_constantIbLb0EES19_IbLb1EEEEDaS15_S16_EUlS15_E_NS1_11comp_targetILNS1_3genE8ELNS1_11target_archE1030ELNS1_3gpuE2ELNS1_3repE0EEENS1_30default_config_static_selectorELNS0_4arch9wavefront6targetE0EEEvT1_: ; @_ZN7rocprim17ROCPRIM_400000_NS6detail17trampoline_kernelINS0_14default_configENS1_25partition_config_selectorILNS1_17partition_subalgoE5E10large_dataNS0_10empty_typeEbEEZZNS1_14partition_implILS5_5ELb0ES3_mN6thrust23THRUST_200600_302600_NS6detail15normal_iteratorINSB_10device_ptrIS6_EEEEPS7_NSB_18transform_iteratorI7is_evenIS6_ESG_NSB_11use_defaultESL_EENS0_5tupleIJSG_S7_EEENSN_IJSH_SH_EEES7_PlJS7_EEE10hipError_tPvRmT3_T4_T5_T6_T7_T9_mT8_P12ihipStream_tbDpT10_ENKUlT_T0_E_clISt17integral_constantIbLb0EES19_IbLb1EEEEDaS15_S16_EUlS15_E_NS1_11comp_targetILNS1_3genE8ELNS1_11target_archE1030ELNS1_3gpuE2ELNS1_3repE0EEENS1_30default_config_static_selectorELNS0_4arch9wavefront6targetE0EEEvT1_
; %bb.0:
	.section	.rodata,"a",@progbits
	.p2align	6, 0x0
	.amdhsa_kernel _ZN7rocprim17ROCPRIM_400000_NS6detail17trampoline_kernelINS0_14default_configENS1_25partition_config_selectorILNS1_17partition_subalgoE5E10large_dataNS0_10empty_typeEbEEZZNS1_14partition_implILS5_5ELb0ES3_mN6thrust23THRUST_200600_302600_NS6detail15normal_iteratorINSB_10device_ptrIS6_EEEEPS7_NSB_18transform_iteratorI7is_evenIS6_ESG_NSB_11use_defaultESL_EENS0_5tupleIJSG_S7_EEENSN_IJSH_SH_EEES7_PlJS7_EEE10hipError_tPvRmT3_T4_T5_T6_T7_T9_mT8_P12ihipStream_tbDpT10_ENKUlT_T0_E_clISt17integral_constantIbLb0EES19_IbLb1EEEEDaS15_S16_EUlS15_E_NS1_11comp_targetILNS1_3genE8ELNS1_11target_archE1030ELNS1_3gpuE2ELNS1_3repE0EEENS1_30default_config_static_selectorELNS0_4arch9wavefront6targetE0EEEvT1_
		.amdhsa_group_segment_fixed_size 0
		.amdhsa_private_segment_fixed_size 0
		.amdhsa_kernarg_size 136
		.amdhsa_user_sgpr_count 15
		.amdhsa_user_sgpr_dispatch_ptr 0
		.amdhsa_user_sgpr_queue_ptr 0
		.amdhsa_user_sgpr_kernarg_segment_ptr 1
		.amdhsa_user_sgpr_dispatch_id 0
		.amdhsa_user_sgpr_private_segment_size 0
		.amdhsa_wavefront_size32 1
		.amdhsa_uses_dynamic_stack 0
		.amdhsa_enable_private_segment 0
		.amdhsa_system_sgpr_workgroup_id_x 1
		.amdhsa_system_sgpr_workgroup_id_y 0
		.amdhsa_system_sgpr_workgroup_id_z 0
		.amdhsa_system_sgpr_workgroup_info 0
		.amdhsa_system_vgpr_workitem_id 0
		.amdhsa_next_free_vgpr 1
		.amdhsa_next_free_sgpr 1
		.amdhsa_reserve_vcc 0
		.amdhsa_float_round_mode_32 0
		.amdhsa_float_round_mode_16_64 0
		.amdhsa_float_denorm_mode_32 3
		.amdhsa_float_denorm_mode_16_64 3
		.amdhsa_dx10_clamp 1
		.amdhsa_ieee_mode 1
		.amdhsa_fp16_overflow 0
		.amdhsa_workgroup_processor_mode 1
		.amdhsa_memory_ordered 1
		.amdhsa_forward_progress 0
		.amdhsa_shared_vgpr_count 0
		.amdhsa_exception_fp_ieee_invalid_op 0
		.amdhsa_exception_fp_denorm_src 0
		.amdhsa_exception_fp_ieee_div_zero 0
		.amdhsa_exception_fp_ieee_overflow 0
		.amdhsa_exception_fp_ieee_underflow 0
		.amdhsa_exception_fp_ieee_inexact 0
		.amdhsa_exception_int_div_zero 0
	.end_amdhsa_kernel
	.section	.text._ZN7rocprim17ROCPRIM_400000_NS6detail17trampoline_kernelINS0_14default_configENS1_25partition_config_selectorILNS1_17partition_subalgoE5E10large_dataNS0_10empty_typeEbEEZZNS1_14partition_implILS5_5ELb0ES3_mN6thrust23THRUST_200600_302600_NS6detail15normal_iteratorINSB_10device_ptrIS6_EEEEPS7_NSB_18transform_iteratorI7is_evenIS6_ESG_NSB_11use_defaultESL_EENS0_5tupleIJSG_S7_EEENSN_IJSH_SH_EEES7_PlJS7_EEE10hipError_tPvRmT3_T4_T5_T6_T7_T9_mT8_P12ihipStream_tbDpT10_ENKUlT_T0_E_clISt17integral_constantIbLb0EES19_IbLb1EEEEDaS15_S16_EUlS15_E_NS1_11comp_targetILNS1_3genE8ELNS1_11target_archE1030ELNS1_3gpuE2ELNS1_3repE0EEENS1_30default_config_static_selectorELNS0_4arch9wavefront6targetE0EEEvT1_,"axG",@progbits,_ZN7rocprim17ROCPRIM_400000_NS6detail17trampoline_kernelINS0_14default_configENS1_25partition_config_selectorILNS1_17partition_subalgoE5E10large_dataNS0_10empty_typeEbEEZZNS1_14partition_implILS5_5ELb0ES3_mN6thrust23THRUST_200600_302600_NS6detail15normal_iteratorINSB_10device_ptrIS6_EEEEPS7_NSB_18transform_iteratorI7is_evenIS6_ESG_NSB_11use_defaultESL_EENS0_5tupleIJSG_S7_EEENSN_IJSH_SH_EEES7_PlJS7_EEE10hipError_tPvRmT3_T4_T5_T6_T7_T9_mT8_P12ihipStream_tbDpT10_ENKUlT_T0_E_clISt17integral_constantIbLb0EES19_IbLb1EEEEDaS15_S16_EUlS15_E_NS1_11comp_targetILNS1_3genE8ELNS1_11target_archE1030ELNS1_3gpuE2ELNS1_3repE0EEENS1_30default_config_static_selectorELNS0_4arch9wavefront6targetE0EEEvT1_,comdat
.Lfunc_end681:
	.size	_ZN7rocprim17ROCPRIM_400000_NS6detail17trampoline_kernelINS0_14default_configENS1_25partition_config_selectorILNS1_17partition_subalgoE5E10large_dataNS0_10empty_typeEbEEZZNS1_14partition_implILS5_5ELb0ES3_mN6thrust23THRUST_200600_302600_NS6detail15normal_iteratorINSB_10device_ptrIS6_EEEEPS7_NSB_18transform_iteratorI7is_evenIS6_ESG_NSB_11use_defaultESL_EENS0_5tupleIJSG_S7_EEENSN_IJSH_SH_EEES7_PlJS7_EEE10hipError_tPvRmT3_T4_T5_T6_T7_T9_mT8_P12ihipStream_tbDpT10_ENKUlT_T0_E_clISt17integral_constantIbLb0EES19_IbLb1EEEEDaS15_S16_EUlS15_E_NS1_11comp_targetILNS1_3genE8ELNS1_11target_archE1030ELNS1_3gpuE2ELNS1_3repE0EEENS1_30default_config_static_selectorELNS0_4arch9wavefront6targetE0EEEvT1_, .Lfunc_end681-_ZN7rocprim17ROCPRIM_400000_NS6detail17trampoline_kernelINS0_14default_configENS1_25partition_config_selectorILNS1_17partition_subalgoE5E10large_dataNS0_10empty_typeEbEEZZNS1_14partition_implILS5_5ELb0ES3_mN6thrust23THRUST_200600_302600_NS6detail15normal_iteratorINSB_10device_ptrIS6_EEEEPS7_NSB_18transform_iteratorI7is_evenIS6_ESG_NSB_11use_defaultESL_EENS0_5tupleIJSG_S7_EEENSN_IJSH_SH_EEES7_PlJS7_EEE10hipError_tPvRmT3_T4_T5_T6_T7_T9_mT8_P12ihipStream_tbDpT10_ENKUlT_T0_E_clISt17integral_constantIbLb0EES19_IbLb1EEEEDaS15_S16_EUlS15_E_NS1_11comp_targetILNS1_3genE8ELNS1_11target_archE1030ELNS1_3gpuE2ELNS1_3repE0EEENS1_30default_config_static_selectorELNS0_4arch9wavefront6targetE0EEEvT1_
                                        ; -- End function
	.section	.AMDGPU.csdata,"",@progbits
; Kernel info:
; codeLenInByte = 0
; NumSgprs: 0
; NumVgprs: 0
; ScratchSize: 0
; MemoryBound: 0
; FloatMode: 240
; IeeeMode: 1
; LDSByteSize: 0 bytes/workgroup (compile time only)
; SGPRBlocks: 0
; VGPRBlocks: 0
; NumSGPRsForWavesPerEU: 1
; NumVGPRsForWavesPerEU: 1
; Occupancy: 16
; WaveLimiterHint : 0
; COMPUTE_PGM_RSRC2:SCRATCH_EN: 0
; COMPUTE_PGM_RSRC2:USER_SGPR: 15
; COMPUTE_PGM_RSRC2:TRAP_HANDLER: 0
; COMPUTE_PGM_RSRC2:TGID_X_EN: 1
; COMPUTE_PGM_RSRC2:TGID_Y_EN: 0
; COMPUTE_PGM_RSRC2:TGID_Z_EN: 0
; COMPUTE_PGM_RSRC2:TIDIG_COMP_CNT: 0
	.section	.text._ZN6thrust23THRUST_200600_302600_NS11hip_rocprim14__parallel_for6kernelILj256ENS1_10for_each_fINS0_12zip_iteratorINS0_5tupleINS0_6detail15normal_iteratorINS0_10device_ptrI10large_dataEEEENS0_7pointerISA_NS1_3tagENS0_11use_defaultESF_EENS0_9null_typeESH_SH_SH_SH_SH_SH_SH_EEEENS7_16wrapped_functionINS7_23allocator_traits_detail29copy_construct_with_allocatorINS7_18no_throw_allocatorINS7_19temporary_allocatorISA_SE_EEEESA_SA_EEvEEEElLj1EEEvT0_T1_SV_,"axG",@progbits,_ZN6thrust23THRUST_200600_302600_NS11hip_rocprim14__parallel_for6kernelILj256ENS1_10for_each_fINS0_12zip_iteratorINS0_5tupleINS0_6detail15normal_iteratorINS0_10device_ptrI10large_dataEEEENS0_7pointerISA_NS1_3tagENS0_11use_defaultESF_EENS0_9null_typeESH_SH_SH_SH_SH_SH_SH_EEEENS7_16wrapped_functionINS7_23allocator_traits_detail29copy_construct_with_allocatorINS7_18no_throw_allocatorINS7_19temporary_allocatorISA_SE_EEEESA_SA_EEvEEEElLj1EEEvT0_T1_SV_,comdat
	.protected	_ZN6thrust23THRUST_200600_302600_NS11hip_rocprim14__parallel_for6kernelILj256ENS1_10for_each_fINS0_12zip_iteratorINS0_5tupleINS0_6detail15normal_iteratorINS0_10device_ptrI10large_dataEEEENS0_7pointerISA_NS1_3tagENS0_11use_defaultESF_EENS0_9null_typeESH_SH_SH_SH_SH_SH_SH_EEEENS7_16wrapped_functionINS7_23allocator_traits_detail29copy_construct_with_allocatorINS7_18no_throw_allocatorINS7_19temporary_allocatorISA_SE_EEEESA_SA_EEvEEEElLj1EEEvT0_T1_SV_ ; -- Begin function _ZN6thrust23THRUST_200600_302600_NS11hip_rocprim14__parallel_for6kernelILj256ENS1_10for_each_fINS0_12zip_iteratorINS0_5tupleINS0_6detail15normal_iteratorINS0_10device_ptrI10large_dataEEEENS0_7pointerISA_NS1_3tagENS0_11use_defaultESF_EENS0_9null_typeESH_SH_SH_SH_SH_SH_SH_EEEENS7_16wrapped_functionINS7_23allocator_traits_detail29copy_construct_with_allocatorINS7_18no_throw_allocatorINS7_19temporary_allocatorISA_SE_EEEESA_SA_EEvEEEElLj1EEEvT0_T1_SV_
	.globl	_ZN6thrust23THRUST_200600_302600_NS11hip_rocprim14__parallel_for6kernelILj256ENS1_10for_each_fINS0_12zip_iteratorINS0_5tupleINS0_6detail15normal_iteratorINS0_10device_ptrI10large_dataEEEENS0_7pointerISA_NS1_3tagENS0_11use_defaultESF_EENS0_9null_typeESH_SH_SH_SH_SH_SH_SH_EEEENS7_16wrapped_functionINS7_23allocator_traits_detail29copy_construct_with_allocatorINS7_18no_throw_allocatorINS7_19temporary_allocatorISA_SE_EEEESA_SA_EEvEEEElLj1EEEvT0_T1_SV_
	.p2align	8
	.type	_ZN6thrust23THRUST_200600_302600_NS11hip_rocprim14__parallel_for6kernelILj256ENS1_10for_each_fINS0_12zip_iteratorINS0_5tupleINS0_6detail15normal_iteratorINS0_10device_ptrI10large_dataEEEENS0_7pointerISA_NS1_3tagENS0_11use_defaultESF_EENS0_9null_typeESH_SH_SH_SH_SH_SH_SH_EEEENS7_16wrapped_functionINS7_23allocator_traits_detail29copy_construct_with_allocatorINS7_18no_throw_allocatorINS7_19temporary_allocatorISA_SE_EEEESA_SA_EEvEEEElLj1EEEvT0_T1_SV_,@function
_ZN6thrust23THRUST_200600_302600_NS11hip_rocprim14__parallel_for6kernelILj256ENS1_10for_each_fINS0_12zip_iteratorINS0_5tupleINS0_6detail15normal_iteratorINS0_10device_ptrI10large_dataEEEENS0_7pointerISA_NS1_3tagENS0_11use_defaultESF_EENS0_9null_typeESH_SH_SH_SH_SH_SH_SH_EEEENS7_16wrapped_functionINS7_23allocator_traits_detail29copy_construct_with_allocatorINS7_18no_throw_allocatorINS7_19temporary_allocatorISA_SE_EEEESA_SA_EEvEEEElLj1EEEvT0_T1_SV_: ; @_ZN6thrust23THRUST_200600_302600_NS11hip_rocprim14__parallel_for6kernelILj256ENS1_10for_each_fINS0_12zip_iteratorINS0_5tupleINS0_6detail15normal_iteratorINS0_10device_ptrI10large_dataEEEENS0_7pointerISA_NS1_3tagENS0_11use_defaultESF_EENS0_9null_typeESH_SH_SH_SH_SH_SH_SH_EEEENS7_16wrapped_functionINS7_23allocator_traits_detail29copy_construct_with_allocatorINS7_18no_throw_allocatorINS7_19temporary_allocatorISA_SE_EEEESA_SA_EEvEEEElLj1EEEvT0_T1_SV_
; %bb.0:
	s_load_b128 s[4:7], s[0:1], 0x18
	s_lshl_b32 s2, s15, 8
	s_waitcnt lgkmcnt(0)
	s_add_u32 s2, s2, s6
	s_addc_u32 s3, 0, s7
	s_sub_u32 s4, s4, s2
	s_subb_u32 s5, s5, s3
	s_delay_alu instid0(SALU_CYCLE_1) | instskip(NEXT) | instid1(VALU_DEP_1)
	v_cmp_gt_i64_e64 s5, 0x100, s[4:5]
	s_and_b32 s5, s5, exec_lo
	s_cselect_b32 s4, s4, 0x100
	s_delay_alu instid0(SALU_CYCLE_1) | instskip(SKIP_2) | instid1(SALU_CYCLE_1)
	v_cmp_gt_u32_e32 vcc_lo, s4, v0
	s_cmpk_eq_i32 s4, 0x100
	s_cselect_b32 s4, -1, 0
	s_or_b32 s4, s4, vcc_lo
	s_delay_alu instid0(SALU_CYCLE_1)
	s_and_saveexec_b32 s5, s4
	s_cbranch_execz .LBB682_2
; %bb.1:
	s_load_b128 s[4:7], s[0:1], 0x0
	v_add_co_u32 v0, s0, s2, v0
	s_delay_alu instid0(VALU_DEP_1) | instskip(NEXT) | instid1(VALU_DEP_1)
	v_add_co_ci_u32_e64 v1, null, s3, 0, s0
	v_lshlrev_b64 v[0:1], 9, v[0:1]
	s_waitcnt lgkmcnt(0)
	s_delay_alu instid0(VALU_DEP_1) | instskip(NEXT) | instid1(VALU_DEP_2)
	v_add_co_u32 v2, vcc_lo, s4, v0
	v_add_co_ci_u32_e32 v3, vcc_lo, s5, v1, vcc_lo
	v_add_co_u32 v0, vcc_lo, s6, v0
	v_add_co_ci_u32_e32 v1, vcc_lo, s7, v1, vcc_lo
	global_load_u8 v2, v[2:3], off
	s_waitcnt vmcnt(0)
	global_store_b8 v[0:1], v2, off
.LBB682_2:
	s_nop 0
	s_sendmsg sendmsg(MSG_DEALLOC_VGPRS)
	s_endpgm
	.section	.rodata,"a",@progbits
	.p2align	6, 0x0
	.amdhsa_kernel _ZN6thrust23THRUST_200600_302600_NS11hip_rocprim14__parallel_for6kernelILj256ENS1_10for_each_fINS0_12zip_iteratorINS0_5tupleINS0_6detail15normal_iteratorINS0_10device_ptrI10large_dataEEEENS0_7pointerISA_NS1_3tagENS0_11use_defaultESF_EENS0_9null_typeESH_SH_SH_SH_SH_SH_SH_EEEENS7_16wrapped_functionINS7_23allocator_traits_detail29copy_construct_with_allocatorINS7_18no_throw_allocatorINS7_19temporary_allocatorISA_SE_EEEESA_SA_EEvEEEElLj1EEEvT0_T1_SV_
		.amdhsa_group_segment_fixed_size 0
		.amdhsa_private_segment_fixed_size 0
		.amdhsa_kernarg_size 40
		.amdhsa_user_sgpr_count 15
		.amdhsa_user_sgpr_dispatch_ptr 0
		.amdhsa_user_sgpr_queue_ptr 0
		.amdhsa_user_sgpr_kernarg_segment_ptr 1
		.amdhsa_user_sgpr_dispatch_id 0
		.amdhsa_user_sgpr_private_segment_size 0
		.amdhsa_wavefront_size32 1
		.amdhsa_uses_dynamic_stack 0
		.amdhsa_enable_private_segment 0
		.amdhsa_system_sgpr_workgroup_id_x 1
		.amdhsa_system_sgpr_workgroup_id_y 0
		.amdhsa_system_sgpr_workgroup_id_z 0
		.amdhsa_system_sgpr_workgroup_info 0
		.amdhsa_system_vgpr_workitem_id 0
		.amdhsa_next_free_vgpr 4
		.amdhsa_next_free_sgpr 16
		.amdhsa_reserve_vcc 1
		.amdhsa_float_round_mode_32 0
		.amdhsa_float_round_mode_16_64 0
		.amdhsa_float_denorm_mode_32 3
		.amdhsa_float_denorm_mode_16_64 3
		.amdhsa_dx10_clamp 1
		.amdhsa_ieee_mode 1
		.amdhsa_fp16_overflow 0
		.amdhsa_workgroup_processor_mode 1
		.amdhsa_memory_ordered 1
		.amdhsa_forward_progress 0
		.amdhsa_shared_vgpr_count 0
		.amdhsa_exception_fp_ieee_invalid_op 0
		.amdhsa_exception_fp_denorm_src 0
		.amdhsa_exception_fp_ieee_div_zero 0
		.amdhsa_exception_fp_ieee_overflow 0
		.amdhsa_exception_fp_ieee_underflow 0
		.amdhsa_exception_fp_ieee_inexact 0
		.amdhsa_exception_int_div_zero 0
	.end_amdhsa_kernel
	.section	.text._ZN6thrust23THRUST_200600_302600_NS11hip_rocprim14__parallel_for6kernelILj256ENS1_10for_each_fINS0_12zip_iteratorINS0_5tupleINS0_6detail15normal_iteratorINS0_10device_ptrI10large_dataEEEENS0_7pointerISA_NS1_3tagENS0_11use_defaultESF_EENS0_9null_typeESH_SH_SH_SH_SH_SH_SH_EEEENS7_16wrapped_functionINS7_23allocator_traits_detail29copy_construct_with_allocatorINS7_18no_throw_allocatorINS7_19temporary_allocatorISA_SE_EEEESA_SA_EEvEEEElLj1EEEvT0_T1_SV_,"axG",@progbits,_ZN6thrust23THRUST_200600_302600_NS11hip_rocprim14__parallel_for6kernelILj256ENS1_10for_each_fINS0_12zip_iteratorINS0_5tupleINS0_6detail15normal_iteratorINS0_10device_ptrI10large_dataEEEENS0_7pointerISA_NS1_3tagENS0_11use_defaultESF_EENS0_9null_typeESH_SH_SH_SH_SH_SH_SH_EEEENS7_16wrapped_functionINS7_23allocator_traits_detail29copy_construct_with_allocatorINS7_18no_throw_allocatorINS7_19temporary_allocatorISA_SE_EEEESA_SA_EEvEEEElLj1EEEvT0_T1_SV_,comdat
.Lfunc_end682:
	.size	_ZN6thrust23THRUST_200600_302600_NS11hip_rocprim14__parallel_for6kernelILj256ENS1_10for_each_fINS0_12zip_iteratorINS0_5tupleINS0_6detail15normal_iteratorINS0_10device_ptrI10large_dataEEEENS0_7pointerISA_NS1_3tagENS0_11use_defaultESF_EENS0_9null_typeESH_SH_SH_SH_SH_SH_SH_EEEENS7_16wrapped_functionINS7_23allocator_traits_detail29copy_construct_with_allocatorINS7_18no_throw_allocatorINS7_19temporary_allocatorISA_SE_EEEESA_SA_EEvEEEElLj1EEEvT0_T1_SV_, .Lfunc_end682-_ZN6thrust23THRUST_200600_302600_NS11hip_rocprim14__parallel_for6kernelILj256ENS1_10for_each_fINS0_12zip_iteratorINS0_5tupleINS0_6detail15normal_iteratorINS0_10device_ptrI10large_dataEEEENS0_7pointerISA_NS1_3tagENS0_11use_defaultESF_EENS0_9null_typeESH_SH_SH_SH_SH_SH_SH_EEEENS7_16wrapped_functionINS7_23allocator_traits_detail29copy_construct_with_allocatorINS7_18no_throw_allocatorINS7_19temporary_allocatorISA_SE_EEEESA_SA_EEvEEEElLj1EEEvT0_T1_SV_
                                        ; -- End function
	.section	.AMDGPU.csdata,"",@progbits
; Kernel info:
; codeLenInByte = 192
; NumSgprs: 18
; NumVgprs: 4
; ScratchSize: 0
; MemoryBound: 0
; FloatMode: 240
; IeeeMode: 1
; LDSByteSize: 0 bytes/workgroup (compile time only)
; SGPRBlocks: 2
; VGPRBlocks: 0
; NumSGPRsForWavesPerEU: 18
; NumVGPRsForWavesPerEU: 4
; Occupancy: 16
; WaveLimiterHint : 0
; COMPUTE_PGM_RSRC2:SCRATCH_EN: 0
; COMPUTE_PGM_RSRC2:USER_SGPR: 15
; COMPUTE_PGM_RSRC2:TRAP_HANDLER: 0
; COMPUTE_PGM_RSRC2:TGID_X_EN: 1
; COMPUTE_PGM_RSRC2:TGID_Y_EN: 0
; COMPUTE_PGM_RSRC2:TGID_Z_EN: 0
; COMPUTE_PGM_RSRC2:TIDIG_COMP_CNT: 0
	.section	.text._ZN6thrust23THRUST_200600_302600_NS11hip_rocprim14__parallel_for6kernelILj256ENS1_11__transform17unary_transform_fINS0_6detail15normal_iteratorINS0_7pointerI10large_dataNS1_3tagENS0_11use_defaultESB_EEEENS7_INS0_10device_ptrIS9_EEEENS4_14no_stencil_tagENS0_8identityIS9_EENS4_21always_true_predicateEEElLj1EEEvT0_T1_SN_,"axG",@progbits,_ZN6thrust23THRUST_200600_302600_NS11hip_rocprim14__parallel_for6kernelILj256ENS1_11__transform17unary_transform_fINS0_6detail15normal_iteratorINS0_7pointerI10large_dataNS1_3tagENS0_11use_defaultESB_EEEENS7_INS0_10device_ptrIS9_EEEENS4_14no_stencil_tagENS0_8identityIS9_EENS4_21always_true_predicateEEElLj1EEEvT0_T1_SN_,comdat
	.protected	_ZN6thrust23THRUST_200600_302600_NS11hip_rocprim14__parallel_for6kernelILj256ENS1_11__transform17unary_transform_fINS0_6detail15normal_iteratorINS0_7pointerI10large_dataNS1_3tagENS0_11use_defaultESB_EEEENS7_INS0_10device_ptrIS9_EEEENS4_14no_stencil_tagENS0_8identityIS9_EENS4_21always_true_predicateEEElLj1EEEvT0_T1_SN_ ; -- Begin function _ZN6thrust23THRUST_200600_302600_NS11hip_rocprim14__parallel_for6kernelILj256ENS1_11__transform17unary_transform_fINS0_6detail15normal_iteratorINS0_7pointerI10large_dataNS1_3tagENS0_11use_defaultESB_EEEENS7_INS0_10device_ptrIS9_EEEENS4_14no_stencil_tagENS0_8identityIS9_EENS4_21always_true_predicateEEElLj1EEEvT0_T1_SN_
	.globl	_ZN6thrust23THRUST_200600_302600_NS11hip_rocprim14__parallel_for6kernelILj256ENS1_11__transform17unary_transform_fINS0_6detail15normal_iteratorINS0_7pointerI10large_dataNS1_3tagENS0_11use_defaultESB_EEEENS7_INS0_10device_ptrIS9_EEEENS4_14no_stencil_tagENS0_8identityIS9_EENS4_21always_true_predicateEEElLj1EEEvT0_T1_SN_
	.p2align	8
	.type	_ZN6thrust23THRUST_200600_302600_NS11hip_rocprim14__parallel_for6kernelILj256ENS1_11__transform17unary_transform_fINS0_6detail15normal_iteratorINS0_7pointerI10large_dataNS1_3tagENS0_11use_defaultESB_EEEENS7_INS0_10device_ptrIS9_EEEENS4_14no_stencil_tagENS0_8identityIS9_EENS4_21always_true_predicateEEElLj1EEEvT0_T1_SN_,@function
_ZN6thrust23THRUST_200600_302600_NS11hip_rocprim14__parallel_for6kernelILj256ENS1_11__transform17unary_transform_fINS0_6detail15normal_iteratorINS0_7pointerI10large_dataNS1_3tagENS0_11use_defaultESB_EEEENS7_INS0_10device_ptrIS9_EEEENS4_14no_stencil_tagENS0_8identityIS9_EENS4_21always_true_predicateEEElLj1EEEvT0_T1_SN_: ; @_ZN6thrust23THRUST_200600_302600_NS11hip_rocprim14__parallel_for6kernelILj256ENS1_11__transform17unary_transform_fINS0_6detail15normal_iteratorINS0_7pointerI10large_dataNS1_3tagENS0_11use_defaultESB_EEEENS7_INS0_10device_ptrIS9_EEEENS4_14no_stencil_tagENS0_8identityIS9_EENS4_21always_true_predicateEEElLj1EEEvT0_T1_SN_
; %bb.0:
	s_clause 0x1
	s_load_b128 s[8:11], s[0:1], 0x18
	s_load_b128 s[0:3], s[0:1], 0x0
	s_lshl_b32 s4, s15, 8
	s_waitcnt lgkmcnt(0)
	s_add_u32 s5, s4, s10
	s_addc_u32 s6, 0, s11
	s_sub_u32 s8, s8, s5
	s_subb_u32 s9, s9, s6
	s_delay_alu instid0(SALU_CYCLE_1) | instskip(NEXT) | instid1(VALU_DEP_1)
	v_cmp_gt_i64_e64 s4, 0x100, s[8:9]
	s_and_b32 s4, s4, exec_lo
	s_cselect_b32 s7, s8, 0x100
	s_mov_b32 s4, 0
	s_cmpk_lg_i32 s7, 0x100
	s_cbranch_scc0 .LBB683_4
; %bb.1:
	v_cmp_gt_u32_e32 vcc_lo, s7, v0
	s_mov_b32 s7, 0
                                        ; implicit-def: $vgpr1_vgpr2
                                        ; implicit-def: $vgpr3_vgpr4
	s_and_saveexec_b32 s8, vcc_lo
	s_delay_alu instid0(SALU_CYCLE_1)
	s_xor_b32 s8, exec_lo, s8
; %bb.2:
	v_add_co_u32 v1, s9, s5, v0
	s_delay_alu instid0(VALU_DEP_1) | instskip(SKIP_1) | instid1(VALU_DEP_1)
	v_add_co_ci_u32_e64 v2, null, s6, 0, s9
	s_mov_b32 s4, exec_lo
	v_lshlrev_b64 v[3:4], 9, v[1:2]
	s_delay_alu instid0(VALU_DEP_1) | instskip(NEXT) | instid1(VALU_DEP_2)
	v_add_co_u32 v1, vcc_lo, s2, v3
	v_add_co_ci_u32_e32 v2, vcc_lo, s3, v4, vcc_lo
	v_add_co_u32 v3, vcc_lo, s0, v3
	v_add_co_ci_u32_e32 v4, vcc_lo, s1, v4, vcc_lo
; %bb.3:
	s_or_b32 exec_lo, exec_lo, s8
	s_delay_alu instid0(SALU_CYCLE_1)
	s_and_b32 vcc_lo, exec_lo, s7
	s_cbranch_vccnz .LBB683_5
	s_branch .LBB683_6
.LBB683_4:
                                        ; implicit-def: $vgpr1_vgpr2
                                        ; implicit-def: $vgpr3_vgpr4
	s_cbranch_execz .LBB683_6
.LBB683_5:
	v_add_co_u32 v0, s5, s5, v0
	s_delay_alu instid0(VALU_DEP_1) | instskip(SKIP_1) | instid1(VALU_DEP_1)
	v_add_co_ci_u32_e64 v1, null, s6, 0, s5
	s_or_b32 s4, s4, exec_lo
	v_lshlrev_b64 v[1:2], 9, v[0:1]
	s_delay_alu instid0(VALU_DEP_1) | instskip(NEXT) | instid1(VALU_DEP_2)
	v_add_co_u32 v3, vcc_lo, s0, v1
	v_add_co_ci_u32_e32 v4, vcc_lo, s1, v2, vcc_lo
	v_add_co_u32 v1, vcc_lo, s2, v1
	v_add_co_ci_u32_e32 v2, vcc_lo, s3, v2, vcc_lo
.LBB683_6:
	s_and_saveexec_b32 s0, s4
	s_cbranch_execnz .LBB683_8
; %bb.7:
	s_endpgm
.LBB683_8:
	flat_load_u8 v0, v[3:4]
	s_waitcnt vmcnt(0) lgkmcnt(0)
	flat_store_b8 v[1:2], v0
	s_endpgm
	.section	.rodata,"a",@progbits
	.p2align	6, 0x0
	.amdhsa_kernel _ZN6thrust23THRUST_200600_302600_NS11hip_rocprim14__parallel_for6kernelILj256ENS1_11__transform17unary_transform_fINS0_6detail15normal_iteratorINS0_7pointerI10large_dataNS1_3tagENS0_11use_defaultESB_EEEENS7_INS0_10device_ptrIS9_EEEENS4_14no_stencil_tagENS0_8identityIS9_EENS4_21always_true_predicateEEElLj1EEEvT0_T1_SN_
		.amdhsa_group_segment_fixed_size 0
		.amdhsa_private_segment_fixed_size 0
		.amdhsa_kernarg_size 40
		.amdhsa_user_sgpr_count 15
		.amdhsa_user_sgpr_dispatch_ptr 0
		.amdhsa_user_sgpr_queue_ptr 0
		.amdhsa_user_sgpr_kernarg_segment_ptr 1
		.amdhsa_user_sgpr_dispatch_id 0
		.amdhsa_user_sgpr_private_segment_size 0
		.amdhsa_wavefront_size32 1
		.amdhsa_uses_dynamic_stack 0
		.amdhsa_enable_private_segment 0
		.amdhsa_system_sgpr_workgroup_id_x 1
		.amdhsa_system_sgpr_workgroup_id_y 0
		.amdhsa_system_sgpr_workgroup_id_z 0
		.amdhsa_system_sgpr_workgroup_info 0
		.amdhsa_system_vgpr_workitem_id 0
		.amdhsa_next_free_vgpr 5
		.amdhsa_next_free_sgpr 16
		.amdhsa_reserve_vcc 1
		.amdhsa_float_round_mode_32 0
		.amdhsa_float_round_mode_16_64 0
		.amdhsa_float_denorm_mode_32 3
		.amdhsa_float_denorm_mode_16_64 3
		.amdhsa_dx10_clamp 1
		.amdhsa_ieee_mode 1
		.amdhsa_fp16_overflow 0
		.amdhsa_workgroup_processor_mode 1
		.amdhsa_memory_ordered 1
		.amdhsa_forward_progress 0
		.amdhsa_shared_vgpr_count 0
		.amdhsa_exception_fp_ieee_invalid_op 0
		.amdhsa_exception_fp_denorm_src 0
		.amdhsa_exception_fp_ieee_div_zero 0
		.amdhsa_exception_fp_ieee_overflow 0
		.amdhsa_exception_fp_ieee_underflow 0
		.amdhsa_exception_fp_ieee_inexact 0
		.amdhsa_exception_int_div_zero 0
	.end_amdhsa_kernel
	.section	.text._ZN6thrust23THRUST_200600_302600_NS11hip_rocprim14__parallel_for6kernelILj256ENS1_11__transform17unary_transform_fINS0_6detail15normal_iteratorINS0_7pointerI10large_dataNS1_3tagENS0_11use_defaultESB_EEEENS7_INS0_10device_ptrIS9_EEEENS4_14no_stencil_tagENS0_8identityIS9_EENS4_21always_true_predicateEEElLj1EEEvT0_T1_SN_,"axG",@progbits,_ZN6thrust23THRUST_200600_302600_NS11hip_rocprim14__parallel_for6kernelILj256ENS1_11__transform17unary_transform_fINS0_6detail15normal_iteratorINS0_7pointerI10large_dataNS1_3tagENS0_11use_defaultESB_EEEENS7_INS0_10device_ptrIS9_EEEENS4_14no_stencil_tagENS0_8identityIS9_EENS4_21always_true_predicateEEElLj1EEEvT0_T1_SN_,comdat
.Lfunc_end683:
	.size	_ZN6thrust23THRUST_200600_302600_NS11hip_rocprim14__parallel_for6kernelILj256ENS1_11__transform17unary_transform_fINS0_6detail15normal_iteratorINS0_7pointerI10large_dataNS1_3tagENS0_11use_defaultESB_EEEENS7_INS0_10device_ptrIS9_EEEENS4_14no_stencil_tagENS0_8identityIS9_EENS4_21always_true_predicateEEElLj1EEEvT0_T1_SN_, .Lfunc_end683-_ZN6thrust23THRUST_200600_302600_NS11hip_rocprim14__parallel_for6kernelILj256ENS1_11__transform17unary_transform_fINS0_6detail15normal_iteratorINS0_7pointerI10large_dataNS1_3tagENS0_11use_defaultESB_EEEENS7_INS0_10device_ptrIS9_EEEENS4_14no_stencil_tagENS0_8identityIS9_EENS4_21always_true_predicateEEElLj1EEEvT0_T1_SN_
                                        ; -- End function
	.section	.AMDGPU.csdata,"",@progbits
; Kernel info:
; codeLenInByte = 284
; NumSgprs: 18
; NumVgprs: 5
; ScratchSize: 0
; MemoryBound: 0
; FloatMode: 240
; IeeeMode: 1
; LDSByteSize: 0 bytes/workgroup (compile time only)
; SGPRBlocks: 2
; VGPRBlocks: 0
; NumSGPRsForWavesPerEU: 18
; NumVGPRsForWavesPerEU: 5
; Occupancy: 16
; WaveLimiterHint : 0
; COMPUTE_PGM_RSRC2:SCRATCH_EN: 0
; COMPUTE_PGM_RSRC2:USER_SGPR: 15
; COMPUTE_PGM_RSRC2:TRAP_HANDLER: 0
; COMPUTE_PGM_RSRC2:TGID_X_EN: 1
; COMPUTE_PGM_RSRC2:TGID_Y_EN: 0
; COMPUTE_PGM_RSRC2:TGID_Z_EN: 0
; COMPUTE_PGM_RSRC2:TIDIG_COMP_CNT: 0
	.section	.text._ZN6thrust23THRUST_200600_302600_NS11hip_rocprim14__parallel_for6kernelILj256ENS1_10for_each_fINS0_12zip_iteratorINS0_5tupleINS0_6detail15normal_iteratorINS0_10device_ptrI10large_dataEEEESB_NS0_9null_typeESD_SD_SD_SD_SD_SD_SD_EEEENS7_16wrapped_functionINS7_23allocator_traits_detail29copy_construct_with_allocatorINS0_16device_allocatorISA_EESA_SA_EEvEEEElLj1EEEvT0_T1_SP_,"axG",@progbits,_ZN6thrust23THRUST_200600_302600_NS11hip_rocprim14__parallel_for6kernelILj256ENS1_10for_each_fINS0_12zip_iteratorINS0_5tupleINS0_6detail15normal_iteratorINS0_10device_ptrI10large_dataEEEESB_NS0_9null_typeESD_SD_SD_SD_SD_SD_SD_EEEENS7_16wrapped_functionINS7_23allocator_traits_detail29copy_construct_with_allocatorINS0_16device_allocatorISA_EESA_SA_EEvEEEElLj1EEEvT0_T1_SP_,comdat
	.protected	_ZN6thrust23THRUST_200600_302600_NS11hip_rocprim14__parallel_for6kernelILj256ENS1_10for_each_fINS0_12zip_iteratorINS0_5tupleINS0_6detail15normal_iteratorINS0_10device_ptrI10large_dataEEEESB_NS0_9null_typeESD_SD_SD_SD_SD_SD_SD_EEEENS7_16wrapped_functionINS7_23allocator_traits_detail29copy_construct_with_allocatorINS0_16device_allocatorISA_EESA_SA_EEvEEEElLj1EEEvT0_T1_SP_ ; -- Begin function _ZN6thrust23THRUST_200600_302600_NS11hip_rocprim14__parallel_for6kernelILj256ENS1_10for_each_fINS0_12zip_iteratorINS0_5tupleINS0_6detail15normal_iteratorINS0_10device_ptrI10large_dataEEEESB_NS0_9null_typeESD_SD_SD_SD_SD_SD_SD_EEEENS7_16wrapped_functionINS7_23allocator_traits_detail29copy_construct_with_allocatorINS0_16device_allocatorISA_EESA_SA_EEvEEEElLj1EEEvT0_T1_SP_
	.globl	_ZN6thrust23THRUST_200600_302600_NS11hip_rocprim14__parallel_for6kernelILj256ENS1_10for_each_fINS0_12zip_iteratorINS0_5tupleINS0_6detail15normal_iteratorINS0_10device_ptrI10large_dataEEEESB_NS0_9null_typeESD_SD_SD_SD_SD_SD_SD_EEEENS7_16wrapped_functionINS7_23allocator_traits_detail29copy_construct_with_allocatorINS0_16device_allocatorISA_EESA_SA_EEvEEEElLj1EEEvT0_T1_SP_
	.p2align	8
	.type	_ZN6thrust23THRUST_200600_302600_NS11hip_rocprim14__parallel_for6kernelILj256ENS1_10for_each_fINS0_12zip_iteratorINS0_5tupleINS0_6detail15normal_iteratorINS0_10device_ptrI10large_dataEEEESB_NS0_9null_typeESD_SD_SD_SD_SD_SD_SD_EEEENS7_16wrapped_functionINS7_23allocator_traits_detail29copy_construct_with_allocatorINS0_16device_allocatorISA_EESA_SA_EEvEEEElLj1EEEvT0_T1_SP_,@function
_ZN6thrust23THRUST_200600_302600_NS11hip_rocprim14__parallel_for6kernelILj256ENS1_10for_each_fINS0_12zip_iteratorINS0_5tupleINS0_6detail15normal_iteratorINS0_10device_ptrI10large_dataEEEESB_NS0_9null_typeESD_SD_SD_SD_SD_SD_SD_EEEENS7_16wrapped_functionINS7_23allocator_traits_detail29copy_construct_with_allocatorINS0_16device_allocatorISA_EESA_SA_EEvEEEElLj1EEEvT0_T1_SP_: ; @_ZN6thrust23THRUST_200600_302600_NS11hip_rocprim14__parallel_for6kernelILj256ENS1_10for_each_fINS0_12zip_iteratorINS0_5tupleINS0_6detail15normal_iteratorINS0_10device_ptrI10large_dataEEEESB_NS0_9null_typeESD_SD_SD_SD_SD_SD_SD_EEEENS7_16wrapped_functionINS7_23allocator_traits_detail29copy_construct_with_allocatorINS0_16device_allocatorISA_EESA_SA_EEvEEEElLj1EEEvT0_T1_SP_
; %bb.0:
	s_load_b128 s[4:7], s[0:1], 0x18
	s_lshl_b32 s2, s15, 8
	s_waitcnt lgkmcnt(0)
	s_add_u32 s2, s2, s6
	s_addc_u32 s3, 0, s7
	s_sub_u32 s4, s4, s2
	s_subb_u32 s5, s5, s3
	s_delay_alu instid0(SALU_CYCLE_1) | instskip(NEXT) | instid1(VALU_DEP_1)
	v_cmp_gt_i64_e64 s5, 0x100, s[4:5]
	s_and_b32 s5, s5, exec_lo
	s_cselect_b32 s4, s4, 0x100
	s_delay_alu instid0(SALU_CYCLE_1) | instskip(SKIP_2) | instid1(SALU_CYCLE_1)
	v_cmp_gt_u32_e32 vcc_lo, s4, v0
	s_cmpk_eq_i32 s4, 0x100
	s_cselect_b32 s4, -1, 0
	s_or_b32 s4, s4, vcc_lo
	s_delay_alu instid0(SALU_CYCLE_1)
	s_and_saveexec_b32 s5, s4
	s_cbranch_execz .LBB684_2
; %bb.1:
	s_load_b128 s[4:7], s[0:1], 0x0
	v_add_co_u32 v0, s0, s2, v0
	s_delay_alu instid0(VALU_DEP_1) | instskip(NEXT) | instid1(VALU_DEP_1)
	v_add_co_ci_u32_e64 v1, null, s3, 0, s0
	v_lshlrev_b64 v[0:1], 9, v[0:1]
	s_waitcnt lgkmcnt(0)
	s_delay_alu instid0(VALU_DEP_1) | instskip(NEXT) | instid1(VALU_DEP_2)
	v_add_co_u32 v2, vcc_lo, s4, v0
	v_add_co_ci_u32_e32 v3, vcc_lo, s5, v1, vcc_lo
	v_add_co_u32 v0, vcc_lo, s6, v0
	v_add_co_ci_u32_e32 v1, vcc_lo, s7, v1, vcc_lo
	global_load_u8 v2, v[2:3], off
	s_waitcnt vmcnt(0)
	global_store_b8 v[0:1], v2, off
.LBB684_2:
	s_nop 0
	s_sendmsg sendmsg(MSG_DEALLOC_VGPRS)
	s_endpgm
	.section	.rodata,"a",@progbits
	.p2align	6, 0x0
	.amdhsa_kernel _ZN6thrust23THRUST_200600_302600_NS11hip_rocprim14__parallel_for6kernelILj256ENS1_10for_each_fINS0_12zip_iteratorINS0_5tupleINS0_6detail15normal_iteratorINS0_10device_ptrI10large_dataEEEESB_NS0_9null_typeESD_SD_SD_SD_SD_SD_SD_EEEENS7_16wrapped_functionINS7_23allocator_traits_detail29copy_construct_with_allocatorINS0_16device_allocatorISA_EESA_SA_EEvEEEElLj1EEEvT0_T1_SP_
		.amdhsa_group_segment_fixed_size 0
		.amdhsa_private_segment_fixed_size 0
		.amdhsa_kernarg_size 40
		.amdhsa_user_sgpr_count 15
		.amdhsa_user_sgpr_dispatch_ptr 0
		.amdhsa_user_sgpr_queue_ptr 0
		.amdhsa_user_sgpr_kernarg_segment_ptr 1
		.amdhsa_user_sgpr_dispatch_id 0
		.amdhsa_user_sgpr_private_segment_size 0
		.amdhsa_wavefront_size32 1
		.amdhsa_uses_dynamic_stack 0
		.amdhsa_enable_private_segment 0
		.amdhsa_system_sgpr_workgroup_id_x 1
		.amdhsa_system_sgpr_workgroup_id_y 0
		.amdhsa_system_sgpr_workgroup_id_z 0
		.amdhsa_system_sgpr_workgroup_info 0
		.amdhsa_system_vgpr_workitem_id 0
		.amdhsa_next_free_vgpr 4
		.amdhsa_next_free_sgpr 16
		.amdhsa_reserve_vcc 1
		.amdhsa_float_round_mode_32 0
		.amdhsa_float_round_mode_16_64 0
		.amdhsa_float_denorm_mode_32 3
		.amdhsa_float_denorm_mode_16_64 3
		.amdhsa_dx10_clamp 1
		.amdhsa_ieee_mode 1
		.amdhsa_fp16_overflow 0
		.amdhsa_workgroup_processor_mode 1
		.amdhsa_memory_ordered 1
		.amdhsa_forward_progress 0
		.amdhsa_shared_vgpr_count 0
		.amdhsa_exception_fp_ieee_invalid_op 0
		.amdhsa_exception_fp_denorm_src 0
		.amdhsa_exception_fp_ieee_div_zero 0
		.amdhsa_exception_fp_ieee_overflow 0
		.amdhsa_exception_fp_ieee_underflow 0
		.amdhsa_exception_fp_ieee_inexact 0
		.amdhsa_exception_int_div_zero 0
	.end_amdhsa_kernel
	.section	.text._ZN6thrust23THRUST_200600_302600_NS11hip_rocprim14__parallel_for6kernelILj256ENS1_10for_each_fINS0_12zip_iteratorINS0_5tupleINS0_6detail15normal_iteratorINS0_10device_ptrI10large_dataEEEESB_NS0_9null_typeESD_SD_SD_SD_SD_SD_SD_EEEENS7_16wrapped_functionINS7_23allocator_traits_detail29copy_construct_with_allocatorINS0_16device_allocatorISA_EESA_SA_EEvEEEElLj1EEEvT0_T1_SP_,"axG",@progbits,_ZN6thrust23THRUST_200600_302600_NS11hip_rocprim14__parallel_for6kernelILj256ENS1_10for_each_fINS0_12zip_iteratorINS0_5tupleINS0_6detail15normal_iteratorINS0_10device_ptrI10large_dataEEEESB_NS0_9null_typeESD_SD_SD_SD_SD_SD_SD_EEEENS7_16wrapped_functionINS7_23allocator_traits_detail29copy_construct_with_allocatorINS0_16device_allocatorISA_EESA_SA_EEvEEEElLj1EEEvT0_T1_SP_,comdat
.Lfunc_end684:
	.size	_ZN6thrust23THRUST_200600_302600_NS11hip_rocprim14__parallel_for6kernelILj256ENS1_10for_each_fINS0_12zip_iteratorINS0_5tupleINS0_6detail15normal_iteratorINS0_10device_ptrI10large_dataEEEESB_NS0_9null_typeESD_SD_SD_SD_SD_SD_SD_EEEENS7_16wrapped_functionINS7_23allocator_traits_detail29copy_construct_with_allocatorINS0_16device_allocatorISA_EESA_SA_EEvEEEElLj1EEEvT0_T1_SP_, .Lfunc_end684-_ZN6thrust23THRUST_200600_302600_NS11hip_rocprim14__parallel_for6kernelILj256ENS1_10for_each_fINS0_12zip_iteratorINS0_5tupleINS0_6detail15normal_iteratorINS0_10device_ptrI10large_dataEEEESB_NS0_9null_typeESD_SD_SD_SD_SD_SD_SD_EEEENS7_16wrapped_functionINS7_23allocator_traits_detail29copy_construct_with_allocatorINS0_16device_allocatorISA_EESA_SA_EEvEEEElLj1EEEvT0_T1_SP_
                                        ; -- End function
	.section	.AMDGPU.csdata,"",@progbits
; Kernel info:
; codeLenInByte = 192
; NumSgprs: 18
; NumVgprs: 4
; ScratchSize: 0
; MemoryBound: 0
; FloatMode: 240
; IeeeMode: 1
; LDSByteSize: 0 bytes/workgroup (compile time only)
; SGPRBlocks: 2
; VGPRBlocks: 0
; NumSGPRsForWavesPerEU: 18
; NumVGPRsForWavesPerEU: 4
; Occupancy: 16
; WaveLimiterHint : 0
; COMPUTE_PGM_RSRC2:SCRATCH_EN: 0
; COMPUTE_PGM_RSRC2:USER_SGPR: 15
; COMPUTE_PGM_RSRC2:TRAP_HANDLER: 0
; COMPUTE_PGM_RSRC2:TGID_X_EN: 1
; COMPUTE_PGM_RSRC2:TGID_Y_EN: 0
; COMPUTE_PGM_RSRC2:TGID_Z_EN: 0
; COMPUTE_PGM_RSRC2:TIDIG_COMP_CNT: 0
	.section	.text._ZN6thrust23THRUST_200600_302600_NS11hip_rocprim14__parallel_for6kernelILj256ENS1_20__uninitialized_copy7functorINS0_6detail15normal_iteratorINS0_10device_ptrIK10large_dataEEEENS0_7pointerIS9_NS1_3tagENS0_11use_defaultESF_EEEEmLj1EEEvT0_T1_SJ_,"axG",@progbits,_ZN6thrust23THRUST_200600_302600_NS11hip_rocprim14__parallel_for6kernelILj256ENS1_20__uninitialized_copy7functorINS0_6detail15normal_iteratorINS0_10device_ptrIK10large_dataEEEENS0_7pointerIS9_NS1_3tagENS0_11use_defaultESF_EEEEmLj1EEEvT0_T1_SJ_,comdat
	.protected	_ZN6thrust23THRUST_200600_302600_NS11hip_rocprim14__parallel_for6kernelILj256ENS1_20__uninitialized_copy7functorINS0_6detail15normal_iteratorINS0_10device_ptrIK10large_dataEEEENS0_7pointerIS9_NS1_3tagENS0_11use_defaultESF_EEEEmLj1EEEvT0_T1_SJ_ ; -- Begin function _ZN6thrust23THRUST_200600_302600_NS11hip_rocprim14__parallel_for6kernelILj256ENS1_20__uninitialized_copy7functorINS0_6detail15normal_iteratorINS0_10device_ptrIK10large_dataEEEENS0_7pointerIS9_NS1_3tagENS0_11use_defaultESF_EEEEmLj1EEEvT0_T1_SJ_
	.globl	_ZN6thrust23THRUST_200600_302600_NS11hip_rocprim14__parallel_for6kernelILj256ENS1_20__uninitialized_copy7functorINS0_6detail15normal_iteratorINS0_10device_ptrIK10large_dataEEEENS0_7pointerIS9_NS1_3tagENS0_11use_defaultESF_EEEEmLj1EEEvT0_T1_SJ_
	.p2align	8
	.type	_ZN6thrust23THRUST_200600_302600_NS11hip_rocprim14__parallel_for6kernelILj256ENS1_20__uninitialized_copy7functorINS0_6detail15normal_iteratorINS0_10device_ptrIK10large_dataEEEENS0_7pointerIS9_NS1_3tagENS0_11use_defaultESF_EEEEmLj1EEEvT0_T1_SJ_,@function
_ZN6thrust23THRUST_200600_302600_NS11hip_rocprim14__parallel_for6kernelILj256ENS1_20__uninitialized_copy7functorINS0_6detail15normal_iteratorINS0_10device_ptrIK10large_dataEEEENS0_7pointerIS9_NS1_3tagENS0_11use_defaultESF_EEEEmLj1EEEvT0_T1_SJ_: ; @_ZN6thrust23THRUST_200600_302600_NS11hip_rocprim14__parallel_for6kernelILj256ENS1_20__uninitialized_copy7functorINS0_6detail15normal_iteratorINS0_10device_ptrIK10large_dataEEEENS0_7pointerIS9_NS1_3tagENS0_11use_defaultESF_EEEEmLj1EEEvT0_T1_SJ_
; %bb.0:
	s_load_b256 s[0:7], s[0:1], 0x0
	s_lshl_b32 s8, s15, 8
	s_waitcnt lgkmcnt(0)
	s_add_u32 s6, s8, s6
	s_addc_u32 s7, 0, s7
	s_sub_u32 s4, s4, s6
	s_subb_u32 s5, s5, s7
	s_delay_alu instid0(SALU_CYCLE_1) | instskip(NEXT) | instid1(VALU_DEP_1)
	v_cmp_gt_u64_e64 s5, 0x100, s[4:5]
	s_and_b32 vcc_lo, exec_lo, s5
	s_mov_b32 s5, 0
	s_cbranch_vccz .LBB685_4
; %bb.1:
	v_cmp_gt_u32_e32 vcc_lo, s4, v0
	s_mov_b32 s4, 0
                                        ; implicit-def: $vgpr1_vgpr2
                                        ; implicit-def: $vgpr3_vgpr4
	s_and_saveexec_b32 s8, vcc_lo
	s_delay_alu instid0(SALU_CYCLE_1)
	s_xor_b32 s8, exec_lo, s8
; %bb.2:
	v_add_co_u32 v1, s9, s6, v0
	s_delay_alu instid0(VALU_DEP_1) | instskip(SKIP_1) | instid1(VALU_DEP_1)
	v_add_co_ci_u32_e64 v2, null, s7, 0, s9
	s_mov_b32 s5, exec_lo
	v_lshlrev_b64 v[3:4], 9, v[1:2]
	s_delay_alu instid0(VALU_DEP_1) | instskip(NEXT) | instid1(VALU_DEP_2)
	v_add_co_u32 v1, vcc_lo, s2, v3
	v_add_co_ci_u32_e32 v2, vcc_lo, s3, v4, vcc_lo
	v_add_co_u32 v3, vcc_lo, s0, v3
	v_add_co_ci_u32_e32 v4, vcc_lo, s1, v4, vcc_lo
; %bb.3:
	s_or_b32 exec_lo, exec_lo, s8
	s_delay_alu instid0(SALU_CYCLE_1)
	s_and_b32 vcc_lo, exec_lo, s4
	s_cbranch_vccnz .LBB685_5
	s_branch .LBB685_6
.LBB685_4:
                                        ; implicit-def: $vgpr1_vgpr2
                                        ; implicit-def: $vgpr3_vgpr4
	s_cbranch_execz .LBB685_6
.LBB685_5:
	v_add_co_u32 v0, s4, s6, v0
	s_delay_alu instid0(VALU_DEP_1) | instskip(SKIP_1) | instid1(VALU_DEP_1)
	v_add_co_ci_u32_e64 v1, null, s7, 0, s4
	s_or_b32 s5, s5, exec_lo
	v_lshlrev_b64 v[1:2], 9, v[0:1]
	s_delay_alu instid0(VALU_DEP_1) | instskip(NEXT) | instid1(VALU_DEP_2)
	v_add_co_u32 v3, vcc_lo, s0, v1
	v_add_co_ci_u32_e32 v4, vcc_lo, s1, v2, vcc_lo
	v_add_co_u32 v1, vcc_lo, s2, v1
	v_add_co_ci_u32_e32 v2, vcc_lo, s3, v2, vcc_lo
.LBB685_6:
	s_and_saveexec_b32 s0, s5
	s_cbranch_execnz .LBB685_8
; %bb.7:
	s_endpgm
.LBB685_8:
	flat_load_u8 v0, v[3:4]
	s_waitcnt vmcnt(0) lgkmcnt(0)
	flat_store_b8 v[1:2], v0
	s_endpgm
	.section	.rodata,"a",@progbits
	.p2align	6, 0x0
	.amdhsa_kernel _ZN6thrust23THRUST_200600_302600_NS11hip_rocprim14__parallel_for6kernelILj256ENS1_20__uninitialized_copy7functorINS0_6detail15normal_iteratorINS0_10device_ptrIK10large_dataEEEENS0_7pointerIS9_NS1_3tagENS0_11use_defaultESF_EEEEmLj1EEEvT0_T1_SJ_
		.amdhsa_group_segment_fixed_size 0
		.amdhsa_private_segment_fixed_size 0
		.amdhsa_kernarg_size 32
		.amdhsa_user_sgpr_count 15
		.amdhsa_user_sgpr_dispatch_ptr 0
		.amdhsa_user_sgpr_queue_ptr 0
		.amdhsa_user_sgpr_kernarg_segment_ptr 1
		.amdhsa_user_sgpr_dispatch_id 0
		.amdhsa_user_sgpr_private_segment_size 0
		.amdhsa_wavefront_size32 1
		.amdhsa_uses_dynamic_stack 0
		.amdhsa_enable_private_segment 0
		.amdhsa_system_sgpr_workgroup_id_x 1
		.amdhsa_system_sgpr_workgroup_id_y 0
		.amdhsa_system_sgpr_workgroup_id_z 0
		.amdhsa_system_sgpr_workgroup_info 0
		.amdhsa_system_vgpr_workitem_id 0
		.amdhsa_next_free_vgpr 5
		.amdhsa_next_free_sgpr 16
		.amdhsa_reserve_vcc 1
		.amdhsa_float_round_mode_32 0
		.amdhsa_float_round_mode_16_64 0
		.amdhsa_float_denorm_mode_32 3
		.amdhsa_float_denorm_mode_16_64 3
		.amdhsa_dx10_clamp 1
		.amdhsa_ieee_mode 1
		.amdhsa_fp16_overflow 0
		.amdhsa_workgroup_processor_mode 1
		.amdhsa_memory_ordered 1
		.amdhsa_forward_progress 0
		.amdhsa_shared_vgpr_count 0
		.amdhsa_exception_fp_ieee_invalid_op 0
		.amdhsa_exception_fp_denorm_src 0
		.amdhsa_exception_fp_ieee_div_zero 0
		.amdhsa_exception_fp_ieee_overflow 0
		.amdhsa_exception_fp_ieee_underflow 0
		.amdhsa_exception_fp_ieee_inexact 0
		.amdhsa_exception_int_div_zero 0
	.end_amdhsa_kernel
	.section	.text._ZN6thrust23THRUST_200600_302600_NS11hip_rocprim14__parallel_for6kernelILj256ENS1_20__uninitialized_copy7functorINS0_6detail15normal_iteratorINS0_10device_ptrIK10large_dataEEEENS0_7pointerIS9_NS1_3tagENS0_11use_defaultESF_EEEEmLj1EEEvT0_T1_SJ_,"axG",@progbits,_ZN6thrust23THRUST_200600_302600_NS11hip_rocprim14__parallel_for6kernelILj256ENS1_20__uninitialized_copy7functorINS0_6detail15normal_iteratorINS0_10device_ptrIK10large_dataEEEENS0_7pointerIS9_NS1_3tagENS0_11use_defaultESF_EEEEmLj1EEEvT0_T1_SJ_,comdat
.Lfunc_end685:
	.size	_ZN6thrust23THRUST_200600_302600_NS11hip_rocprim14__parallel_for6kernelILj256ENS1_20__uninitialized_copy7functorINS0_6detail15normal_iteratorINS0_10device_ptrIK10large_dataEEEENS0_7pointerIS9_NS1_3tagENS0_11use_defaultESF_EEEEmLj1EEEvT0_T1_SJ_, .Lfunc_end685-_ZN6thrust23THRUST_200600_302600_NS11hip_rocprim14__parallel_for6kernelILj256ENS1_20__uninitialized_copy7functorINS0_6detail15normal_iteratorINS0_10device_ptrIK10large_dataEEEENS0_7pointerIS9_NS1_3tagENS0_11use_defaultESF_EEEEmLj1EEEvT0_T1_SJ_
                                        ; -- End function
	.section	.AMDGPU.csdata,"",@progbits
; Kernel info:
; codeLenInByte = 260
; NumSgprs: 18
; NumVgprs: 5
; ScratchSize: 0
; MemoryBound: 0
; FloatMode: 240
; IeeeMode: 1
; LDSByteSize: 0 bytes/workgroup (compile time only)
; SGPRBlocks: 2
; VGPRBlocks: 0
; NumSGPRsForWavesPerEU: 18
; NumVGPRsForWavesPerEU: 5
; Occupancy: 16
; WaveLimiterHint : 0
; COMPUTE_PGM_RSRC2:SCRATCH_EN: 0
; COMPUTE_PGM_RSRC2:USER_SGPR: 15
; COMPUTE_PGM_RSRC2:TRAP_HANDLER: 0
; COMPUTE_PGM_RSRC2:TGID_X_EN: 1
; COMPUTE_PGM_RSRC2:TGID_Y_EN: 0
; COMPUTE_PGM_RSRC2:TGID_Z_EN: 0
; COMPUTE_PGM_RSRC2:TIDIG_COMP_CNT: 0
	.section	.text._ZN6thrust23THRUST_200600_302600_NS11hip_rocprim14__parallel_for6kernelILj256ENS1_20__uninitialized_copy7functorINS0_10device_ptrIK10large_dataEENS0_7pointerIS7_NS1_3tagENS0_11use_defaultESC_EEEEmLj1EEEvT0_T1_SG_,"axG",@progbits,_ZN6thrust23THRUST_200600_302600_NS11hip_rocprim14__parallel_for6kernelILj256ENS1_20__uninitialized_copy7functorINS0_10device_ptrIK10large_dataEENS0_7pointerIS7_NS1_3tagENS0_11use_defaultESC_EEEEmLj1EEEvT0_T1_SG_,comdat
	.protected	_ZN6thrust23THRUST_200600_302600_NS11hip_rocprim14__parallel_for6kernelILj256ENS1_20__uninitialized_copy7functorINS0_10device_ptrIK10large_dataEENS0_7pointerIS7_NS1_3tagENS0_11use_defaultESC_EEEEmLj1EEEvT0_T1_SG_ ; -- Begin function _ZN6thrust23THRUST_200600_302600_NS11hip_rocprim14__parallel_for6kernelILj256ENS1_20__uninitialized_copy7functorINS0_10device_ptrIK10large_dataEENS0_7pointerIS7_NS1_3tagENS0_11use_defaultESC_EEEEmLj1EEEvT0_T1_SG_
	.globl	_ZN6thrust23THRUST_200600_302600_NS11hip_rocprim14__parallel_for6kernelILj256ENS1_20__uninitialized_copy7functorINS0_10device_ptrIK10large_dataEENS0_7pointerIS7_NS1_3tagENS0_11use_defaultESC_EEEEmLj1EEEvT0_T1_SG_
	.p2align	8
	.type	_ZN6thrust23THRUST_200600_302600_NS11hip_rocprim14__parallel_for6kernelILj256ENS1_20__uninitialized_copy7functorINS0_10device_ptrIK10large_dataEENS0_7pointerIS7_NS1_3tagENS0_11use_defaultESC_EEEEmLj1EEEvT0_T1_SG_,@function
_ZN6thrust23THRUST_200600_302600_NS11hip_rocprim14__parallel_for6kernelILj256ENS1_20__uninitialized_copy7functorINS0_10device_ptrIK10large_dataEENS0_7pointerIS7_NS1_3tagENS0_11use_defaultESC_EEEEmLj1EEEvT0_T1_SG_: ; @_ZN6thrust23THRUST_200600_302600_NS11hip_rocprim14__parallel_for6kernelILj256ENS1_20__uninitialized_copy7functorINS0_10device_ptrIK10large_dataEENS0_7pointerIS7_NS1_3tagENS0_11use_defaultESC_EEEEmLj1EEEvT0_T1_SG_
; %bb.0:
	s_load_b256 s[0:7], s[0:1], 0x0
	s_lshl_b32 s8, s15, 8
	s_waitcnt lgkmcnt(0)
	s_add_u32 s6, s8, s6
	s_addc_u32 s7, 0, s7
	s_sub_u32 s4, s4, s6
	s_subb_u32 s5, s5, s7
	s_delay_alu instid0(SALU_CYCLE_1) | instskip(NEXT) | instid1(VALU_DEP_1)
	v_cmp_gt_u64_e64 s5, 0x100, s[4:5]
	s_and_b32 vcc_lo, exec_lo, s5
	s_mov_b32 s5, 0
	s_cbranch_vccz .LBB686_4
; %bb.1:
	v_cmp_gt_u32_e32 vcc_lo, s4, v0
	s_mov_b32 s4, 0
                                        ; implicit-def: $vgpr1_vgpr2
                                        ; implicit-def: $vgpr3_vgpr4
	s_and_saveexec_b32 s8, vcc_lo
	s_delay_alu instid0(SALU_CYCLE_1)
	s_xor_b32 s8, exec_lo, s8
; %bb.2:
	v_add_co_u32 v1, s9, s6, v0
	s_delay_alu instid0(VALU_DEP_1) | instskip(SKIP_1) | instid1(VALU_DEP_1)
	v_add_co_ci_u32_e64 v2, null, s7, 0, s9
	s_mov_b32 s5, exec_lo
	v_lshlrev_b64 v[3:4], 9, v[1:2]
	s_delay_alu instid0(VALU_DEP_1) | instskip(NEXT) | instid1(VALU_DEP_2)
	v_add_co_u32 v1, vcc_lo, s2, v3
	v_add_co_ci_u32_e32 v2, vcc_lo, s3, v4, vcc_lo
	v_add_co_u32 v3, vcc_lo, s0, v3
	v_add_co_ci_u32_e32 v4, vcc_lo, s1, v4, vcc_lo
; %bb.3:
	s_or_b32 exec_lo, exec_lo, s8
	s_delay_alu instid0(SALU_CYCLE_1)
	s_and_b32 vcc_lo, exec_lo, s4
	s_cbranch_vccnz .LBB686_5
	s_branch .LBB686_6
.LBB686_4:
                                        ; implicit-def: $vgpr1_vgpr2
                                        ; implicit-def: $vgpr3_vgpr4
	s_cbranch_execz .LBB686_6
.LBB686_5:
	v_add_co_u32 v0, s4, s6, v0
	s_delay_alu instid0(VALU_DEP_1) | instskip(SKIP_1) | instid1(VALU_DEP_1)
	v_add_co_ci_u32_e64 v1, null, s7, 0, s4
	s_or_b32 s5, s5, exec_lo
	v_lshlrev_b64 v[1:2], 9, v[0:1]
	s_delay_alu instid0(VALU_DEP_1) | instskip(NEXT) | instid1(VALU_DEP_2)
	v_add_co_u32 v3, vcc_lo, s0, v1
	v_add_co_ci_u32_e32 v4, vcc_lo, s1, v2, vcc_lo
	v_add_co_u32 v1, vcc_lo, s2, v1
	v_add_co_ci_u32_e32 v2, vcc_lo, s3, v2, vcc_lo
.LBB686_6:
	s_and_saveexec_b32 s0, s5
	s_cbranch_execnz .LBB686_8
; %bb.7:
	s_endpgm
.LBB686_8:
	flat_load_u8 v0, v[3:4]
	s_waitcnt vmcnt(0) lgkmcnt(0)
	flat_store_b8 v[1:2], v0
	s_endpgm
	.section	.rodata,"a",@progbits
	.p2align	6, 0x0
	.amdhsa_kernel _ZN6thrust23THRUST_200600_302600_NS11hip_rocprim14__parallel_for6kernelILj256ENS1_20__uninitialized_copy7functorINS0_10device_ptrIK10large_dataEENS0_7pointerIS7_NS1_3tagENS0_11use_defaultESC_EEEEmLj1EEEvT0_T1_SG_
		.amdhsa_group_segment_fixed_size 0
		.amdhsa_private_segment_fixed_size 0
		.amdhsa_kernarg_size 32
		.amdhsa_user_sgpr_count 15
		.amdhsa_user_sgpr_dispatch_ptr 0
		.amdhsa_user_sgpr_queue_ptr 0
		.amdhsa_user_sgpr_kernarg_segment_ptr 1
		.amdhsa_user_sgpr_dispatch_id 0
		.amdhsa_user_sgpr_private_segment_size 0
		.amdhsa_wavefront_size32 1
		.amdhsa_uses_dynamic_stack 0
		.amdhsa_enable_private_segment 0
		.amdhsa_system_sgpr_workgroup_id_x 1
		.amdhsa_system_sgpr_workgroup_id_y 0
		.amdhsa_system_sgpr_workgroup_id_z 0
		.amdhsa_system_sgpr_workgroup_info 0
		.amdhsa_system_vgpr_workitem_id 0
		.amdhsa_next_free_vgpr 5
		.amdhsa_next_free_sgpr 16
		.amdhsa_reserve_vcc 1
		.amdhsa_float_round_mode_32 0
		.amdhsa_float_round_mode_16_64 0
		.amdhsa_float_denorm_mode_32 3
		.amdhsa_float_denorm_mode_16_64 3
		.amdhsa_dx10_clamp 1
		.amdhsa_ieee_mode 1
		.amdhsa_fp16_overflow 0
		.amdhsa_workgroup_processor_mode 1
		.amdhsa_memory_ordered 1
		.amdhsa_forward_progress 0
		.amdhsa_shared_vgpr_count 0
		.amdhsa_exception_fp_ieee_invalid_op 0
		.amdhsa_exception_fp_denorm_src 0
		.amdhsa_exception_fp_ieee_div_zero 0
		.amdhsa_exception_fp_ieee_overflow 0
		.amdhsa_exception_fp_ieee_underflow 0
		.amdhsa_exception_fp_ieee_inexact 0
		.amdhsa_exception_int_div_zero 0
	.end_amdhsa_kernel
	.section	.text._ZN6thrust23THRUST_200600_302600_NS11hip_rocprim14__parallel_for6kernelILj256ENS1_20__uninitialized_copy7functorINS0_10device_ptrIK10large_dataEENS0_7pointerIS7_NS1_3tagENS0_11use_defaultESC_EEEEmLj1EEEvT0_T1_SG_,"axG",@progbits,_ZN6thrust23THRUST_200600_302600_NS11hip_rocprim14__parallel_for6kernelILj256ENS1_20__uninitialized_copy7functorINS0_10device_ptrIK10large_dataEENS0_7pointerIS7_NS1_3tagENS0_11use_defaultESC_EEEEmLj1EEEvT0_T1_SG_,comdat
.Lfunc_end686:
	.size	_ZN6thrust23THRUST_200600_302600_NS11hip_rocprim14__parallel_for6kernelILj256ENS1_20__uninitialized_copy7functorINS0_10device_ptrIK10large_dataEENS0_7pointerIS7_NS1_3tagENS0_11use_defaultESC_EEEEmLj1EEEvT0_T1_SG_, .Lfunc_end686-_ZN6thrust23THRUST_200600_302600_NS11hip_rocprim14__parallel_for6kernelILj256ENS1_20__uninitialized_copy7functorINS0_10device_ptrIK10large_dataEENS0_7pointerIS7_NS1_3tagENS0_11use_defaultESC_EEEEmLj1EEEvT0_T1_SG_
                                        ; -- End function
	.section	.AMDGPU.csdata,"",@progbits
; Kernel info:
; codeLenInByte = 260
; NumSgprs: 18
; NumVgprs: 5
; ScratchSize: 0
; MemoryBound: 0
; FloatMode: 240
; IeeeMode: 1
; LDSByteSize: 0 bytes/workgroup (compile time only)
; SGPRBlocks: 2
; VGPRBlocks: 0
; NumSGPRsForWavesPerEU: 18
; NumVGPRsForWavesPerEU: 5
; Occupancy: 16
; WaveLimiterHint : 0
; COMPUTE_PGM_RSRC2:SCRATCH_EN: 0
; COMPUTE_PGM_RSRC2:USER_SGPR: 15
; COMPUTE_PGM_RSRC2:TRAP_HANDLER: 0
; COMPUTE_PGM_RSRC2:TGID_X_EN: 1
; COMPUTE_PGM_RSRC2:TGID_Y_EN: 0
; COMPUTE_PGM_RSRC2:TGID_Z_EN: 0
; COMPUTE_PGM_RSRC2:TIDIG_COMP_CNT: 0
	.section	.text._ZN7rocprim17ROCPRIM_400000_NS6detail17trampoline_kernelINS0_14default_configENS1_25partition_config_selectorILNS1_17partition_subalgoE5E10large_dataNS0_10empty_typeEbEEZZNS1_14partition_implILS5_5ELb0ES3_mN6thrust23THRUST_200600_302600_NS6detail15normal_iteratorINSB_10device_ptrIS6_EEEEPS7_NSB_18transform_iteratorI5mod_3IS6_ESG_NSB_11use_defaultESL_EENS0_5tupleIJSG_S7_EEENSN_IJSH_SH_EEES7_PlJS7_EEE10hipError_tPvRmT3_T4_T5_T6_T7_T9_mT8_P12ihipStream_tbDpT10_ENKUlT_T0_E_clISt17integral_constantIbLb0EES1A_EEDaS15_S16_EUlS15_E_NS1_11comp_targetILNS1_3genE0ELNS1_11target_archE4294967295ELNS1_3gpuE0ELNS1_3repE0EEENS1_30default_config_static_selectorELNS0_4arch9wavefront6targetE0EEEvT1_,"axG",@progbits,_ZN7rocprim17ROCPRIM_400000_NS6detail17trampoline_kernelINS0_14default_configENS1_25partition_config_selectorILNS1_17partition_subalgoE5E10large_dataNS0_10empty_typeEbEEZZNS1_14partition_implILS5_5ELb0ES3_mN6thrust23THRUST_200600_302600_NS6detail15normal_iteratorINSB_10device_ptrIS6_EEEEPS7_NSB_18transform_iteratorI5mod_3IS6_ESG_NSB_11use_defaultESL_EENS0_5tupleIJSG_S7_EEENSN_IJSH_SH_EEES7_PlJS7_EEE10hipError_tPvRmT3_T4_T5_T6_T7_T9_mT8_P12ihipStream_tbDpT10_ENKUlT_T0_E_clISt17integral_constantIbLb0EES1A_EEDaS15_S16_EUlS15_E_NS1_11comp_targetILNS1_3genE0ELNS1_11target_archE4294967295ELNS1_3gpuE0ELNS1_3repE0EEENS1_30default_config_static_selectorELNS0_4arch9wavefront6targetE0EEEvT1_,comdat
	.protected	_ZN7rocprim17ROCPRIM_400000_NS6detail17trampoline_kernelINS0_14default_configENS1_25partition_config_selectorILNS1_17partition_subalgoE5E10large_dataNS0_10empty_typeEbEEZZNS1_14partition_implILS5_5ELb0ES3_mN6thrust23THRUST_200600_302600_NS6detail15normal_iteratorINSB_10device_ptrIS6_EEEEPS7_NSB_18transform_iteratorI5mod_3IS6_ESG_NSB_11use_defaultESL_EENS0_5tupleIJSG_S7_EEENSN_IJSH_SH_EEES7_PlJS7_EEE10hipError_tPvRmT3_T4_T5_T6_T7_T9_mT8_P12ihipStream_tbDpT10_ENKUlT_T0_E_clISt17integral_constantIbLb0EES1A_EEDaS15_S16_EUlS15_E_NS1_11comp_targetILNS1_3genE0ELNS1_11target_archE4294967295ELNS1_3gpuE0ELNS1_3repE0EEENS1_30default_config_static_selectorELNS0_4arch9wavefront6targetE0EEEvT1_ ; -- Begin function _ZN7rocprim17ROCPRIM_400000_NS6detail17trampoline_kernelINS0_14default_configENS1_25partition_config_selectorILNS1_17partition_subalgoE5E10large_dataNS0_10empty_typeEbEEZZNS1_14partition_implILS5_5ELb0ES3_mN6thrust23THRUST_200600_302600_NS6detail15normal_iteratorINSB_10device_ptrIS6_EEEEPS7_NSB_18transform_iteratorI5mod_3IS6_ESG_NSB_11use_defaultESL_EENS0_5tupleIJSG_S7_EEENSN_IJSH_SH_EEES7_PlJS7_EEE10hipError_tPvRmT3_T4_T5_T6_T7_T9_mT8_P12ihipStream_tbDpT10_ENKUlT_T0_E_clISt17integral_constantIbLb0EES1A_EEDaS15_S16_EUlS15_E_NS1_11comp_targetILNS1_3genE0ELNS1_11target_archE4294967295ELNS1_3gpuE0ELNS1_3repE0EEENS1_30default_config_static_selectorELNS0_4arch9wavefront6targetE0EEEvT1_
	.globl	_ZN7rocprim17ROCPRIM_400000_NS6detail17trampoline_kernelINS0_14default_configENS1_25partition_config_selectorILNS1_17partition_subalgoE5E10large_dataNS0_10empty_typeEbEEZZNS1_14partition_implILS5_5ELb0ES3_mN6thrust23THRUST_200600_302600_NS6detail15normal_iteratorINSB_10device_ptrIS6_EEEEPS7_NSB_18transform_iteratorI5mod_3IS6_ESG_NSB_11use_defaultESL_EENS0_5tupleIJSG_S7_EEENSN_IJSH_SH_EEES7_PlJS7_EEE10hipError_tPvRmT3_T4_T5_T6_T7_T9_mT8_P12ihipStream_tbDpT10_ENKUlT_T0_E_clISt17integral_constantIbLb0EES1A_EEDaS15_S16_EUlS15_E_NS1_11comp_targetILNS1_3genE0ELNS1_11target_archE4294967295ELNS1_3gpuE0ELNS1_3repE0EEENS1_30default_config_static_selectorELNS0_4arch9wavefront6targetE0EEEvT1_
	.p2align	8
	.type	_ZN7rocprim17ROCPRIM_400000_NS6detail17trampoline_kernelINS0_14default_configENS1_25partition_config_selectorILNS1_17partition_subalgoE5E10large_dataNS0_10empty_typeEbEEZZNS1_14partition_implILS5_5ELb0ES3_mN6thrust23THRUST_200600_302600_NS6detail15normal_iteratorINSB_10device_ptrIS6_EEEEPS7_NSB_18transform_iteratorI5mod_3IS6_ESG_NSB_11use_defaultESL_EENS0_5tupleIJSG_S7_EEENSN_IJSH_SH_EEES7_PlJS7_EEE10hipError_tPvRmT3_T4_T5_T6_T7_T9_mT8_P12ihipStream_tbDpT10_ENKUlT_T0_E_clISt17integral_constantIbLb0EES1A_EEDaS15_S16_EUlS15_E_NS1_11comp_targetILNS1_3genE0ELNS1_11target_archE4294967295ELNS1_3gpuE0ELNS1_3repE0EEENS1_30default_config_static_selectorELNS0_4arch9wavefront6targetE0EEEvT1_,@function
_ZN7rocprim17ROCPRIM_400000_NS6detail17trampoline_kernelINS0_14default_configENS1_25partition_config_selectorILNS1_17partition_subalgoE5E10large_dataNS0_10empty_typeEbEEZZNS1_14partition_implILS5_5ELb0ES3_mN6thrust23THRUST_200600_302600_NS6detail15normal_iteratorINSB_10device_ptrIS6_EEEEPS7_NSB_18transform_iteratorI5mod_3IS6_ESG_NSB_11use_defaultESL_EENS0_5tupleIJSG_S7_EEENSN_IJSH_SH_EEES7_PlJS7_EEE10hipError_tPvRmT3_T4_T5_T6_T7_T9_mT8_P12ihipStream_tbDpT10_ENKUlT_T0_E_clISt17integral_constantIbLb0EES1A_EEDaS15_S16_EUlS15_E_NS1_11comp_targetILNS1_3genE0ELNS1_11target_archE4294967295ELNS1_3gpuE0ELNS1_3repE0EEENS1_30default_config_static_selectorELNS0_4arch9wavefront6targetE0EEEvT1_: ; @_ZN7rocprim17ROCPRIM_400000_NS6detail17trampoline_kernelINS0_14default_configENS1_25partition_config_selectorILNS1_17partition_subalgoE5E10large_dataNS0_10empty_typeEbEEZZNS1_14partition_implILS5_5ELb0ES3_mN6thrust23THRUST_200600_302600_NS6detail15normal_iteratorINSB_10device_ptrIS6_EEEEPS7_NSB_18transform_iteratorI5mod_3IS6_ESG_NSB_11use_defaultESL_EENS0_5tupleIJSG_S7_EEENSN_IJSH_SH_EEES7_PlJS7_EEE10hipError_tPvRmT3_T4_T5_T6_T7_T9_mT8_P12ihipStream_tbDpT10_ENKUlT_T0_E_clISt17integral_constantIbLb0EES1A_EEDaS15_S16_EUlS15_E_NS1_11comp_targetILNS1_3genE0ELNS1_11target_archE4294967295ELNS1_3gpuE0ELNS1_3repE0EEENS1_30default_config_static_selectorELNS0_4arch9wavefront6targetE0EEEvT1_
; %bb.0:
	.section	.rodata,"a",@progbits
	.p2align	6, 0x0
	.amdhsa_kernel _ZN7rocprim17ROCPRIM_400000_NS6detail17trampoline_kernelINS0_14default_configENS1_25partition_config_selectorILNS1_17partition_subalgoE5E10large_dataNS0_10empty_typeEbEEZZNS1_14partition_implILS5_5ELb0ES3_mN6thrust23THRUST_200600_302600_NS6detail15normal_iteratorINSB_10device_ptrIS6_EEEEPS7_NSB_18transform_iteratorI5mod_3IS6_ESG_NSB_11use_defaultESL_EENS0_5tupleIJSG_S7_EEENSN_IJSH_SH_EEES7_PlJS7_EEE10hipError_tPvRmT3_T4_T5_T6_T7_T9_mT8_P12ihipStream_tbDpT10_ENKUlT_T0_E_clISt17integral_constantIbLb0EES1A_EEDaS15_S16_EUlS15_E_NS1_11comp_targetILNS1_3genE0ELNS1_11target_archE4294967295ELNS1_3gpuE0ELNS1_3repE0EEENS1_30default_config_static_selectorELNS0_4arch9wavefront6targetE0EEEvT1_
		.amdhsa_group_segment_fixed_size 0
		.amdhsa_private_segment_fixed_size 0
		.amdhsa_kernarg_size 120
		.amdhsa_user_sgpr_count 15
		.amdhsa_user_sgpr_dispatch_ptr 0
		.amdhsa_user_sgpr_queue_ptr 0
		.amdhsa_user_sgpr_kernarg_segment_ptr 1
		.amdhsa_user_sgpr_dispatch_id 0
		.amdhsa_user_sgpr_private_segment_size 0
		.amdhsa_wavefront_size32 1
		.amdhsa_uses_dynamic_stack 0
		.amdhsa_enable_private_segment 0
		.amdhsa_system_sgpr_workgroup_id_x 1
		.amdhsa_system_sgpr_workgroup_id_y 0
		.amdhsa_system_sgpr_workgroup_id_z 0
		.amdhsa_system_sgpr_workgroup_info 0
		.amdhsa_system_vgpr_workitem_id 0
		.amdhsa_next_free_vgpr 1
		.amdhsa_next_free_sgpr 1
		.amdhsa_reserve_vcc 0
		.amdhsa_float_round_mode_32 0
		.amdhsa_float_round_mode_16_64 0
		.amdhsa_float_denorm_mode_32 3
		.amdhsa_float_denorm_mode_16_64 3
		.amdhsa_dx10_clamp 1
		.amdhsa_ieee_mode 1
		.amdhsa_fp16_overflow 0
		.amdhsa_workgroup_processor_mode 1
		.amdhsa_memory_ordered 1
		.amdhsa_forward_progress 0
		.amdhsa_shared_vgpr_count 0
		.amdhsa_exception_fp_ieee_invalid_op 0
		.amdhsa_exception_fp_denorm_src 0
		.amdhsa_exception_fp_ieee_div_zero 0
		.amdhsa_exception_fp_ieee_overflow 0
		.amdhsa_exception_fp_ieee_underflow 0
		.amdhsa_exception_fp_ieee_inexact 0
		.amdhsa_exception_int_div_zero 0
	.end_amdhsa_kernel
	.section	.text._ZN7rocprim17ROCPRIM_400000_NS6detail17trampoline_kernelINS0_14default_configENS1_25partition_config_selectorILNS1_17partition_subalgoE5E10large_dataNS0_10empty_typeEbEEZZNS1_14partition_implILS5_5ELb0ES3_mN6thrust23THRUST_200600_302600_NS6detail15normal_iteratorINSB_10device_ptrIS6_EEEEPS7_NSB_18transform_iteratorI5mod_3IS6_ESG_NSB_11use_defaultESL_EENS0_5tupleIJSG_S7_EEENSN_IJSH_SH_EEES7_PlJS7_EEE10hipError_tPvRmT3_T4_T5_T6_T7_T9_mT8_P12ihipStream_tbDpT10_ENKUlT_T0_E_clISt17integral_constantIbLb0EES1A_EEDaS15_S16_EUlS15_E_NS1_11comp_targetILNS1_3genE0ELNS1_11target_archE4294967295ELNS1_3gpuE0ELNS1_3repE0EEENS1_30default_config_static_selectorELNS0_4arch9wavefront6targetE0EEEvT1_,"axG",@progbits,_ZN7rocprim17ROCPRIM_400000_NS6detail17trampoline_kernelINS0_14default_configENS1_25partition_config_selectorILNS1_17partition_subalgoE5E10large_dataNS0_10empty_typeEbEEZZNS1_14partition_implILS5_5ELb0ES3_mN6thrust23THRUST_200600_302600_NS6detail15normal_iteratorINSB_10device_ptrIS6_EEEEPS7_NSB_18transform_iteratorI5mod_3IS6_ESG_NSB_11use_defaultESL_EENS0_5tupleIJSG_S7_EEENSN_IJSH_SH_EEES7_PlJS7_EEE10hipError_tPvRmT3_T4_T5_T6_T7_T9_mT8_P12ihipStream_tbDpT10_ENKUlT_T0_E_clISt17integral_constantIbLb0EES1A_EEDaS15_S16_EUlS15_E_NS1_11comp_targetILNS1_3genE0ELNS1_11target_archE4294967295ELNS1_3gpuE0ELNS1_3repE0EEENS1_30default_config_static_selectorELNS0_4arch9wavefront6targetE0EEEvT1_,comdat
.Lfunc_end687:
	.size	_ZN7rocprim17ROCPRIM_400000_NS6detail17trampoline_kernelINS0_14default_configENS1_25partition_config_selectorILNS1_17partition_subalgoE5E10large_dataNS0_10empty_typeEbEEZZNS1_14partition_implILS5_5ELb0ES3_mN6thrust23THRUST_200600_302600_NS6detail15normal_iteratorINSB_10device_ptrIS6_EEEEPS7_NSB_18transform_iteratorI5mod_3IS6_ESG_NSB_11use_defaultESL_EENS0_5tupleIJSG_S7_EEENSN_IJSH_SH_EEES7_PlJS7_EEE10hipError_tPvRmT3_T4_T5_T6_T7_T9_mT8_P12ihipStream_tbDpT10_ENKUlT_T0_E_clISt17integral_constantIbLb0EES1A_EEDaS15_S16_EUlS15_E_NS1_11comp_targetILNS1_3genE0ELNS1_11target_archE4294967295ELNS1_3gpuE0ELNS1_3repE0EEENS1_30default_config_static_selectorELNS0_4arch9wavefront6targetE0EEEvT1_, .Lfunc_end687-_ZN7rocprim17ROCPRIM_400000_NS6detail17trampoline_kernelINS0_14default_configENS1_25partition_config_selectorILNS1_17partition_subalgoE5E10large_dataNS0_10empty_typeEbEEZZNS1_14partition_implILS5_5ELb0ES3_mN6thrust23THRUST_200600_302600_NS6detail15normal_iteratorINSB_10device_ptrIS6_EEEEPS7_NSB_18transform_iteratorI5mod_3IS6_ESG_NSB_11use_defaultESL_EENS0_5tupleIJSG_S7_EEENSN_IJSH_SH_EEES7_PlJS7_EEE10hipError_tPvRmT3_T4_T5_T6_T7_T9_mT8_P12ihipStream_tbDpT10_ENKUlT_T0_E_clISt17integral_constantIbLb0EES1A_EEDaS15_S16_EUlS15_E_NS1_11comp_targetILNS1_3genE0ELNS1_11target_archE4294967295ELNS1_3gpuE0ELNS1_3repE0EEENS1_30default_config_static_selectorELNS0_4arch9wavefront6targetE0EEEvT1_
                                        ; -- End function
	.section	.AMDGPU.csdata,"",@progbits
; Kernel info:
; codeLenInByte = 0
; NumSgprs: 0
; NumVgprs: 0
; ScratchSize: 0
; MemoryBound: 0
; FloatMode: 240
; IeeeMode: 1
; LDSByteSize: 0 bytes/workgroup (compile time only)
; SGPRBlocks: 0
; VGPRBlocks: 0
; NumSGPRsForWavesPerEU: 1
; NumVGPRsForWavesPerEU: 1
; Occupancy: 16
; WaveLimiterHint : 0
; COMPUTE_PGM_RSRC2:SCRATCH_EN: 0
; COMPUTE_PGM_RSRC2:USER_SGPR: 15
; COMPUTE_PGM_RSRC2:TRAP_HANDLER: 0
; COMPUTE_PGM_RSRC2:TGID_X_EN: 1
; COMPUTE_PGM_RSRC2:TGID_Y_EN: 0
; COMPUTE_PGM_RSRC2:TGID_Z_EN: 0
; COMPUTE_PGM_RSRC2:TIDIG_COMP_CNT: 0
	.section	.text._ZN7rocprim17ROCPRIM_400000_NS6detail17trampoline_kernelINS0_14default_configENS1_25partition_config_selectorILNS1_17partition_subalgoE5E10large_dataNS0_10empty_typeEbEEZZNS1_14partition_implILS5_5ELb0ES3_mN6thrust23THRUST_200600_302600_NS6detail15normal_iteratorINSB_10device_ptrIS6_EEEEPS7_NSB_18transform_iteratorI5mod_3IS6_ESG_NSB_11use_defaultESL_EENS0_5tupleIJSG_S7_EEENSN_IJSH_SH_EEES7_PlJS7_EEE10hipError_tPvRmT3_T4_T5_T6_T7_T9_mT8_P12ihipStream_tbDpT10_ENKUlT_T0_E_clISt17integral_constantIbLb0EES1A_EEDaS15_S16_EUlS15_E_NS1_11comp_targetILNS1_3genE5ELNS1_11target_archE942ELNS1_3gpuE9ELNS1_3repE0EEENS1_30default_config_static_selectorELNS0_4arch9wavefront6targetE0EEEvT1_,"axG",@progbits,_ZN7rocprim17ROCPRIM_400000_NS6detail17trampoline_kernelINS0_14default_configENS1_25partition_config_selectorILNS1_17partition_subalgoE5E10large_dataNS0_10empty_typeEbEEZZNS1_14partition_implILS5_5ELb0ES3_mN6thrust23THRUST_200600_302600_NS6detail15normal_iteratorINSB_10device_ptrIS6_EEEEPS7_NSB_18transform_iteratorI5mod_3IS6_ESG_NSB_11use_defaultESL_EENS0_5tupleIJSG_S7_EEENSN_IJSH_SH_EEES7_PlJS7_EEE10hipError_tPvRmT3_T4_T5_T6_T7_T9_mT8_P12ihipStream_tbDpT10_ENKUlT_T0_E_clISt17integral_constantIbLb0EES1A_EEDaS15_S16_EUlS15_E_NS1_11comp_targetILNS1_3genE5ELNS1_11target_archE942ELNS1_3gpuE9ELNS1_3repE0EEENS1_30default_config_static_selectorELNS0_4arch9wavefront6targetE0EEEvT1_,comdat
	.protected	_ZN7rocprim17ROCPRIM_400000_NS6detail17trampoline_kernelINS0_14default_configENS1_25partition_config_selectorILNS1_17partition_subalgoE5E10large_dataNS0_10empty_typeEbEEZZNS1_14partition_implILS5_5ELb0ES3_mN6thrust23THRUST_200600_302600_NS6detail15normal_iteratorINSB_10device_ptrIS6_EEEEPS7_NSB_18transform_iteratorI5mod_3IS6_ESG_NSB_11use_defaultESL_EENS0_5tupleIJSG_S7_EEENSN_IJSH_SH_EEES7_PlJS7_EEE10hipError_tPvRmT3_T4_T5_T6_T7_T9_mT8_P12ihipStream_tbDpT10_ENKUlT_T0_E_clISt17integral_constantIbLb0EES1A_EEDaS15_S16_EUlS15_E_NS1_11comp_targetILNS1_3genE5ELNS1_11target_archE942ELNS1_3gpuE9ELNS1_3repE0EEENS1_30default_config_static_selectorELNS0_4arch9wavefront6targetE0EEEvT1_ ; -- Begin function _ZN7rocprim17ROCPRIM_400000_NS6detail17trampoline_kernelINS0_14default_configENS1_25partition_config_selectorILNS1_17partition_subalgoE5E10large_dataNS0_10empty_typeEbEEZZNS1_14partition_implILS5_5ELb0ES3_mN6thrust23THRUST_200600_302600_NS6detail15normal_iteratorINSB_10device_ptrIS6_EEEEPS7_NSB_18transform_iteratorI5mod_3IS6_ESG_NSB_11use_defaultESL_EENS0_5tupleIJSG_S7_EEENSN_IJSH_SH_EEES7_PlJS7_EEE10hipError_tPvRmT3_T4_T5_T6_T7_T9_mT8_P12ihipStream_tbDpT10_ENKUlT_T0_E_clISt17integral_constantIbLb0EES1A_EEDaS15_S16_EUlS15_E_NS1_11comp_targetILNS1_3genE5ELNS1_11target_archE942ELNS1_3gpuE9ELNS1_3repE0EEENS1_30default_config_static_selectorELNS0_4arch9wavefront6targetE0EEEvT1_
	.globl	_ZN7rocprim17ROCPRIM_400000_NS6detail17trampoline_kernelINS0_14default_configENS1_25partition_config_selectorILNS1_17partition_subalgoE5E10large_dataNS0_10empty_typeEbEEZZNS1_14partition_implILS5_5ELb0ES3_mN6thrust23THRUST_200600_302600_NS6detail15normal_iteratorINSB_10device_ptrIS6_EEEEPS7_NSB_18transform_iteratorI5mod_3IS6_ESG_NSB_11use_defaultESL_EENS0_5tupleIJSG_S7_EEENSN_IJSH_SH_EEES7_PlJS7_EEE10hipError_tPvRmT3_T4_T5_T6_T7_T9_mT8_P12ihipStream_tbDpT10_ENKUlT_T0_E_clISt17integral_constantIbLb0EES1A_EEDaS15_S16_EUlS15_E_NS1_11comp_targetILNS1_3genE5ELNS1_11target_archE942ELNS1_3gpuE9ELNS1_3repE0EEENS1_30default_config_static_selectorELNS0_4arch9wavefront6targetE0EEEvT1_
	.p2align	8
	.type	_ZN7rocprim17ROCPRIM_400000_NS6detail17trampoline_kernelINS0_14default_configENS1_25partition_config_selectorILNS1_17partition_subalgoE5E10large_dataNS0_10empty_typeEbEEZZNS1_14partition_implILS5_5ELb0ES3_mN6thrust23THRUST_200600_302600_NS6detail15normal_iteratorINSB_10device_ptrIS6_EEEEPS7_NSB_18transform_iteratorI5mod_3IS6_ESG_NSB_11use_defaultESL_EENS0_5tupleIJSG_S7_EEENSN_IJSH_SH_EEES7_PlJS7_EEE10hipError_tPvRmT3_T4_T5_T6_T7_T9_mT8_P12ihipStream_tbDpT10_ENKUlT_T0_E_clISt17integral_constantIbLb0EES1A_EEDaS15_S16_EUlS15_E_NS1_11comp_targetILNS1_3genE5ELNS1_11target_archE942ELNS1_3gpuE9ELNS1_3repE0EEENS1_30default_config_static_selectorELNS0_4arch9wavefront6targetE0EEEvT1_,@function
_ZN7rocprim17ROCPRIM_400000_NS6detail17trampoline_kernelINS0_14default_configENS1_25partition_config_selectorILNS1_17partition_subalgoE5E10large_dataNS0_10empty_typeEbEEZZNS1_14partition_implILS5_5ELb0ES3_mN6thrust23THRUST_200600_302600_NS6detail15normal_iteratorINSB_10device_ptrIS6_EEEEPS7_NSB_18transform_iteratorI5mod_3IS6_ESG_NSB_11use_defaultESL_EENS0_5tupleIJSG_S7_EEENSN_IJSH_SH_EEES7_PlJS7_EEE10hipError_tPvRmT3_T4_T5_T6_T7_T9_mT8_P12ihipStream_tbDpT10_ENKUlT_T0_E_clISt17integral_constantIbLb0EES1A_EEDaS15_S16_EUlS15_E_NS1_11comp_targetILNS1_3genE5ELNS1_11target_archE942ELNS1_3gpuE9ELNS1_3repE0EEENS1_30default_config_static_selectorELNS0_4arch9wavefront6targetE0EEEvT1_: ; @_ZN7rocprim17ROCPRIM_400000_NS6detail17trampoline_kernelINS0_14default_configENS1_25partition_config_selectorILNS1_17partition_subalgoE5E10large_dataNS0_10empty_typeEbEEZZNS1_14partition_implILS5_5ELb0ES3_mN6thrust23THRUST_200600_302600_NS6detail15normal_iteratorINSB_10device_ptrIS6_EEEEPS7_NSB_18transform_iteratorI5mod_3IS6_ESG_NSB_11use_defaultESL_EENS0_5tupleIJSG_S7_EEENSN_IJSH_SH_EEES7_PlJS7_EEE10hipError_tPvRmT3_T4_T5_T6_T7_T9_mT8_P12ihipStream_tbDpT10_ENKUlT_T0_E_clISt17integral_constantIbLb0EES1A_EEDaS15_S16_EUlS15_E_NS1_11comp_targetILNS1_3genE5ELNS1_11target_archE942ELNS1_3gpuE9ELNS1_3repE0EEENS1_30default_config_static_selectorELNS0_4arch9wavefront6targetE0EEEvT1_
; %bb.0:
	.section	.rodata,"a",@progbits
	.p2align	6, 0x0
	.amdhsa_kernel _ZN7rocprim17ROCPRIM_400000_NS6detail17trampoline_kernelINS0_14default_configENS1_25partition_config_selectorILNS1_17partition_subalgoE5E10large_dataNS0_10empty_typeEbEEZZNS1_14partition_implILS5_5ELb0ES3_mN6thrust23THRUST_200600_302600_NS6detail15normal_iteratorINSB_10device_ptrIS6_EEEEPS7_NSB_18transform_iteratorI5mod_3IS6_ESG_NSB_11use_defaultESL_EENS0_5tupleIJSG_S7_EEENSN_IJSH_SH_EEES7_PlJS7_EEE10hipError_tPvRmT3_T4_T5_T6_T7_T9_mT8_P12ihipStream_tbDpT10_ENKUlT_T0_E_clISt17integral_constantIbLb0EES1A_EEDaS15_S16_EUlS15_E_NS1_11comp_targetILNS1_3genE5ELNS1_11target_archE942ELNS1_3gpuE9ELNS1_3repE0EEENS1_30default_config_static_selectorELNS0_4arch9wavefront6targetE0EEEvT1_
		.amdhsa_group_segment_fixed_size 0
		.amdhsa_private_segment_fixed_size 0
		.amdhsa_kernarg_size 120
		.amdhsa_user_sgpr_count 15
		.amdhsa_user_sgpr_dispatch_ptr 0
		.amdhsa_user_sgpr_queue_ptr 0
		.amdhsa_user_sgpr_kernarg_segment_ptr 1
		.amdhsa_user_sgpr_dispatch_id 0
		.amdhsa_user_sgpr_private_segment_size 0
		.amdhsa_wavefront_size32 1
		.amdhsa_uses_dynamic_stack 0
		.amdhsa_enable_private_segment 0
		.amdhsa_system_sgpr_workgroup_id_x 1
		.amdhsa_system_sgpr_workgroup_id_y 0
		.amdhsa_system_sgpr_workgroup_id_z 0
		.amdhsa_system_sgpr_workgroup_info 0
		.amdhsa_system_vgpr_workitem_id 0
		.amdhsa_next_free_vgpr 1
		.amdhsa_next_free_sgpr 1
		.amdhsa_reserve_vcc 0
		.amdhsa_float_round_mode_32 0
		.amdhsa_float_round_mode_16_64 0
		.amdhsa_float_denorm_mode_32 3
		.amdhsa_float_denorm_mode_16_64 3
		.amdhsa_dx10_clamp 1
		.amdhsa_ieee_mode 1
		.amdhsa_fp16_overflow 0
		.amdhsa_workgroup_processor_mode 1
		.amdhsa_memory_ordered 1
		.amdhsa_forward_progress 0
		.amdhsa_shared_vgpr_count 0
		.amdhsa_exception_fp_ieee_invalid_op 0
		.amdhsa_exception_fp_denorm_src 0
		.amdhsa_exception_fp_ieee_div_zero 0
		.amdhsa_exception_fp_ieee_overflow 0
		.amdhsa_exception_fp_ieee_underflow 0
		.amdhsa_exception_fp_ieee_inexact 0
		.amdhsa_exception_int_div_zero 0
	.end_amdhsa_kernel
	.section	.text._ZN7rocprim17ROCPRIM_400000_NS6detail17trampoline_kernelINS0_14default_configENS1_25partition_config_selectorILNS1_17partition_subalgoE5E10large_dataNS0_10empty_typeEbEEZZNS1_14partition_implILS5_5ELb0ES3_mN6thrust23THRUST_200600_302600_NS6detail15normal_iteratorINSB_10device_ptrIS6_EEEEPS7_NSB_18transform_iteratorI5mod_3IS6_ESG_NSB_11use_defaultESL_EENS0_5tupleIJSG_S7_EEENSN_IJSH_SH_EEES7_PlJS7_EEE10hipError_tPvRmT3_T4_T5_T6_T7_T9_mT8_P12ihipStream_tbDpT10_ENKUlT_T0_E_clISt17integral_constantIbLb0EES1A_EEDaS15_S16_EUlS15_E_NS1_11comp_targetILNS1_3genE5ELNS1_11target_archE942ELNS1_3gpuE9ELNS1_3repE0EEENS1_30default_config_static_selectorELNS0_4arch9wavefront6targetE0EEEvT1_,"axG",@progbits,_ZN7rocprim17ROCPRIM_400000_NS6detail17trampoline_kernelINS0_14default_configENS1_25partition_config_selectorILNS1_17partition_subalgoE5E10large_dataNS0_10empty_typeEbEEZZNS1_14partition_implILS5_5ELb0ES3_mN6thrust23THRUST_200600_302600_NS6detail15normal_iteratorINSB_10device_ptrIS6_EEEEPS7_NSB_18transform_iteratorI5mod_3IS6_ESG_NSB_11use_defaultESL_EENS0_5tupleIJSG_S7_EEENSN_IJSH_SH_EEES7_PlJS7_EEE10hipError_tPvRmT3_T4_T5_T6_T7_T9_mT8_P12ihipStream_tbDpT10_ENKUlT_T0_E_clISt17integral_constantIbLb0EES1A_EEDaS15_S16_EUlS15_E_NS1_11comp_targetILNS1_3genE5ELNS1_11target_archE942ELNS1_3gpuE9ELNS1_3repE0EEENS1_30default_config_static_selectorELNS0_4arch9wavefront6targetE0EEEvT1_,comdat
.Lfunc_end688:
	.size	_ZN7rocprim17ROCPRIM_400000_NS6detail17trampoline_kernelINS0_14default_configENS1_25partition_config_selectorILNS1_17partition_subalgoE5E10large_dataNS0_10empty_typeEbEEZZNS1_14partition_implILS5_5ELb0ES3_mN6thrust23THRUST_200600_302600_NS6detail15normal_iteratorINSB_10device_ptrIS6_EEEEPS7_NSB_18transform_iteratorI5mod_3IS6_ESG_NSB_11use_defaultESL_EENS0_5tupleIJSG_S7_EEENSN_IJSH_SH_EEES7_PlJS7_EEE10hipError_tPvRmT3_T4_T5_T6_T7_T9_mT8_P12ihipStream_tbDpT10_ENKUlT_T0_E_clISt17integral_constantIbLb0EES1A_EEDaS15_S16_EUlS15_E_NS1_11comp_targetILNS1_3genE5ELNS1_11target_archE942ELNS1_3gpuE9ELNS1_3repE0EEENS1_30default_config_static_selectorELNS0_4arch9wavefront6targetE0EEEvT1_, .Lfunc_end688-_ZN7rocprim17ROCPRIM_400000_NS6detail17trampoline_kernelINS0_14default_configENS1_25partition_config_selectorILNS1_17partition_subalgoE5E10large_dataNS0_10empty_typeEbEEZZNS1_14partition_implILS5_5ELb0ES3_mN6thrust23THRUST_200600_302600_NS6detail15normal_iteratorINSB_10device_ptrIS6_EEEEPS7_NSB_18transform_iteratorI5mod_3IS6_ESG_NSB_11use_defaultESL_EENS0_5tupleIJSG_S7_EEENSN_IJSH_SH_EEES7_PlJS7_EEE10hipError_tPvRmT3_T4_T5_T6_T7_T9_mT8_P12ihipStream_tbDpT10_ENKUlT_T0_E_clISt17integral_constantIbLb0EES1A_EEDaS15_S16_EUlS15_E_NS1_11comp_targetILNS1_3genE5ELNS1_11target_archE942ELNS1_3gpuE9ELNS1_3repE0EEENS1_30default_config_static_selectorELNS0_4arch9wavefront6targetE0EEEvT1_
                                        ; -- End function
	.section	.AMDGPU.csdata,"",@progbits
; Kernel info:
; codeLenInByte = 0
; NumSgprs: 0
; NumVgprs: 0
; ScratchSize: 0
; MemoryBound: 0
; FloatMode: 240
; IeeeMode: 1
; LDSByteSize: 0 bytes/workgroup (compile time only)
; SGPRBlocks: 0
; VGPRBlocks: 0
; NumSGPRsForWavesPerEU: 1
; NumVGPRsForWavesPerEU: 1
; Occupancy: 16
; WaveLimiterHint : 0
; COMPUTE_PGM_RSRC2:SCRATCH_EN: 0
; COMPUTE_PGM_RSRC2:USER_SGPR: 15
; COMPUTE_PGM_RSRC2:TRAP_HANDLER: 0
; COMPUTE_PGM_RSRC2:TGID_X_EN: 1
; COMPUTE_PGM_RSRC2:TGID_Y_EN: 0
; COMPUTE_PGM_RSRC2:TGID_Z_EN: 0
; COMPUTE_PGM_RSRC2:TIDIG_COMP_CNT: 0
	.section	.text._ZN7rocprim17ROCPRIM_400000_NS6detail17trampoline_kernelINS0_14default_configENS1_25partition_config_selectorILNS1_17partition_subalgoE5E10large_dataNS0_10empty_typeEbEEZZNS1_14partition_implILS5_5ELb0ES3_mN6thrust23THRUST_200600_302600_NS6detail15normal_iteratorINSB_10device_ptrIS6_EEEEPS7_NSB_18transform_iteratorI5mod_3IS6_ESG_NSB_11use_defaultESL_EENS0_5tupleIJSG_S7_EEENSN_IJSH_SH_EEES7_PlJS7_EEE10hipError_tPvRmT3_T4_T5_T6_T7_T9_mT8_P12ihipStream_tbDpT10_ENKUlT_T0_E_clISt17integral_constantIbLb0EES1A_EEDaS15_S16_EUlS15_E_NS1_11comp_targetILNS1_3genE4ELNS1_11target_archE910ELNS1_3gpuE8ELNS1_3repE0EEENS1_30default_config_static_selectorELNS0_4arch9wavefront6targetE0EEEvT1_,"axG",@progbits,_ZN7rocprim17ROCPRIM_400000_NS6detail17trampoline_kernelINS0_14default_configENS1_25partition_config_selectorILNS1_17partition_subalgoE5E10large_dataNS0_10empty_typeEbEEZZNS1_14partition_implILS5_5ELb0ES3_mN6thrust23THRUST_200600_302600_NS6detail15normal_iteratorINSB_10device_ptrIS6_EEEEPS7_NSB_18transform_iteratorI5mod_3IS6_ESG_NSB_11use_defaultESL_EENS0_5tupleIJSG_S7_EEENSN_IJSH_SH_EEES7_PlJS7_EEE10hipError_tPvRmT3_T4_T5_T6_T7_T9_mT8_P12ihipStream_tbDpT10_ENKUlT_T0_E_clISt17integral_constantIbLb0EES1A_EEDaS15_S16_EUlS15_E_NS1_11comp_targetILNS1_3genE4ELNS1_11target_archE910ELNS1_3gpuE8ELNS1_3repE0EEENS1_30default_config_static_selectorELNS0_4arch9wavefront6targetE0EEEvT1_,comdat
	.protected	_ZN7rocprim17ROCPRIM_400000_NS6detail17trampoline_kernelINS0_14default_configENS1_25partition_config_selectorILNS1_17partition_subalgoE5E10large_dataNS0_10empty_typeEbEEZZNS1_14partition_implILS5_5ELb0ES3_mN6thrust23THRUST_200600_302600_NS6detail15normal_iteratorINSB_10device_ptrIS6_EEEEPS7_NSB_18transform_iteratorI5mod_3IS6_ESG_NSB_11use_defaultESL_EENS0_5tupleIJSG_S7_EEENSN_IJSH_SH_EEES7_PlJS7_EEE10hipError_tPvRmT3_T4_T5_T6_T7_T9_mT8_P12ihipStream_tbDpT10_ENKUlT_T0_E_clISt17integral_constantIbLb0EES1A_EEDaS15_S16_EUlS15_E_NS1_11comp_targetILNS1_3genE4ELNS1_11target_archE910ELNS1_3gpuE8ELNS1_3repE0EEENS1_30default_config_static_selectorELNS0_4arch9wavefront6targetE0EEEvT1_ ; -- Begin function _ZN7rocprim17ROCPRIM_400000_NS6detail17trampoline_kernelINS0_14default_configENS1_25partition_config_selectorILNS1_17partition_subalgoE5E10large_dataNS0_10empty_typeEbEEZZNS1_14partition_implILS5_5ELb0ES3_mN6thrust23THRUST_200600_302600_NS6detail15normal_iteratorINSB_10device_ptrIS6_EEEEPS7_NSB_18transform_iteratorI5mod_3IS6_ESG_NSB_11use_defaultESL_EENS0_5tupleIJSG_S7_EEENSN_IJSH_SH_EEES7_PlJS7_EEE10hipError_tPvRmT3_T4_T5_T6_T7_T9_mT8_P12ihipStream_tbDpT10_ENKUlT_T0_E_clISt17integral_constantIbLb0EES1A_EEDaS15_S16_EUlS15_E_NS1_11comp_targetILNS1_3genE4ELNS1_11target_archE910ELNS1_3gpuE8ELNS1_3repE0EEENS1_30default_config_static_selectorELNS0_4arch9wavefront6targetE0EEEvT1_
	.globl	_ZN7rocprim17ROCPRIM_400000_NS6detail17trampoline_kernelINS0_14default_configENS1_25partition_config_selectorILNS1_17partition_subalgoE5E10large_dataNS0_10empty_typeEbEEZZNS1_14partition_implILS5_5ELb0ES3_mN6thrust23THRUST_200600_302600_NS6detail15normal_iteratorINSB_10device_ptrIS6_EEEEPS7_NSB_18transform_iteratorI5mod_3IS6_ESG_NSB_11use_defaultESL_EENS0_5tupleIJSG_S7_EEENSN_IJSH_SH_EEES7_PlJS7_EEE10hipError_tPvRmT3_T4_T5_T6_T7_T9_mT8_P12ihipStream_tbDpT10_ENKUlT_T0_E_clISt17integral_constantIbLb0EES1A_EEDaS15_S16_EUlS15_E_NS1_11comp_targetILNS1_3genE4ELNS1_11target_archE910ELNS1_3gpuE8ELNS1_3repE0EEENS1_30default_config_static_selectorELNS0_4arch9wavefront6targetE0EEEvT1_
	.p2align	8
	.type	_ZN7rocprim17ROCPRIM_400000_NS6detail17trampoline_kernelINS0_14default_configENS1_25partition_config_selectorILNS1_17partition_subalgoE5E10large_dataNS0_10empty_typeEbEEZZNS1_14partition_implILS5_5ELb0ES3_mN6thrust23THRUST_200600_302600_NS6detail15normal_iteratorINSB_10device_ptrIS6_EEEEPS7_NSB_18transform_iteratorI5mod_3IS6_ESG_NSB_11use_defaultESL_EENS0_5tupleIJSG_S7_EEENSN_IJSH_SH_EEES7_PlJS7_EEE10hipError_tPvRmT3_T4_T5_T6_T7_T9_mT8_P12ihipStream_tbDpT10_ENKUlT_T0_E_clISt17integral_constantIbLb0EES1A_EEDaS15_S16_EUlS15_E_NS1_11comp_targetILNS1_3genE4ELNS1_11target_archE910ELNS1_3gpuE8ELNS1_3repE0EEENS1_30default_config_static_selectorELNS0_4arch9wavefront6targetE0EEEvT1_,@function
_ZN7rocprim17ROCPRIM_400000_NS6detail17trampoline_kernelINS0_14default_configENS1_25partition_config_selectorILNS1_17partition_subalgoE5E10large_dataNS0_10empty_typeEbEEZZNS1_14partition_implILS5_5ELb0ES3_mN6thrust23THRUST_200600_302600_NS6detail15normal_iteratorINSB_10device_ptrIS6_EEEEPS7_NSB_18transform_iteratorI5mod_3IS6_ESG_NSB_11use_defaultESL_EENS0_5tupleIJSG_S7_EEENSN_IJSH_SH_EEES7_PlJS7_EEE10hipError_tPvRmT3_T4_T5_T6_T7_T9_mT8_P12ihipStream_tbDpT10_ENKUlT_T0_E_clISt17integral_constantIbLb0EES1A_EEDaS15_S16_EUlS15_E_NS1_11comp_targetILNS1_3genE4ELNS1_11target_archE910ELNS1_3gpuE8ELNS1_3repE0EEENS1_30default_config_static_selectorELNS0_4arch9wavefront6targetE0EEEvT1_: ; @_ZN7rocprim17ROCPRIM_400000_NS6detail17trampoline_kernelINS0_14default_configENS1_25partition_config_selectorILNS1_17partition_subalgoE5E10large_dataNS0_10empty_typeEbEEZZNS1_14partition_implILS5_5ELb0ES3_mN6thrust23THRUST_200600_302600_NS6detail15normal_iteratorINSB_10device_ptrIS6_EEEEPS7_NSB_18transform_iteratorI5mod_3IS6_ESG_NSB_11use_defaultESL_EENS0_5tupleIJSG_S7_EEENSN_IJSH_SH_EEES7_PlJS7_EEE10hipError_tPvRmT3_T4_T5_T6_T7_T9_mT8_P12ihipStream_tbDpT10_ENKUlT_T0_E_clISt17integral_constantIbLb0EES1A_EEDaS15_S16_EUlS15_E_NS1_11comp_targetILNS1_3genE4ELNS1_11target_archE910ELNS1_3gpuE8ELNS1_3repE0EEENS1_30default_config_static_selectorELNS0_4arch9wavefront6targetE0EEEvT1_
; %bb.0:
	.section	.rodata,"a",@progbits
	.p2align	6, 0x0
	.amdhsa_kernel _ZN7rocprim17ROCPRIM_400000_NS6detail17trampoline_kernelINS0_14default_configENS1_25partition_config_selectorILNS1_17partition_subalgoE5E10large_dataNS0_10empty_typeEbEEZZNS1_14partition_implILS5_5ELb0ES3_mN6thrust23THRUST_200600_302600_NS6detail15normal_iteratorINSB_10device_ptrIS6_EEEEPS7_NSB_18transform_iteratorI5mod_3IS6_ESG_NSB_11use_defaultESL_EENS0_5tupleIJSG_S7_EEENSN_IJSH_SH_EEES7_PlJS7_EEE10hipError_tPvRmT3_T4_T5_T6_T7_T9_mT8_P12ihipStream_tbDpT10_ENKUlT_T0_E_clISt17integral_constantIbLb0EES1A_EEDaS15_S16_EUlS15_E_NS1_11comp_targetILNS1_3genE4ELNS1_11target_archE910ELNS1_3gpuE8ELNS1_3repE0EEENS1_30default_config_static_selectorELNS0_4arch9wavefront6targetE0EEEvT1_
		.amdhsa_group_segment_fixed_size 0
		.amdhsa_private_segment_fixed_size 0
		.amdhsa_kernarg_size 120
		.amdhsa_user_sgpr_count 15
		.amdhsa_user_sgpr_dispatch_ptr 0
		.amdhsa_user_sgpr_queue_ptr 0
		.amdhsa_user_sgpr_kernarg_segment_ptr 1
		.amdhsa_user_sgpr_dispatch_id 0
		.amdhsa_user_sgpr_private_segment_size 0
		.amdhsa_wavefront_size32 1
		.amdhsa_uses_dynamic_stack 0
		.amdhsa_enable_private_segment 0
		.amdhsa_system_sgpr_workgroup_id_x 1
		.amdhsa_system_sgpr_workgroup_id_y 0
		.amdhsa_system_sgpr_workgroup_id_z 0
		.amdhsa_system_sgpr_workgroup_info 0
		.amdhsa_system_vgpr_workitem_id 0
		.amdhsa_next_free_vgpr 1
		.amdhsa_next_free_sgpr 1
		.amdhsa_reserve_vcc 0
		.amdhsa_float_round_mode_32 0
		.amdhsa_float_round_mode_16_64 0
		.amdhsa_float_denorm_mode_32 3
		.amdhsa_float_denorm_mode_16_64 3
		.amdhsa_dx10_clamp 1
		.amdhsa_ieee_mode 1
		.amdhsa_fp16_overflow 0
		.amdhsa_workgroup_processor_mode 1
		.amdhsa_memory_ordered 1
		.amdhsa_forward_progress 0
		.amdhsa_shared_vgpr_count 0
		.amdhsa_exception_fp_ieee_invalid_op 0
		.amdhsa_exception_fp_denorm_src 0
		.amdhsa_exception_fp_ieee_div_zero 0
		.amdhsa_exception_fp_ieee_overflow 0
		.amdhsa_exception_fp_ieee_underflow 0
		.amdhsa_exception_fp_ieee_inexact 0
		.amdhsa_exception_int_div_zero 0
	.end_amdhsa_kernel
	.section	.text._ZN7rocprim17ROCPRIM_400000_NS6detail17trampoline_kernelINS0_14default_configENS1_25partition_config_selectorILNS1_17partition_subalgoE5E10large_dataNS0_10empty_typeEbEEZZNS1_14partition_implILS5_5ELb0ES3_mN6thrust23THRUST_200600_302600_NS6detail15normal_iteratorINSB_10device_ptrIS6_EEEEPS7_NSB_18transform_iteratorI5mod_3IS6_ESG_NSB_11use_defaultESL_EENS0_5tupleIJSG_S7_EEENSN_IJSH_SH_EEES7_PlJS7_EEE10hipError_tPvRmT3_T4_T5_T6_T7_T9_mT8_P12ihipStream_tbDpT10_ENKUlT_T0_E_clISt17integral_constantIbLb0EES1A_EEDaS15_S16_EUlS15_E_NS1_11comp_targetILNS1_3genE4ELNS1_11target_archE910ELNS1_3gpuE8ELNS1_3repE0EEENS1_30default_config_static_selectorELNS0_4arch9wavefront6targetE0EEEvT1_,"axG",@progbits,_ZN7rocprim17ROCPRIM_400000_NS6detail17trampoline_kernelINS0_14default_configENS1_25partition_config_selectorILNS1_17partition_subalgoE5E10large_dataNS0_10empty_typeEbEEZZNS1_14partition_implILS5_5ELb0ES3_mN6thrust23THRUST_200600_302600_NS6detail15normal_iteratorINSB_10device_ptrIS6_EEEEPS7_NSB_18transform_iteratorI5mod_3IS6_ESG_NSB_11use_defaultESL_EENS0_5tupleIJSG_S7_EEENSN_IJSH_SH_EEES7_PlJS7_EEE10hipError_tPvRmT3_T4_T5_T6_T7_T9_mT8_P12ihipStream_tbDpT10_ENKUlT_T0_E_clISt17integral_constantIbLb0EES1A_EEDaS15_S16_EUlS15_E_NS1_11comp_targetILNS1_3genE4ELNS1_11target_archE910ELNS1_3gpuE8ELNS1_3repE0EEENS1_30default_config_static_selectorELNS0_4arch9wavefront6targetE0EEEvT1_,comdat
.Lfunc_end689:
	.size	_ZN7rocprim17ROCPRIM_400000_NS6detail17trampoline_kernelINS0_14default_configENS1_25partition_config_selectorILNS1_17partition_subalgoE5E10large_dataNS0_10empty_typeEbEEZZNS1_14partition_implILS5_5ELb0ES3_mN6thrust23THRUST_200600_302600_NS6detail15normal_iteratorINSB_10device_ptrIS6_EEEEPS7_NSB_18transform_iteratorI5mod_3IS6_ESG_NSB_11use_defaultESL_EENS0_5tupleIJSG_S7_EEENSN_IJSH_SH_EEES7_PlJS7_EEE10hipError_tPvRmT3_T4_T5_T6_T7_T9_mT8_P12ihipStream_tbDpT10_ENKUlT_T0_E_clISt17integral_constantIbLb0EES1A_EEDaS15_S16_EUlS15_E_NS1_11comp_targetILNS1_3genE4ELNS1_11target_archE910ELNS1_3gpuE8ELNS1_3repE0EEENS1_30default_config_static_selectorELNS0_4arch9wavefront6targetE0EEEvT1_, .Lfunc_end689-_ZN7rocprim17ROCPRIM_400000_NS6detail17trampoline_kernelINS0_14default_configENS1_25partition_config_selectorILNS1_17partition_subalgoE5E10large_dataNS0_10empty_typeEbEEZZNS1_14partition_implILS5_5ELb0ES3_mN6thrust23THRUST_200600_302600_NS6detail15normal_iteratorINSB_10device_ptrIS6_EEEEPS7_NSB_18transform_iteratorI5mod_3IS6_ESG_NSB_11use_defaultESL_EENS0_5tupleIJSG_S7_EEENSN_IJSH_SH_EEES7_PlJS7_EEE10hipError_tPvRmT3_T4_T5_T6_T7_T9_mT8_P12ihipStream_tbDpT10_ENKUlT_T0_E_clISt17integral_constantIbLb0EES1A_EEDaS15_S16_EUlS15_E_NS1_11comp_targetILNS1_3genE4ELNS1_11target_archE910ELNS1_3gpuE8ELNS1_3repE0EEENS1_30default_config_static_selectorELNS0_4arch9wavefront6targetE0EEEvT1_
                                        ; -- End function
	.section	.AMDGPU.csdata,"",@progbits
; Kernel info:
; codeLenInByte = 0
; NumSgprs: 0
; NumVgprs: 0
; ScratchSize: 0
; MemoryBound: 0
; FloatMode: 240
; IeeeMode: 1
; LDSByteSize: 0 bytes/workgroup (compile time only)
; SGPRBlocks: 0
; VGPRBlocks: 0
; NumSGPRsForWavesPerEU: 1
; NumVGPRsForWavesPerEU: 1
; Occupancy: 16
; WaveLimiterHint : 0
; COMPUTE_PGM_RSRC2:SCRATCH_EN: 0
; COMPUTE_PGM_RSRC2:USER_SGPR: 15
; COMPUTE_PGM_RSRC2:TRAP_HANDLER: 0
; COMPUTE_PGM_RSRC2:TGID_X_EN: 1
; COMPUTE_PGM_RSRC2:TGID_Y_EN: 0
; COMPUTE_PGM_RSRC2:TGID_Z_EN: 0
; COMPUTE_PGM_RSRC2:TIDIG_COMP_CNT: 0
	.section	.text._ZN7rocprim17ROCPRIM_400000_NS6detail17trampoline_kernelINS0_14default_configENS1_25partition_config_selectorILNS1_17partition_subalgoE5E10large_dataNS0_10empty_typeEbEEZZNS1_14partition_implILS5_5ELb0ES3_mN6thrust23THRUST_200600_302600_NS6detail15normal_iteratorINSB_10device_ptrIS6_EEEEPS7_NSB_18transform_iteratorI5mod_3IS6_ESG_NSB_11use_defaultESL_EENS0_5tupleIJSG_S7_EEENSN_IJSH_SH_EEES7_PlJS7_EEE10hipError_tPvRmT3_T4_T5_T6_T7_T9_mT8_P12ihipStream_tbDpT10_ENKUlT_T0_E_clISt17integral_constantIbLb0EES1A_EEDaS15_S16_EUlS15_E_NS1_11comp_targetILNS1_3genE3ELNS1_11target_archE908ELNS1_3gpuE7ELNS1_3repE0EEENS1_30default_config_static_selectorELNS0_4arch9wavefront6targetE0EEEvT1_,"axG",@progbits,_ZN7rocprim17ROCPRIM_400000_NS6detail17trampoline_kernelINS0_14default_configENS1_25partition_config_selectorILNS1_17partition_subalgoE5E10large_dataNS0_10empty_typeEbEEZZNS1_14partition_implILS5_5ELb0ES3_mN6thrust23THRUST_200600_302600_NS6detail15normal_iteratorINSB_10device_ptrIS6_EEEEPS7_NSB_18transform_iteratorI5mod_3IS6_ESG_NSB_11use_defaultESL_EENS0_5tupleIJSG_S7_EEENSN_IJSH_SH_EEES7_PlJS7_EEE10hipError_tPvRmT3_T4_T5_T6_T7_T9_mT8_P12ihipStream_tbDpT10_ENKUlT_T0_E_clISt17integral_constantIbLb0EES1A_EEDaS15_S16_EUlS15_E_NS1_11comp_targetILNS1_3genE3ELNS1_11target_archE908ELNS1_3gpuE7ELNS1_3repE0EEENS1_30default_config_static_selectorELNS0_4arch9wavefront6targetE0EEEvT1_,comdat
	.protected	_ZN7rocprim17ROCPRIM_400000_NS6detail17trampoline_kernelINS0_14default_configENS1_25partition_config_selectorILNS1_17partition_subalgoE5E10large_dataNS0_10empty_typeEbEEZZNS1_14partition_implILS5_5ELb0ES3_mN6thrust23THRUST_200600_302600_NS6detail15normal_iteratorINSB_10device_ptrIS6_EEEEPS7_NSB_18transform_iteratorI5mod_3IS6_ESG_NSB_11use_defaultESL_EENS0_5tupleIJSG_S7_EEENSN_IJSH_SH_EEES7_PlJS7_EEE10hipError_tPvRmT3_T4_T5_T6_T7_T9_mT8_P12ihipStream_tbDpT10_ENKUlT_T0_E_clISt17integral_constantIbLb0EES1A_EEDaS15_S16_EUlS15_E_NS1_11comp_targetILNS1_3genE3ELNS1_11target_archE908ELNS1_3gpuE7ELNS1_3repE0EEENS1_30default_config_static_selectorELNS0_4arch9wavefront6targetE0EEEvT1_ ; -- Begin function _ZN7rocprim17ROCPRIM_400000_NS6detail17trampoline_kernelINS0_14default_configENS1_25partition_config_selectorILNS1_17partition_subalgoE5E10large_dataNS0_10empty_typeEbEEZZNS1_14partition_implILS5_5ELb0ES3_mN6thrust23THRUST_200600_302600_NS6detail15normal_iteratorINSB_10device_ptrIS6_EEEEPS7_NSB_18transform_iteratorI5mod_3IS6_ESG_NSB_11use_defaultESL_EENS0_5tupleIJSG_S7_EEENSN_IJSH_SH_EEES7_PlJS7_EEE10hipError_tPvRmT3_T4_T5_T6_T7_T9_mT8_P12ihipStream_tbDpT10_ENKUlT_T0_E_clISt17integral_constantIbLb0EES1A_EEDaS15_S16_EUlS15_E_NS1_11comp_targetILNS1_3genE3ELNS1_11target_archE908ELNS1_3gpuE7ELNS1_3repE0EEENS1_30default_config_static_selectorELNS0_4arch9wavefront6targetE0EEEvT1_
	.globl	_ZN7rocprim17ROCPRIM_400000_NS6detail17trampoline_kernelINS0_14default_configENS1_25partition_config_selectorILNS1_17partition_subalgoE5E10large_dataNS0_10empty_typeEbEEZZNS1_14partition_implILS5_5ELb0ES3_mN6thrust23THRUST_200600_302600_NS6detail15normal_iteratorINSB_10device_ptrIS6_EEEEPS7_NSB_18transform_iteratorI5mod_3IS6_ESG_NSB_11use_defaultESL_EENS0_5tupleIJSG_S7_EEENSN_IJSH_SH_EEES7_PlJS7_EEE10hipError_tPvRmT3_T4_T5_T6_T7_T9_mT8_P12ihipStream_tbDpT10_ENKUlT_T0_E_clISt17integral_constantIbLb0EES1A_EEDaS15_S16_EUlS15_E_NS1_11comp_targetILNS1_3genE3ELNS1_11target_archE908ELNS1_3gpuE7ELNS1_3repE0EEENS1_30default_config_static_selectorELNS0_4arch9wavefront6targetE0EEEvT1_
	.p2align	8
	.type	_ZN7rocprim17ROCPRIM_400000_NS6detail17trampoline_kernelINS0_14default_configENS1_25partition_config_selectorILNS1_17partition_subalgoE5E10large_dataNS0_10empty_typeEbEEZZNS1_14partition_implILS5_5ELb0ES3_mN6thrust23THRUST_200600_302600_NS6detail15normal_iteratorINSB_10device_ptrIS6_EEEEPS7_NSB_18transform_iteratorI5mod_3IS6_ESG_NSB_11use_defaultESL_EENS0_5tupleIJSG_S7_EEENSN_IJSH_SH_EEES7_PlJS7_EEE10hipError_tPvRmT3_T4_T5_T6_T7_T9_mT8_P12ihipStream_tbDpT10_ENKUlT_T0_E_clISt17integral_constantIbLb0EES1A_EEDaS15_S16_EUlS15_E_NS1_11comp_targetILNS1_3genE3ELNS1_11target_archE908ELNS1_3gpuE7ELNS1_3repE0EEENS1_30default_config_static_selectorELNS0_4arch9wavefront6targetE0EEEvT1_,@function
_ZN7rocprim17ROCPRIM_400000_NS6detail17trampoline_kernelINS0_14default_configENS1_25partition_config_selectorILNS1_17partition_subalgoE5E10large_dataNS0_10empty_typeEbEEZZNS1_14partition_implILS5_5ELb0ES3_mN6thrust23THRUST_200600_302600_NS6detail15normal_iteratorINSB_10device_ptrIS6_EEEEPS7_NSB_18transform_iteratorI5mod_3IS6_ESG_NSB_11use_defaultESL_EENS0_5tupleIJSG_S7_EEENSN_IJSH_SH_EEES7_PlJS7_EEE10hipError_tPvRmT3_T4_T5_T6_T7_T9_mT8_P12ihipStream_tbDpT10_ENKUlT_T0_E_clISt17integral_constantIbLb0EES1A_EEDaS15_S16_EUlS15_E_NS1_11comp_targetILNS1_3genE3ELNS1_11target_archE908ELNS1_3gpuE7ELNS1_3repE0EEENS1_30default_config_static_selectorELNS0_4arch9wavefront6targetE0EEEvT1_: ; @_ZN7rocprim17ROCPRIM_400000_NS6detail17trampoline_kernelINS0_14default_configENS1_25partition_config_selectorILNS1_17partition_subalgoE5E10large_dataNS0_10empty_typeEbEEZZNS1_14partition_implILS5_5ELb0ES3_mN6thrust23THRUST_200600_302600_NS6detail15normal_iteratorINSB_10device_ptrIS6_EEEEPS7_NSB_18transform_iteratorI5mod_3IS6_ESG_NSB_11use_defaultESL_EENS0_5tupleIJSG_S7_EEENSN_IJSH_SH_EEES7_PlJS7_EEE10hipError_tPvRmT3_T4_T5_T6_T7_T9_mT8_P12ihipStream_tbDpT10_ENKUlT_T0_E_clISt17integral_constantIbLb0EES1A_EEDaS15_S16_EUlS15_E_NS1_11comp_targetILNS1_3genE3ELNS1_11target_archE908ELNS1_3gpuE7ELNS1_3repE0EEENS1_30default_config_static_selectorELNS0_4arch9wavefront6targetE0EEEvT1_
; %bb.0:
	.section	.rodata,"a",@progbits
	.p2align	6, 0x0
	.amdhsa_kernel _ZN7rocprim17ROCPRIM_400000_NS6detail17trampoline_kernelINS0_14default_configENS1_25partition_config_selectorILNS1_17partition_subalgoE5E10large_dataNS0_10empty_typeEbEEZZNS1_14partition_implILS5_5ELb0ES3_mN6thrust23THRUST_200600_302600_NS6detail15normal_iteratorINSB_10device_ptrIS6_EEEEPS7_NSB_18transform_iteratorI5mod_3IS6_ESG_NSB_11use_defaultESL_EENS0_5tupleIJSG_S7_EEENSN_IJSH_SH_EEES7_PlJS7_EEE10hipError_tPvRmT3_T4_T5_T6_T7_T9_mT8_P12ihipStream_tbDpT10_ENKUlT_T0_E_clISt17integral_constantIbLb0EES1A_EEDaS15_S16_EUlS15_E_NS1_11comp_targetILNS1_3genE3ELNS1_11target_archE908ELNS1_3gpuE7ELNS1_3repE0EEENS1_30default_config_static_selectorELNS0_4arch9wavefront6targetE0EEEvT1_
		.amdhsa_group_segment_fixed_size 0
		.amdhsa_private_segment_fixed_size 0
		.amdhsa_kernarg_size 120
		.amdhsa_user_sgpr_count 15
		.amdhsa_user_sgpr_dispatch_ptr 0
		.amdhsa_user_sgpr_queue_ptr 0
		.amdhsa_user_sgpr_kernarg_segment_ptr 1
		.amdhsa_user_sgpr_dispatch_id 0
		.amdhsa_user_sgpr_private_segment_size 0
		.amdhsa_wavefront_size32 1
		.amdhsa_uses_dynamic_stack 0
		.amdhsa_enable_private_segment 0
		.amdhsa_system_sgpr_workgroup_id_x 1
		.amdhsa_system_sgpr_workgroup_id_y 0
		.amdhsa_system_sgpr_workgroup_id_z 0
		.amdhsa_system_sgpr_workgroup_info 0
		.amdhsa_system_vgpr_workitem_id 0
		.amdhsa_next_free_vgpr 1
		.amdhsa_next_free_sgpr 1
		.amdhsa_reserve_vcc 0
		.amdhsa_float_round_mode_32 0
		.amdhsa_float_round_mode_16_64 0
		.amdhsa_float_denorm_mode_32 3
		.amdhsa_float_denorm_mode_16_64 3
		.amdhsa_dx10_clamp 1
		.amdhsa_ieee_mode 1
		.amdhsa_fp16_overflow 0
		.amdhsa_workgroup_processor_mode 1
		.amdhsa_memory_ordered 1
		.amdhsa_forward_progress 0
		.amdhsa_shared_vgpr_count 0
		.amdhsa_exception_fp_ieee_invalid_op 0
		.amdhsa_exception_fp_denorm_src 0
		.amdhsa_exception_fp_ieee_div_zero 0
		.amdhsa_exception_fp_ieee_overflow 0
		.amdhsa_exception_fp_ieee_underflow 0
		.amdhsa_exception_fp_ieee_inexact 0
		.amdhsa_exception_int_div_zero 0
	.end_amdhsa_kernel
	.section	.text._ZN7rocprim17ROCPRIM_400000_NS6detail17trampoline_kernelINS0_14default_configENS1_25partition_config_selectorILNS1_17partition_subalgoE5E10large_dataNS0_10empty_typeEbEEZZNS1_14partition_implILS5_5ELb0ES3_mN6thrust23THRUST_200600_302600_NS6detail15normal_iteratorINSB_10device_ptrIS6_EEEEPS7_NSB_18transform_iteratorI5mod_3IS6_ESG_NSB_11use_defaultESL_EENS0_5tupleIJSG_S7_EEENSN_IJSH_SH_EEES7_PlJS7_EEE10hipError_tPvRmT3_T4_T5_T6_T7_T9_mT8_P12ihipStream_tbDpT10_ENKUlT_T0_E_clISt17integral_constantIbLb0EES1A_EEDaS15_S16_EUlS15_E_NS1_11comp_targetILNS1_3genE3ELNS1_11target_archE908ELNS1_3gpuE7ELNS1_3repE0EEENS1_30default_config_static_selectorELNS0_4arch9wavefront6targetE0EEEvT1_,"axG",@progbits,_ZN7rocprim17ROCPRIM_400000_NS6detail17trampoline_kernelINS0_14default_configENS1_25partition_config_selectorILNS1_17partition_subalgoE5E10large_dataNS0_10empty_typeEbEEZZNS1_14partition_implILS5_5ELb0ES3_mN6thrust23THRUST_200600_302600_NS6detail15normal_iteratorINSB_10device_ptrIS6_EEEEPS7_NSB_18transform_iteratorI5mod_3IS6_ESG_NSB_11use_defaultESL_EENS0_5tupleIJSG_S7_EEENSN_IJSH_SH_EEES7_PlJS7_EEE10hipError_tPvRmT3_T4_T5_T6_T7_T9_mT8_P12ihipStream_tbDpT10_ENKUlT_T0_E_clISt17integral_constantIbLb0EES1A_EEDaS15_S16_EUlS15_E_NS1_11comp_targetILNS1_3genE3ELNS1_11target_archE908ELNS1_3gpuE7ELNS1_3repE0EEENS1_30default_config_static_selectorELNS0_4arch9wavefront6targetE0EEEvT1_,comdat
.Lfunc_end690:
	.size	_ZN7rocprim17ROCPRIM_400000_NS6detail17trampoline_kernelINS0_14default_configENS1_25partition_config_selectorILNS1_17partition_subalgoE5E10large_dataNS0_10empty_typeEbEEZZNS1_14partition_implILS5_5ELb0ES3_mN6thrust23THRUST_200600_302600_NS6detail15normal_iteratorINSB_10device_ptrIS6_EEEEPS7_NSB_18transform_iteratorI5mod_3IS6_ESG_NSB_11use_defaultESL_EENS0_5tupleIJSG_S7_EEENSN_IJSH_SH_EEES7_PlJS7_EEE10hipError_tPvRmT3_T4_T5_T6_T7_T9_mT8_P12ihipStream_tbDpT10_ENKUlT_T0_E_clISt17integral_constantIbLb0EES1A_EEDaS15_S16_EUlS15_E_NS1_11comp_targetILNS1_3genE3ELNS1_11target_archE908ELNS1_3gpuE7ELNS1_3repE0EEENS1_30default_config_static_selectorELNS0_4arch9wavefront6targetE0EEEvT1_, .Lfunc_end690-_ZN7rocprim17ROCPRIM_400000_NS6detail17trampoline_kernelINS0_14default_configENS1_25partition_config_selectorILNS1_17partition_subalgoE5E10large_dataNS0_10empty_typeEbEEZZNS1_14partition_implILS5_5ELb0ES3_mN6thrust23THRUST_200600_302600_NS6detail15normal_iteratorINSB_10device_ptrIS6_EEEEPS7_NSB_18transform_iteratorI5mod_3IS6_ESG_NSB_11use_defaultESL_EENS0_5tupleIJSG_S7_EEENSN_IJSH_SH_EEES7_PlJS7_EEE10hipError_tPvRmT3_T4_T5_T6_T7_T9_mT8_P12ihipStream_tbDpT10_ENKUlT_T0_E_clISt17integral_constantIbLb0EES1A_EEDaS15_S16_EUlS15_E_NS1_11comp_targetILNS1_3genE3ELNS1_11target_archE908ELNS1_3gpuE7ELNS1_3repE0EEENS1_30default_config_static_selectorELNS0_4arch9wavefront6targetE0EEEvT1_
                                        ; -- End function
	.section	.AMDGPU.csdata,"",@progbits
; Kernel info:
; codeLenInByte = 0
; NumSgprs: 0
; NumVgprs: 0
; ScratchSize: 0
; MemoryBound: 0
; FloatMode: 240
; IeeeMode: 1
; LDSByteSize: 0 bytes/workgroup (compile time only)
; SGPRBlocks: 0
; VGPRBlocks: 0
; NumSGPRsForWavesPerEU: 1
; NumVGPRsForWavesPerEU: 1
; Occupancy: 16
; WaveLimiterHint : 0
; COMPUTE_PGM_RSRC2:SCRATCH_EN: 0
; COMPUTE_PGM_RSRC2:USER_SGPR: 15
; COMPUTE_PGM_RSRC2:TRAP_HANDLER: 0
; COMPUTE_PGM_RSRC2:TGID_X_EN: 1
; COMPUTE_PGM_RSRC2:TGID_Y_EN: 0
; COMPUTE_PGM_RSRC2:TGID_Z_EN: 0
; COMPUTE_PGM_RSRC2:TIDIG_COMP_CNT: 0
	.section	.text._ZN7rocprim17ROCPRIM_400000_NS6detail17trampoline_kernelINS0_14default_configENS1_25partition_config_selectorILNS1_17partition_subalgoE5E10large_dataNS0_10empty_typeEbEEZZNS1_14partition_implILS5_5ELb0ES3_mN6thrust23THRUST_200600_302600_NS6detail15normal_iteratorINSB_10device_ptrIS6_EEEEPS7_NSB_18transform_iteratorI5mod_3IS6_ESG_NSB_11use_defaultESL_EENS0_5tupleIJSG_S7_EEENSN_IJSH_SH_EEES7_PlJS7_EEE10hipError_tPvRmT3_T4_T5_T6_T7_T9_mT8_P12ihipStream_tbDpT10_ENKUlT_T0_E_clISt17integral_constantIbLb0EES1A_EEDaS15_S16_EUlS15_E_NS1_11comp_targetILNS1_3genE2ELNS1_11target_archE906ELNS1_3gpuE6ELNS1_3repE0EEENS1_30default_config_static_selectorELNS0_4arch9wavefront6targetE0EEEvT1_,"axG",@progbits,_ZN7rocprim17ROCPRIM_400000_NS6detail17trampoline_kernelINS0_14default_configENS1_25partition_config_selectorILNS1_17partition_subalgoE5E10large_dataNS0_10empty_typeEbEEZZNS1_14partition_implILS5_5ELb0ES3_mN6thrust23THRUST_200600_302600_NS6detail15normal_iteratorINSB_10device_ptrIS6_EEEEPS7_NSB_18transform_iteratorI5mod_3IS6_ESG_NSB_11use_defaultESL_EENS0_5tupleIJSG_S7_EEENSN_IJSH_SH_EEES7_PlJS7_EEE10hipError_tPvRmT3_T4_T5_T6_T7_T9_mT8_P12ihipStream_tbDpT10_ENKUlT_T0_E_clISt17integral_constantIbLb0EES1A_EEDaS15_S16_EUlS15_E_NS1_11comp_targetILNS1_3genE2ELNS1_11target_archE906ELNS1_3gpuE6ELNS1_3repE0EEENS1_30default_config_static_selectorELNS0_4arch9wavefront6targetE0EEEvT1_,comdat
	.protected	_ZN7rocprim17ROCPRIM_400000_NS6detail17trampoline_kernelINS0_14default_configENS1_25partition_config_selectorILNS1_17partition_subalgoE5E10large_dataNS0_10empty_typeEbEEZZNS1_14partition_implILS5_5ELb0ES3_mN6thrust23THRUST_200600_302600_NS6detail15normal_iteratorINSB_10device_ptrIS6_EEEEPS7_NSB_18transform_iteratorI5mod_3IS6_ESG_NSB_11use_defaultESL_EENS0_5tupleIJSG_S7_EEENSN_IJSH_SH_EEES7_PlJS7_EEE10hipError_tPvRmT3_T4_T5_T6_T7_T9_mT8_P12ihipStream_tbDpT10_ENKUlT_T0_E_clISt17integral_constantIbLb0EES1A_EEDaS15_S16_EUlS15_E_NS1_11comp_targetILNS1_3genE2ELNS1_11target_archE906ELNS1_3gpuE6ELNS1_3repE0EEENS1_30default_config_static_selectorELNS0_4arch9wavefront6targetE0EEEvT1_ ; -- Begin function _ZN7rocprim17ROCPRIM_400000_NS6detail17trampoline_kernelINS0_14default_configENS1_25partition_config_selectorILNS1_17partition_subalgoE5E10large_dataNS0_10empty_typeEbEEZZNS1_14partition_implILS5_5ELb0ES3_mN6thrust23THRUST_200600_302600_NS6detail15normal_iteratorINSB_10device_ptrIS6_EEEEPS7_NSB_18transform_iteratorI5mod_3IS6_ESG_NSB_11use_defaultESL_EENS0_5tupleIJSG_S7_EEENSN_IJSH_SH_EEES7_PlJS7_EEE10hipError_tPvRmT3_T4_T5_T6_T7_T9_mT8_P12ihipStream_tbDpT10_ENKUlT_T0_E_clISt17integral_constantIbLb0EES1A_EEDaS15_S16_EUlS15_E_NS1_11comp_targetILNS1_3genE2ELNS1_11target_archE906ELNS1_3gpuE6ELNS1_3repE0EEENS1_30default_config_static_selectorELNS0_4arch9wavefront6targetE0EEEvT1_
	.globl	_ZN7rocprim17ROCPRIM_400000_NS6detail17trampoline_kernelINS0_14default_configENS1_25partition_config_selectorILNS1_17partition_subalgoE5E10large_dataNS0_10empty_typeEbEEZZNS1_14partition_implILS5_5ELb0ES3_mN6thrust23THRUST_200600_302600_NS6detail15normal_iteratorINSB_10device_ptrIS6_EEEEPS7_NSB_18transform_iteratorI5mod_3IS6_ESG_NSB_11use_defaultESL_EENS0_5tupleIJSG_S7_EEENSN_IJSH_SH_EEES7_PlJS7_EEE10hipError_tPvRmT3_T4_T5_T6_T7_T9_mT8_P12ihipStream_tbDpT10_ENKUlT_T0_E_clISt17integral_constantIbLb0EES1A_EEDaS15_S16_EUlS15_E_NS1_11comp_targetILNS1_3genE2ELNS1_11target_archE906ELNS1_3gpuE6ELNS1_3repE0EEENS1_30default_config_static_selectorELNS0_4arch9wavefront6targetE0EEEvT1_
	.p2align	8
	.type	_ZN7rocprim17ROCPRIM_400000_NS6detail17trampoline_kernelINS0_14default_configENS1_25partition_config_selectorILNS1_17partition_subalgoE5E10large_dataNS0_10empty_typeEbEEZZNS1_14partition_implILS5_5ELb0ES3_mN6thrust23THRUST_200600_302600_NS6detail15normal_iteratorINSB_10device_ptrIS6_EEEEPS7_NSB_18transform_iteratorI5mod_3IS6_ESG_NSB_11use_defaultESL_EENS0_5tupleIJSG_S7_EEENSN_IJSH_SH_EEES7_PlJS7_EEE10hipError_tPvRmT3_T4_T5_T6_T7_T9_mT8_P12ihipStream_tbDpT10_ENKUlT_T0_E_clISt17integral_constantIbLb0EES1A_EEDaS15_S16_EUlS15_E_NS1_11comp_targetILNS1_3genE2ELNS1_11target_archE906ELNS1_3gpuE6ELNS1_3repE0EEENS1_30default_config_static_selectorELNS0_4arch9wavefront6targetE0EEEvT1_,@function
_ZN7rocprim17ROCPRIM_400000_NS6detail17trampoline_kernelINS0_14default_configENS1_25partition_config_selectorILNS1_17partition_subalgoE5E10large_dataNS0_10empty_typeEbEEZZNS1_14partition_implILS5_5ELb0ES3_mN6thrust23THRUST_200600_302600_NS6detail15normal_iteratorINSB_10device_ptrIS6_EEEEPS7_NSB_18transform_iteratorI5mod_3IS6_ESG_NSB_11use_defaultESL_EENS0_5tupleIJSG_S7_EEENSN_IJSH_SH_EEES7_PlJS7_EEE10hipError_tPvRmT3_T4_T5_T6_T7_T9_mT8_P12ihipStream_tbDpT10_ENKUlT_T0_E_clISt17integral_constantIbLb0EES1A_EEDaS15_S16_EUlS15_E_NS1_11comp_targetILNS1_3genE2ELNS1_11target_archE906ELNS1_3gpuE6ELNS1_3repE0EEENS1_30default_config_static_selectorELNS0_4arch9wavefront6targetE0EEEvT1_: ; @_ZN7rocprim17ROCPRIM_400000_NS6detail17trampoline_kernelINS0_14default_configENS1_25partition_config_selectorILNS1_17partition_subalgoE5E10large_dataNS0_10empty_typeEbEEZZNS1_14partition_implILS5_5ELb0ES3_mN6thrust23THRUST_200600_302600_NS6detail15normal_iteratorINSB_10device_ptrIS6_EEEEPS7_NSB_18transform_iteratorI5mod_3IS6_ESG_NSB_11use_defaultESL_EENS0_5tupleIJSG_S7_EEENSN_IJSH_SH_EEES7_PlJS7_EEE10hipError_tPvRmT3_T4_T5_T6_T7_T9_mT8_P12ihipStream_tbDpT10_ENKUlT_T0_E_clISt17integral_constantIbLb0EES1A_EEDaS15_S16_EUlS15_E_NS1_11comp_targetILNS1_3genE2ELNS1_11target_archE906ELNS1_3gpuE6ELNS1_3repE0EEENS1_30default_config_static_selectorELNS0_4arch9wavefront6targetE0EEEvT1_
; %bb.0:
	.section	.rodata,"a",@progbits
	.p2align	6, 0x0
	.amdhsa_kernel _ZN7rocprim17ROCPRIM_400000_NS6detail17trampoline_kernelINS0_14default_configENS1_25partition_config_selectorILNS1_17partition_subalgoE5E10large_dataNS0_10empty_typeEbEEZZNS1_14partition_implILS5_5ELb0ES3_mN6thrust23THRUST_200600_302600_NS6detail15normal_iteratorINSB_10device_ptrIS6_EEEEPS7_NSB_18transform_iteratorI5mod_3IS6_ESG_NSB_11use_defaultESL_EENS0_5tupleIJSG_S7_EEENSN_IJSH_SH_EEES7_PlJS7_EEE10hipError_tPvRmT3_T4_T5_T6_T7_T9_mT8_P12ihipStream_tbDpT10_ENKUlT_T0_E_clISt17integral_constantIbLb0EES1A_EEDaS15_S16_EUlS15_E_NS1_11comp_targetILNS1_3genE2ELNS1_11target_archE906ELNS1_3gpuE6ELNS1_3repE0EEENS1_30default_config_static_selectorELNS0_4arch9wavefront6targetE0EEEvT1_
		.amdhsa_group_segment_fixed_size 0
		.amdhsa_private_segment_fixed_size 0
		.amdhsa_kernarg_size 120
		.amdhsa_user_sgpr_count 15
		.amdhsa_user_sgpr_dispatch_ptr 0
		.amdhsa_user_sgpr_queue_ptr 0
		.amdhsa_user_sgpr_kernarg_segment_ptr 1
		.amdhsa_user_sgpr_dispatch_id 0
		.amdhsa_user_sgpr_private_segment_size 0
		.amdhsa_wavefront_size32 1
		.amdhsa_uses_dynamic_stack 0
		.amdhsa_enable_private_segment 0
		.amdhsa_system_sgpr_workgroup_id_x 1
		.amdhsa_system_sgpr_workgroup_id_y 0
		.amdhsa_system_sgpr_workgroup_id_z 0
		.amdhsa_system_sgpr_workgroup_info 0
		.amdhsa_system_vgpr_workitem_id 0
		.amdhsa_next_free_vgpr 1
		.amdhsa_next_free_sgpr 1
		.amdhsa_reserve_vcc 0
		.amdhsa_float_round_mode_32 0
		.amdhsa_float_round_mode_16_64 0
		.amdhsa_float_denorm_mode_32 3
		.amdhsa_float_denorm_mode_16_64 3
		.amdhsa_dx10_clamp 1
		.amdhsa_ieee_mode 1
		.amdhsa_fp16_overflow 0
		.amdhsa_workgroup_processor_mode 1
		.amdhsa_memory_ordered 1
		.amdhsa_forward_progress 0
		.amdhsa_shared_vgpr_count 0
		.amdhsa_exception_fp_ieee_invalid_op 0
		.amdhsa_exception_fp_denorm_src 0
		.amdhsa_exception_fp_ieee_div_zero 0
		.amdhsa_exception_fp_ieee_overflow 0
		.amdhsa_exception_fp_ieee_underflow 0
		.amdhsa_exception_fp_ieee_inexact 0
		.amdhsa_exception_int_div_zero 0
	.end_amdhsa_kernel
	.section	.text._ZN7rocprim17ROCPRIM_400000_NS6detail17trampoline_kernelINS0_14default_configENS1_25partition_config_selectorILNS1_17partition_subalgoE5E10large_dataNS0_10empty_typeEbEEZZNS1_14partition_implILS5_5ELb0ES3_mN6thrust23THRUST_200600_302600_NS6detail15normal_iteratorINSB_10device_ptrIS6_EEEEPS7_NSB_18transform_iteratorI5mod_3IS6_ESG_NSB_11use_defaultESL_EENS0_5tupleIJSG_S7_EEENSN_IJSH_SH_EEES7_PlJS7_EEE10hipError_tPvRmT3_T4_T5_T6_T7_T9_mT8_P12ihipStream_tbDpT10_ENKUlT_T0_E_clISt17integral_constantIbLb0EES1A_EEDaS15_S16_EUlS15_E_NS1_11comp_targetILNS1_3genE2ELNS1_11target_archE906ELNS1_3gpuE6ELNS1_3repE0EEENS1_30default_config_static_selectorELNS0_4arch9wavefront6targetE0EEEvT1_,"axG",@progbits,_ZN7rocprim17ROCPRIM_400000_NS6detail17trampoline_kernelINS0_14default_configENS1_25partition_config_selectorILNS1_17partition_subalgoE5E10large_dataNS0_10empty_typeEbEEZZNS1_14partition_implILS5_5ELb0ES3_mN6thrust23THRUST_200600_302600_NS6detail15normal_iteratorINSB_10device_ptrIS6_EEEEPS7_NSB_18transform_iteratorI5mod_3IS6_ESG_NSB_11use_defaultESL_EENS0_5tupleIJSG_S7_EEENSN_IJSH_SH_EEES7_PlJS7_EEE10hipError_tPvRmT3_T4_T5_T6_T7_T9_mT8_P12ihipStream_tbDpT10_ENKUlT_T0_E_clISt17integral_constantIbLb0EES1A_EEDaS15_S16_EUlS15_E_NS1_11comp_targetILNS1_3genE2ELNS1_11target_archE906ELNS1_3gpuE6ELNS1_3repE0EEENS1_30default_config_static_selectorELNS0_4arch9wavefront6targetE0EEEvT1_,comdat
.Lfunc_end691:
	.size	_ZN7rocprim17ROCPRIM_400000_NS6detail17trampoline_kernelINS0_14default_configENS1_25partition_config_selectorILNS1_17partition_subalgoE5E10large_dataNS0_10empty_typeEbEEZZNS1_14partition_implILS5_5ELb0ES3_mN6thrust23THRUST_200600_302600_NS6detail15normal_iteratorINSB_10device_ptrIS6_EEEEPS7_NSB_18transform_iteratorI5mod_3IS6_ESG_NSB_11use_defaultESL_EENS0_5tupleIJSG_S7_EEENSN_IJSH_SH_EEES7_PlJS7_EEE10hipError_tPvRmT3_T4_T5_T6_T7_T9_mT8_P12ihipStream_tbDpT10_ENKUlT_T0_E_clISt17integral_constantIbLb0EES1A_EEDaS15_S16_EUlS15_E_NS1_11comp_targetILNS1_3genE2ELNS1_11target_archE906ELNS1_3gpuE6ELNS1_3repE0EEENS1_30default_config_static_selectorELNS0_4arch9wavefront6targetE0EEEvT1_, .Lfunc_end691-_ZN7rocprim17ROCPRIM_400000_NS6detail17trampoline_kernelINS0_14default_configENS1_25partition_config_selectorILNS1_17partition_subalgoE5E10large_dataNS0_10empty_typeEbEEZZNS1_14partition_implILS5_5ELb0ES3_mN6thrust23THRUST_200600_302600_NS6detail15normal_iteratorINSB_10device_ptrIS6_EEEEPS7_NSB_18transform_iteratorI5mod_3IS6_ESG_NSB_11use_defaultESL_EENS0_5tupleIJSG_S7_EEENSN_IJSH_SH_EEES7_PlJS7_EEE10hipError_tPvRmT3_T4_T5_T6_T7_T9_mT8_P12ihipStream_tbDpT10_ENKUlT_T0_E_clISt17integral_constantIbLb0EES1A_EEDaS15_S16_EUlS15_E_NS1_11comp_targetILNS1_3genE2ELNS1_11target_archE906ELNS1_3gpuE6ELNS1_3repE0EEENS1_30default_config_static_selectorELNS0_4arch9wavefront6targetE0EEEvT1_
                                        ; -- End function
	.section	.AMDGPU.csdata,"",@progbits
; Kernel info:
; codeLenInByte = 0
; NumSgprs: 0
; NumVgprs: 0
; ScratchSize: 0
; MemoryBound: 0
; FloatMode: 240
; IeeeMode: 1
; LDSByteSize: 0 bytes/workgroup (compile time only)
; SGPRBlocks: 0
; VGPRBlocks: 0
; NumSGPRsForWavesPerEU: 1
; NumVGPRsForWavesPerEU: 1
; Occupancy: 16
; WaveLimiterHint : 0
; COMPUTE_PGM_RSRC2:SCRATCH_EN: 0
; COMPUTE_PGM_RSRC2:USER_SGPR: 15
; COMPUTE_PGM_RSRC2:TRAP_HANDLER: 0
; COMPUTE_PGM_RSRC2:TGID_X_EN: 1
; COMPUTE_PGM_RSRC2:TGID_Y_EN: 0
; COMPUTE_PGM_RSRC2:TGID_Z_EN: 0
; COMPUTE_PGM_RSRC2:TIDIG_COMP_CNT: 0
	.section	.text._ZN7rocprim17ROCPRIM_400000_NS6detail17trampoline_kernelINS0_14default_configENS1_25partition_config_selectorILNS1_17partition_subalgoE5E10large_dataNS0_10empty_typeEbEEZZNS1_14partition_implILS5_5ELb0ES3_mN6thrust23THRUST_200600_302600_NS6detail15normal_iteratorINSB_10device_ptrIS6_EEEEPS7_NSB_18transform_iteratorI5mod_3IS6_ESG_NSB_11use_defaultESL_EENS0_5tupleIJSG_S7_EEENSN_IJSH_SH_EEES7_PlJS7_EEE10hipError_tPvRmT3_T4_T5_T6_T7_T9_mT8_P12ihipStream_tbDpT10_ENKUlT_T0_E_clISt17integral_constantIbLb0EES1A_EEDaS15_S16_EUlS15_E_NS1_11comp_targetILNS1_3genE10ELNS1_11target_archE1200ELNS1_3gpuE4ELNS1_3repE0EEENS1_30default_config_static_selectorELNS0_4arch9wavefront6targetE0EEEvT1_,"axG",@progbits,_ZN7rocprim17ROCPRIM_400000_NS6detail17trampoline_kernelINS0_14default_configENS1_25partition_config_selectorILNS1_17partition_subalgoE5E10large_dataNS0_10empty_typeEbEEZZNS1_14partition_implILS5_5ELb0ES3_mN6thrust23THRUST_200600_302600_NS6detail15normal_iteratorINSB_10device_ptrIS6_EEEEPS7_NSB_18transform_iteratorI5mod_3IS6_ESG_NSB_11use_defaultESL_EENS0_5tupleIJSG_S7_EEENSN_IJSH_SH_EEES7_PlJS7_EEE10hipError_tPvRmT3_T4_T5_T6_T7_T9_mT8_P12ihipStream_tbDpT10_ENKUlT_T0_E_clISt17integral_constantIbLb0EES1A_EEDaS15_S16_EUlS15_E_NS1_11comp_targetILNS1_3genE10ELNS1_11target_archE1200ELNS1_3gpuE4ELNS1_3repE0EEENS1_30default_config_static_selectorELNS0_4arch9wavefront6targetE0EEEvT1_,comdat
	.protected	_ZN7rocprim17ROCPRIM_400000_NS6detail17trampoline_kernelINS0_14default_configENS1_25partition_config_selectorILNS1_17partition_subalgoE5E10large_dataNS0_10empty_typeEbEEZZNS1_14partition_implILS5_5ELb0ES3_mN6thrust23THRUST_200600_302600_NS6detail15normal_iteratorINSB_10device_ptrIS6_EEEEPS7_NSB_18transform_iteratorI5mod_3IS6_ESG_NSB_11use_defaultESL_EENS0_5tupleIJSG_S7_EEENSN_IJSH_SH_EEES7_PlJS7_EEE10hipError_tPvRmT3_T4_T5_T6_T7_T9_mT8_P12ihipStream_tbDpT10_ENKUlT_T0_E_clISt17integral_constantIbLb0EES1A_EEDaS15_S16_EUlS15_E_NS1_11comp_targetILNS1_3genE10ELNS1_11target_archE1200ELNS1_3gpuE4ELNS1_3repE0EEENS1_30default_config_static_selectorELNS0_4arch9wavefront6targetE0EEEvT1_ ; -- Begin function _ZN7rocprim17ROCPRIM_400000_NS6detail17trampoline_kernelINS0_14default_configENS1_25partition_config_selectorILNS1_17partition_subalgoE5E10large_dataNS0_10empty_typeEbEEZZNS1_14partition_implILS5_5ELb0ES3_mN6thrust23THRUST_200600_302600_NS6detail15normal_iteratorINSB_10device_ptrIS6_EEEEPS7_NSB_18transform_iteratorI5mod_3IS6_ESG_NSB_11use_defaultESL_EENS0_5tupleIJSG_S7_EEENSN_IJSH_SH_EEES7_PlJS7_EEE10hipError_tPvRmT3_T4_T5_T6_T7_T9_mT8_P12ihipStream_tbDpT10_ENKUlT_T0_E_clISt17integral_constantIbLb0EES1A_EEDaS15_S16_EUlS15_E_NS1_11comp_targetILNS1_3genE10ELNS1_11target_archE1200ELNS1_3gpuE4ELNS1_3repE0EEENS1_30default_config_static_selectorELNS0_4arch9wavefront6targetE0EEEvT1_
	.globl	_ZN7rocprim17ROCPRIM_400000_NS6detail17trampoline_kernelINS0_14default_configENS1_25partition_config_selectorILNS1_17partition_subalgoE5E10large_dataNS0_10empty_typeEbEEZZNS1_14partition_implILS5_5ELb0ES3_mN6thrust23THRUST_200600_302600_NS6detail15normal_iteratorINSB_10device_ptrIS6_EEEEPS7_NSB_18transform_iteratorI5mod_3IS6_ESG_NSB_11use_defaultESL_EENS0_5tupleIJSG_S7_EEENSN_IJSH_SH_EEES7_PlJS7_EEE10hipError_tPvRmT3_T4_T5_T6_T7_T9_mT8_P12ihipStream_tbDpT10_ENKUlT_T0_E_clISt17integral_constantIbLb0EES1A_EEDaS15_S16_EUlS15_E_NS1_11comp_targetILNS1_3genE10ELNS1_11target_archE1200ELNS1_3gpuE4ELNS1_3repE0EEENS1_30default_config_static_selectorELNS0_4arch9wavefront6targetE0EEEvT1_
	.p2align	8
	.type	_ZN7rocprim17ROCPRIM_400000_NS6detail17trampoline_kernelINS0_14default_configENS1_25partition_config_selectorILNS1_17partition_subalgoE5E10large_dataNS0_10empty_typeEbEEZZNS1_14partition_implILS5_5ELb0ES3_mN6thrust23THRUST_200600_302600_NS6detail15normal_iteratorINSB_10device_ptrIS6_EEEEPS7_NSB_18transform_iteratorI5mod_3IS6_ESG_NSB_11use_defaultESL_EENS0_5tupleIJSG_S7_EEENSN_IJSH_SH_EEES7_PlJS7_EEE10hipError_tPvRmT3_T4_T5_T6_T7_T9_mT8_P12ihipStream_tbDpT10_ENKUlT_T0_E_clISt17integral_constantIbLb0EES1A_EEDaS15_S16_EUlS15_E_NS1_11comp_targetILNS1_3genE10ELNS1_11target_archE1200ELNS1_3gpuE4ELNS1_3repE0EEENS1_30default_config_static_selectorELNS0_4arch9wavefront6targetE0EEEvT1_,@function
_ZN7rocprim17ROCPRIM_400000_NS6detail17trampoline_kernelINS0_14default_configENS1_25partition_config_selectorILNS1_17partition_subalgoE5E10large_dataNS0_10empty_typeEbEEZZNS1_14partition_implILS5_5ELb0ES3_mN6thrust23THRUST_200600_302600_NS6detail15normal_iteratorINSB_10device_ptrIS6_EEEEPS7_NSB_18transform_iteratorI5mod_3IS6_ESG_NSB_11use_defaultESL_EENS0_5tupleIJSG_S7_EEENSN_IJSH_SH_EEES7_PlJS7_EEE10hipError_tPvRmT3_T4_T5_T6_T7_T9_mT8_P12ihipStream_tbDpT10_ENKUlT_T0_E_clISt17integral_constantIbLb0EES1A_EEDaS15_S16_EUlS15_E_NS1_11comp_targetILNS1_3genE10ELNS1_11target_archE1200ELNS1_3gpuE4ELNS1_3repE0EEENS1_30default_config_static_selectorELNS0_4arch9wavefront6targetE0EEEvT1_: ; @_ZN7rocprim17ROCPRIM_400000_NS6detail17trampoline_kernelINS0_14default_configENS1_25partition_config_selectorILNS1_17partition_subalgoE5E10large_dataNS0_10empty_typeEbEEZZNS1_14partition_implILS5_5ELb0ES3_mN6thrust23THRUST_200600_302600_NS6detail15normal_iteratorINSB_10device_ptrIS6_EEEEPS7_NSB_18transform_iteratorI5mod_3IS6_ESG_NSB_11use_defaultESL_EENS0_5tupleIJSG_S7_EEENSN_IJSH_SH_EEES7_PlJS7_EEE10hipError_tPvRmT3_T4_T5_T6_T7_T9_mT8_P12ihipStream_tbDpT10_ENKUlT_T0_E_clISt17integral_constantIbLb0EES1A_EEDaS15_S16_EUlS15_E_NS1_11comp_targetILNS1_3genE10ELNS1_11target_archE1200ELNS1_3gpuE4ELNS1_3repE0EEENS1_30default_config_static_selectorELNS0_4arch9wavefront6targetE0EEEvT1_
; %bb.0:
	.section	.rodata,"a",@progbits
	.p2align	6, 0x0
	.amdhsa_kernel _ZN7rocprim17ROCPRIM_400000_NS6detail17trampoline_kernelINS0_14default_configENS1_25partition_config_selectorILNS1_17partition_subalgoE5E10large_dataNS0_10empty_typeEbEEZZNS1_14partition_implILS5_5ELb0ES3_mN6thrust23THRUST_200600_302600_NS6detail15normal_iteratorINSB_10device_ptrIS6_EEEEPS7_NSB_18transform_iteratorI5mod_3IS6_ESG_NSB_11use_defaultESL_EENS0_5tupleIJSG_S7_EEENSN_IJSH_SH_EEES7_PlJS7_EEE10hipError_tPvRmT3_T4_T5_T6_T7_T9_mT8_P12ihipStream_tbDpT10_ENKUlT_T0_E_clISt17integral_constantIbLb0EES1A_EEDaS15_S16_EUlS15_E_NS1_11comp_targetILNS1_3genE10ELNS1_11target_archE1200ELNS1_3gpuE4ELNS1_3repE0EEENS1_30default_config_static_selectorELNS0_4arch9wavefront6targetE0EEEvT1_
		.amdhsa_group_segment_fixed_size 0
		.amdhsa_private_segment_fixed_size 0
		.amdhsa_kernarg_size 120
		.amdhsa_user_sgpr_count 15
		.amdhsa_user_sgpr_dispatch_ptr 0
		.amdhsa_user_sgpr_queue_ptr 0
		.amdhsa_user_sgpr_kernarg_segment_ptr 1
		.amdhsa_user_sgpr_dispatch_id 0
		.amdhsa_user_sgpr_private_segment_size 0
		.amdhsa_wavefront_size32 1
		.amdhsa_uses_dynamic_stack 0
		.amdhsa_enable_private_segment 0
		.amdhsa_system_sgpr_workgroup_id_x 1
		.amdhsa_system_sgpr_workgroup_id_y 0
		.amdhsa_system_sgpr_workgroup_id_z 0
		.amdhsa_system_sgpr_workgroup_info 0
		.amdhsa_system_vgpr_workitem_id 0
		.amdhsa_next_free_vgpr 1
		.amdhsa_next_free_sgpr 1
		.amdhsa_reserve_vcc 0
		.amdhsa_float_round_mode_32 0
		.amdhsa_float_round_mode_16_64 0
		.amdhsa_float_denorm_mode_32 3
		.amdhsa_float_denorm_mode_16_64 3
		.amdhsa_dx10_clamp 1
		.amdhsa_ieee_mode 1
		.amdhsa_fp16_overflow 0
		.amdhsa_workgroup_processor_mode 1
		.amdhsa_memory_ordered 1
		.amdhsa_forward_progress 0
		.amdhsa_shared_vgpr_count 0
		.amdhsa_exception_fp_ieee_invalid_op 0
		.amdhsa_exception_fp_denorm_src 0
		.amdhsa_exception_fp_ieee_div_zero 0
		.amdhsa_exception_fp_ieee_overflow 0
		.amdhsa_exception_fp_ieee_underflow 0
		.amdhsa_exception_fp_ieee_inexact 0
		.amdhsa_exception_int_div_zero 0
	.end_amdhsa_kernel
	.section	.text._ZN7rocprim17ROCPRIM_400000_NS6detail17trampoline_kernelINS0_14default_configENS1_25partition_config_selectorILNS1_17partition_subalgoE5E10large_dataNS0_10empty_typeEbEEZZNS1_14partition_implILS5_5ELb0ES3_mN6thrust23THRUST_200600_302600_NS6detail15normal_iteratorINSB_10device_ptrIS6_EEEEPS7_NSB_18transform_iteratorI5mod_3IS6_ESG_NSB_11use_defaultESL_EENS0_5tupleIJSG_S7_EEENSN_IJSH_SH_EEES7_PlJS7_EEE10hipError_tPvRmT3_T4_T5_T6_T7_T9_mT8_P12ihipStream_tbDpT10_ENKUlT_T0_E_clISt17integral_constantIbLb0EES1A_EEDaS15_S16_EUlS15_E_NS1_11comp_targetILNS1_3genE10ELNS1_11target_archE1200ELNS1_3gpuE4ELNS1_3repE0EEENS1_30default_config_static_selectorELNS0_4arch9wavefront6targetE0EEEvT1_,"axG",@progbits,_ZN7rocprim17ROCPRIM_400000_NS6detail17trampoline_kernelINS0_14default_configENS1_25partition_config_selectorILNS1_17partition_subalgoE5E10large_dataNS0_10empty_typeEbEEZZNS1_14partition_implILS5_5ELb0ES3_mN6thrust23THRUST_200600_302600_NS6detail15normal_iteratorINSB_10device_ptrIS6_EEEEPS7_NSB_18transform_iteratorI5mod_3IS6_ESG_NSB_11use_defaultESL_EENS0_5tupleIJSG_S7_EEENSN_IJSH_SH_EEES7_PlJS7_EEE10hipError_tPvRmT3_T4_T5_T6_T7_T9_mT8_P12ihipStream_tbDpT10_ENKUlT_T0_E_clISt17integral_constantIbLb0EES1A_EEDaS15_S16_EUlS15_E_NS1_11comp_targetILNS1_3genE10ELNS1_11target_archE1200ELNS1_3gpuE4ELNS1_3repE0EEENS1_30default_config_static_selectorELNS0_4arch9wavefront6targetE0EEEvT1_,comdat
.Lfunc_end692:
	.size	_ZN7rocprim17ROCPRIM_400000_NS6detail17trampoline_kernelINS0_14default_configENS1_25partition_config_selectorILNS1_17partition_subalgoE5E10large_dataNS0_10empty_typeEbEEZZNS1_14partition_implILS5_5ELb0ES3_mN6thrust23THRUST_200600_302600_NS6detail15normal_iteratorINSB_10device_ptrIS6_EEEEPS7_NSB_18transform_iteratorI5mod_3IS6_ESG_NSB_11use_defaultESL_EENS0_5tupleIJSG_S7_EEENSN_IJSH_SH_EEES7_PlJS7_EEE10hipError_tPvRmT3_T4_T5_T6_T7_T9_mT8_P12ihipStream_tbDpT10_ENKUlT_T0_E_clISt17integral_constantIbLb0EES1A_EEDaS15_S16_EUlS15_E_NS1_11comp_targetILNS1_3genE10ELNS1_11target_archE1200ELNS1_3gpuE4ELNS1_3repE0EEENS1_30default_config_static_selectorELNS0_4arch9wavefront6targetE0EEEvT1_, .Lfunc_end692-_ZN7rocprim17ROCPRIM_400000_NS6detail17trampoline_kernelINS0_14default_configENS1_25partition_config_selectorILNS1_17partition_subalgoE5E10large_dataNS0_10empty_typeEbEEZZNS1_14partition_implILS5_5ELb0ES3_mN6thrust23THRUST_200600_302600_NS6detail15normal_iteratorINSB_10device_ptrIS6_EEEEPS7_NSB_18transform_iteratorI5mod_3IS6_ESG_NSB_11use_defaultESL_EENS0_5tupleIJSG_S7_EEENSN_IJSH_SH_EEES7_PlJS7_EEE10hipError_tPvRmT3_T4_T5_T6_T7_T9_mT8_P12ihipStream_tbDpT10_ENKUlT_T0_E_clISt17integral_constantIbLb0EES1A_EEDaS15_S16_EUlS15_E_NS1_11comp_targetILNS1_3genE10ELNS1_11target_archE1200ELNS1_3gpuE4ELNS1_3repE0EEENS1_30default_config_static_selectorELNS0_4arch9wavefront6targetE0EEEvT1_
                                        ; -- End function
	.section	.AMDGPU.csdata,"",@progbits
; Kernel info:
; codeLenInByte = 0
; NumSgprs: 0
; NumVgprs: 0
; ScratchSize: 0
; MemoryBound: 0
; FloatMode: 240
; IeeeMode: 1
; LDSByteSize: 0 bytes/workgroup (compile time only)
; SGPRBlocks: 0
; VGPRBlocks: 0
; NumSGPRsForWavesPerEU: 1
; NumVGPRsForWavesPerEU: 1
; Occupancy: 16
; WaveLimiterHint : 0
; COMPUTE_PGM_RSRC2:SCRATCH_EN: 0
; COMPUTE_PGM_RSRC2:USER_SGPR: 15
; COMPUTE_PGM_RSRC2:TRAP_HANDLER: 0
; COMPUTE_PGM_RSRC2:TGID_X_EN: 1
; COMPUTE_PGM_RSRC2:TGID_Y_EN: 0
; COMPUTE_PGM_RSRC2:TGID_Z_EN: 0
; COMPUTE_PGM_RSRC2:TIDIG_COMP_CNT: 0
	.section	.text._ZN7rocprim17ROCPRIM_400000_NS6detail17trampoline_kernelINS0_14default_configENS1_25partition_config_selectorILNS1_17partition_subalgoE5E10large_dataNS0_10empty_typeEbEEZZNS1_14partition_implILS5_5ELb0ES3_mN6thrust23THRUST_200600_302600_NS6detail15normal_iteratorINSB_10device_ptrIS6_EEEEPS7_NSB_18transform_iteratorI5mod_3IS6_ESG_NSB_11use_defaultESL_EENS0_5tupleIJSG_S7_EEENSN_IJSH_SH_EEES7_PlJS7_EEE10hipError_tPvRmT3_T4_T5_T6_T7_T9_mT8_P12ihipStream_tbDpT10_ENKUlT_T0_E_clISt17integral_constantIbLb0EES1A_EEDaS15_S16_EUlS15_E_NS1_11comp_targetILNS1_3genE9ELNS1_11target_archE1100ELNS1_3gpuE3ELNS1_3repE0EEENS1_30default_config_static_selectorELNS0_4arch9wavefront6targetE0EEEvT1_,"axG",@progbits,_ZN7rocprim17ROCPRIM_400000_NS6detail17trampoline_kernelINS0_14default_configENS1_25partition_config_selectorILNS1_17partition_subalgoE5E10large_dataNS0_10empty_typeEbEEZZNS1_14partition_implILS5_5ELb0ES3_mN6thrust23THRUST_200600_302600_NS6detail15normal_iteratorINSB_10device_ptrIS6_EEEEPS7_NSB_18transform_iteratorI5mod_3IS6_ESG_NSB_11use_defaultESL_EENS0_5tupleIJSG_S7_EEENSN_IJSH_SH_EEES7_PlJS7_EEE10hipError_tPvRmT3_T4_T5_T6_T7_T9_mT8_P12ihipStream_tbDpT10_ENKUlT_T0_E_clISt17integral_constantIbLb0EES1A_EEDaS15_S16_EUlS15_E_NS1_11comp_targetILNS1_3genE9ELNS1_11target_archE1100ELNS1_3gpuE3ELNS1_3repE0EEENS1_30default_config_static_selectorELNS0_4arch9wavefront6targetE0EEEvT1_,comdat
	.protected	_ZN7rocprim17ROCPRIM_400000_NS6detail17trampoline_kernelINS0_14default_configENS1_25partition_config_selectorILNS1_17partition_subalgoE5E10large_dataNS0_10empty_typeEbEEZZNS1_14partition_implILS5_5ELb0ES3_mN6thrust23THRUST_200600_302600_NS6detail15normal_iteratorINSB_10device_ptrIS6_EEEEPS7_NSB_18transform_iteratorI5mod_3IS6_ESG_NSB_11use_defaultESL_EENS0_5tupleIJSG_S7_EEENSN_IJSH_SH_EEES7_PlJS7_EEE10hipError_tPvRmT3_T4_T5_T6_T7_T9_mT8_P12ihipStream_tbDpT10_ENKUlT_T0_E_clISt17integral_constantIbLb0EES1A_EEDaS15_S16_EUlS15_E_NS1_11comp_targetILNS1_3genE9ELNS1_11target_archE1100ELNS1_3gpuE3ELNS1_3repE0EEENS1_30default_config_static_selectorELNS0_4arch9wavefront6targetE0EEEvT1_ ; -- Begin function _ZN7rocprim17ROCPRIM_400000_NS6detail17trampoline_kernelINS0_14default_configENS1_25partition_config_selectorILNS1_17partition_subalgoE5E10large_dataNS0_10empty_typeEbEEZZNS1_14partition_implILS5_5ELb0ES3_mN6thrust23THRUST_200600_302600_NS6detail15normal_iteratorINSB_10device_ptrIS6_EEEEPS7_NSB_18transform_iteratorI5mod_3IS6_ESG_NSB_11use_defaultESL_EENS0_5tupleIJSG_S7_EEENSN_IJSH_SH_EEES7_PlJS7_EEE10hipError_tPvRmT3_T4_T5_T6_T7_T9_mT8_P12ihipStream_tbDpT10_ENKUlT_T0_E_clISt17integral_constantIbLb0EES1A_EEDaS15_S16_EUlS15_E_NS1_11comp_targetILNS1_3genE9ELNS1_11target_archE1100ELNS1_3gpuE3ELNS1_3repE0EEENS1_30default_config_static_selectorELNS0_4arch9wavefront6targetE0EEEvT1_
	.globl	_ZN7rocprim17ROCPRIM_400000_NS6detail17trampoline_kernelINS0_14default_configENS1_25partition_config_selectorILNS1_17partition_subalgoE5E10large_dataNS0_10empty_typeEbEEZZNS1_14partition_implILS5_5ELb0ES3_mN6thrust23THRUST_200600_302600_NS6detail15normal_iteratorINSB_10device_ptrIS6_EEEEPS7_NSB_18transform_iteratorI5mod_3IS6_ESG_NSB_11use_defaultESL_EENS0_5tupleIJSG_S7_EEENSN_IJSH_SH_EEES7_PlJS7_EEE10hipError_tPvRmT3_T4_T5_T6_T7_T9_mT8_P12ihipStream_tbDpT10_ENKUlT_T0_E_clISt17integral_constantIbLb0EES1A_EEDaS15_S16_EUlS15_E_NS1_11comp_targetILNS1_3genE9ELNS1_11target_archE1100ELNS1_3gpuE3ELNS1_3repE0EEENS1_30default_config_static_selectorELNS0_4arch9wavefront6targetE0EEEvT1_
	.p2align	8
	.type	_ZN7rocprim17ROCPRIM_400000_NS6detail17trampoline_kernelINS0_14default_configENS1_25partition_config_selectorILNS1_17partition_subalgoE5E10large_dataNS0_10empty_typeEbEEZZNS1_14partition_implILS5_5ELb0ES3_mN6thrust23THRUST_200600_302600_NS6detail15normal_iteratorINSB_10device_ptrIS6_EEEEPS7_NSB_18transform_iteratorI5mod_3IS6_ESG_NSB_11use_defaultESL_EENS0_5tupleIJSG_S7_EEENSN_IJSH_SH_EEES7_PlJS7_EEE10hipError_tPvRmT3_T4_T5_T6_T7_T9_mT8_P12ihipStream_tbDpT10_ENKUlT_T0_E_clISt17integral_constantIbLb0EES1A_EEDaS15_S16_EUlS15_E_NS1_11comp_targetILNS1_3genE9ELNS1_11target_archE1100ELNS1_3gpuE3ELNS1_3repE0EEENS1_30default_config_static_selectorELNS0_4arch9wavefront6targetE0EEEvT1_,@function
_ZN7rocprim17ROCPRIM_400000_NS6detail17trampoline_kernelINS0_14default_configENS1_25partition_config_selectorILNS1_17partition_subalgoE5E10large_dataNS0_10empty_typeEbEEZZNS1_14partition_implILS5_5ELb0ES3_mN6thrust23THRUST_200600_302600_NS6detail15normal_iteratorINSB_10device_ptrIS6_EEEEPS7_NSB_18transform_iteratorI5mod_3IS6_ESG_NSB_11use_defaultESL_EENS0_5tupleIJSG_S7_EEENSN_IJSH_SH_EEES7_PlJS7_EEE10hipError_tPvRmT3_T4_T5_T6_T7_T9_mT8_P12ihipStream_tbDpT10_ENKUlT_T0_E_clISt17integral_constantIbLb0EES1A_EEDaS15_S16_EUlS15_E_NS1_11comp_targetILNS1_3genE9ELNS1_11target_archE1100ELNS1_3gpuE3ELNS1_3repE0EEENS1_30default_config_static_selectorELNS0_4arch9wavefront6targetE0EEEvT1_: ; @_ZN7rocprim17ROCPRIM_400000_NS6detail17trampoline_kernelINS0_14default_configENS1_25partition_config_selectorILNS1_17partition_subalgoE5E10large_dataNS0_10empty_typeEbEEZZNS1_14partition_implILS5_5ELb0ES3_mN6thrust23THRUST_200600_302600_NS6detail15normal_iteratorINSB_10device_ptrIS6_EEEEPS7_NSB_18transform_iteratorI5mod_3IS6_ESG_NSB_11use_defaultESL_EENS0_5tupleIJSG_S7_EEENSN_IJSH_SH_EEES7_PlJS7_EEE10hipError_tPvRmT3_T4_T5_T6_T7_T9_mT8_P12ihipStream_tbDpT10_ENKUlT_T0_E_clISt17integral_constantIbLb0EES1A_EEDaS15_S16_EUlS15_E_NS1_11comp_targetILNS1_3genE9ELNS1_11target_archE1100ELNS1_3gpuE3ELNS1_3repE0EEENS1_30default_config_static_selectorELNS0_4arch9wavefront6targetE0EEEvT1_
; %bb.0:
	s_clause 0x4
	s_load_b128 s[8:11], s[0:1], 0x0
	s_load_b64 s[16:17], s[0:1], 0x10
	s_load_b32 s18, s[0:1], 0x70
	s_load_b128 s[4:7], s[0:1], 0x48
	s_load_b64 s[20:21], s[0:1], 0x58
	s_mov_b32 s12, s15
	s_mov_b32 s13, 0
	s_mov_b32 s26, -1
	s_lshl_b64 s[2:3], s[12:13], 18
	s_waitcnt lgkmcnt(0)
	s_add_u32 s8, s8, s2
	s_addc_u32 s9, s9, s3
	s_lshl_b64 s[14:15], s[16:17], 9
	s_load_b64 s[2:3], s[6:7], 0x0
	s_add_u32 s23, s10, s14
	s_addc_u32 s24, s11, s15
	s_add_i32 s10, s18, -1
	s_lshl_b32 s7, s18, 8
	s_lshl_b32 s6, s10, 8
	s_delay_alu instid0(SALU_CYCLE_1)
	s_add_i32 s25, s16, s6
	s_add_u32 s6, s16, s7
	s_addc_u32 s7, s17, 0
	s_cmp_eq_u32 s12, s10
	v_cmp_ge_u64_e64 s6, s[6:7], s[20:21]
	s_cselect_b32 s21, -1, 0
	s_lshl_b32 s16, s12, 8
	s_delay_alu instid0(VALU_DEP_1) | instskip(NEXT) | instid1(SALU_CYCLE_1)
	s_and_b32 s6, s21, s6
	s_xor_b32 s22, s6, -1
	s_delay_alu instid0(SALU_CYCLE_1)
	s_and_b32 vcc_lo, exec_lo, s22
	s_cbranch_vccz .LBB693_2
; %bb.1:
	s_mov_b32 s17, s13
	v_lshlrev_b32_e32 v3, 9, v0
	s_lshl_b64 s[6:7], s[16:17], 9
	s_mov_b32 s26, 0
	s_add_u32 s6, s23, s6
	s_addc_u32 s7, s24, s7
	v_add_co_u32 v1, s6, s6, v3
	s_delay_alu instid0(VALU_DEP_1) | instskip(SKIP_2) | instid1(VALU_DEP_1)
	v_add_co_ci_u32_e64 v2, null, s7, 0, s6
	flat_load_u8 v4, v[1:2]
	v_add_co_u32 v1, s6, s8, v3
	v_add_co_ci_u32_e64 v2, null, s9, 0, s6
	s_waitcnt vmcnt(0) lgkmcnt(0)
	global_store_b8 v3, v4, s[8:9]
	s_waitcnt_vscnt null, 0x0
	s_barrier
	s_branch .LBB693_3
.LBB693_2:
                                        ; implicit-def: $vgpr1_vgpr2
.LBB693_3:
	s_clause 0x2
	s_load_b64 s[18:19], s[0:1], 0x20
	s_load_b64 s[6:7], s[0:1], 0x30
	s_load_b64 s[10:11], s[0:1], 0x68
	v_dual_mov_b32 v3, s16 :: v_dual_mov_b32 v4, s17
	s_and_not1_b32 vcc_lo, exec_lo, s26
	s_sub_i32 s0, s20, s25
	s_cbranch_vccnz .LBB693_9
; %bb.4:
	s_mov_b32 s1, exec_lo
	v_cmpx_le_u32_e64 s0, v0
	s_xor_b32 s1, exec_lo, s1
; %bb.5:
	v_mov_b32_e32 v1, 0
	s_mov_b32 s17, 0
; %bb.6:
	s_or_saveexec_b32 s1, s1
	v_dual_mov_b32 v3, s16 :: v_dual_mov_b32 v4, s17
	v_mov_b32_e32 v5, s17
	s_xor_b32 exec_lo, exec_lo, s1
	s_cbranch_execz .LBB693_8
; %bb.7:
	s_mov_b32 s17, 0
	v_lshlrev_b32_e32 v1, 9, v0
	s_lshl_b64 s[26:27], s[16:17], 9
	v_dual_mov_b32 v3, s16 :: v_dual_mov_b32 v4, s17
	s_add_u32 s13, s23, s26
	s_addc_u32 s20, s24, s27
	v_add_co_u32 v1, s13, s13, v1
	s_delay_alu instid0(VALU_DEP_1)
	v_add_co_ci_u32_e64 v2, null, s20, 0, s13
	flat_load_u8 v5, v[1:2]
	v_mov_b32_e32 v1, 0
.LBB693_8:
	s_or_b32 exec_lo, exec_lo, s1
	s_delay_alu instid0(VALU_DEP_1) | instskip(NEXT) | instid1(VALU_DEP_1)
	v_lshlrev_b64 v[1:2], 9, v[0:1]
	v_add_co_u32 v1, vcc_lo, s8, v1
	s_delay_alu instid0(VALU_DEP_2)
	v_add_co_ci_u32_e32 v2, vcc_lo, s9, v2, vcc_lo
	s_waitcnt vmcnt(0) lgkmcnt(0)
	global_store_b8 v[1:2], v5, off
	s_waitcnt_vscnt null, 0x0
	s_barrier
.LBB693_9:
	s_waitcnt lgkmcnt(0)
	buffer_gl0_inv
	global_load_u8 v17, v[1:2], off
	v_lshlrev_b64 v[1:2], 9, v[3:4]
	s_add_u32 s1, s18, s14
	s_addc_u32 s13, s19, s15
	s_waitcnt vmcnt(0)
	s_barrier
	buffer_gl0_inv
	v_add_co_u32 v3, vcc_lo, s1, v1
	v_add_co_ci_u32_e32 v4, vcc_lo, s13, v2, vcc_lo
	s_and_b32 vcc_lo, exec_lo, s22
	s_cbranch_vccz .LBB693_11
; %bb.10:
	v_lshlrev_b32_e32 v1, 9, v0
	s_delay_alu instid0(VALU_DEP_1) | instskip(SKIP_4) | instid1(VALU_DEP_1)
	v_add_co_u32 v1, vcc_lo, v3, v1
	v_add_co_ci_u32_e32 v2, vcc_lo, 0, v4, vcc_lo
	global_load_i8 v1, v[1:2], off
	s_waitcnt vmcnt(0)
	v_mul_lo_u32 v1, 0xaaaaaaab, v1
	v_cmp_lt_u32_e32 vcc_lo, 0x55555555, v1
	v_add_co_u32 v1, s1, s8, v0
	s_delay_alu instid0(VALU_DEP_1)
	v_add_co_ci_u32_e64 v2, null, s9, 0, s1
	v_cndmask_b32_e64 v5, 0, 1, vcc_lo
	global_store_b8 v0, v5, s[8:9]
	s_waitcnt_vscnt null, 0x0
	s_barrier
	s_cbranch_execz .LBB693_12
	s_branch .LBB693_15
.LBB693_11:
                                        ; implicit-def: $vgpr1_vgpr2
.LBB693_12:
	v_cmp_gt_u32_e32 vcc_lo, s0, v0
	v_mov_b32_e32 v5, 0
	s_and_saveexec_b32 s0, vcc_lo
	s_cbranch_execz .LBB693_14
; %bb.13:
	v_lshlrev_b32_e32 v1, 9, v0
	s_delay_alu instid0(VALU_DEP_1) | instskip(SKIP_4) | instid1(VALU_DEP_1)
	v_add_co_u32 v1, vcc_lo, v3, v1
	v_add_co_ci_u32_e32 v2, vcc_lo, 0, v4, vcc_lo
	global_load_i8 v1, v[1:2], off
	s_waitcnt vmcnt(0)
	v_mul_lo_u32 v1, 0xaaaaaaab, v1
	v_cmp_lt_u32_e32 vcc_lo, 0x55555555, v1
	v_cndmask_b32_e64 v5, 0, 1, vcc_lo
.LBB693_14:
	s_or_b32 exec_lo, exec_lo, s0
	v_add_co_u32 v1, s0, s8, v0
	s_delay_alu instid0(VALU_DEP_1)
	v_add_co_ci_u32_e64 v2, null, s9, 0, s0
	global_store_b8 v[1:2], v5, off
	s_waitcnt_vscnt null, 0x0
	s_barrier
.LBB693_15:
	buffer_gl0_inv
	global_load_u8 v1, v[1:2], off
	v_mov_b32_e32 v10, 0
	v_mbcnt_lo_u32_b32 v18, -1, 0
	s_cmp_lg_u32 s12, 0
	s_waitcnt vmcnt(0)
	s_barrier
	buffer_gl0_inv
	v_and_b32_e32 v9, 1, v1
	v_and_b32_e32 v19, 0xff, v1
	s_cbranch_scc0 .LBB693_81
; %bb.16:
	v_dual_mov_b32 v2, v10 :: v_dual_and_b32 v7, 0xff, v1
	s_delay_alu instid0(VALU_DEP_3) | instskip(SKIP_2) | instid1(VALU_DEP_4)
	v_mov_b32_e32 v3, v9
	v_dual_mov_b32 v4, v10 :: v_dual_and_b32 v5, 15, v18
	v_mov_b32_dpp v6, v10 row_shr:1 row_mask:0xf bank_mask:0xf
	v_mov_b32_dpp v1, v7 row_shr:1 row_mask:0xf bank_mask:0xf
	s_mov_b32 s0, exec_lo
	s_delay_alu instid0(VALU_DEP_3)
	v_cmpx_ne_u32_e32 0, v5
; %bb.17:
	s_delay_alu instid0(VALU_DEP_2) | instskip(NEXT) | instid1(VALU_DEP_1)
	v_add_co_u32 v7, s1, v1, v9
	v_add_co_ci_u32_e64 v2, null, 0, 0, s1
	s_delay_alu instid0(VALU_DEP_2) | instskip(NEXT) | instid1(VALU_DEP_2)
	v_add_co_u32 v1, vcc_lo, 0, v7
	v_add_co_ci_u32_e32 v2, vcc_lo, v6, v2, vcc_lo
	s_delay_alu instid0(VALU_DEP_1)
	v_dual_mov_b32 v4, v2 :: v_dual_mov_b32 v3, v1
; %bb.18:
	s_or_b32 exec_lo, exec_lo, s0
	v_mov_b32_dpp v1, v7 row_shr:2 row_mask:0xf bank_mask:0xf
	v_mov_b32_dpp v6, v2 row_shr:2 row_mask:0xf bank_mask:0xf
	s_mov_b32 s0, exec_lo
	v_cmpx_lt_u32_e32 1, v5
; %bb.19:
	s_delay_alu instid0(VALU_DEP_3) | instskip(SKIP_1) | instid1(VALU_DEP_2)
	v_add_co_u32 v7, vcc_lo, v3, v1
	v_add_co_ci_u32_e32 v2, vcc_lo, 0, v4, vcc_lo
	v_add_co_u32 v1, vcc_lo, 0, v7
	s_delay_alu instid0(VALU_DEP_2) | instskip(NEXT) | instid1(VALU_DEP_1)
	v_add_co_ci_u32_e32 v2, vcc_lo, v6, v2, vcc_lo
	v_dual_mov_b32 v4, v2 :: v_dual_mov_b32 v3, v1
; %bb.20:
	s_or_b32 exec_lo, exec_lo, s0
	v_mov_b32_dpp v1, v7 row_shr:4 row_mask:0xf bank_mask:0xf
	v_mov_b32_dpp v6, v2 row_shr:4 row_mask:0xf bank_mask:0xf
	s_mov_b32 s0, exec_lo
	v_cmpx_lt_u32_e32 3, v5
; %bb.21:
	s_delay_alu instid0(VALU_DEP_3) | instskip(SKIP_1) | instid1(VALU_DEP_2)
	v_add_co_u32 v7, vcc_lo, v3, v1
	v_add_co_ci_u32_e32 v2, vcc_lo, 0, v4, vcc_lo
	v_add_co_u32 v1, vcc_lo, 0, v7
	s_delay_alu instid0(VALU_DEP_2) | instskip(NEXT) | instid1(VALU_DEP_1)
	v_add_co_ci_u32_e32 v2, vcc_lo, v6, v2, vcc_lo
	;; [unrolled: 14-line block ×3, first 2 shown]
	v_mov_b32_e32 v2, v4
; %bb.24:
	s_or_b32 exec_lo, exec_lo, s0
	ds_swizzle_b32 v1, v7 offset:swizzle(BROADCAST,32,15)
	ds_swizzle_b32 v5, v2 offset:swizzle(BROADCAST,32,15)
	v_and_b32_e32 v6, 16, v18
	s_mov_b32 s0, exec_lo
	s_delay_alu instid0(VALU_DEP_1)
	v_cmpx_ne_u32_e32 0, v6
	s_cbranch_execz .LBB693_26
; %bb.25:
	s_waitcnt lgkmcnt(1)
	v_add_co_u32 v7, vcc_lo, v3, v1
	v_add_co_ci_u32_e32 v2, vcc_lo, 0, v4, vcc_lo
	s_delay_alu instid0(VALU_DEP_2) | instskip(SKIP_1) | instid1(VALU_DEP_2)
	v_add_co_u32 v1, vcc_lo, 0, v7
	s_waitcnt lgkmcnt(0)
	v_add_co_ci_u32_e32 v2, vcc_lo, v5, v2, vcc_lo
	s_delay_alu instid0(VALU_DEP_1)
	v_dual_mov_b32 v4, v2 :: v_dual_mov_b32 v3, v1
.LBB693_26:
	s_or_b32 exec_lo, exec_lo, s0
	s_waitcnt lgkmcnt(0)
	v_or_b32_e32 v5, 31, v0
	v_lshrrev_b32_e32 v1, 5, v0
	s_mov_b32 s0, exec_lo
	s_delay_alu instid0(VALU_DEP_2)
	v_cmpx_eq_u32_e64 v5, v0
	s_cbranch_execz .LBB693_28
; %bb.27:
	s_delay_alu instid0(VALU_DEP_2)
	v_lshlrev_b32_e32 v5, 3, v1
	global_store_b64 v5, v[3:4], s[8:9]
.LBB693_28:
	s_or_b32 exec_lo, exec_lo, s0
	s_delay_alu instid0(SALU_CYCLE_1)
	s_mov_b32 s0, exec_lo
	s_waitcnt_vscnt null, 0x0
	s_barrier
	buffer_gl0_inv
	v_cmpx_gt_u32_e32 8, v0
	s_cbranch_execz .LBB693_36
; %bb.29:
	v_lshlrev_b32_e32 v5, 3, v0
	s_mov_b32 s1, exec_lo
	global_load_b64 v[3:4], v5, s[8:9]
	s_waitcnt vmcnt(0)
	v_dual_mov_b32 v11, v3 :: v_dual_and_b32 v8, 7, v18
	v_mov_b32_dpp v12, v3 row_shr:1 row_mask:0xf bank_mask:0xf
	v_mov_b32_dpp v6, v4 row_shr:1 row_mask:0xf bank_mask:0xf
	s_delay_alu instid0(VALU_DEP_3)
	v_cmpx_ne_u32_e32 0, v8
; %bb.30:
	s_delay_alu instid0(VALU_DEP_3) | instskip(SKIP_1) | instid1(VALU_DEP_2)
	v_add_co_u32 v11, vcc_lo, v3, v12
	v_add_co_ci_u32_e32 v4, vcc_lo, 0, v4, vcc_lo
	v_add_co_u32 v3, vcc_lo, 0, v11
	s_delay_alu instid0(VALU_DEP_2)
	v_add_co_ci_u32_e32 v4, vcc_lo, v6, v4, vcc_lo
; %bb.31:
	s_or_b32 exec_lo, exec_lo, s1
	v_add_co_u32 v5, s1, s8, v5
	s_delay_alu instid0(VALU_DEP_1)
	v_add_co_ci_u32_e64 v6, null, s9, 0, s1
	v_mov_b32_dpp v13, v11 row_shr:2 row_mask:0xf bank_mask:0xf
	v_mov_b32_dpp v12, v4 row_shr:2 row_mask:0xf bank_mask:0xf
	s_mov_b32 s1, exec_lo
	v_cmpx_lt_u32_e32 1, v8
; %bb.32:
	s_delay_alu instid0(VALU_DEP_3) | instskip(SKIP_1) | instid1(VALU_DEP_2)
	v_add_co_u32 v11, vcc_lo, v3, v13
	v_add_co_ci_u32_e32 v4, vcc_lo, 0, v4, vcc_lo
	v_add_co_u32 v3, vcc_lo, 0, v11
	s_delay_alu instid0(VALU_DEP_2)
	v_add_co_ci_u32_e32 v4, vcc_lo, v12, v4, vcc_lo
; %bb.33:
	s_or_b32 exec_lo, exec_lo, s1
	v_mov_b32_dpp v12, v11 row_shr:4 row_mask:0xf bank_mask:0xf
	s_delay_alu instid0(VALU_DEP_2)
	v_mov_b32_dpp v11, v4 row_shr:4 row_mask:0xf bank_mask:0xf
	s_mov_b32 s1, exec_lo
	v_cmpx_lt_u32_e32 3, v8
; %bb.34:
	s_delay_alu instid0(VALU_DEP_3) | instskip(SKIP_1) | instid1(VALU_DEP_2)
	v_add_co_u32 v3, vcc_lo, v3, v12
	v_add_co_ci_u32_e32 v4, vcc_lo, 0, v4, vcc_lo
	v_add_co_u32 v3, vcc_lo, v3, 0
	s_delay_alu instid0(VALU_DEP_2)
	v_add_co_ci_u32_e32 v4, vcc_lo, v4, v11, vcc_lo
; %bb.35:
	s_or_b32 exec_lo, exec_lo, s1
	global_store_b64 v[5:6], v[3:4], off
.LBB693_36:
	s_or_b32 exec_lo, exec_lo, s0
	v_cmp_gt_u32_e32 vcc_lo, 32, v0
	s_mov_b32 s1, exec_lo
	s_waitcnt_vscnt null, 0x0
	s_barrier
	buffer_gl0_inv
                                        ; implicit-def: $vgpr11_vgpr12
	v_cmpx_lt_u32_e32 31, v0
	s_cbranch_execz .LBB693_38
; %bb.37:
	v_dual_mov_b32 v4, 0 :: v_dual_add_nc_u32 v3, -1, v1
	s_delay_alu instid0(VALU_DEP_1) | instskip(NEXT) | instid1(VALU_DEP_1)
	v_lshlrev_b64 v[3:4], 3, v[3:4]
	v_add_co_u32 v3, s0, s8, v3
	s_delay_alu instid0(VALU_DEP_1) | instskip(SKIP_3) | instid1(VALU_DEP_1)
	v_add_co_ci_u32_e64 v4, s0, s9, v4, s0
	global_load_b64 v[11:12], v[3:4], off
	s_waitcnt vmcnt(0)
	v_add_co_u32 v7, s0, v7, v11
	v_add_co_ci_u32_e64 v2, s0, v2, v12, s0
.LBB693_38:
	s_or_b32 exec_lo, exec_lo, s1
	v_add_nc_u32_e32 v1, -1, v18
	s_delay_alu instid0(VALU_DEP_1) | instskip(NEXT) | instid1(VALU_DEP_1)
	v_cmp_gt_i32_e64 s0, 0, v1
	v_cndmask_b32_e64 v1, v1, v18, s0
	v_cmp_eq_u32_e64 s0, 0, v18
	s_delay_alu instid0(VALU_DEP_2)
	v_lshlrev_b32_e32 v1, 2, v1
	ds_bpermute_b32 v20, v1, v7
	ds_bpermute_b32 v21, v1, v2
	s_and_saveexec_b32 s1, vcc_lo
	s_cbranch_execz .LBB693_76
; %bb.39:
	v_mov_b32_e32 v4, 0
	global_load_b64 v[1:2], v4, s[8:9] offset:56
	s_and_saveexec_b32 s13, s0
	s_cbranch_execz .LBB693_41
; %bb.40:
	s_add_i32 s14, s12, 32
	s_mov_b32 s15, 0
	s_delay_alu instid0(SALU_CYCLE_1) | instskip(NEXT) | instid1(SALU_CYCLE_1)
	s_lshl_b64 s[14:15], s[14:15], 4
	s_add_u32 s14, s10, s14
	s_addc_u32 s15, s11, s15
	v_mov_b32_e32 v5, s14
	v_dual_mov_b32 v3, 1 :: v_dual_mov_b32 v6, s15
	s_waitcnt vmcnt(0)
	;;#ASMSTART
	global_store_dwordx4 v[5:6], v[1:4] off	
s_waitcnt vmcnt(0)
	;;#ASMEND
.LBB693_41:
	s_or_b32 exec_lo, exec_lo, s13
	v_xad_u32 v13, v18, -1, s12
	s_mov_b32 s14, 0
	s_mov_b32 s13, exec_lo
	s_delay_alu instid0(VALU_DEP_1) | instskip(NEXT) | instid1(VALU_DEP_1)
	v_add_nc_u32_e32 v3, 32, v13
	v_lshlrev_b64 v[3:4], 4, v[3:4]
	s_delay_alu instid0(VALU_DEP_1) | instskip(NEXT) | instid1(VALU_DEP_2)
	v_add_co_u32 v3, vcc_lo, s10, v3
	v_add_co_ci_u32_e32 v4, vcc_lo, s11, v4, vcc_lo
	;;#ASMSTART
	global_load_dwordx4 v[5:8], v[3:4] off glc	
s_waitcnt vmcnt(0)
	;;#ASMEND
	v_and_b32_e32 v8, 0xff, v6
	v_and_b32_e32 v14, 0xff00, v6
	v_or3_b32 v5, v5, 0, 0
	v_and_b32_e32 v15, 0xff000000, v6
	v_and_b32_e32 v6, 0xff0000, v6
	s_delay_alu instid0(VALU_DEP_4) | instskip(SKIP_2) | instid1(VALU_DEP_3)
	v_or3_b32 v8, 0, v8, v14
	v_and_b32_e32 v14, 0xff, v7
	v_or3_b32 v5, v5, 0, 0
	v_or3_b32 v6, v8, v6, v15
	s_delay_alu instid0(VALU_DEP_3)
	v_cmpx_eq_u16_e32 0, v14
	s_cbranch_execz .LBB693_44
.LBB693_42:                             ; =>This Inner Loop Header: Depth=1
	;;#ASMSTART
	global_load_dwordx4 v[5:8], v[3:4] off glc	
s_waitcnt vmcnt(0)
	;;#ASMEND
	v_and_b32_e32 v8, 0xff, v7
	s_delay_alu instid0(VALU_DEP_1) | instskip(SKIP_1) | instid1(SALU_CYCLE_1)
	v_cmp_ne_u16_e32 vcc_lo, 0, v8
	s_or_b32 s14, vcc_lo, s14
	s_and_not1_b32 exec_lo, exec_lo, s14
	s_cbranch_execnz .LBB693_42
; %bb.43:
	s_or_b32 exec_lo, exec_lo, s14
.LBB693_44:
	s_delay_alu instid0(SALU_CYCLE_1)
	s_or_b32 exec_lo, exec_lo, s13
	v_cmp_ne_u32_e32 vcc_lo, 31, v18
	v_and_b32_e32 v4, 0xff, v7
	v_lshlrev_b32_e64 v23, v18, -1
	s_mov_b32 s13, exec_lo
	v_add_co_ci_u32_e32 v3, vcc_lo, 0, v18, vcc_lo
	s_delay_alu instid0(VALU_DEP_3) | instskip(SKIP_1) | instid1(VALU_DEP_3)
	v_cmp_eq_u16_e32 vcc_lo, 2, v4
	v_mov_b32_e32 v4, v5
	v_lshlrev_b32_e32 v22, 2, v3
	v_and_or_b32 v3, vcc_lo, v23, 0x80000000
	ds_bpermute_b32 v14, v22, v5
	ds_bpermute_b32 v8, v22, v6
	v_ctz_i32_b32_e32 v3, v3
	s_delay_alu instid0(VALU_DEP_1)
	v_cmpx_lt_u32_e64 v18, v3
	s_cbranch_execz .LBB693_46
; %bb.45:
	s_waitcnt lgkmcnt(1)
	v_add_co_u32 v4, vcc_lo, v5, v14
	v_add_co_ci_u32_e32 v6, vcc_lo, 0, v6, vcc_lo
	s_delay_alu instid0(VALU_DEP_2) | instskip(SKIP_1) | instid1(VALU_DEP_2)
	v_add_co_u32 v5, vcc_lo, 0, v4
	s_waitcnt lgkmcnt(0)
	v_add_co_ci_u32_e32 v6, vcc_lo, v8, v6, vcc_lo
.LBB693_46:
	s_or_b32 exec_lo, exec_lo, s13
	v_cmp_gt_u32_e32 vcc_lo, 30, v18
	v_add_nc_u32_e32 v25, 2, v18
	s_mov_b32 s13, exec_lo
	s_waitcnt lgkmcnt(0)
	v_cndmask_b32_e64 v8, 0, 1, vcc_lo
	s_delay_alu instid0(VALU_DEP_1) | instskip(NEXT) | instid1(VALU_DEP_1)
	v_lshlrev_b32_e32 v8, 1, v8
	v_add_lshl_u32 v24, v8, v18, 2
	ds_bpermute_b32 v14, v24, v4
	ds_bpermute_b32 v8, v24, v6
	v_cmpx_le_u32_e64 v25, v3
	s_cbranch_execz .LBB693_48
; %bb.47:
	s_waitcnt lgkmcnt(1)
	v_add_co_u32 v4, vcc_lo, v5, v14
	v_add_co_ci_u32_e32 v6, vcc_lo, 0, v6, vcc_lo
	s_delay_alu instid0(VALU_DEP_2) | instskip(SKIP_1) | instid1(VALU_DEP_2)
	v_add_co_u32 v5, vcc_lo, 0, v4
	s_waitcnt lgkmcnt(0)
	v_add_co_ci_u32_e32 v6, vcc_lo, v8, v6, vcc_lo
.LBB693_48:
	s_or_b32 exec_lo, exec_lo, s13
	v_cmp_gt_u32_e32 vcc_lo, 28, v18
	v_add_nc_u32_e32 v27, 4, v18
	s_mov_b32 s13, exec_lo
	s_waitcnt lgkmcnt(0)
	v_cndmask_b32_e64 v8, 0, 1, vcc_lo
	s_delay_alu instid0(VALU_DEP_1) | instskip(NEXT) | instid1(VALU_DEP_1)
	v_lshlrev_b32_e32 v8, 2, v8
	v_add_lshl_u32 v26, v8, v18, 2
	ds_bpermute_b32 v14, v26, v4
	ds_bpermute_b32 v8, v26, v6
	v_cmpx_le_u32_e64 v27, v3
	;; [unrolled: 22-line block ×4, first 2 shown]
	s_cbranch_execz .LBB693_54
; %bb.53:
	s_waitcnt lgkmcnt(1)
	v_add_co_u32 v3, vcc_lo, v5, v8
	v_add_co_ci_u32_e32 v6, vcc_lo, 0, v6, vcc_lo
	s_delay_alu instid0(VALU_DEP_2) | instskip(SKIP_1) | instid1(VALU_DEP_2)
	v_add_co_u32 v5, vcc_lo, v3, 0
	s_waitcnt lgkmcnt(0)
	v_add_co_ci_u32_e32 v6, vcc_lo, v6, v4, vcc_lo
.LBB693_54:
	s_or_b32 exec_lo, exec_lo, s13
	v_mov_b32_e32 v14, 0
	s_branch .LBB693_56
.LBB693_55:                             ;   in Loop: Header=BB693_56 Depth=1
	s_or_b32 exec_lo, exec_lo, s13
	v_add_co_u32 v5, vcc_lo, v5, v3
	v_subrev_nc_u32_e32 v13, 32, v13
	v_add_co_ci_u32_e32 v6, vcc_lo, v6, v4, vcc_lo
.LBB693_56:                             ; =>This Loop Header: Depth=1
                                        ;     Child Loop BB693_59 Depth 2
	v_and_b32_e32 v3, 0xff, v7
	s_delay_alu instid0(VALU_DEP_1) | instskip(SKIP_2) | instid1(VALU_DEP_1)
	v_cmp_ne_u16_e32 vcc_lo, 2, v3
	v_cndmask_b32_e64 v3, 0, 1, vcc_lo
	;;#ASMSTART
	;;#ASMEND
	v_cmp_ne_u32_e32 vcc_lo, 0, v3
	s_waitcnt lgkmcnt(0)
	v_dual_mov_b32 v3, v5 :: v_dual_mov_b32 v4, v6
	s_cmp_lg_u32 vcc_lo, exec_lo
	s_cbranch_scc1 .LBB693_71
; %bb.57:                               ;   in Loop: Header=BB693_56 Depth=1
	v_lshlrev_b64 v[5:6], 4, v[13:14]
	s_mov_b32 s13, exec_lo
	s_delay_alu instid0(VALU_DEP_1) | instskip(NEXT) | instid1(VALU_DEP_2)
	v_add_co_u32 v15, vcc_lo, s10, v5
	v_add_co_ci_u32_e32 v16, vcc_lo, s11, v6, vcc_lo
	;;#ASMSTART
	global_load_dwordx4 v[5:8], v[15:16] off glc	
s_waitcnt vmcnt(0)
	;;#ASMEND
	v_and_b32_e32 v8, 0xff, v6
	v_and_b32_e32 v32, 0xff00, v6
	v_or3_b32 v5, v5, 0, 0
	v_and_b32_e32 v33, 0xff000000, v6
	v_and_b32_e32 v6, 0xff0000, v6
	s_delay_alu instid0(VALU_DEP_4) | instskip(SKIP_2) | instid1(VALU_DEP_3)
	v_or3_b32 v8, 0, v8, v32
	v_and_b32_e32 v32, 0xff, v7
	v_or3_b32 v5, v5, 0, 0
	v_or3_b32 v6, v8, v6, v33
	s_delay_alu instid0(VALU_DEP_3)
	v_cmpx_eq_u16_e32 0, v32
	s_cbranch_execz .LBB693_61
; %bb.58:                               ;   in Loop: Header=BB693_56 Depth=1
	s_mov_b32 s14, 0
.LBB693_59:                             ;   Parent Loop BB693_56 Depth=1
                                        ; =>  This Inner Loop Header: Depth=2
	;;#ASMSTART
	global_load_dwordx4 v[5:8], v[15:16] off glc	
s_waitcnt vmcnt(0)
	;;#ASMEND
	v_and_b32_e32 v8, 0xff, v7
	s_delay_alu instid0(VALU_DEP_1) | instskip(SKIP_1) | instid1(SALU_CYCLE_1)
	v_cmp_ne_u16_e32 vcc_lo, 0, v8
	s_or_b32 s14, vcc_lo, s14
	s_and_not1_b32 exec_lo, exec_lo, s14
	s_cbranch_execnz .LBB693_59
; %bb.60:                               ;   in Loop: Header=BB693_56 Depth=1
	s_or_b32 exec_lo, exec_lo, s14
.LBB693_61:                             ;   in Loop: Header=BB693_56 Depth=1
	s_delay_alu instid0(SALU_CYCLE_1)
	s_or_b32 exec_lo, exec_lo, s13
	v_dual_mov_b32 v15, v5 :: v_dual_and_b32 v8, 0xff, v7
	ds_bpermute_b32 v32, v22, v5
	ds_bpermute_b32 v16, v22, v6
	s_mov_b32 s13, exec_lo
	v_cmp_eq_u16_e32 vcc_lo, 2, v8
	v_and_or_b32 v8, vcc_lo, v23, 0x80000000
	s_delay_alu instid0(VALU_DEP_1) | instskip(NEXT) | instid1(VALU_DEP_1)
	v_ctz_i32_b32_e32 v8, v8
	v_cmpx_lt_u32_e64 v18, v8
	s_cbranch_execz .LBB693_63
; %bb.62:                               ;   in Loop: Header=BB693_56 Depth=1
	s_waitcnt lgkmcnt(1)
	v_add_co_u32 v15, vcc_lo, v5, v32
	v_add_co_ci_u32_e32 v6, vcc_lo, 0, v6, vcc_lo
	s_delay_alu instid0(VALU_DEP_2) | instskip(SKIP_1) | instid1(VALU_DEP_2)
	v_add_co_u32 v5, vcc_lo, 0, v15
	s_waitcnt lgkmcnt(0)
	v_add_co_ci_u32_e32 v6, vcc_lo, v16, v6, vcc_lo
.LBB693_63:                             ;   in Loop: Header=BB693_56 Depth=1
	s_or_b32 exec_lo, exec_lo, s13
	s_waitcnt lgkmcnt(1)
	ds_bpermute_b32 v32, v24, v15
	s_waitcnt lgkmcnt(1)
	ds_bpermute_b32 v16, v24, v6
	s_mov_b32 s13, exec_lo
	v_cmpx_le_u32_e64 v25, v8
	s_cbranch_execz .LBB693_65
; %bb.64:                               ;   in Loop: Header=BB693_56 Depth=1
	s_waitcnt lgkmcnt(1)
	v_add_co_u32 v15, vcc_lo, v5, v32
	v_add_co_ci_u32_e32 v6, vcc_lo, 0, v6, vcc_lo
	s_delay_alu instid0(VALU_DEP_2) | instskip(SKIP_1) | instid1(VALU_DEP_2)
	v_add_co_u32 v5, vcc_lo, 0, v15
	s_waitcnt lgkmcnt(0)
	v_add_co_ci_u32_e32 v6, vcc_lo, v16, v6, vcc_lo
.LBB693_65:                             ;   in Loop: Header=BB693_56 Depth=1
	s_or_b32 exec_lo, exec_lo, s13
	s_waitcnt lgkmcnt(1)
	ds_bpermute_b32 v32, v26, v15
	s_waitcnt lgkmcnt(1)
	ds_bpermute_b32 v16, v26, v6
	s_mov_b32 s13, exec_lo
	v_cmpx_le_u32_e64 v27, v8
	;; [unrolled: 17-line block ×3, first 2 shown]
	s_cbranch_execz .LBB693_69
; %bb.68:                               ;   in Loop: Header=BB693_56 Depth=1
	s_waitcnt lgkmcnt(1)
	v_add_co_u32 v15, vcc_lo, v5, v32
	v_add_co_ci_u32_e32 v6, vcc_lo, 0, v6, vcc_lo
	s_delay_alu instid0(VALU_DEP_2) | instskip(SKIP_1) | instid1(VALU_DEP_2)
	v_add_co_u32 v5, vcc_lo, 0, v15
	s_waitcnt lgkmcnt(0)
	v_add_co_ci_u32_e32 v6, vcc_lo, v16, v6, vcc_lo
.LBB693_69:                             ;   in Loop: Header=BB693_56 Depth=1
	s_or_b32 exec_lo, exec_lo, s13
	s_waitcnt lgkmcnt(0)
	ds_bpermute_b32 v16, v30, v15
	ds_bpermute_b32 v15, v30, v6
	s_mov_b32 s13, exec_lo
	v_cmpx_le_u32_e64 v31, v8
	s_cbranch_execz .LBB693_55
; %bb.70:                               ;   in Loop: Header=BB693_56 Depth=1
	s_waitcnt lgkmcnt(1)
	v_add_co_u32 v5, vcc_lo, v5, v16
	v_add_co_ci_u32_e32 v6, vcc_lo, 0, v6, vcc_lo
	s_delay_alu instid0(VALU_DEP_2) | instskip(SKIP_1) | instid1(VALU_DEP_2)
	v_add_co_u32 v5, vcc_lo, v5, 0
	s_waitcnt lgkmcnt(0)
	v_add_co_ci_u32_e32 v6, vcc_lo, v6, v15, vcc_lo
	s_branch .LBB693_55
.LBB693_71:                             ;   in Loop: Header=BB693_56 Depth=1
                                        ; implicit-def: $vgpr5_vgpr6
	s_cbranch_execz .LBB693_56
; %bb.72:
	s_and_saveexec_b32 s13, s0
	s_cbranch_execz .LBB693_74
; %bb.73:
	s_add_i32 s14, s12, 32
	s_mov_b32 s15, 0
	s_waitcnt vmcnt(0)
	v_add_co_u32 v5, vcc_lo, v3, v1
	s_lshl_b64 s[14:15], s[14:15], 4
	v_dual_mov_b32 v7, 2 :: v_dual_mov_b32 v8, 0
	s_add_u32 s14, s10, s14
	s_addc_u32 s15, s11, s15
	v_add_co_ci_u32_e32 v6, vcc_lo, v4, v2, vcc_lo
	v_dual_mov_b32 v13, s14 :: v_dual_mov_b32 v14, s15
	;;#ASMSTART
	global_store_dwordx4 v[13:14], v[5:8] off	
s_waitcnt vmcnt(0)
	;;#ASMEND
	ds_store_b128 v8, v[1:4]
.LBB693_74:
	s_or_b32 exec_lo, exec_lo, s13
	v_cmp_eq_u32_e32 vcc_lo, 0, v0
	s_and_b32 exec_lo, exec_lo, vcc_lo
	s_cbranch_execz .LBB693_76
; %bb.75:
	s_waitcnt vmcnt(0)
	v_mov_b32_e32 v1, 0
	global_store_b64 v1, v[3:4], s[8:9] offset:56
.LBB693_76:
	s_or_b32 exec_lo, exec_lo, s1
	s_waitcnt lgkmcnt(0)
	v_cndmask_b32_e64 v8, v21, v12, s0
	v_cmp_ne_u32_e32 vcc_lo, 0, v0
	s_waitcnt vmcnt(0)
	v_mov_b32_e32 v1, 0
	s_waitcnt_vscnt null, 0x0
	s_barrier
	buffer_gl0_inv
	v_cndmask_b32_e32 v8, 0, v8, vcc_lo
	global_load_b64 v[6:7], v1, s[8:9] offset:56
	s_waitcnt vmcnt(0)
	s_barrier
	buffer_gl0_inv
	ds_load_b128 v[2:5], v1
	v_cndmask_b32_e64 v1, v20, v11, s0
	s_delay_alu instid0(VALU_DEP_1) | instskip(NEXT) | instid1(VALU_DEP_1)
	v_cndmask_b32_e32 v1, 0, v1, vcc_lo
	v_add_co_u32 v6, vcc_lo, v6, v1
	v_add_co_ci_u32_e32 v7, vcc_lo, v7, v8, vcc_lo
.LBB693_77:
	s_waitcnt lgkmcnt(0)
	v_cmp_gt_u64_e32 vcc_lo, 0x101, v[2:3]
	s_mov_b32 s0, -1
	s_cbranch_vccnz .LBB693_107
.LBB693_78:
	s_and_not1_b32 vcc_lo, exec_lo, s0
	s_cbranch_vccz .LBB693_111
.LBB693_79:
	v_cmp_eq_u32_e32 vcc_lo, 0, v0
	s_and_b32 s0, vcc_lo, s21
	s_delay_alu instid0(SALU_CYCLE_1)
	s_and_saveexec_b32 s1, s0
	s_cbranch_execnz .LBB693_117
.LBB693_80:
	s_nop 0
	s_sendmsg sendmsg(MSG_DEALLOC_VGPRS)
	s_endpgm
.LBB693_81:
                                        ; implicit-def: $vgpr4_vgpr5
                                        ; implicit-def: $vgpr6_vgpr7
	s_cbranch_execz .LBB693_77
; %bb.82:
	s_waitcnt lgkmcnt(0)
	v_dual_mov_b32 v4, 0 :: v_dual_and_b32 v5, 15, v18
	v_mov_b32_dpp v3, v19 row_shr:1 row_mask:0xf bank_mask:0xf
	v_dual_mov_b32 v1, v9 :: v_dual_mov_b32 v2, v10
	s_delay_alu instid0(VALU_DEP_3)
	v_mov_b32_dpp v6, v4 row_shr:1 row_mask:0xf bank_mask:0xf
	s_mov_b32 s0, exec_lo
	v_cmpx_ne_u32_e32 0, v5
; %bb.83:
	v_add_co_u32 v19, s1, v3, v9
	s_delay_alu instid0(VALU_DEP_1) | instskip(NEXT) | instid1(VALU_DEP_2)
	v_add_co_ci_u32_e64 v1, null, 0, 0, s1
	v_add_co_u32 v3, vcc_lo, 0, v19
	s_delay_alu instid0(VALU_DEP_2) | instskip(NEXT) | instid1(VALU_DEP_1)
	v_add_co_ci_u32_e32 v4, vcc_lo, v6, v1, vcc_lo
	v_dual_mov_b32 v1, v3 :: v_dual_mov_b32 v2, v4
; %bb.84:
	s_or_b32 exec_lo, exec_lo, s0
	v_mov_b32_dpp v3, v19 row_shr:2 row_mask:0xf bank_mask:0xf
	v_mov_b32_dpp v6, v4 row_shr:2 row_mask:0xf bank_mask:0xf
	s_mov_b32 s0, exec_lo
	v_cmpx_lt_u32_e32 1, v5
; %bb.85:
	s_delay_alu instid0(VALU_DEP_3) | instskip(SKIP_1) | instid1(VALU_DEP_2)
	v_add_co_u32 v19, vcc_lo, v1, v3
	v_add_co_ci_u32_e32 v1, vcc_lo, 0, v2, vcc_lo
	v_add_co_u32 v3, vcc_lo, 0, v19
	s_delay_alu instid0(VALU_DEP_2) | instskip(NEXT) | instid1(VALU_DEP_1)
	v_add_co_ci_u32_e32 v4, vcc_lo, v6, v1, vcc_lo
	v_dual_mov_b32 v1, v3 :: v_dual_mov_b32 v2, v4
; %bb.86:
	s_or_b32 exec_lo, exec_lo, s0
	v_mov_b32_dpp v3, v19 row_shr:4 row_mask:0xf bank_mask:0xf
	v_mov_b32_dpp v6, v4 row_shr:4 row_mask:0xf bank_mask:0xf
	s_mov_b32 s0, exec_lo
	v_cmpx_lt_u32_e32 3, v5
; %bb.87:
	s_delay_alu instid0(VALU_DEP_3) | instskip(SKIP_1) | instid1(VALU_DEP_2)
	v_add_co_u32 v19, vcc_lo, v1, v3
	v_add_co_ci_u32_e32 v1, vcc_lo, 0, v2, vcc_lo
	;; [unrolled: 14-line block ×3, first 2 shown]
	v_add_co_u32 v1, vcc_lo, 0, v19
	s_delay_alu instid0(VALU_DEP_2) | instskip(NEXT) | instid1(VALU_DEP_1)
	v_add_co_ci_u32_e32 v2, vcc_lo, v3, v2, vcc_lo
	v_mov_b32_e32 v4, v2
; %bb.90:
	s_or_b32 exec_lo, exec_lo, s0
	ds_swizzle_b32 v3, v19 offset:swizzle(BROADCAST,32,15)
	ds_swizzle_b32 v5, v4 offset:swizzle(BROADCAST,32,15)
	v_and_b32_e32 v6, 16, v18
	s_mov_b32 s0, exec_lo
	s_delay_alu instid0(VALU_DEP_1)
	v_cmpx_ne_u32_e32 0, v6
	s_cbranch_execz .LBB693_92
; %bb.91:
	s_waitcnt lgkmcnt(1)
	v_add_co_u32 v19, vcc_lo, v1, v3
	v_add_co_ci_u32_e32 v1, vcc_lo, 0, v2, vcc_lo
	s_delay_alu instid0(VALU_DEP_2) | instskip(SKIP_1) | instid1(VALU_DEP_2)
	v_add_co_u32 v3, vcc_lo, 0, v19
	s_waitcnt lgkmcnt(0)
	v_add_co_ci_u32_e32 v4, vcc_lo, v5, v1, vcc_lo
	s_delay_alu instid0(VALU_DEP_1)
	v_dual_mov_b32 v1, v3 :: v_dual_mov_b32 v2, v4
.LBB693_92:
	s_or_b32 exec_lo, exec_lo, s0
	s_waitcnt lgkmcnt(0)
	v_or_b32_e32 v5, 31, v0
	v_lshrrev_b32_e32 v3, 5, v0
	s_mov_b32 s0, exec_lo
	s_delay_alu instid0(VALU_DEP_2)
	v_cmpx_eq_u32_e64 v5, v0
	s_cbranch_execz .LBB693_94
; %bb.93:
	s_delay_alu instid0(VALU_DEP_2)
	v_lshlrev_b32_e32 v5, 3, v3
	global_store_b64 v5, v[1:2], s[8:9]
.LBB693_94:
	s_or_b32 exec_lo, exec_lo, s0
	s_delay_alu instid0(SALU_CYCLE_1)
	s_mov_b32 s0, exec_lo
	s_waitcnt_vscnt null, 0x0
	s_barrier
	buffer_gl0_inv
	v_cmpx_gt_u32_e32 8, v0
	s_cbranch_execz .LBB693_102
; %bb.95:
	v_lshlrev_b32_e32 v5, 3, v0
	v_and_b32_e32 v7, 7, v18
	s_mov_b32 s1, exec_lo
	global_load_b64 v[1:2], v5, s[8:9]
	s_waitcnt vmcnt(0)
	v_mov_b32_e32 v8, v1
	v_mov_b32_dpp v10, v1 row_shr:1 row_mask:0xf bank_mask:0xf
	v_mov_b32_dpp v6, v2 row_shr:1 row_mask:0xf bank_mask:0xf
	v_cmpx_ne_u32_e32 0, v7
; %bb.96:
	s_delay_alu instid0(VALU_DEP_3) | instskip(SKIP_1) | instid1(VALU_DEP_2)
	v_add_co_u32 v8, vcc_lo, v1, v10
	v_add_co_ci_u32_e32 v2, vcc_lo, 0, v2, vcc_lo
	v_add_co_u32 v1, vcc_lo, 0, v8
	s_delay_alu instid0(VALU_DEP_2)
	v_add_co_ci_u32_e32 v2, vcc_lo, v6, v2, vcc_lo
; %bb.97:
	s_or_b32 exec_lo, exec_lo, s1
	v_add_co_u32 v5, s1, s8, v5
	s_delay_alu instid0(VALU_DEP_1)
	v_add_co_ci_u32_e64 v6, null, s9, 0, s1
	v_mov_b32_dpp v11, v8 row_shr:2 row_mask:0xf bank_mask:0xf
	v_mov_b32_dpp v10, v2 row_shr:2 row_mask:0xf bank_mask:0xf
	s_mov_b32 s1, exec_lo
	v_cmpx_lt_u32_e32 1, v7
; %bb.98:
	s_delay_alu instid0(VALU_DEP_3) | instskip(SKIP_1) | instid1(VALU_DEP_2)
	v_add_co_u32 v8, vcc_lo, v1, v11
	v_add_co_ci_u32_e32 v2, vcc_lo, 0, v2, vcc_lo
	v_add_co_u32 v1, vcc_lo, 0, v8
	s_delay_alu instid0(VALU_DEP_2)
	v_add_co_ci_u32_e32 v2, vcc_lo, v10, v2, vcc_lo
; %bb.99:
	s_or_b32 exec_lo, exec_lo, s1
	v_mov_b32_dpp v10, v8 row_shr:4 row_mask:0xf bank_mask:0xf
	s_delay_alu instid0(VALU_DEP_2)
	v_mov_b32_dpp v8, v2 row_shr:4 row_mask:0xf bank_mask:0xf
	s_mov_b32 s1, exec_lo
	v_cmpx_lt_u32_e32 3, v7
; %bb.100:
	s_delay_alu instid0(VALU_DEP_3) | instskip(SKIP_1) | instid1(VALU_DEP_2)
	v_add_co_u32 v1, vcc_lo, v1, v10
	v_add_co_ci_u32_e32 v2, vcc_lo, 0, v2, vcc_lo
	v_add_co_u32 v1, vcc_lo, v1, 0
	s_delay_alu instid0(VALU_DEP_2)
	v_add_co_ci_u32_e32 v2, vcc_lo, v2, v8, vcc_lo
; %bb.101:
	s_or_b32 exec_lo, exec_lo, s1
	global_store_b64 v[5:6], v[1:2], off
.LBB693_102:
	s_or_b32 exec_lo, exec_lo, s0
	v_mov_b32_e32 v6, 0
	v_mov_b32_e32 v7, 0
	s_mov_b32 s0, exec_lo
	s_waitcnt_vscnt null, 0x0
	s_barrier
	buffer_gl0_inv
	v_cmpx_lt_u32_e32 31, v0
	s_cbranch_execz .LBB693_104
; %bb.103:
	v_dual_mov_b32 v2, 0 :: v_dual_add_nc_u32 v1, -1, v3
	s_delay_alu instid0(VALU_DEP_1) | instskip(NEXT) | instid1(VALU_DEP_1)
	v_lshlrev_b64 v[1:2], 3, v[1:2]
	v_add_co_u32 v1, vcc_lo, s8, v1
	s_delay_alu instid0(VALU_DEP_2)
	v_add_co_ci_u32_e32 v2, vcc_lo, s9, v2, vcc_lo
	global_load_b64 v[6:7], v[1:2], off
.LBB693_104:
	s_or_b32 exec_lo, exec_lo, s0
	v_add_nc_u32_e32 v1, -1, v18
	s_mov_b32 s0, exec_lo
	s_delay_alu instid0(VALU_DEP_1) | instskip(SKIP_1) | instid1(VALU_DEP_1)
	v_cmp_gt_i32_e32 vcc_lo, 0, v1
	v_cndmask_b32_e32 v1, v1, v18, vcc_lo
	v_dual_mov_b32 v5, 0 :: v_dual_lshlrev_b32 v8, 2, v1
	global_load_b64 v[2:3], v5, s[8:9] offset:56
	s_waitcnt vmcnt(1)
	v_add_co_u32 v1, vcc_lo, v19, v6
	v_add_co_ci_u32_e32 v4, vcc_lo, v4, v7, vcc_lo
	ds_bpermute_b32 v1, v8, v1
	ds_bpermute_b32 v8, v8, v4
	v_cmpx_eq_u32_e32 0, v0
	s_cbranch_execz .LBB693_106
; %bb.105:
	s_add_u32 s10, s10, 0x200
	s_addc_u32 s11, s11, 0
	v_mov_b32_e32 v10, s10
	v_dual_mov_b32 v4, 2 :: v_dual_mov_b32 v11, s11
	s_waitcnt vmcnt(0)
	;;#ASMSTART
	global_store_dwordx4 v[10:11], v[2:5] off	
s_waitcnt vmcnt(0)
	;;#ASMEND
.LBB693_106:
	s_or_b32 exec_lo, exec_lo, s0
	v_cmp_eq_u32_e32 vcc_lo, 0, v18
	s_waitcnt vmcnt(0) lgkmcnt(0)
	s_barrier
	buffer_gl0_inv
	v_dual_mov_b32 v4, 0 :: v_dual_cndmask_b32 v7, v8, v7
	v_dual_mov_b32 v5, 0 :: v_dual_cndmask_b32 v6, v1, v6
	v_cmp_gt_u64_e32 vcc_lo, 0x101, v[2:3]
	s_mov_b32 s0, -1
	s_cbranch_vccz .LBB693_78
.LBB693_107:
	v_add_co_u32 v10, vcc_lo, v4, v2
	v_add_co_ci_u32_e32 v11, vcc_lo, v5, v3, vcc_lo
	s_delay_alu instid0(VALU_DEP_1) | instskip(SKIP_1) | instid1(SALU_CYCLE_1)
	v_cmp_gt_u64_e32 vcc_lo, v[10:11], v[6:7]
	s_or_b32 s1, s22, vcc_lo
	s_and_saveexec_b32 s0, s1
	s_cbranch_execz .LBB693_110
; %bb.108:
	v_cmp_eq_u32_e32 vcc_lo, 1, v9
	s_and_b32 exec_lo, exec_lo, vcc_lo
	s_cbranch_execz .LBB693_110
; %bb.109:
	v_lshlrev_b64 v[7:8], 9, v[6:7]
	s_lshl_b64 s[10:11], s[2:3], 9
	s_delay_alu instid0(SALU_CYCLE_1) | instskip(SKIP_1) | instid1(VALU_DEP_1)
	s_add_u32 s1, s6, s10
	s_addc_u32 s10, s7, s11
	v_add_co_u32 v7, vcc_lo, s1, v7
	s_delay_alu instid0(VALU_DEP_2)
	v_add_co_ci_u32_e32 v8, vcc_lo, s10, v8, vcc_lo
	global_store_b8 v[7:8], v17, off
.LBB693_110:
	s_or_b32 exec_lo, exec_lo, s0
	s_cbranch_execnz .LBB693_79
.LBB693_111:
	s_mov_b32 s0, exec_lo
	v_cmpx_eq_u32_e32 1, v9
	s_cbranch_execz .LBB693_113
; %bb.112:
	v_sub_nc_u32_e32 v6, v6, v4
	v_mov_b32_e32 v7, 0
	s_delay_alu instid0(VALU_DEP_1) | instskip(NEXT) | instid1(VALU_DEP_1)
	v_lshlrev_b64 v[6:7], 9, v[6:7]
	v_add_co_u32 v6, vcc_lo, s8, v6
	s_delay_alu instid0(VALU_DEP_2)
	v_add_co_ci_u32_e32 v7, vcc_lo, s9, v7, vcc_lo
	global_store_b8 v[6:7], v17, off
.LBB693_113:
	s_or_b32 exec_lo, exec_lo, s0
	v_mov_b32_e32 v7, 0
	s_mov_b32 s1, exec_lo
	s_waitcnt_vscnt null, 0x0
	s_barrier
	buffer_gl0_inv
	v_mov_b32_e32 v1, v7
	s_delay_alu instid0(VALU_DEP_1)
	v_cmpx_gt_u64_e64 v[2:3], v[0:1]
	s_cbranch_execz .LBB693_116
; %bb.114:
	v_lshlrev_b64 v[8:9], 9, v[4:5]
	s_lshl_b64 s[10:11], s[2:3], 9
	v_or_b32_e32 v6, 0x100, v0
	s_delay_alu instid0(VALU_DEP_2) | instskip(NEXT) | instid1(VALU_DEP_3)
	v_add_co_u32 v8, vcc_lo, s6, v8
	v_add_co_ci_u32_e32 v9, vcc_lo, s7, v9, vcc_lo
	s_mov_b32 s6, 0
	s_delay_alu instid0(VALU_DEP_2) | instskip(NEXT) | instid1(VALU_DEP_2)
	v_add_co_u32 v10, vcc_lo, v8, s10
	v_add_co_ci_u32_e32 v11, vcc_lo, s11, v9, vcc_lo
	v_dual_mov_b32 v9, v1 :: v_dual_mov_b32 v8, v0
	.p2align	6
.LBB693_115:                            ; =>This Inner Loop Header: Depth=1
	s_delay_alu instid0(VALU_DEP_1) | instskip(NEXT) | instid1(VALU_DEP_1)
	v_lshlrev_b64 v[12:13], 9, v[8:9]
	v_add_co_u32 v8, vcc_lo, s8, v12
	s_delay_alu instid0(VALU_DEP_2)
	v_add_co_ci_u32_e32 v9, vcc_lo, s9, v13, vcc_lo
	v_cmp_le_u64_e32 vcc_lo, v[2:3], v[6:7]
	v_add_co_u32 v12, s0, v10, v12
	global_load_u8 v1, v[8:9], off
	v_dual_mov_b32 v9, v7 :: v_dual_mov_b32 v8, v6
	v_add_co_ci_u32_e64 v13, s0, v11, v13, s0
	v_add_nc_u32_e32 v6, 0x100, v6
	s_or_b32 s6, vcc_lo, s6
	s_waitcnt vmcnt(0)
	global_store_b8 v[12:13], v1, off
	s_and_not1_b32 exec_lo, exec_lo, s6
	s_cbranch_execnz .LBB693_115
.LBB693_116:
	s_or_b32 exec_lo, exec_lo, s1
	v_cmp_eq_u32_e32 vcc_lo, 0, v0
	s_and_b32 s0, vcc_lo, s21
	s_delay_alu instid0(SALU_CYCLE_1)
	s_and_saveexec_b32 s1, s0
	s_cbranch_execz .LBB693_80
.LBB693_117:
	v_add_co_u32 v0, vcc_lo, v4, v2
	v_add_co_ci_u32_e32 v1, vcc_lo, v5, v3, vcc_lo
	v_mov_b32_e32 v2, 0
	s_delay_alu instid0(VALU_DEP_3) | instskip(NEXT) | instid1(VALU_DEP_3)
	v_add_co_u32 v0, vcc_lo, v0, s2
	v_add_co_ci_u32_e32 v1, vcc_lo, s3, v1, vcc_lo
	global_store_b64 v2, v[0:1], s[4:5]
	s_nop 0
	s_sendmsg sendmsg(MSG_DEALLOC_VGPRS)
	s_endpgm
	.section	.rodata,"a",@progbits
	.p2align	6, 0x0
	.amdhsa_kernel _ZN7rocprim17ROCPRIM_400000_NS6detail17trampoline_kernelINS0_14default_configENS1_25partition_config_selectorILNS1_17partition_subalgoE5E10large_dataNS0_10empty_typeEbEEZZNS1_14partition_implILS5_5ELb0ES3_mN6thrust23THRUST_200600_302600_NS6detail15normal_iteratorINSB_10device_ptrIS6_EEEEPS7_NSB_18transform_iteratorI5mod_3IS6_ESG_NSB_11use_defaultESL_EENS0_5tupleIJSG_S7_EEENSN_IJSH_SH_EEES7_PlJS7_EEE10hipError_tPvRmT3_T4_T5_T6_T7_T9_mT8_P12ihipStream_tbDpT10_ENKUlT_T0_E_clISt17integral_constantIbLb0EES1A_EEDaS15_S16_EUlS15_E_NS1_11comp_targetILNS1_3genE9ELNS1_11target_archE1100ELNS1_3gpuE3ELNS1_3repE0EEENS1_30default_config_static_selectorELNS0_4arch9wavefront6targetE0EEEvT1_
		.amdhsa_group_segment_fixed_size 16
		.amdhsa_private_segment_fixed_size 0
		.amdhsa_kernarg_size 120
		.amdhsa_user_sgpr_count 15
		.amdhsa_user_sgpr_dispatch_ptr 0
		.amdhsa_user_sgpr_queue_ptr 0
		.amdhsa_user_sgpr_kernarg_segment_ptr 1
		.amdhsa_user_sgpr_dispatch_id 0
		.amdhsa_user_sgpr_private_segment_size 0
		.amdhsa_wavefront_size32 1
		.amdhsa_uses_dynamic_stack 0
		.amdhsa_enable_private_segment 0
		.amdhsa_system_sgpr_workgroup_id_x 1
		.amdhsa_system_sgpr_workgroup_id_y 0
		.amdhsa_system_sgpr_workgroup_id_z 0
		.amdhsa_system_sgpr_workgroup_info 0
		.amdhsa_system_vgpr_workitem_id 0
		.amdhsa_next_free_vgpr 34
		.amdhsa_next_free_sgpr 28
		.amdhsa_reserve_vcc 1
		.amdhsa_float_round_mode_32 0
		.amdhsa_float_round_mode_16_64 0
		.amdhsa_float_denorm_mode_32 3
		.amdhsa_float_denorm_mode_16_64 3
		.amdhsa_dx10_clamp 1
		.amdhsa_ieee_mode 1
		.amdhsa_fp16_overflow 0
		.amdhsa_workgroup_processor_mode 1
		.amdhsa_memory_ordered 1
		.amdhsa_forward_progress 0
		.amdhsa_shared_vgpr_count 0
		.amdhsa_exception_fp_ieee_invalid_op 0
		.amdhsa_exception_fp_denorm_src 0
		.amdhsa_exception_fp_ieee_div_zero 0
		.amdhsa_exception_fp_ieee_overflow 0
		.amdhsa_exception_fp_ieee_underflow 0
		.amdhsa_exception_fp_ieee_inexact 0
		.amdhsa_exception_int_div_zero 0
	.end_amdhsa_kernel
	.section	.text._ZN7rocprim17ROCPRIM_400000_NS6detail17trampoline_kernelINS0_14default_configENS1_25partition_config_selectorILNS1_17partition_subalgoE5E10large_dataNS0_10empty_typeEbEEZZNS1_14partition_implILS5_5ELb0ES3_mN6thrust23THRUST_200600_302600_NS6detail15normal_iteratorINSB_10device_ptrIS6_EEEEPS7_NSB_18transform_iteratorI5mod_3IS6_ESG_NSB_11use_defaultESL_EENS0_5tupleIJSG_S7_EEENSN_IJSH_SH_EEES7_PlJS7_EEE10hipError_tPvRmT3_T4_T5_T6_T7_T9_mT8_P12ihipStream_tbDpT10_ENKUlT_T0_E_clISt17integral_constantIbLb0EES1A_EEDaS15_S16_EUlS15_E_NS1_11comp_targetILNS1_3genE9ELNS1_11target_archE1100ELNS1_3gpuE3ELNS1_3repE0EEENS1_30default_config_static_selectorELNS0_4arch9wavefront6targetE0EEEvT1_,"axG",@progbits,_ZN7rocprim17ROCPRIM_400000_NS6detail17trampoline_kernelINS0_14default_configENS1_25partition_config_selectorILNS1_17partition_subalgoE5E10large_dataNS0_10empty_typeEbEEZZNS1_14partition_implILS5_5ELb0ES3_mN6thrust23THRUST_200600_302600_NS6detail15normal_iteratorINSB_10device_ptrIS6_EEEEPS7_NSB_18transform_iteratorI5mod_3IS6_ESG_NSB_11use_defaultESL_EENS0_5tupleIJSG_S7_EEENSN_IJSH_SH_EEES7_PlJS7_EEE10hipError_tPvRmT3_T4_T5_T6_T7_T9_mT8_P12ihipStream_tbDpT10_ENKUlT_T0_E_clISt17integral_constantIbLb0EES1A_EEDaS15_S16_EUlS15_E_NS1_11comp_targetILNS1_3genE9ELNS1_11target_archE1100ELNS1_3gpuE3ELNS1_3repE0EEENS1_30default_config_static_selectorELNS0_4arch9wavefront6targetE0EEEvT1_,comdat
.Lfunc_end693:
	.size	_ZN7rocprim17ROCPRIM_400000_NS6detail17trampoline_kernelINS0_14default_configENS1_25partition_config_selectorILNS1_17partition_subalgoE5E10large_dataNS0_10empty_typeEbEEZZNS1_14partition_implILS5_5ELb0ES3_mN6thrust23THRUST_200600_302600_NS6detail15normal_iteratorINSB_10device_ptrIS6_EEEEPS7_NSB_18transform_iteratorI5mod_3IS6_ESG_NSB_11use_defaultESL_EENS0_5tupleIJSG_S7_EEENSN_IJSH_SH_EEES7_PlJS7_EEE10hipError_tPvRmT3_T4_T5_T6_T7_T9_mT8_P12ihipStream_tbDpT10_ENKUlT_T0_E_clISt17integral_constantIbLb0EES1A_EEDaS15_S16_EUlS15_E_NS1_11comp_targetILNS1_3genE9ELNS1_11target_archE1100ELNS1_3gpuE3ELNS1_3repE0EEENS1_30default_config_static_selectorELNS0_4arch9wavefront6targetE0EEEvT1_, .Lfunc_end693-_ZN7rocprim17ROCPRIM_400000_NS6detail17trampoline_kernelINS0_14default_configENS1_25partition_config_selectorILNS1_17partition_subalgoE5E10large_dataNS0_10empty_typeEbEEZZNS1_14partition_implILS5_5ELb0ES3_mN6thrust23THRUST_200600_302600_NS6detail15normal_iteratorINSB_10device_ptrIS6_EEEEPS7_NSB_18transform_iteratorI5mod_3IS6_ESG_NSB_11use_defaultESL_EENS0_5tupleIJSG_S7_EEENSN_IJSH_SH_EEES7_PlJS7_EEE10hipError_tPvRmT3_T4_T5_T6_T7_T9_mT8_P12ihipStream_tbDpT10_ENKUlT_T0_E_clISt17integral_constantIbLb0EES1A_EEDaS15_S16_EUlS15_E_NS1_11comp_targetILNS1_3genE9ELNS1_11target_archE1100ELNS1_3gpuE3ELNS1_3repE0EEENS1_30default_config_static_selectorELNS0_4arch9wavefront6targetE0EEEvT1_
                                        ; -- End function
	.section	.AMDGPU.csdata,"",@progbits
; Kernel info:
; codeLenInByte = 5124
; NumSgprs: 30
; NumVgprs: 34
; ScratchSize: 0
; MemoryBound: 0
; FloatMode: 240
; IeeeMode: 1
; LDSByteSize: 16 bytes/workgroup (compile time only)
; SGPRBlocks: 3
; VGPRBlocks: 4
; NumSGPRsForWavesPerEU: 30
; NumVGPRsForWavesPerEU: 34
; Occupancy: 16
; WaveLimiterHint : 1
; COMPUTE_PGM_RSRC2:SCRATCH_EN: 0
; COMPUTE_PGM_RSRC2:USER_SGPR: 15
; COMPUTE_PGM_RSRC2:TRAP_HANDLER: 0
; COMPUTE_PGM_RSRC2:TGID_X_EN: 1
; COMPUTE_PGM_RSRC2:TGID_Y_EN: 0
; COMPUTE_PGM_RSRC2:TGID_Z_EN: 0
; COMPUTE_PGM_RSRC2:TIDIG_COMP_CNT: 0
	.section	.text._ZN7rocprim17ROCPRIM_400000_NS6detail17trampoline_kernelINS0_14default_configENS1_25partition_config_selectorILNS1_17partition_subalgoE5E10large_dataNS0_10empty_typeEbEEZZNS1_14partition_implILS5_5ELb0ES3_mN6thrust23THRUST_200600_302600_NS6detail15normal_iteratorINSB_10device_ptrIS6_EEEEPS7_NSB_18transform_iteratorI5mod_3IS6_ESG_NSB_11use_defaultESL_EENS0_5tupleIJSG_S7_EEENSN_IJSH_SH_EEES7_PlJS7_EEE10hipError_tPvRmT3_T4_T5_T6_T7_T9_mT8_P12ihipStream_tbDpT10_ENKUlT_T0_E_clISt17integral_constantIbLb0EES1A_EEDaS15_S16_EUlS15_E_NS1_11comp_targetILNS1_3genE8ELNS1_11target_archE1030ELNS1_3gpuE2ELNS1_3repE0EEENS1_30default_config_static_selectorELNS0_4arch9wavefront6targetE0EEEvT1_,"axG",@progbits,_ZN7rocprim17ROCPRIM_400000_NS6detail17trampoline_kernelINS0_14default_configENS1_25partition_config_selectorILNS1_17partition_subalgoE5E10large_dataNS0_10empty_typeEbEEZZNS1_14partition_implILS5_5ELb0ES3_mN6thrust23THRUST_200600_302600_NS6detail15normal_iteratorINSB_10device_ptrIS6_EEEEPS7_NSB_18transform_iteratorI5mod_3IS6_ESG_NSB_11use_defaultESL_EENS0_5tupleIJSG_S7_EEENSN_IJSH_SH_EEES7_PlJS7_EEE10hipError_tPvRmT3_T4_T5_T6_T7_T9_mT8_P12ihipStream_tbDpT10_ENKUlT_T0_E_clISt17integral_constantIbLb0EES1A_EEDaS15_S16_EUlS15_E_NS1_11comp_targetILNS1_3genE8ELNS1_11target_archE1030ELNS1_3gpuE2ELNS1_3repE0EEENS1_30default_config_static_selectorELNS0_4arch9wavefront6targetE0EEEvT1_,comdat
	.protected	_ZN7rocprim17ROCPRIM_400000_NS6detail17trampoline_kernelINS0_14default_configENS1_25partition_config_selectorILNS1_17partition_subalgoE5E10large_dataNS0_10empty_typeEbEEZZNS1_14partition_implILS5_5ELb0ES3_mN6thrust23THRUST_200600_302600_NS6detail15normal_iteratorINSB_10device_ptrIS6_EEEEPS7_NSB_18transform_iteratorI5mod_3IS6_ESG_NSB_11use_defaultESL_EENS0_5tupleIJSG_S7_EEENSN_IJSH_SH_EEES7_PlJS7_EEE10hipError_tPvRmT3_T4_T5_T6_T7_T9_mT8_P12ihipStream_tbDpT10_ENKUlT_T0_E_clISt17integral_constantIbLb0EES1A_EEDaS15_S16_EUlS15_E_NS1_11comp_targetILNS1_3genE8ELNS1_11target_archE1030ELNS1_3gpuE2ELNS1_3repE0EEENS1_30default_config_static_selectorELNS0_4arch9wavefront6targetE0EEEvT1_ ; -- Begin function _ZN7rocprim17ROCPRIM_400000_NS6detail17trampoline_kernelINS0_14default_configENS1_25partition_config_selectorILNS1_17partition_subalgoE5E10large_dataNS0_10empty_typeEbEEZZNS1_14partition_implILS5_5ELb0ES3_mN6thrust23THRUST_200600_302600_NS6detail15normal_iteratorINSB_10device_ptrIS6_EEEEPS7_NSB_18transform_iteratorI5mod_3IS6_ESG_NSB_11use_defaultESL_EENS0_5tupleIJSG_S7_EEENSN_IJSH_SH_EEES7_PlJS7_EEE10hipError_tPvRmT3_T4_T5_T6_T7_T9_mT8_P12ihipStream_tbDpT10_ENKUlT_T0_E_clISt17integral_constantIbLb0EES1A_EEDaS15_S16_EUlS15_E_NS1_11comp_targetILNS1_3genE8ELNS1_11target_archE1030ELNS1_3gpuE2ELNS1_3repE0EEENS1_30default_config_static_selectorELNS0_4arch9wavefront6targetE0EEEvT1_
	.globl	_ZN7rocprim17ROCPRIM_400000_NS6detail17trampoline_kernelINS0_14default_configENS1_25partition_config_selectorILNS1_17partition_subalgoE5E10large_dataNS0_10empty_typeEbEEZZNS1_14partition_implILS5_5ELb0ES3_mN6thrust23THRUST_200600_302600_NS6detail15normal_iteratorINSB_10device_ptrIS6_EEEEPS7_NSB_18transform_iteratorI5mod_3IS6_ESG_NSB_11use_defaultESL_EENS0_5tupleIJSG_S7_EEENSN_IJSH_SH_EEES7_PlJS7_EEE10hipError_tPvRmT3_T4_T5_T6_T7_T9_mT8_P12ihipStream_tbDpT10_ENKUlT_T0_E_clISt17integral_constantIbLb0EES1A_EEDaS15_S16_EUlS15_E_NS1_11comp_targetILNS1_3genE8ELNS1_11target_archE1030ELNS1_3gpuE2ELNS1_3repE0EEENS1_30default_config_static_selectorELNS0_4arch9wavefront6targetE0EEEvT1_
	.p2align	8
	.type	_ZN7rocprim17ROCPRIM_400000_NS6detail17trampoline_kernelINS0_14default_configENS1_25partition_config_selectorILNS1_17partition_subalgoE5E10large_dataNS0_10empty_typeEbEEZZNS1_14partition_implILS5_5ELb0ES3_mN6thrust23THRUST_200600_302600_NS6detail15normal_iteratorINSB_10device_ptrIS6_EEEEPS7_NSB_18transform_iteratorI5mod_3IS6_ESG_NSB_11use_defaultESL_EENS0_5tupleIJSG_S7_EEENSN_IJSH_SH_EEES7_PlJS7_EEE10hipError_tPvRmT3_T4_T5_T6_T7_T9_mT8_P12ihipStream_tbDpT10_ENKUlT_T0_E_clISt17integral_constantIbLb0EES1A_EEDaS15_S16_EUlS15_E_NS1_11comp_targetILNS1_3genE8ELNS1_11target_archE1030ELNS1_3gpuE2ELNS1_3repE0EEENS1_30default_config_static_selectorELNS0_4arch9wavefront6targetE0EEEvT1_,@function
_ZN7rocprim17ROCPRIM_400000_NS6detail17trampoline_kernelINS0_14default_configENS1_25partition_config_selectorILNS1_17partition_subalgoE5E10large_dataNS0_10empty_typeEbEEZZNS1_14partition_implILS5_5ELb0ES3_mN6thrust23THRUST_200600_302600_NS6detail15normal_iteratorINSB_10device_ptrIS6_EEEEPS7_NSB_18transform_iteratorI5mod_3IS6_ESG_NSB_11use_defaultESL_EENS0_5tupleIJSG_S7_EEENSN_IJSH_SH_EEES7_PlJS7_EEE10hipError_tPvRmT3_T4_T5_T6_T7_T9_mT8_P12ihipStream_tbDpT10_ENKUlT_T0_E_clISt17integral_constantIbLb0EES1A_EEDaS15_S16_EUlS15_E_NS1_11comp_targetILNS1_3genE8ELNS1_11target_archE1030ELNS1_3gpuE2ELNS1_3repE0EEENS1_30default_config_static_selectorELNS0_4arch9wavefront6targetE0EEEvT1_: ; @_ZN7rocprim17ROCPRIM_400000_NS6detail17trampoline_kernelINS0_14default_configENS1_25partition_config_selectorILNS1_17partition_subalgoE5E10large_dataNS0_10empty_typeEbEEZZNS1_14partition_implILS5_5ELb0ES3_mN6thrust23THRUST_200600_302600_NS6detail15normal_iteratorINSB_10device_ptrIS6_EEEEPS7_NSB_18transform_iteratorI5mod_3IS6_ESG_NSB_11use_defaultESL_EENS0_5tupleIJSG_S7_EEENSN_IJSH_SH_EEES7_PlJS7_EEE10hipError_tPvRmT3_T4_T5_T6_T7_T9_mT8_P12ihipStream_tbDpT10_ENKUlT_T0_E_clISt17integral_constantIbLb0EES1A_EEDaS15_S16_EUlS15_E_NS1_11comp_targetILNS1_3genE8ELNS1_11target_archE1030ELNS1_3gpuE2ELNS1_3repE0EEENS1_30default_config_static_selectorELNS0_4arch9wavefront6targetE0EEEvT1_
; %bb.0:
	.section	.rodata,"a",@progbits
	.p2align	6, 0x0
	.amdhsa_kernel _ZN7rocprim17ROCPRIM_400000_NS6detail17trampoline_kernelINS0_14default_configENS1_25partition_config_selectorILNS1_17partition_subalgoE5E10large_dataNS0_10empty_typeEbEEZZNS1_14partition_implILS5_5ELb0ES3_mN6thrust23THRUST_200600_302600_NS6detail15normal_iteratorINSB_10device_ptrIS6_EEEEPS7_NSB_18transform_iteratorI5mod_3IS6_ESG_NSB_11use_defaultESL_EENS0_5tupleIJSG_S7_EEENSN_IJSH_SH_EEES7_PlJS7_EEE10hipError_tPvRmT3_T4_T5_T6_T7_T9_mT8_P12ihipStream_tbDpT10_ENKUlT_T0_E_clISt17integral_constantIbLb0EES1A_EEDaS15_S16_EUlS15_E_NS1_11comp_targetILNS1_3genE8ELNS1_11target_archE1030ELNS1_3gpuE2ELNS1_3repE0EEENS1_30default_config_static_selectorELNS0_4arch9wavefront6targetE0EEEvT1_
		.amdhsa_group_segment_fixed_size 0
		.amdhsa_private_segment_fixed_size 0
		.amdhsa_kernarg_size 120
		.amdhsa_user_sgpr_count 15
		.amdhsa_user_sgpr_dispatch_ptr 0
		.amdhsa_user_sgpr_queue_ptr 0
		.amdhsa_user_sgpr_kernarg_segment_ptr 1
		.amdhsa_user_sgpr_dispatch_id 0
		.amdhsa_user_sgpr_private_segment_size 0
		.amdhsa_wavefront_size32 1
		.amdhsa_uses_dynamic_stack 0
		.amdhsa_enable_private_segment 0
		.amdhsa_system_sgpr_workgroup_id_x 1
		.amdhsa_system_sgpr_workgroup_id_y 0
		.amdhsa_system_sgpr_workgroup_id_z 0
		.amdhsa_system_sgpr_workgroup_info 0
		.amdhsa_system_vgpr_workitem_id 0
		.amdhsa_next_free_vgpr 1
		.amdhsa_next_free_sgpr 1
		.amdhsa_reserve_vcc 0
		.amdhsa_float_round_mode_32 0
		.amdhsa_float_round_mode_16_64 0
		.amdhsa_float_denorm_mode_32 3
		.amdhsa_float_denorm_mode_16_64 3
		.amdhsa_dx10_clamp 1
		.amdhsa_ieee_mode 1
		.amdhsa_fp16_overflow 0
		.amdhsa_workgroup_processor_mode 1
		.amdhsa_memory_ordered 1
		.amdhsa_forward_progress 0
		.amdhsa_shared_vgpr_count 0
		.amdhsa_exception_fp_ieee_invalid_op 0
		.amdhsa_exception_fp_denorm_src 0
		.amdhsa_exception_fp_ieee_div_zero 0
		.amdhsa_exception_fp_ieee_overflow 0
		.amdhsa_exception_fp_ieee_underflow 0
		.amdhsa_exception_fp_ieee_inexact 0
		.amdhsa_exception_int_div_zero 0
	.end_amdhsa_kernel
	.section	.text._ZN7rocprim17ROCPRIM_400000_NS6detail17trampoline_kernelINS0_14default_configENS1_25partition_config_selectorILNS1_17partition_subalgoE5E10large_dataNS0_10empty_typeEbEEZZNS1_14partition_implILS5_5ELb0ES3_mN6thrust23THRUST_200600_302600_NS6detail15normal_iteratorINSB_10device_ptrIS6_EEEEPS7_NSB_18transform_iteratorI5mod_3IS6_ESG_NSB_11use_defaultESL_EENS0_5tupleIJSG_S7_EEENSN_IJSH_SH_EEES7_PlJS7_EEE10hipError_tPvRmT3_T4_T5_T6_T7_T9_mT8_P12ihipStream_tbDpT10_ENKUlT_T0_E_clISt17integral_constantIbLb0EES1A_EEDaS15_S16_EUlS15_E_NS1_11comp_targetILNS1_3genE8ELNS1_11target_archE1030ELNS1_3gpuE2ELNS1_3repE0EEENS1_30default_config_static_selectorELNS0_4arch9wavefront6targetE0EEEvT1_,"axG",@progbits,_ZN7rocprim17ROCPRIM_400000_NS6detail17trampoline_kernelINS0_14default_configENS1_25partition_config_selectorILNS1_17partition_subalgoE5E10large_dataNS0_10empty_typeEbEEZZNS1_14partition_implILS5_5ELb0ES3_mN6thrust23THRUST_200600_302600_NS6detail15normal_iteratorINSB_10device_ptrIS6_EEEEPS7_NSB_18transform_iteratorI5mod_3IS6_ESG_NSB_11use_defaultESL_EENS0_5tupleIJSG_S7_EEENSN_IJSH_SH_EEES7_PlJS7_EEE10hipError_tPvRmT3_T4_T5_T6_T7_T9_mT8_P12ihipStream_tbDpT10_ENKUlT_T0_E_clISt17integral_constantIbLb0EES1A_EEDaS15_S16_EUlS15_E_NS1_11comp_targetILNS1_3genE8ELNS1_11target_archE1030ELNS1_3gpuE2ELNS1_3repE0EEENS1_30default_config_static_selectorELNS0_4arch9wavefront6targetE0EEEvT1_,comdat
.Lfunc_end694:
	.size	_ZN7rocprim17ROCPRIM_400000_NS6detail17trampoline_kernelINS0_14default_configENS1_25partition_config_selectorILNS1_17partition_subalgoE5E10large_dataNS0_10empty_typeEbEEZZNS1_14partition_implILS5_5ELb0ES3_mN6thrust23THRUST_200600_302600_NS6detail15normal_iteratorINSB_10device_ptrIS6_EEEEPS7_NSB_18transform_iteratorI5mod_3IS6_ESG_NSB_11use_defaultESL_EENS0_5tupleIJSG_S7_EEENSN_IJSH_SH_EEES7_PlJS7_EEE10hipError_tPvRmT3_T4_T5_T6_T7_T9_mT8_P12ihipStream_tbDpT10_ENKUlT_T0_E_clISt17integral_constantIbLb0EES1A_EEDaS15_S16_EUlS15_E_NS1_11comp_targetILNS1_3genE8ELNS1_11target_archE1030ELNS1_3gpuE2ELNS1_3repE0EEENS1_30default_config_static_selectorELNS0_4arch9wavefront6targetE0EEEvT1_, .Lfunc_end694-_ZN7rocprim17ROCPRIM_400000_NS6detail17trampoline_kernelINS0_14default_configENS1_25partition_config_selectorILNS1_17partition_subalgoE5E10large_dataNS0_10empty_typeEbEEZZNS1_14partition_implILS5_5ELb0ES3_mN6thrust23THRUST_200600_302600_NS6detail15normal_iteratorINSB_10device_ptrIS6_EEEEPS7_NSB_18transform_iteratorI5mod_3IS6_ESG_NSB_11use_defaultESL_EENS0_5tupleIJSG_S7_EEENSN_IJSH_SH_EEES7_PlJS7_EEE10hipError_tPvRmT3_T4_T5_T6_T7_T9_mT8_P12ihipStream_tbDpT10_ENKUlT_T0_E_clISt17integral_constantIbLb0EES1A_EEDaS15_S16_EUlS15_E_NS1_11comp_targetILNS1_3genE8ELNS1_11target_archE1030ELNS1_3gpuE2ELNS1_3repE0EEENS1_30default_config_static_selectorELNS0_4arch9wavefront6targetE0EEEvT1_
                                        ; -- End function
	.section	.AMDGPU.csdata,"",@progbits
; Kernel info:
; codeLenInByte = 0
; NumSgprs: 0
; NumVgprs: 0
; ScratchSize: 0
; MemoryBound: 0
; FloatMode: 240
; IeeeMode: 1
; LDSByteSize: 0 bytes/workgroup (compile time only)
; SGPRBlocks: 0
; VGPRBlocks: 0
; NumSGPRsForWavesPerEU: 1
; NumVGPRsForWavesPerEU: 1
; Occupancy: 16
; WaveLimiterHint : 0
; COMPUTE_PGM_RSRC2:SCRATCH_EN: 0
; COMPUTE_PGM_RSRC2:USER_SGPR: 15
; COMPUTE_PGM_RSRC2:TRAP_HANDLER: 0
; COMPUTE_PGM_RSRC2:TGID_X_EN: 1
; COMPUTE_PGM_RSRC2:TGID_Y_EN: 0
; COMPUTE_PGM_RSRC2:TGID_Z_EN: 0
; COMPUTE_PGM_RSRC2:TIDIG_COMP_CNT: 0
	.section	.text._ZN7rocprim17ROCPRIM_400000_NS6detail17trampoline_kernelINS0_14default_configENS1_25partition_config_selectorILNS1_17partition_subalgoE5E10large_dataNS0_10empty_typeEbEEZZNS1_14partition_implILS5_5ELb0ES3_mN6thrust23THRUST_200600_302600_NS6detail15normal_iteratorINSB_10device_ptrIS6_EEEEPS7_NSB_18transform_iteratorI5mod_3IS6_ESG_NSB_11use_defaultESL_EENS0_5tupleIJSG_S7_EEENSN_IJSH_SH_EEES7_PlJS7_EEE10hipError_tPvRmT3_T4_T5_T6_T7_T9_mT8_P12ihipStream_tbDpT10_ENKUlT_T0_E_clISt17integral_constantIbLb1EES1A_EEDaS15_S16_EUlS15_E_NS1_11comp_targetILNS1_3genE0ELNS1_11target_archE4294967295ELNS1_3gpuE0ELNS1_3repE0EEENS1_30default_config_static_selectorELNS0_4arch9wavefront6targetE0EEEvT1_,"axG",@progbits,_ZN7rocprim17ROCPRIM_400000_NS6detail17trampoline_kernelINS0_14default_configENS1_25partition_config_selectorILNS1_17partition_subalgoE5E10large_dataNS0_10empty_typeEbEEZZNS1_14partition_implILS5_5ELb0ES3_mN6thrust23THRUST_200600_302600_NS6detail15normal_iteratorINSB_10device_ptrIS6_EEEEPS7_NSB_18transform_iteratorI5mod_3IS6_ESG_NSB_11use_defaultESL_EENS0_5tupleIJSG_S7_EEENSN_IJSH_SH_EEES7_PlJS7_EEE10hipError_tPvRmT3_T4_T5_T6_T7_T9_mT8_P12ihipStream_tbDpT10_ENKUlT_T0_E_clISt17integral_constantIbLb1EES1A_EEDaS15_S16_EUlS15_E_NS1_11comp_targetILNS1_3genE0ELNS1_11target_archE4294967295ELNS1_3gpuE0ELNS1_3repE0EEENS1_30default_config_static_selectorELNS0_4arch9wavefront6targetE0EEEvT1_,comdat
	.protected	_ZN7rocprim17ROCPRIM_400000_NS6detail17trampoline_kernelINS0_14default_configENS1_25partition_config_selectorILNS1_17partition_subalgoE5E10large_dataNS0_10empty_typeEbEEZZNS1_14partition_implILS5_5ELb0ES3_mN6thrust23THRUST_200600_302600_NS6detail15normal_iteratorINSB_10device_ptrIS6_EEEEPS7_NSB_18transform_iteratorI5mod_3IS6_ESG_NSB_11use_defaultESL_EENS0_5tupleIJSG_S7_EEENSN_IJSH_SH_EEES7_PlJS7_EEE10hipError_tPvRmT3_T4_T5_T6_T7_T9_mT8_P12ihipStream_tbDpT10_ENKUlT_T0_E_clISt17integral_constantIbLb1EES1A_EEDaS15_S16_EUlS15_E_NS1_11comp_targetILNS1_3genE0ELNS1_11target_archE4294967295ELNS1_3gpuE0ELNS1_3repE0EEENS1_30default_config_static_selectorELNS0_4arch9wavefront6targetE0EEEvT1_ ; -- Begin function _ZN7rocprim17ROCPRIM_400000_NS6detail17trampoline_kernelINS0_14default_configENS1_25partition_config_selectorILNS1_17partition_subalgoE5E10large_dataNS0_10empty_typeEbEEZZNS1_14partition_implILS5_5ELb0ES3_mN6thrust23THRUST_200600_302600_NS6detail15normal_iteratorINSB_10device_ptrIS6_EEEEPS7_NSB_18transform_iteratorI5mod_3IS6_ESG_NSB_11use_defaultESL_EENS0_5tupleIJSG_S7_EEENSN_IJSH_SH_EEES7_PlJS7_EEE10hipError_tPvRmT3_T4_T5_T6_T7_T9_mT8_P12ihipStream_tbDpT10_ENKUlT_T0_E_clISt17integral_constantIbLb1EES1A_EEDaS15_S16_EUlS15_E_NS1_11comp_targetILNS1_3genE0ELNS1_11target_archE4294967295ELNS1_3gpuE0ELNS1_3repE0EEENS1_30default_config_static_selectorELNS0_4arch9wavefront6targetE0EEEvT1_
	.globl	_ZN7rocprim17ROCPRIM_400000_NS6detail17trampoline_kernelINS0_14default_configENS1_25partition_config_selectorILNS1_17partition_subalgoE5E10large_dataNS0_10empty_typeEbEEZZNS1_14partition_implILS5_5ELb0ES3_mN6thrust23THRUST_200600_302600_NS6detail15normal_iteratorINSB_10device_ptrIS6_EEEEPS7_NSB_18transform_iteratorI5mod_3IS6_ESG_NSB_11use_defaultESL_EENS0_5tupleIJSG_S7_EEENSN_IJSH_SH_EEES7_PlJS7_EEE10hipError_tPvRmT3_T4_T5_T6_T7_T9_mT8_P12ihipStream_tbDpT10_ENKUlT_T0_E_clISt17integral_constantIbLb1EES1A_EEDaS15_S16_EUlS15_E_NS1_11comp_targetILNS1_3genE0ELNS1_11target_archE4294967295ELNS1_3gpuE0ELNS1_3repE0EEENS1_30default_config_static_selectorELNS0_4arch9wavefront6targetE0EEEvT1_
	.p2align	8
	.type	_ZN7rocprim17ROCPRIM_400000_NS6detail17trampoline_kernelINS0_14default_configENS1_25partition_config_selectorILNS1_17partition_subalgoE5E10large_dataNS0_10empty_typeEbEEZZNS1_14partition_implILS5_5ELb0ES3_mN6thrust23THRUST_200600_302600_NS6detail15normal_iteratorINSB_10device_ptrIS6_EEEEPS7_NSB_18transform_iteratorI5mod_3IS6_ESG_NSB_11use_defaultESL_EENS0_5tupleIJSG_S7_EEENSN_IJSH_SH_EEES7_PlJS7_EEE10hipError_tPvRmT3_T4_T5_T6_T7_T9_mT8_P12ihipStream_tbDpT10_ENKUlT_T0_E_clISt17integral_constantIbLb1EES1A_EEDaS15_S16_EUlS15_E_NS1_11comp_targetILNS1_3genE0ELNS1_11target_archE4294967295ELNS1_3gpuE0ELNS1_3repE0EEENS1_30default_config_static_selectorELNS0_4arch9wavefront6targetE0EEEvT1_,@function
_ZN7rocprim17ROCPRIM_400000_NS6detail17trampoline_kernelINS0_14default_configENS1_25partition_config_selectorILNS1_17partition_subalgoE5E10large_dataNS0_10empty_typeEbEEZZNS1_14partition_implILS5_5ELb0ES3_mN6thrust23THRUST_200600_302600_NS6detail15normal_iteratorINSB_10device_ptrIS6_EEEEPS7_NSB_18transform_iteratorI5mod_3IS6_ESG_NSB_11use_defaultESL_EENS0_5tupleIJSG_S7_EEENSN_IJSH_SH_EEES7_PlJS7_EEE10hipError_tPvRmT3_T4_T5_T6_T7_T9_mT8_P12ihipStream_tbDpT10_ENKUlT_T0_E_clISt17integral_constantIbLb1EES1A_EEDaS15_S16_EUlS15_E_NS1_11comp_targetILNS1_3genE0ELNS1_11target_archE4294967295ELNS1_3gpuE0ELNS1_3repE0EEENS1_30default_config_static_selectorELNS0_4arch9wavefront6targetE0EEEvT1_: ; @_ZN7rocprim17ROCPRIM_400000_NS6detail17trampoline_kernelINS0_14default_configENS1_25partition_config_selectorILNS1_17partition_subalgoE5E10large_dataNS0_10empty_typeEbEEZZNS1_14partition_implILS5_5ELb0ES3_mN6thrust23THRUST_200600_302600_NS6detail15normal_iteratorINSB_10device_ptrIS6_EEEEPS7_NSB_18transform_iteratorI5mod_3IS6_ESG_NSB_11use_defaultESL_EENS0_5tupleIJSG_S7_EEENSN_IJSH_SH_EEES7_PlJS7_EEE10hipError_tPvRmT3_T4_T5_T6_T7_T9_mT8_P12ihipStream_tbDpT10_ENKUlT_T0_E_clISt17integral_constantIbLb1EES1A_EEDaS15_S16_EUlS15_E_NS1_11comp_targetILNS1_3genE0ELNS1_11target_archE4294967295ELNS1_3gpuE0ELNS1_3repE0EEENS1_30default_config_static_selectorELNS0_4arch9wavefront6targetE0EEEvT1_
; %bb.0:
	.section	.rodata,"a",@progbits
	.p2align	6, 0x0
	.amdhsa_kernel _ZN7rocprim17ROCPRIM_400000_NS6detail17trampoline_kernelINS0_14default_configENS1_25partition_config_selectorILNS1_17partition_subalgoE5E10large_dataNS0_10empty_typeEbEEZZNS1_14partition_implILS5_5ELb0ES3_mN6thrust23THRUST_200600_302600_NS6detail15normal_iteratorINSB_10device_ptrIS6_EEEEPS7_NSB_18transform_iteratorI5mod_3IS6_ESG_NSB_11use_defaultESL_EENS0_5tupleIJSG_S7_EEENSN_IJSH_SH_EEES7_PlJS7_EEE10hipError_tPvRmT3_T4_T5_T6_T7_T9_mT8_P12ihipStream_tbDpT10_ENKUlT_T0_E_clISt17integral_constantIbLb1EES1A_EEDaS15_S16_EUlS15_E_NS1_11comp_targetILNS1_3genE0ELNS1_11target_archE4294967295ELNS1_3gpuE0ELNS1_3repE0EEENS1_30default_config_static_selectorELNS0_4arch9wavefront6targetE0EEEvT1_
		.amdhsa_group_segment_fixed_size 0
		.amdhsa_private_segment_fixed_size 0
		.amdhsa_kernarg_size 136
		.amdhsa_user_sgpr_count 15
		.amdhsa_user_sgpr_dispatch_ptr 0
		.amdhsa_user_sgpr_queue_ptr 0
		.amdhsa_user_sgpr_kernarg_segment_ptr 1
		.amdhsa_user_sgpr_dispatch_id 0
		.amdhsa_user_sgpr_private_segment_size 0
		.amdhsa_wavefront_size32 1
		.amdhsa_uses_dynamic_stack 0
		.amdhsa_enable_private_segment 0
		.amdhsa_system_sgpr_workgroup_id_x 1
		.amdhsa_system_sgpr_workgroup_id_y 0
		.amdhsa_system_sgpr_workgroup_id_z 0
		.amdhsa_system_sgpr_workgroup_info 0
		.amdhsa_system_vgpr_workitem_id 0
		.amdhsa_next_free_vgpr 1
		.amdhsa_next_free_sgpr 1
		.amdhsa_reserve_vcc 0
		.amdhsa_float_round_mode_32 0
		.amdhsa_float_round_mode_16_64 0
		.amdhsa_float_denorm_mode_32 3
		.amdhsa_float_denorm_mode_16_64 3
		.amdhsa_dx10_clamp 1
		.amdhsa_ieee_mode 1
		.amdhsa_fp16_overflow 0
		.amdhsa_workgroup_processor_mode 1
		.amdhsa_memory_ordered 1
		.amdhsa_forward_progress 0
		.amdhsa_shared_vgpr_count 0
		.amdhsa_exception_fp_ieee_invalid_op 0
		.amdhsa_exception_fp_denorm_src 0
		.amdhsa_exception_fp_ieee_div_zero 0
		.amdhsa_exception_fp_ieee_overflow 0
		.amdhsa_exception_fp_ieee_underflow 0
		.amdhsa_exception_fp_ieee_inexact 0
		.amdhsa_exception_int_div_zero 0
	.end_amdhsa_kernel
	.section	.text._ZN7rocprim17ROCPRIM_400000_NS6detail17trampoline_kernelINS0_14default_configENS1_25partition_config_selectorILNS1_17partition_subalgoE5E10large_dataNS0_10empty_typeEbEEZZNS1_14partition_implILS5_5ELb0ES3_mN6thrust23THRUST_200600_302600_NS6detail15normal_iteratorINSB_10device_ptrIS6_EEEEPS7_NSB_18transform_iteratorI5mod_3IS6_ESG_NSB_11use_defaultESL_EENS0_5tupleIJSG_S7_EEENSN_IJSH_SH_EEES7_PlJS7_EEE10hipError_tPvRmT3_T4_T5_T6_T7_T9_mT8_P12ihipStream_tbDpT10_ENKUlT_T0_E_clISt17integral_constantIbLb1EES1A_EEDaS15_S16_EUlS15_E_NS1_11comp_targetILNS1_3genE0ELNS1_11target_archE4294967295ELNS1_3gpuE0ELNS1_3repE0EEENS1_30default_config_static_selectorELNS0_4arch9wavefront6targetE0EEEvT1_,"axG",@progbits,_ZN7rocprim17ROCPRIM_400000_NS6detail17trampoline_kernelINS0_14default_configENS1_25partition_config_selectorILNS1_17partition_subalgoE5E10large_dataNS0_10empty_typeEbEEZZNS1_14partition_implILS5_5ELb0ES3_mN6thrust23THRUST_200600_302600_NS6detail15normal_iteratorINSB_10device_ptrIS6_EEEEPS7_NSB_18transform_iteratorI5mod_3IS6_ESG_NSB_11use_defaultESL_EENS0_5tupleIJSG_S7_EEENSN_IJSH_SH_EEES7_PlJS7_EEE10hipError_tPvRmT3_T4_T5_T6_T7_T9_mT8_P12ihipStream_tbDpT10_ENKUlT_T0_E_clISt17integral_constantIbLb1EES1A_EEDaS15_S16_EUlS15_E_NS1_11comp_targetILNS1_3genE0ELNS1_11target_archE4294967295ELNS1_3gpuE0ELNS1_3repE0EEENS1_30default_config_static_selectorELNS0_4arch9wavefront6targetE0EEEvT1_,comdat
.Lfunc_end695:
	.size	_ZN7rocprim17ROCPRIM_400000_NS6detail17trampoline_kernelINS0_14default_configENS1_25partition_config_selectorILNS1_17partition_subalgoE5E10large_dataNS0_10empty_typeEbEEZZNS1_14partition_implILS5_5ELb0ES3_mN6thrust23THRUST_200600_302600_NS6detail15normal_iteratorINSB_10device_ptrIS6_EEEEPS7_NSB_18transform_iteratorI5mod_3IS6_ESG_NSB_11use_defaultESL_EENS0_5tupleIJSG_S7_EEENSN_IJSH_SH_EEES7_PlJS7_EEE10hipError_tPvRmT3_T4_T5_T6_T7_T9_mT8_P12ihipStream_tbDpT10_ENKUlT_T0_E_clISt17integral_constantIbLb1EES1A_EEDaS15_S16_EUlS15_E_NS1_11comp_targetILNS1_3genE0ELNS1_11target_archE4294967295ELNS1_3gpuE0ELNS1_3repE0EEENS1_30default_config_static_selectorELNS0_4arch9wavefront6targetE0EEEvT1_, .Lfunc_end695-_ZN7rocprim17ROCPRIM_400000_NS6detail17trampoline_kernelINS0_14default_configENS1_25partition_config_selectorILNS1_17partition_subalgoE5E10large_dataNS0_10empty_typeEbEEZZNS1_14partition_implILS5_5ELb0ES3_mN6thrust23THRUST_200600_302600_NS6detail15normal_iteratorINSB_10device_ptrIS6_EEEEPS7_NSB_18transform_iteratorI5mod_3IS6_ESG_NSB_11use_defaultESL_EENS0_5tupleIJSG_S7_EEENSN_IJSH_SH_EEES7_PlJS7_EEE10hipError_tPvRmT3_T4_T5_T6_T7_T9_mT8_P12ihipStream_tbDpT10_ENKUlT_T0_E_clISt17integral_constantIbLb1EES1A_EEDaS15_S16_EUlS15_E_NS1_11comp_targetILNS1_3genE0ELNS1_11target_archE4294967295ELNS1_3gpuE0ELNS1_3repE0EEENS1_30default_config_static_selectorELNS0_4arch9wavefront6targetE0EEEvT1_
                                        ; -- End function
	.section	.AMDGPU.csdata,"",@progbits
; Kernel info:
; codeLenInByte = 0
; NumSgprs: 0
; NumVgprs: 0
; ScratchSize: 0
; MemoryBound: 0
; FloatMode: 240
; IeeeMode: 1
; LDSByteSize: 0 bytes/workgroup (compile time only)
; SGPRBlocks: 0
; VGPRBlocks: 0
; NumSGPRsForWavesPerEU: 1
; NumVGPRsForWavesPerEU: 1
; Occupancy: 16
; WaveLimiterHint : 0
; COMPUTE_PGM_RSRC2:SCRATCH_EN: 0
; COMPUTE_PGM_RSRC2:USER_SGPR: 15
; COMPUTE_PGM_RSRC2:TRAP_HANDLER: 0
; COMPUTE_PGM_RSRC2:TGID_X_EN: 1
; COMPUTE_PGM_RSRC2:TGID_Y_EN: 0
; COMPUTE_PGM_RSRC2:TGID_Z_EN: 0
; COMPUTE_PGM_RSRC2:TIDIG_COMP_CNT: 0
	.section	.text._ZN7rocprim17ROCPRIM_400000_NS6detail17trampoline_kernelINS0_14default_configENS1_25partition_config_selectorILNS1_17partition_subalgoE5E10large_dataNS0_10empty_typeEbEEZZNS1_14partition_implILS5_5ELb0ES3_mN6thrust23THRUST_200600_302600_NS6detail15normal_iteratorINSB_10device_ptrIS6_EEEEPS7_NSB_18transform_iteratorI5mod_3IS6_ESG_NSB_11use_defaultESL_EENS0_5tupleIJSG_S7_EEENSN_IJSH_SH_EEES7_PlJS7_EEE10hipError_tPvRmT3_T4_T5_T6_T7_T9_mT8_P12ihipStream_tbDpT10_ENKUlT_T0_E_clISt17integral_constantIbLb1EES1A_EEDaS15_S16_EUlS15_E_NS1_11comp_targetILNS1_3genE5ELNS1_11target_archE942ELNS1_3gpuE9ELNS1_3repE0EEENS1_30default_config_static_selectorELNS0_4arch9wavefront6targetE0EEEvT1_,"axG",@progbits,_ZN7rocprim17ROCPRIM_400000_NS6detail17trampoline_kernelINS0_14default_configENS1_25partition_config_selectorILNS1_17partition_subalgoE5E10large_dataNS0_10empty_typeEbEEZZNS1_14partition_implILS5_5ELb0ES3_mN6thrust23THRUST_200600_302600_NS6detail15normal_iteratorINSB_10device_ptrIS6_EEEEPS7_NSB_18transform_iteratorI5mod_3IS6_ESG_NSB_11use_defaultESL_EENS0_5tupleIJSG_S7_EEENSN_IJSH_SH_EEES7_PlJS7_EEE10hipError_tPvRmT3_T4_T5_T6_T7_T9_mT8_P12ihipStream_tbDpT10_ENKUlT_T0_E_clISt17integral_constantIbLb1EES1A_EEDaS15_S16_EUlS15_E_NS1_11comp_targetILNS1_3genE5ELNS1_11target_archE942ELNS1_3gpuE9ELNS1_3repE0EEENS1_30default_config_static_selectorELNS0_4arch9wavefront6targetE0EEEvT1_,comdat
	.protected	_ZN7rocprim17ROCPRIM_400000_NS6detail17trampoline_kernelINS0_14default_configENS1_25partition_config_selectorILNS1_17partition_subalgoE5E10large_dataNS0_10empty_typeEbEEZZNS1_14partition_implILS5_5ELb0ES3_mN6thrust23THRUST_200600_302600_NS6detail15normal_iteratorINSB_10device_ptrIS6_EEEEPS7_NSB_18transform_iteratorI5mod_3IS6_ESG_NSB_11use_defaultESL_EENS0_5tupleIJSG_S7_EEENSN_IJSH_SH_EEES7_PlJS7_EEE10hipError_tPvRmT3_T4_T5_T6_T7_T9_mT8_P12ihipStream_tbDpT10_ENKUlT_T0_E_clISt17integral_constantIbLb1EES1A_EEDaS15_S16_EUlS15_E_NS1_11comp_targetILNS1_3genE5ELNS1_11target_archE942ELNS1_3gpuE9ELNS1_3repE0EEENS1_30default_config_static_selectorELNS0_4arch9wavefront6targetE0EEEvT1_ ; -- Begin function _ZN7rocprim17ROCPRIM_400000_NS6detail17trampoline_kernelINS0_14default_configENS1_25partition_config_selectorILNS1_17partition_subalgoE5E10large_dataNS0_10empty_typeEbEEZZNS1_14partition_implILS5_5ELb0ES3_mN6thrust23THRUST_200600_302600_NS6detail15normal_iteratorINSB_10device_ptrIS6_EEEEPS7_NSB_18transform_iteratorI5mod_3IS6_ESG_NSB_11use_defaultESL_EENS0_5tupleIJSG_S7_EEENSN_IJSH_SH_EEES7_PlJS7_EEE10hipError_tPvRmT3_T4_T5_T6_T7_T9_mT8_P12ihipStream_tbDpT10_ENKUlT_T0_E_clISt17integral_constantIbLb1EES1A_EEDaS15_S16_EUlS15_E_NS1_11comp_targetILNS1_3genE5ELNS1_11target_archE942ELNS1_3gpuE9ELNS1_3repE0EEENS1_30default_config_static_selectorELNS0_4arch9wavefront6targetE0EEEvT1_
	.globl	_ZN7rocprim17ROCPRIM_400000_NS6detail17trampoline_kernelINS0_14default_configENS1_25partition_config_selectorILNS1_17partition_subalgoE5E10large_dataNS0_10empty_typeEbEEZZNS1_14partition_implILS5_5ELb0ES3_mN6thrust23THRUST_200600_302600_NS6detail15normal_iteratorINSB_10device_ptrIS6_EEEEPS7_NSB_18transform_iteratorI5mod_3IS6_ESG_NSB_11use_defaultESL_EENS0_5tupleIJSG_S7_EEENSN_IJSH_SH_EEES7_PlJS7_EEE10hipError_tPvRmT3_T4_T5_T6_T7_T9_mT8_P12ihipStream_tbDpT10_ENKUlT_T0_E_clISt17integral_constantIbLb1EES1A_EEDaS15_S16_EUlS15_E_NS1_11comp_targetILNS1_3genE5ELNS1_11target_archE942ELNS1_3gpuE9ELNS1_3repE0EEENS1_30default_config_static_selectorELNS0_4arch9wavefront6targetE0EEEvT1_
	.p2align	8
	.type	_ZN7rocprim17ROCPRIM_400000_NS6detail17trampoline_kernelINS0_14default_configENS1_25partition_config_selectorILNS1_17partition_subalgoE5E10large_dataNS0_10empty_typeEbEEZZNS1_14partition_implILS5_5ELb0ES3_mN6thrust23THRUST_200600_302600_NS6detail15normal_iteratorINSB_10device_ptrIS6_EEEEPS7_NSB_18transform_iteratorI5mod_3IS6_ESG_NSB_11use_defaultESL_EENS0_5tupleIJSG_S7_EEENSN_IJSH_SH_EEES7_PlJS7_EEE10hipError_tPvRmT3_T4_T5_T6_T7_T9_mT8_P12ihipStream_tbDpT10_ENKUlT_T0_E_clISt17integral_constantIbLb1EES1A_EEDaS15_S16_EUlS15_E_NS1_11comp_targetILNS1_3genE5ELNS1_11target_archE942ELNS1_3gpuE9ELNS1_3repE0EEENS1_30default_config_static_selectorELNS0_4arch9wavefront6targetE0EEEvT1_,@function
_ZN7rocprim17ROCPRIM_400000_NS6detail17trampoline_kernelINS0_14default_configENS1_25partition_config_selectorILNS1_17partition_subalgoE5E10large_dataNS0_10empty_typeEbEEZZNS1_14partition_implILS5_5ELb0ES3_mN6thrust23THRUST_200600_302600_NS6detail15normal_iteratorINSB_10device_ptrIS6_EEEEPS7_NSB_18transform_iteratorI5mod_3IS6_ESG_NSB_11use_defaultESL_EENS0_5tupleIJSG_S7_EEENSN_IJSH_SH_EEES7_PlJS7_EEE10hipError_tPvRmT3_T4_T5_T6_T7_T9_mT8_P12ihipStream_tbDpT10_ENKUlT_T0_E_clISt17integral_constantIbLb1EES1A_EEDaS15_S16_EUlS15_E_NS1_11comp_targetILNS1_3genE5ELNS1_11target_archE942ELNS1_3gpuE9ELNS1_3repE0EEENS1_30default_config_static_selectorELNS0_4arch9wavefront6targetE0EEEvT1_: ; @_ZN7rocprim17ROCPRIM_400000_NS6detail17trampoline_kernelINS0_14default_configENS1_25partition_config_selectorILNS1_17partition_subalgoE5E10large_dataNS0_10empty_typeEbEEZZNS1_14partition_implILS5_5ELb0ES3_mN6thrust23THRUST_200600_302600_NS6detail15normal_iteratorINSB_10device_ptrIS6_EEEEPS7_NSB_18transform_iteratorI5mod_3IS6_ESG_NSB_11use_defaultESL_EENS0_5tupleIJSG_S7_EEENSN_IJSH_SH_EEES7_PlJS7_EEE10hipError_tPvRmT3_T4_T5_T6_T7_T9_mT8_P12ihipStream_tbDpT10_ENKUlT_T0_E_clISt17integral_constantIbLb1EES1A_EEDaS15_S16_EUlS15_E_NS1_11comp_targetILNS1_3genE5ELNS1_11target_archE942ELNS1_3gpuE9ELNS1_3repE0EEENS1_30default_config_static_selectorELNS0_4arch9wavefront6targetE0EEEvT1_
; %bb.0:
	.section	.rodata,"a",@progbits
	.p2align	6, 0x0
	.amdhsa_kernel _ZN7rocprim17ROCPRIM_400000_NS6detail17trampoline_kernelINS0_14default_configENS1_25partition_config_selectorILNS1_17partition_subalgoE5E10large_dataNS0_10empty_typeEbEEZZNS1_14partition_implILS5_5ELb0ES3_mN6thrust23THRUST_200600_302600_NS6detail15normal_iteratorINSB_10device_ptrIS6_EEEEPS7_NSB_18transform_iteratorI5mod_3IS6_ESG_NSB_11use_defaultESL_EENS0_5tupleIJSG_S7_EEENSN_IJSH_SH_EEES7_PlJS7_EEE10hipError_tPvRmT3_T4_T5_T6_T7_T9_mT8_P12ihipStream_tbDpT10_ENKUlT_T0_E_clISt17integral_constantIbLb1EES1A_EEDaS15_S16_EUlS15_E_NS1_11comp_targetILNS1_3genE5ELNS1_11target_archE942ELNS1_3gpuE9ELNS1_3repE0EEENS1_30default_config_static_selectorELNS0_4arch9wavefront6targetE0EEEvT1_
		.amdhsa_group_segment_fixed_size 0
		.amdhsa_private_segment_fixed_size 0
		.amdhsa_kernarg_size 136
		.amdhsa_user_sgpr_count 15
		.amdhsa_user_sgpr_dispatch_ptr 0
		.amdhsa_user_sgpr_queue_ptr 0
		.amdhsa_user_sgpr_kernarg_segment_ptr 1
		.amdhsa_user_sgpr_dispatch_id 0
		.amdhsa_user_sgpr_private_segment_size 0
		.amdhsa_wavefront_size32 1
		.amdhsa_uses_dynamic_stack 0
		.amdhsa_enable_private_segment 0
		.amdhsa_system_sgpr_workgroup_id_x 1
		.amdhsa_system_sgpr_workgroup_id_y 0
		.amdhsa_system_sgpr_workgroup_id_z 0
		.amdhsa_system_sgpr_workgroup_info 0
		.amdhsa_system_vgpr_workitem_id 0
		.amdhsa_next_free_vgpr 1
		.amdhsa_next_free_sgpr 1
		.amdhsa_reserve_vcc 0
		.amdhsa_float_round_mode_32 0
		.amdhsa_float_round_mode_16_64 0
		.amdhsa_float_denorm_mode_32 3
		.amdhsa_float_denorm_mode_16_64 3
		.amdhsa_dx10_clamp 1
		.amdhsa_ieee_mode 1
		.amdhsa_fp16_overflow 0
		.amdhsa_workgroup_processor_mode 1
		.amdhsa_memory_ordered 1
		.amdhsa_forward_progress 0
		.amdhsa_shared_vgpr_count 0
		.amdhsa_exception_fp_ieee_invalid_op 0
		.amdhsa_exception_fp_denorm_src 0
		.amdhsa_exception_fp_ieee_div_zero 0
		.amdhsa_exception_fp_ieee_overflow 0
		.amdhsa_exception_fp_ieee_underflow 0
		.amdhsa_exception_fp_ieee_inexact 0
		.amdhsa_exception_int_div_zero 0
	.end_amdhsa_kernel
	.section	.text._ZN7rocprim17ROCPRIM_400000_NS6detail17trampoline_kernelINS0_14default_configENS1_25partition_config_selectorILNS1_17partition_subalgoE5E10large_dataNS0_10empty_typeEbEEZZNS1_14partition_implILS5_5ELb0ES3_mN6thrust23THRUST_200600_302600_NS6detail15normal_iteratorINSB_10device_ptrIS6_EEEEPS7_NSB_18transform_iteratorI5mod_3IS6_ESG_NSB_11use_defaultESL_EENS0_5tupleIJSG_S7_EEENSN_IJSH_SH_EEES7_PlJS7_EEE10hipError_tPvRmT3_T4_T5_T6_T7_T9_mT8_P12ihipStream_tbDpT10_ENKUlT_T0_E_clISt17integral_constantIbLb1EES1A_EEDaS15_S16_EUlS15_E_NS1_11comp_targetILNS1_3genE5ELNS1_11target_archE942ELNS1_3gpuE9ELNS1_3repE0EEENS1_30default_config_static_selectorELNS0_4arch9wavefront6targetE0EEEvT1_,"axG",@progbits,_ZN7rocprim17ROCPRIM_400000_NS6detail17trampoline_kernelINS0_14default_configENS1_25partition_config_selectorILNS1_17partition_subalgoE5E10large_dataNS0_10empty_typeEbEEZZNS1_14partition_implILS5_5ELb0ES3_mN6thrust23THRUST_200600_302600_NS6detail15normal_iteratorINSB_10device_ptrIS6_EEEEPS7_NSB_18transform_iteratorI5mod_3IS6_ESG_NSB_11use_defaultESL_EENS0_5tupleIJSG_S7_EEENSN_IJSH_SH_EEES7_PlJS7_EEE10hipError_tPvRmT3_T4_T5_T6_T7_T9_mT8_P12ihipStream_tbDpT10_ENKUlT_T0_E_clISt17integral_constantIbLb1EES1A_EEDaS15_S16_EUlS15_E_NS1_11comp_targetILNS1_3genE5ELNS1_11target_archE942ELNS1_3gpuE9ELNS1_3repE0EEENS1_30default_config_static_selectorELNS0_4arch9wavefront6targetE0EEEvT1_,comdat
.Lfunc_end696:
	.size	_ZN7rocprim17ROCPRIM_400000_NS6detail17trampoline_kernelINS0_14default_configENS1_25partition_config_selectorILNS1_17partition_subalgoE5E10large_dataNS0_10empty_typeEbEEZZNS1_14partition_implILS5_5ELb0ES3_mN6thrust23THRUST_200600_302600_NS6detail15normal_iteratorINSB_10device_ptrIS6_EEEEPS7_NSB_18transform_iteratorI5mod_3IS6_ESG_NSB_11use_defaultESL_EENS0_5tupleIJSG_S7_EEENSN_IJSH_SH_EEES7_PlJS7_EEE10hipError_tPvRmT3_T4_T5_T6_T7_T9_mT8_P12ihipStream_tbDpT10_ENKUlT_T0_E_clISt17integral_constantIbLb1EES1A_EEDaS15_S16_EUlS15_E_NS1_11comp_targetILNS1_3genE5ELNS1_11target_archE942ELNS1_3gpuE9ELNS1_3repE0EEENS1_30default_config_static_selectorELNS0_4arch9wavefront6targetE0EEEvT1_, .Lfunc_end696-_ZN7rocprim17ROCPRIM_400000_NS6detail17trampoline_kernelINS0_14default_configENS1_25partition_config_selectorILNS1_17partition_subalgoE5E10large_dataNS0_10empty_typeEbEEZZNS1_14partition_implILS5_5ELb0ES3_mN6thrust23THRUST_200600_302600_NS6detail15normal_iteratorINSB_10device_ptrIS6_EEEEPS7_NSB_18transform_iteratorI5mod_3IS6_ESG_NSB_11use_defaultESL_EENS0_5tupleIJSG_S7_EEENSN_IJSH_SH_EEES7_PlJS7_EEE10hipError_tPvRmT3_T4_T5_T6_T7_T9_mT8_P12ihipStream_tbDpT10_ENKUlT_T0_E_clISt17integral_constantIbLb1EES1A_EEDaS15_S16_EUlS15_E_NS1_11comp_targetILNS1_3genE5ELNS1_11target_archE942ELNS1_3gpuE9ELNS1_3repE0EEENS1_30default_config_static_selectorELNS0_4arch9wavefront6targetE0EEEvT1_
                                        ; -- End function
	.section	.AMDGPU.csdata,"",@progbits
; Kernel info:
; codeLenInByte = 0
; NumSgprs: 0
; NumVgprs: 0
; ScratchSize: 0
; MemoryBound: 0
; FloatMode: 240
; IeeeMode: 1
; LDSByteSize: 0 bytes/workgroup (compile time only)
; SGPRBlocks: 0
; VGPRBlocks: 0
; NumSGPRsForWavesPerEU: 1
; NumVGPRsForWavesPerEU: 1
; Occupancy: 16
; WaveLimiterHint : 0
; COMPUTE_PGM_RSRC2:SCRATCH_EN: 0
; COMPUTE_PGM_RSRC2:USER_SGPR: 15
; COMPUTE_PGM_RSRC2:TRAP_HANDLER: 0
; COMPUTE_PGM_RSRC2:TGID_X_EN: 1
; COMPUTE_PGM_RSRC2:TGID_Y_EN: 0
; COMPUTE_PGM_RSRC2:TGID_Z_EN: 0
; COMPUTE_PGM_RSRC2:TIDIG_COMP_CNT: 0
	.section	.text._ZN7rocprim17ROCPRIM_400000_NS6detail17trampoline_kernelINS0_14default_configENS1_25partition_config_selectorILNS1_17partition_subalgoE5E10large_dataNS0_10empty_typeEbEEZZNS1_14partition_implILS5_5ELb0ES3_mN6thrust23THRUST_200600_302600_NS6detail15normal_iteratorINSB_10device_ptrIS6_EEEEPS7_NSB_18transform_iteratorI5mod_3IS6_ESG_NSB_11use_defaultESL_EENS0_5tupleIJSG_S7_EEENSN_IJSH_SH_EEES7_PlJS7_EEE10hipError_tPvRmT3_T4_T5_T6_T7_T9_mT8_P12ihipStream_tbDpT10_ENKUlT_T0_E_clISt17integral_constantIbLb1EES1A_EEDaS15_S16_EUlS15_E_NS1_11comp_targetILNS1_3genE4ELNS1_11target_archE910ELNS1_3gpuE8ELNS1_3repE0EEENS1_30default_config_static_selectorELNS0_4arch9wavefront6targetE0EEEvT1_,"axG",@progbits,_ZN7rocprim17ROCPRIM_400000_NS6detail17trampoline_kernelINS0_14default_configENS1_25partition_config_selectorILNS1_17partition_subalgoE5E10large_dataNS0_10empty_typeEbEEZZNS1_14partition_implILS5_5ELb0ES3_mN6thrust23THRUST_200600_302600_NS6detail15normal_iteratorINSB_10device_ptrIS6_EEEEPS7_NSB_18transform_iteratorI5mod_3IS6_ESG_NSB_11use_defaultESL_EENS0_5tupleIJSG_S7_EEENSN_IJSH_SH_EEES7_PlJS7_EEE10hipError_tPvRmT3_T4_T5_T6_T7_T9_mT8_P12ihipStream_tbDpT10_ENKUlT_T0_E_clISt17integral_constantIbLb1EES1A_EEDaS15_S16_EUlS15_E_NS1_11comp_targetILNS1_3genE4ELNS1_11target_archE910ELNS1_3gpuE8ELNS1_3repE0EEENS1_30default_config_static_selectorELNS0_4arch9wavefront6targetE0EEEvT1_,comdat
	.protected	_ZN7rocprim17ROCPRIM_400000_NS6detail17trampoline_kernelINS0_14default_configENS1_25partition_config_selectorILNS1_17partition_subalgoE5E10large_dataNS0_10empty_typeEbEEZZNS1_14partition_implILS5_5ELb0ES3_mN6thrust23THRUST_200600_302600_NS6detail15normal_iteratorINSB_10device_ptrIS6_EEEEPS7_NSB_18transform_iteratorI5mod_3IS6_ESG_NSB_11use_defaultESL_EENS0_5tupleIJSG_S7_EEENSN_IJSH_SH_EEES7_PlJS7_EEE10hipError_tPvRmT3_T4_T5_T6_T7_T9_mT8_P12ihipStream_tbDpT10_ENKUlT_T0_E_clISt17integral_constantIbLb1EES1A_EEDaS15_S16_EUlS15_E_NS1_11comp_targetILNS1_3genE4ELNS1_11target_archE910ELNS1_3gpuE8ELNS1_3repE0EEENS1_30default_config_static_selectorELNS0_4arch9wavefront6targetE0EEEvT1_ ; -- Begin function _ZN7rocprim17ROCPRIM_400000_NS6detail17trampoline_kernelINS0_14default_configENS1_25partition_config_selectorILNS1_17partition_subalgoE5E10large_dataNS0_10empty_typeEbEEZZNS1_14partition_implILS5_5ELb0ES3_mN6thrust23THRUST_200600_302600_NS6detail15normal_iteratorINSB_10device_ptrIS6_EEEEPS7_NSB_18transform_iteratorI5mod_3IS6_ESG_NSB_11use_defaultESL_EENS0_5tupleIJSG_S7_EEENSN_IJSH_SH_EEES7_PlJS7_EEE10hipError_tPvRmT3_T4_T5_T6_T7_T9_mT8_P12ihipStream_tbDpT10_ENKUlT_T0_E_clISt17integral_constantIbLb1EES1A_EEDaS15_S16_EUlS15_E_NS1_11comp_targetILNS1_3genE4ELNS1_11target_archE910ELNS1_3gpuE8ELNS1_3repE0EEENS1_30default_config_static_selectorELNS0_4arch9wavefront6targetE0EEEvT1_
	.globl	_ZN7rocprim17ROCPRIM_400000_NS6detail17trampoline_kernelINS0_14default_configENS1_25partition_config_selectorILNS1_17partition_subalgoE5E10large_dataNS0_10empty_typeEbEEZZNS1_14partition_implILS5_5ELb0ES3_mN6thrust23THRUST_200600_302600_NS6detail15normal_iteratorINSB_10device_ptrIS6_EEEEPS7_NSB_18transform_iteratorI5mod_3IS6_ESG_NSB_11use_defaultESL_EENS0_5tupleIJSG_S7_EEENSN_IJSH_SH_EEES7_PlJS7_EEE10hipError_tPvRmT3_T4_T5_T6_T7_T9_mT8_P12ihipStream_tbDpT10_ENKUlT_T0_E_clISt17integral_constantIbLb1EES1A_EEDaS15_S16_EUlS15_E_NS1_11comp_targetILNS1_3genE4ELNS1_11target_archE910ELNS1_3gpuE8ELNS1_3repE0EEENS1_30default_config_static_selectorELNS0_4arch9wavefront6targetE0EEEvT1_
	.p2align	8
	.type	_ZN7rocprim17ROCPRIM_400000_NS6detail17trampoline_kernelINS0_14default_configENS1_25partition_config_selectorILNS1_17partition_subalgoE5E10large_dataNS0_10empty_typeEbEEZZNS1_14partition_implILS5_5ELb0ES3_mN6thrust23THRUST_200600_302600_NS6detail15normal_iteratorINSB_10device_ptrIS6_EEEEPS7_NSB_18transform_iteratorI5mod_3IS6_ESG_NSB_11use_defaultESL_EENS0_5tupleIJSG_S7_EEENSN_IJSH_SH_EEES7_PlJS7_EEE10hipError_tPvRmT3_T4_T5_T6_T7_T9_mT8_P12ihipStream_tbDpT10_ENKUlT_T0_E_clISt17integral_constantIbLb1EES1A_EEDaS15_S16_EUlS15_E_NS1_11comp_targetILNS1_3genE4ELNS1_11target_archE910ELNS1_3gpuE8ELNS1_3repE0EEENS1_30default_config_static_selectorELNS0_4arch9wavefront6targetE0EEEvT1_,@function
_ZN7rocprim17ROCPRIM_400000_NS6detail17trampoline_kernelINS0_14default_configENS1_25partition_config_selectorILNS1_17partition_subalgoE5E10large_dataNS0_10empty_typeEbEEZZNS1_14partition_implILS5_5ELb0ES3_mN6thrust23THRUST_200600_302600_NS6detail15normal_iteratorINSB_10device_ptrIS6_EEEEPS7_NSB_18transform_iteratorI5mod_3IS6_ESG_NSB_11use_defaultESL_EENS0_5tupleIJSG_S7_EEENSN_IJSH_SH_EEES7_PlJS7_EEE10hipError_tPvRmT3_T4_T5_T6_T7_T9_mT8_P12ihipStream_tbDpT10_ENKUlT_T0_E_clISt17integral_constantIbLb1EES1A_EEDaS15_S16_EUlS15_E_NS1_11comp_targetILNS1_3genE4ELNS1_11target_archE910ELNS1_3gpuE8ELNS1_3repE0EEENS1_30default_config_static_selectorELNS0_4arch9wavefront6targetE0EEEvT1_: ; @_ZN7rocprim17ROCPRIM_400000_NS6detail17trampoline_kernelINS0_14default_configENS1_25partition_config_selectorILNS1_17partition_subalgoE5E10large_dataNS0_10empty_typeEbEEZZNS1_14partition_implILS5_5ELb0ES3_mN6thrust23THRUST_200600_302600_NS6detail15normal_iteratorINSB_10device_ptrIS6_EEEEPS7_NSB_18transform_iteratorI5mod_3IS6_ESG_NSB_11use_defaultESL_EENS0_5tupleIJSG_S7_EEENSN_IJSH_SH_EEES7_PlJS7_EEE10hipError_tPvRmT3_T4_T5_T6_T7_T9_mT8_P12ihipStream_tbDpT10_ENKUlT_T0_E_clISt17integral_constantIbLb1EES1A_EEDaS15_S16_EUlS15_E_NS1_11comp_targetILNS1_3genE4ELNS1_11target_archE910ELNS1_3gpuE8ELNS1_3repE0EEENS1_30default_config_static_selectorELNS0_4arch9wavefront6targetE0EEEvT1_
; %bb.0:
	.section	.rodata,"a",@progbits
	.p2align	6, 0x0
	.amdhsa_kernel _ZN7rocprim17ROCPRIM_400000_NS6detail17trampoline_kernelINS0_14default_configENS1_25partition_config_selectorILNS1_17partition_subalgoE5E10large_dataNS0_10empty_typeEbEEZZNS1_14partition_implILS5_5ELb0ES3_mN6thrust23THRUST_200600_302600_NS6detail15normal_iteratorINSB_10device_ptrIS6_EEEEPS7_NSB_18transform_iteratorI5mod_3IS6_ESG_NSB_11use_defaultESL_EENS0_5tupleIJSG_S7_EEENSN_IJSH_SH_EEES7_PlJS7_EEE10hipError_tPvRmT3_T4_T5_T6_T7_T9_mT8_P12ihipStream_tbDpT10_ENKUlT_T0_E_clISt17integral_constantIbLb1EES1A_EEDaS15_S16_EUlS15_E_NS1_11comp_targetILNS1_3genE4ELNS1_11target_archE910ELNS1_3gpuE8ELNS1_3repE0EEENS1_30default_config_static_selectorELNS0_4arch9wavefront6targetE0EEEvT1_
		.amdhsa_group_segment_fixed_size 0
		.amdhsa_private_segment_fixed_size 0
		.amdhsa_kernarg_size 136
		.amdhsa_user_sgpr_count 15
		.amdhsa_user_sgpr_dispatch_ptr 0
		.amdhsa_user_sgpr_queue_ptr 0
		.amdhsa_user_sgpr_kernarg_segment_ptr 1
		.amdhsa_user_sgpr_dispatch_id 0
		.amdhsa_user_sgpr_private_segment_size 0
		.amdhsa_wavefront_size32 1
		.amdhsa_uses_dynamic_stack 0
		.amdhsa_enable_private_segment 0
		.amdhsa_system_sgpr_workgroup_id_x 1
		.amdhsa_system_sgpr_workgroup_id_y 0
		.amdhsa_system_sgpr_workgroup_id_z 0
		.amdhsa_system_sgpr_workgroup_info 0
		.amdhsa_system_vgpr_workitem_id 0
		.amdhsa_next_free_vgpr 1
		.amdhsa_next_free_sgpr 1
		.amdhsa_reserve_vcc 0
		.amdhsa_float_round_mode_32 0
		.amdhsa_float_round_mode_16_64 0
		.amdhsa_float_denorm_mode_32 3
		.amdhsa_float_denorm_mode_16_64 3
		.amdhsa_dx10_clamp 1
		.amdhsa_ieee_mode 1
		.amdhsa_fp16_overflow 0
		.amdhsa_workgroup_processor_mode 1
		.amdhsa_memory_ordered 1
		.amdhsa_forward_progress 0
		.amdhsa_shared_vgpr_count 0
		.amdhsa_exception_fp_ieee_invalid_op 0
		.amdhsa_exception_fp_denorm_src 0
		.amdhsa_exception_fp_ieee_div_zero 0
		.amdhsa_exception_fp_ieee_overflow 0
		.amdhsa_exception_fp_ieee_underflow 0
		.amdhsa_exception_fp_ieee_inexact 0
		.amdhsa_exception_int_div_zero 0
	.end_amdhsa_kernel
	.section	.text._ZN7rocprim17ROCPRIM_400000_NS6detail17trampoline_kernelINS0_14default_configENS1_25partition_config_selectorILNS1_17partition_subalgoE5E10large_dataNS0_10empty_typeEbEEZZNS1_14partition_implILS5_5ELb0ES3_mN6thrust23THRUST_200600_302600_NS6detail15normal_iteratorINSB_10device_ptrIS6_EEEEPS7_NSB_18transform_iteratorI5mod_3IS6_ESG_NSB_11use_defaultESL_EENS0_5tupleIJSG_S7_EEENSN_IJSH_SH_EEES7_PlJS7_EEE10hipError_tPvRmT3_T4_T5_T6_T7_T9_mT8_P12ihipStream_tbDpT10_ENKUlT_T0_E_clISt17integral_constantIbLb1EES1A_EEDaS15_S16_EUlS15_E_NS1_11comp_targetILNS1_3genE4ELNS1_11target_archE910ELNS1_3gpuE8ELNS1_3repE0EEENS1_30default_config_static_selectorELNS0_4arch9wavefront6targetE0EEEvT1_,"axG",@progbits,_ZN7rocprim17ROCPRIM_400000_NS6detail17trampoline_kernelINS0_14default_configENS1_25partition_config_selectorILNS1_17partition_subalgoE5E10large_dataNS0_10empty_typeEbEEZZNS1_14partition_implILS5_5ELb0ES3_mN6thrust23THRUST_200600_302600_NS6detail15normal_iteratorINSB_10device_ptrIS6_EEEEPS7_NSB_18transform_iteratorI5mod_3IS6_ESG_NSB_11use_defaultESL_EENS0_5tupleIJSG_S7_EEENSN_IJSH_SH_EEES7_PlJS7_EEE10hipError_tPvRmT3_T4_T5_T6_T7_T9_mT8_P12ihipStream_tbDpT10_ENKUlT_T0_E_clISt17integral_constantIbLb1EES1A_EEDaS15_S16_EUlS15_E_NS1_11comp_targetILNS1_3genE4ELNS1_11target_archE910ELNS1_3gpuE8ELNS1_3repE0EEENS1_30default_config_static_selectorELNS0_4arch9wavefront6targetE0EEEvT1_,comdat
.Lfunc_end697:
	.size	_ZN7rocprim17ROCPRIM_400000_NS6detail17trampoline_kernelINS0_14default_configENS1_25partition_config_selectorILNS1_17partition_subalgoE5E10large_dataNS0_10empty_typeEbEEZZNS1_14partition_implILS5_5ELb0ES3_mN6thrust23THRUST_200600_302600_NS6detail15normal_iteratorINSB_10device_ptrIS6_EEEEPS7_NSB_18transform_iteratorI5mod_3IS6_ESG_NSB_11use_defaultESL_EENS0_5tupleIJSG_S7_EEENSN_IJSH_SH_EEES7_PlJS7_EEE10hipError_tPvRmT3_T4_T5_T6_T7_T9_mT8_P12ihipStream_tbDpT10_ENKUlT_T0_E_clISt17integral_constantIbLb1EES1A_EEDaS15_S16_EUlS15_E_NS1_11comp_targetILNS1_3genE4ELNS1_11target_archE910ELNS1_3gpuE8ELNS1_3repE0EEENS1_30default_config_static_selectorELNS0_4arch9wavefront6targetE0EEEvT1_, .Lfunc_end697-_ZN7rocprim17ROCPRIM_400000_NS6detail17trampoline_kernelINS0_14default_configENS1_25partition_config_selectorILNS1_17partition_subalgoE5E10large_dataNS0_10empty_typeEbEEZZNS1_14partition_implILS5_5ELb0ES3_mN6thrust23THRUST_200600_302600_NS6detail15normal_iteratorINSB_10device_ptrIS6_EEEEPS7_NSB_18transform_iteratorI5mod_3IS6_ESG_NSB_11use_defaultESL_EENS0_5tupleIJSG_S7_EEENSN_IJSH_SH_EEES7_PlJS7_EEE10hipError_tPvRmT3_T4_T5_T6_T7_T9_mT8_P12ihipStream_tbDpT10_ENKUlT_T0_E_clISt17integral_constantIbLb1EES1A_EEDaS15_S16_EUlS15_E_NS1_11comp_targetILNS1_3genE4ELNS1_11target_archE910ELNS1_3gpuE8ELNS1_3repE0EEENS1_30default_config_static_selectorELNS0_4arch9wavefront6targetE0EEEvT1_
                                        ; -- End function
	.section	.AMDGPU.csdata,"",@progbits
; Kernel info:
; codeLenInByte = 0
; NumSgprs: 0
; NumVgprs: 0
; ScratchSize: 0
; MemoryBound: 0
; FloatMode: 240
; IeeeMode: 1
; LDSByteSize: 0 bytes/workgroup (compile time only)
; SGPRBlocks: 0
; VGPRBlocks: 0
; NumSGPRsForWavesPerEU: 1
; NumVGPRsForWavesPerEU: 1
; Occupancy: 16
; WaveLimiterHint : 0
; COMPUTE_PGM_RSRC2:SCRATCH_EN: 0
; COMPUTE_PGM_RSRC2:USER_SGPR: 15
; COMPUTE_PGM_RSRC2:TRAP_HANDLER: 0
; COMPUTE_PGM_RSRC2:TGID_X_EN: 1
; COMPUTE_PGM_RSRC2:TGID_Y_EN: 0
; COMPUTE_PGM_RSRC2:TGID_Z_EN: 0
; COMPUTE_PGM_RSRC2:TIDIG_COMP_CNT: 0
	.section	.text._ZN7rocprim17ROCPRIM_400000_NS6detail17trampoline_kernelINS0_14default_configENS1_25partition_config_selectorILNS1_17partition_subalgoE5E10large_dataNS0_10empty_typeEbEEZZNS1_14partition_implILS5_5ELb0ES3_mN6thrust23THRUST_200600_302600_NS6detail15normal_iteratorINSB_10device_ptrIS6_EEEEPS7_NSB_18transform_iteratorI5mod_3IS6_ESG_NSB_11use_defaultESL_EENS0_5tupleIJSG_S7_EEENSN_IJSH_SH_EEES7_PlJS7_EEE10hipError_tPvRmT3_T4_T5_T6_T7_T9_mT8_P12ihipStream_tbDpT10_ENKUlT_T0_E_clISt17integral_constantIbLb1EES1A_EEDaS15_S16_EUlS15_E_NS1_11comp_targetILNS1_3genE3ELNS1_11target_archE908ELNS1_3gpuE7ELNS1_3repE0EEENS1_30default_config_static_selectorELNS0_4arch9wavefront6targetE0EEEvT1_,"axG",@progbits,_ZN7rocprim17ROCPRIM_400000_NS6detail17trampoline_kernelINS0_14default_configENS1_25partition_config_selectorILNS1_17partition_subalgoE5E10large_dataNS0_10empty_typeEbEEZZNS1_14partition_implILS5_5ELb0ES3_mN6thrust23THRUST_200600_302600_NS6detail15normal_iteratorINSB_10device_ptrIS6_EEEEPS7_NSB_18transform_iteratorI5mod_3IS6_ESG_NSB_11use_defaultESL_EENS0_5tupleIJSG_S7_EEENSN_IJSH_SH_EEES7_PlJS7_EEE10hipError_tPvRmT3_T4_T5_T6_T7_T9_mT8_P12ihipStream_tbDpT10_ENKUlT_T0_E_clISt17integral_constantIbLb1EES1A_EEDaS15_S16_EUlS15_E_NS1_11comp_targetILNS1_3genE3ELNS1_11target_archE908ELNS1_3gpuE7ELNS1_3repE0EEENS1_30default_config_static_selectorELNS0_4arch9wavefront6targetE0EEEvT1_,comdat
	.protected	_ZN7rocprim17ROCPRIM_400000_NS6detail17trampoline_kernelINS0_14default_configENS1_25partition_config_selectorILNS1_17partition_subalgoE5E10large_dataNS0_10empty_typeEbEEZZNS1_14partition_implILS5_5ELb0ES3_mN6thrust23THRUST_200600_302600_NS6detail15normal_iteratorINSB_10device_ptrIS6_EEEEPS7_NSB_18transform_iteratorI5mod_3IS6_ESG_NSB_11use_defaultESL_EENS0_5tupleIJSG_S7_EEENSN_IJSH_SH_EEES7_PlJS7_EEE10hipError_tPvRmT3_T4_T5_T6_T7_T9_mT8_P12ihipStream_tbDpT10_ENKUlT_T0_E_clISt17integral_constantIbLb1EES1A_EEDaS15_S16_EUlS15_E_NS1_11comp_targetILNS1_3genE3ELNS1_11target_archE908ELNS1_3gpuE7ELNS1_3repE0EEENS1_30default_config_static_selectorELNS0_4arch9wavefront6targetE0EEEvT1_ ; -- Begin function _ZN7rocprim17ROCPRIM_400000_NS6detail17trampoline_kernelINS0_14default_configENS1_25partition_config_selectorILNS1_17partition_subalgoE5E10large_dataNS0_10empty_typeEbEEZZNS1_14partition_implILS5_5ELb0ES3_mN6thrust23THRUST_200600_302600_NS6detail15normal_iteratorINSB_10device_ptrIS6_EEEEPS7_NSB_18transform_iteratorI5mod_3IS6_ESG_NSB_11use_defaultESL_EENS0_5tupleIJSG_S7_EEENSN_IJSH_SH_EEES7_PlJS7_EEE10hipError_tPvRmT3_T4_T5_T6_T7_T9_mT8_P12ihipStream_tbDpT10_ENKUlT_T0_E_clISt17integral_constantIbLb1EES1A_EEDaS15_S16_EUlS15_E_NS1_11comp_targetILNS1_3genE3ELNS1_11target_archE908ELNS1_3gpuE7ELNS1_3repE0EEENS1_30default_config_static_selectorELNS0_4arch9wavefront6targetE0EEEvT1_
	.globl	_ZN7rocprim17ROCPRIM_400000_NS6detail17trampoline_kernelINS0_14default_configENS1_25partition_config_selectorILNS1_17partition_subalgoE5E10large_dataNS0_10empty_typeEbEEZZNS1_14partition_implILS5_5ELb0ES3_mN6thrust23THRUST_200600_302600_NS6detail15normal_iteratorINSB_10device_ptrIS6_EEEEPS7_NSB_18transform_iteratorI5mod_3IS6_ESG_NSB_11use_defaultESL_EENS0_5tupleIJSG_S7_EEENSN_IJSH_SH_EEES7_PlJS7_EEE10hipError_tPvRmT3_T4_T5_T6_T7_T9_mT8_P12ihipStream_tbDpT10_ENKUlT_T0_E_clISt17integral_constantIbLb1EES1A_EEDaS15_S16_EUlS15_E_NS1_11comp_targetILNS1_3genE3ELNS1_11target_archE908ELNS1_3gpuE7ELNS1_3repE0EEENS1_30default_config_static_selectorELNS0_4arch9wavefront6targetE0EEEvT1_
	.p2align	8
	.type	_ZN7rocprim17ROCPRIM_400000_NS6detail17trampoline_kernelINS0_14default_configENS1_25partition_config_selectorILNS1_17partition_subalgoE5E10large_dataNS0_10empty_typeEbEEZZNS1_14partition_implILS5_5ELb0ES3_mN6thrust23THRUST_200600_302600_NS6detail15normal_iteratorINSB_10device_ptrIS6_EEEEPS7_NSB_18transform_iteratorI5mod_3IS6_ESG_NSB_11use_defaultESL_EENS0_5tupleIJSG_S7_EEENSN_IJSH_SH_EEES7_PlJS7_EEE10hipError_tPvRmT3_T4_T5_T6_T7_T9_mT8_P12ihipStream_tbDpT10_ENKUlT_T0_E_clISt17integral_constantIbLb1EES1A_EEDaS15_S16_EUlS15_E_NS1_11comp_targetILNS1_3genE3ELNS1_11target_archE908ELNS1_3gpuE7ELNS1_3repE0EEENS1_30default_config_static_selectorELNS0_4arch9wavefront6targetE0EEEvT1_,@function
_ZN7rocprim17ROCPRIM_400000_NS6detail17trampoline_kernelINS0_14default_configENS1_25partition_config_selectorILNS1_17partition_subalgoE5E10large_dataNS0_10empty_typeEbEEZZNS1_14partition_implILS5_5ELb0ES3_mN6thrust23THRUST_200600_302600_NS6detail15normal_iteratorINSB_10device_ptrIS6_EEEEPS7_NSB_18transform_iteratorI5mod_3IS6_ESG_NSB_11use_defaultESL_EENS0_5tupleIJSG_S7_EEENSN_IJSH_SH_EEES7_PlJS7_EEE10hipError_tPvRmT3_T4_T5_T6_T7_T9_mT8_P12ihipStream_tbDpT10_ENKUlT_T0_E_clISt17integral_constantIbLb1EES1A_EEDaS15_S16_EUlS15_E_NS1_11comp_targetILNS1_3genE3ELNS1_11target_archE908ELNS1_3gpuE7ELNS1_3repE0EEENS1_30default_config_static_selectorELNS0_4arch9wavefront6targetE0EEEvT1_: ; @_ZN7rocprim17ROCPRIM_400000_NS6detail17trampoline_kernelINS0_14default_configENS1_25partition_config_selectorILNS1_17partition_subalgoE5E10large_dataNS0_10empty_typeEbEEZZNS1_14partition_implILS5_5ELb0ES3_mN6thrust23THRUST_200600_302600_NS6detail15normal_iteratorINSB_10device_ptrIS6_EEEEPS7_NSB_18transform_iteratorI5mod_3IS6_ESG_NSB_11use_defaultESL_EENS0_5tupleIJSG_S7_EEENSN_IJSH_SH_EEES7_PlJS7_EEE10hipError_tPvRmT3_T4_T5_T6_T7_T9_mT8_P12ihipStream_tbDpT10_ENKUlT_T0_E_clISt17integral_constantIbLb1EES1A_EEDaS15_S16_EUlS15_E_NS1_11comp_targetILNS1_3genE3ELNS1_11target_archE908ELNS1_3gpuE7ELNS1_3repE0EEENS1_30default_config_static_selectorELNS0_4arch9wavefront6targetE0EEEvT1_
; %bb.0:
	.section	.rodata,"a",@progbits
	.p2align	6, 0x0
	.amdhsa_kernel _ZN7rocprim17ROCPRIM_400000_NS6detail17trampoline_kernelINS0_14default_configENS1_25partition_config_selectorILNS1_17partition_subalgoE5E10large_dataNS0_10empty_typeEbEEZZNS1_14partition_implILS5_5ELb0ES3_mN6thrust23THRUST_200600_302600_NS6detail15normal_iteratorINSB_10device_ptrIS6_EEEEPS7_NSB_18transform_iteratorI5mod_3IS6_ESG_NSB_11use_defaultESL_EENS0_5tupleIJSG_S7_EEENSN_IJSH_SH_EEES7_PlJS7_EEE10hipError_tPvRmT3_T4_T5_T6_T7_T9_mT8_P12ihipStream_tbDpT10_ENKUlT_T0_E_clISt17integral_constantIbLb1EES1A_EEDaS15_S16_EUlS15_E_NS1_11comp_targetILNS1_3genE3ELNS1_11target_archE908ELNS1_3gpuE7ELNS1_3repE0EEENS1_30default_config_static_selectorELNS0_4arch9wavefront6targetE0EEEvT1_
		.amdhsa_group_segment_fixed_size 0
		.amdhsa_private_segment_fixed_size 0
		.amdhsa_kernarg_size 136
		.amdhsa_user_sgpr_count 15
		.amdhsa_user_sgpr_dispatch_ptr 0
		.amdhsa_user_sgpr_queue_ptr 0
		.amdhsa_user_sgpr_kernarg_segment_ptr 1
		.amdhsa_user_sgpr_dispatch_id 0
		.amdhsa_user_sgpr_private_segment_size 0
		.amdhsa_wavefront_size32 1
		.amdhsa_uses_dynamic_stack 0
		.amdhsa_enable_private_segment 0
		.amdhsa_system_sgpr_workgroup_id_x 1
		.amdhsa_system_sgpr_workgroup_id_y 0
		.amdhsa_system_sgpr_workgroup_id_z 0
		.amdhsa_system_sgpr_workgroup_info 0
		.amdhsa_system_vgpr_workitem_id 0
		.amdhsa_next_free_vgpr 1
		.amdhsa_next_free_sgpr 1
		.amdhsa_reserve_vcc 0
		.amdhsa_float_round_mode_32 0
		.amdhsa_float_round_mode_16_64 0
		.amdhsa_float_denorm_mode_32 3
		.amdhsa_float_denorm_mode_16_64 3
		.amdhsa_dx10_clamp 1
		.amdhsa_ieee_mode 1
		.amdhsa_fp16_overflow 0
		.amdhsa_workgroup_processor_mode 1
		.amdhsa_memory_ordered 1
		.amdhsa_forward_progress 0
		.amdhsa_shared_vgpr_count 0
		.amdhsa_exception_fp_ieee_invalid_op 0
		.amdhsa_exception_fp_denorm_src 0
		.amdhsa_exception_fp_ieee_div_zero 0
		.amdhsa_exception_fp_ieee_overflow 0
		.amdhsa_exception_fp_ieee_underflow 0
		.amdhsa_exception_fp_ieee_inexact 0
		.amdhsa_exception_int_div_zero 0
	.end_amdhsa_kernel
	.section	.text._ZN7rocprim17ROCPRIM_400000_NS6detail17trampoline_kernelINS0_14default_configENS1_25partition_config_selectorILNS1_17partition_subalgoE5E10large_dataNS0_10empty_typeEbEEZZNS1_14partition_implILS5_5ELb0ES3_mN6thrust23THRUST_200600_302600_NS6detail15normal_iteratorINSB_10device_ptrIS6_EEEEPS7_NSB_18transform_iteratorI5mod_3IS6_ESG_NSB_11use_defaultESL_EENS0_5tupleIJSG_S7_EEENSN_IJSH_SH_EEES7_PlJS7_EEE10hipError_tPvRmT3_T4_T5_T6_T7_T9_mT8_P12ihipStream_tbDpT10_ENKUlT_T0_E_clISt17integral_constantIbLb1EES1A_EEDaS15_S16_EUlS15_E_NS1_11comp_targetILNS1_3genE3ELNS1_11target_archE908ELNS1_3gpuE7ELNS1_3repE0EEENS1_30default_config_static_selectorELNS0_4arch9wavefront6targetE0EEEvT1_,"axG",@progbits,_ZN7rocprim17ROCPRIM_400000_NS6detail17trampoline_kernelINS0_14default_configENS1_25partition_config_selectorILNS1_17partition_subalgoE5E10large_dataNS0_10empty_typeEbEEZZNS1_14partition_implILS5_5ELb0ES3_mN6thrust23THRUST_200600_302600_NS6detail15normal_iteratorINSB_10device_ptrIS6_EEEEPS7_NSB_18transform_iteratorI5mod_3IS6_ESG_NSB_11use_defaultESL_EENS0_5tupleIJSG_S7_EEENSN_IJSH_SH_EEES7_PlJS7_EEE10hipError_tPvRmT3_T4_T5_T6_T7_T9_mT8_P12ihipStream_tbDpT10_ENKUlT_T0_E_clISt17integral_constantIbLb1EES1A_EEDaS15_S16_EUlS15_E_NS1_11comp_targetILNS1_3genE3ELNS1_11target_archE908ELNS1_3gpuE7ELNS1_3repE0EEENS1_30default_config_static_selectorELNS0_4arch9wavefront6targetE0EEEvT1_,comdat
.Lfunc_end698:
	.size	_ZN7rocprim17ROCPRIM_400000_NS6detail17trampoline_kernelINS0_14default_configENS1_25partition_config_selectorILNS1_17partition_subalgoE5E10large_dataNS0_10empty_typeEbEEZZNS1_14partition_implILS5_5ELb0ES3_mN6thrust23THRUST_200600_302600_NS6detail15normal_iteratorINSB_10device_ptrIS6_EEEEPS7_NSB_18transform_iteratorI5mod_3IS6_ESG_NSB_11use_defaultESL_EENS0_5tupleIJSG_S7_EEENSN_IJSH_SH_EEES7_PlJS7_EEE10hipError_tPvRmT3_T4_T5_T6_T7_T9_mT8_P12ihipStream_tbDpT10_ENKUlT_T0_E_clISt17integral_constantIbLb1EES1A_EEDaS15_S16_EUlS15_E_NS1_11comp_targetILNS1_3genE3ELNS1_11target_archE908ELNS1_3gpuE7ELNS1_3repE0EEENS1_30default_config_static_selectorELNS0_4arch9wavefront6targetE0EEEvT1_, .Lfunc_end698-_ZN7rocprim17ROCPRIM_400000_NS6detail17trampoline_kernelINS0_14default_configENS1_25partition_config_selectorILNS1_17partition_subalgoE5E10large_dataNS0_10empty_typeEbEEZZNS1_14partition_implILS5_5ELb0ES3_mN6thrust23THRUST_200600_302600_NS6detail15normal_iteratorINSB_10device_ptrIS6_EEEEPS7_NSB_18transform_iteratorI5mod_3IS6_ESG_NSB_11use_defaultESL_EENS0_5tupleIJSG_S7_EEENSN_IJSH_SH_EEES7_PlJS7_EEE10hipError_tPvRmT3_T4_T5_T6_T7_T9_mT8_P12ihipStream_tbDpT10_ENKUlT_T0_E_clISt17integral_constantIbLb1EES1A_EEDaS15_S16_EUlS15_E_NS1_11comp_targetILNS1_3genE3ELNS1_11target_archE908ELNS1_3gpuE7ELNS1_3repE0EEENS1_30default_config_static_selectorELNS0_4arch9wavefront6targetE0EEEvT1_
                                        ; -- End function
	.section	.AMDGPU.csdata,"",@progbits
; Kernel info:
; codeLenInByte = 0
; NumSgprs: 0
; NumVgprs: 0
; ScratchSize: 0
; MemoryBound: 0
; FloatMode: 240
; IeeeMode: 1
; LDSByteSize: 0 bytes/workgroup (compile time only)
; SGPRBlocks: 0
; VGPRBlocks: 0
; NumSGPRsForWavesPerEU: 1
; NumVGPRsForWavesPerEU: 1
; Occupancy: 16
; WaveLimiterHint : 0
; COMPUTE_PGM_RSRC2:SCRATCH_EN: 0
; COMPUTE_PGM_RSRC2:USER_SGPR: 15
; COMPUTE_PGM_RSRC2:TRAP_HANDLER: 0
; COMPUTE_PGM_RSRC2:TGID_X_EN: 1
; COMPUTE_PGM_RSRC2:TGID_Y_EN: 0
; COMPUTE_PGM_RSRC2:TGID_Z_EN: 0
; COMPUTE_PGM_RSRC2:TIDIG_COMP_CNT: 0
	.section	.text._ZN7rocprim17ROCPRIM_400000_NS6detail17trampoline_kernelINS0_14default_configENS1_25partition_config_selectorILNS1_17partition_subalgoE5E10large_dataNS0_10empty_typeEbEEZZNS1_14partition_implILS5_5ELb0ES3_mN6thrust23THRUST_200600_302600_NS6detail15normal_iteratorINSB_10device_ptrIS6_EEEEPS7_NSB_18transform_iteratorI5mod_3IS6_ESG_NSB_11use_defaultESL_EENS0_5tupleIJSG_S7_EEENSN_IJSH_SH_EEES7_PlJS7_EEE10hipError_tPvRmT3_T4_T5_T6_T7_T9_mT8_P12ihipStream_tbDpT10_ENKUlT_T0_E_clISt17integral_constantIbLb1EES1A_EEDaS15_S16_EUlS15_E_NS1_11comp_targetILNS1_3genE2ELNS1_11target_archE906ELNS1_3gpuE6ELNS1_3repE0EEENS1_30default_config_static_selectorELNS0_4arch9wavefront6targetE0EEEvT1_,"axG",@progbits,_ZN7rocprim17ROCPRIM_400000_NS6detail17trampoline_kernelINS0_14default_configENS1_25partition_config_selectorILNS1_17partition_subalgoE5E10large_dataNS0_10empty_typeEbEEZZNS1_14partition_implILS5_5ELb0ES3_mN6thrust23THRUST_200600_302600_NS6detail15normal_iteratorINSB_10device_ptrIS6_EEEEPS7_NSB_18transform_iteratorI5mod_3IS6_ESG_NSB_11use_defaultESL_EENS0_5tupleIJSG_S7_EEENSN_IJSH_SH_EEES7_PlJS7_EEE10hipError_tPvRmT3_T4_T5_T6_T7_T9_mT8_P12ihipStream_tbDpT10_ENKUlT_T0_E_clISt17integral_constantIbLb1EES1A_EEDaS15_S16_EUlS15_E_NS1_11comp_targetILNS1_3genE2ELNS1_11target_archE906ELNS1_3gpuE6ELNS1_3repE0EEENS1_30default_config_static_selectorELNS0_4arch9wavefront6targetE0EEEvT1_,comdat
	.protected	_ZN7rocprim17ROCPRIM_400000_NS6detail17trampoline_kernelINS0_14default_configENS1_25partition_config_selectorILNS1_17partition_subalgoE5E10large_dataNS0_10empty_typeEbEEZZNS1_14partition_implILS5_5ELb0ES3_mN6thrust23THRUST_200600_302600_NS6detail15normal_iteratorINSB_10device_ptrIS6_EEEEPS7_NSB_18transform_iteratorI5mod_3IS6_ESG_NSB_11use_defaultESL_EENS0_5tupleIJSG_S7_EEENSN_IJSH_SH_EEES7_PlJS7_EEE10hipError_tPvRmT3_T4_T5_T6_T7_T9_mT8_P12ihipStream_tbDpT10_ENKUlT_T0_E_clISt17integral_constantIbLb1EES1A_EEDaS15_S16_EUlS15_E_NS1_11comp_targetILNS1_3genE2ELNS1_11target_archE906ELNS1_3gpuE6ELNS1_3repE0EEENS1_30default_config_static_selectorELNS0_4arch9wavefront6targetE0EEEvT1_ ; -- Begin function _ZN7rocprim17ROCPRIM_400000_NS6detail17trampoline_kernelINS0_14default_configENS1_25partition_config_selectorILNS1_17partition_subalgoE5E10large_dataNS0_10empty_typeEbEEZZNS1_14partition_implILS5_5ELb0ES3_mN6thrust23THRUST_200600_302600_NS6detail15normal_iteratorINSB_10device_ptrIS6_EEEEPS7_NSB_18transform_iteratorI5mod_3IS6_ESG_NSB_11use_defaultESL_EENS0_5tupleIJSG_S7_EEENSN_IJSH_SH_EEES7_PlJS7_EEE10hipError_tPvRmT3_T4_T5_T6_T7_T9_mT8_P12ihipStream_tbDpT10_ENKUlT_T0_E_clISt17integral_constantIbLb1EES1A_EEDaS15_S16_EUlS15_E_NS1_11comp_targetILNS1_3genE2ELNS1_11target_archE906ELNS1_3gpuE6ELNS1_3repE0EEENS1_30default_config_static_selectorELNS0_4arch9wavefront6targetE0EEEvT1_
	.globl	_ZN7rocprim17ROCPRIM_400000_NS6detail17trampoline_kernelINS0_14default_configENS1_25partition_config_selectorILNS1_17partition_subalgoE5E10large_dataNS0_10empty_typeEbEEZZNS1_14partition_implILS5_5ELb0ES3_mN6thrust23THRUST_200600_302600_NS6detail15normal_iteratorINSB_10device_ptrIS6_EEEEPS7_NSB_18transform_iteratorI5mod_3IS6_ESG_NSB_11use_defaultESL_EENS0_5tupleIJSG_S7_EEENSN_IJSH_SH_EEES7_PlJS7_EEE10hipError_tPvRmT3_T4_T5_T6_T7_T9_mT8_P12ihipStream_tbDpT10_ENKUlT_T0_E_clISt17integral_constantIbLb1EES1A_EEDaS15_S16_EUlS15_E_NS1_11comp_targetILNS1_3genE2ELNS1_11target_archE906ELNS1_3gpuE6ELNS1_3repE0EEENS1_30default_config_static_selectorELNS0_4arch9wavefront6targetE0EEEvT1_
	.p2align	8
	.type	_ZN7rocprim17ROCPRIM_400000_NS6detail17trampoline_kernelINS0_14default_configENS1_25partition_config_selectorILNS1_17partition_subalgoE5E10large_dataNS0_10empty_typeEbEEZZNS1_14partition_implILS5_5ELb0ES3_mN6thrust23THRUST_200600_302600_NS6detail15normal_iteratorINSB_10device_ptrIS6_EEEEPS7_NSB_18transform_iteratorI5mod_3IS6_ESG_NSB_11use_defaultESL_EENS0_5tupleIJSG_S7_EEENSN_IJSH_SH_EEES7_PlJS7_EEE10hipError_tPvRmT3_T4_T5_T6_T7_T9_mT8_P12ihipStream_tbDpT10_ENKUlT_T0_E_clISt17integral_constantIbLb1EES1A_EEDaS15_S16_EUlS15_E_NS1_11comp_targetILNS1_3genE2ELNS1_11target_archE906ELNS1_3gpuE6ELNS1_3repE0EEENS1_30default_config_static_selectorELNS0_4arch9wavefront6targetE0EEEvT1_,@function
_ZN7rocprim17ROCPRIM_400000_NS6detail17trampoline_kernelINS0_14default_configENS1_25partition_config_selectorILNS1_17partition_subalgoE5E10large_dataNS0_10empty_typeEbEEZZNS1_14partition_implILS5_5ELb0ES3_mN6thrust23THRUST_200600_302600_NS6detail15normal_iteratorINSB_10device_ptrIS6_EEEEPS7_NSB_18transform_iteratorI5mod_3IS6_ESG_NSB_11use_defaultESL_EENS0_5tupleIJSG_S7_EEENSN_IJSH_SH_EEES7_PlJS7_EEE10hipError_tPvRmT3_T4_T5_T6_T7_T9_mT8_P12ihipStream_tbDpT10_ENKUlT_T0_E_clISt17integral_constantIbLb1EES1A_EEDaS15_S16_EUlS15_E_NS1_11comp_targetILNS1_3genE2ELNS1_11target_archE906ELNS1_3gpuE6ELNS1_3repE0EEENS1_30default_config_static_selectorELNS0_4arch9wavefront6targetE0EEEvT1_: ; @_ZN7rocprim17ROCPRIM_400000_NS6detail17trampoline_kernelINS0_14default_configENS1_25partition_config_selectorILNS1_17partition_subalgoE5E10large_dataNS0_10empty_typeEbEEZZNS1_14partition_implILS5_5ELb0ES3_mN6thrust23THRUST_200600_302600_NS6detail15normal_iteratorINSB_10device_ptrIS6_EEEEPS7_NSB_18transform_iteratorI5mod_3IS6_ESG_NSB_11use_defaultESL_EENS0_5tupleIJSG_S7_EEENSN_IJSH_SH_EEES7_PlJS7_EEE10hipError_tPvRmT3_T4_T5_T6_T7_T9_mT8_P12ihipStream_tbDpT10_ENKUlT_T0_E_clISt17integral_constantIbLb1EES1A_EEDaS15_S16_EUlS15_E_NS1_11comp_targetILNS1_3genE2ELNS1_11target_archE906ELNS1_3gpuE6ELNS1_3repE0EEENS1_30default_config_static_selectorELNS0_4arch9wavefront6targetE0EEEvT1_
; %bb.0:
	.section	.rodata,"a",@progbits
	.p2align	6, 0x0
	.amdhsa_kernel _ZN7rocprim17ROCPRIM_400000_NS6detail17trampoline_kernelINS0_14default_configENS1_25partition_config_selectorILNS1_17partition_subalgoE5E10large_dataNS0_10empty_typeEbEEZZNS1_14partition_implILS5_5ELb0ES3_mN6thrust23THRUST_200600_302600_NS6detail15normal_iteratorINSB_10device_ptrIS6_EEEEPS7_NSB_18transform_iteratorI5mod_3IS6_ESG_NSB_11use_defaultESL_EENS0_5tupleIJSG_S7_EEENSN_IJSH_SH_EEES7_PlJS7_EEE10hipError_tPvRmT3_T4_T5_T6_T7_T9_mT8_P12ihipStream_tbDpT10_ENKUlT_T0_E_clISt17integral_constantIbLb1EES1A_EEDaS15_S16_EUlS15_E_NS1_11comp_targetILNS1_3genE2ELNS1_11target_archE906ELNS1_3gpuE6ELNS1_3repE0EEENS1_30default_config_static_selectorELNS0_4arch9wavefront6targetE0EEEvT1_
		.amdhsa_group_segment_fixed_size 0
		.amdhsa_private_segment_fixed_size 0
		.amdhsa_kernarg_size 136
		.amdhsa_user_sgpr_count 15
		.amdhsa_user_sgpr_dispatch_ptr 0
		.amdhsa_user_sgpr_queue_ptr 0
		.amdhsa_user_sgpr_kernarg_segment_ptr 1
		.amdhsa_user_sgpr_dispatch_id 0
		.amdhsa_user_sgpr_private_segment_size 0
		.amdhsa_wavefront_size32 1
		.amdhsa_uses_dynamic_stack 0
		.amdhsa_enable_private_segment 0
		.amdhsa_system_sgpr_workgroup_id_x 1
		.amdhsa_system_sgpr_workgroup_id_y 0
		.amdhsa_system_sgpr_workgroup_id_z 0
		.amdhsa_system_sgpr_workgroup_info 0
		.amdhsa_system_vgpr_workitem_id 0
		.amdhsa_next_free_vgpr 1
		.amdhsa_next_free_sgpr 1
		.amdhsa_reserve_vcc 0
		.amdhsa_float_round_mode_32 0
		.amdhsa_float_round_mode_16_64 0
		.amdhsa_float_denorm_mode_32 3
		.amdhsa_float_denorm_mode_16_64 3
		.amdhsa_dx10_clamp 1
		.amdhsa_ieee_mode 1
		.amdhsa_fp16_overflow 0
		.amdhsa_workgroup_processor_mode 1
		.amdhsa_memory_ordered 1
		.amdhsa_forward_progress 0
		.amdhsa_shared_vgpr_count 0
		.amdhsa_exception_fp_ieee_invalid_op 0
		.amdhsa_exception_fp_denorm_src 0
		.amdhsa_exception_fp_ieee_div_zero 0
		.amdhsa_exception_fp_ieee_overflow 0
		.amdhsa_exception_fp_ieee_underflow 0
		.amdhsa_exception_fp_ieee_inexact 0
		.amdhsa_exception_int_div_zero 0
	.end_amdhsa_kernel
	.section	.text._ZN7rocprim17ROCPRIM_400000_NS6detail17trampoline_kernelINS0_14default_configENS1_25partition_config_selectorILNS1_17partition_subalgoE5E10large_dataNS0_10empty_typeEbEEZZNS1_14partition_implILS5_5ELb0ES3_mN6thrust23THRUST_200600_302600_NS6detail15normal_iteratorINSB_10device_ptrIS6_EEEEPS7_NSB_18transform_iteratorI5mod_3IS6_ESG_NSB_11use_defaultESL_EENS0_5tupleIJSG_S7_EEENSN_IJSH_SH_EEES7_PlJS7_EEE10hipError_tPvRmT3_T4_T5_T6_T7_T9_mT8_P12ihipStream_tbDpT10_ENKUlT_T0_E_clISt17integral_constantIbLb1EES1A_EEDaS15_S16_EUlS15_E_NS1_11comp_targetILNS1_3genE2ELNS1_11target_archE906ELNS1_3gpuE6ELNS1_3repE0EEENS1_30default_config_static_selectorELNS0_4arch9wavefront6targetE0EEEvT1_,"axG",@progbits,_ZN7rocprim17ROCPRIM_400000_NS6detail17trampoline_kernelINS0_14default_configENS1_25partition_config_selectorILNS1_17partition_subalgoE5E10large_dataNS0_10empty_typeEbEEZZNS1_14partition_implILS5_5ELb0ES3_mN6thrust23THRUST_200600_302600_NS6detail15normal_iteratorINSB_10device_ptrIS6_EEEEPS7_NSB_18transform_iteratorI5mod_3IS6_ESG_NSB_11use_defaultESL_EENS0_5tupleIJSG_S7_EEENSN_IJSH_SH_EEES7_PlJS7_EEE10hipError_tPvRmT3_T4_T5_T6_T7_T9_mT8_P12ihipStream_tbDpT10_ENKUlT_T0_E_clISt17integral_constantIbLb1EES1A_EEDaS15_S16_EUlS15_E_NS1_11comp_targetILNS1_3genE2ELNS1_11target_archE906ELNS1_3gpuE6ELNS1_3repE0EEENS1_30default_config_static_selectorELNS0_4arch9wavefront6targetE0EEEvT1_,comdat
.Lfunc_end699:
	.size	_ZN7rocprim17ROCPRIM_400000_NS6detail17trampoline_kernelINS0_14default_configENS1_25partition_config_selectorILNS1_17partition_subalgoE5E10large_dataNS0_10empty_typeEbEEZZNS1_14partition_implILS5_5ELb0ES3_mN6thrust23THRUST_200600_302600_NS6detail15normal_iteratorINSB_10device_ptrIS6_EEEEPS7_NSB_18transform_iteratorI5mod_3IS6_ESG_NSB_11use_defaultESL_EENS0_5tupleIJSG_S7_EEENSN_IJSH_SH_EEES7_PlJS7_EEE10hipError_tPvRmT3_T4_T5_T6_T7_T9_mT8_P12ihipStream_tbDpT10_ENKUlT_T0_E_clISt17integral_constantIbLb1EES1A_EEDaS15_S16_EUlS15_E_NS1_11comp_targetILNS1_3genE2ELNS1_11target_archE906ELNS1_3gpuE6ELNS1_3repE0EEENS1_30default_config_static_selectorELNS0_4arch9wavefront6targetE0EEEvT1_, .Lfunc_end699-_ZN7rocprim17ROCPRIM_400000_NS6detail17trampoline_kernelINS0_14default_configENS1_25partition_config_selectorILNS1_17partition_subalgoE5E10large_dataNS0_10empty_typeEbEEZZNS1_14partition_implILS5_5ELb0ES3_mN6thrust23THRUST_200600_302600_NS6detail15normal_iteratorINSB_10device_ptrIS6_EEEEPS7_NSB_18transform_iteratorI5mod_3IS6_ESG_NSB_11use_defaultESL_EENS0_5tupleIJSG_S7_EEENSN_IJSH_SH_EEES7_PlJS7_EEE10hipError_tPvRmT3_T4_T5_T6_T7_T9_mT8_P12ihipStream_tbDpT10_ENKUlT_T0_E_clISt17integral_constantIbLb1EES1A_EEDaS15_S16_EUlS15_E_NS1_11comp_targetILNS1_3genE2ELNS1_11target_archE906ELNS1_3gpuE6ELNS1_3repE0EEENS1_30default_config_static_selectorELNS0_4arch9wavefront6targetE0EEEvT1_
                                        ; -- End function
	.section	.AMDGPU.csdata,"",@progbits
; Kernel info:
; codeLenInByte = 0
; NumSgprs: 0
; NumVgprs: 0
; ScratchSize: 0
; MemoryBound: 0
; FloatMode: 240
; IeeeMode: 1
; LDSByteSize: 0 bytes/workgroup (compile time only)
; SGPRBlocks: 0
; VGPRBlocks: 0
; NumSGPRsForWavesPerEU: 1
; NumVGPRsForWavesPerEU: 1
; Occupancy: 16
; WaveLimiterHint : 0
; COMPUTE_PGM_RSRC2:SCRATCH_EN: 0
; COMPUTE_PGM_RSRC2:USER_SGPR: 15
; COMPUTE_PGM_RSRC2:TRAP_HANDLER: 0
; COMPUTE_PGM_RSRC2:TGID_X_EN: 1
; COMPUTE_PGM_RSRC2:TGID_Y_EN: 0
; COMPUTE_PGM_RSRC2:TGID_Z_EN: 0
; COMPUTE_PGM_RSRC2:TIDIG_COMP_CNT: 0
	.section	.text._ZN7rocprim17ROCPRIM_400000_NS6detail17trampoline_kernelINS0_14default_configENS1_25partition_config_selectorILNS1_17partition_subalgoE5E10large_dataNS0_10empty_typeEbEEZZNS1_14partition_implILS5_5ELb0ES3_mN6thrust23THRUST_200600_302600_NS6detail15normal_iteratorINSB_10device_ptrIS6_EEEEPS7_NSB_18transform_iteratorI5mod_3IS6_ESG_NSB_11use_defaultESL_EENS0_5tupleIJSG_S7_EEENSN_IJSH_SH_EEES7_PlJS7_EEE10hipError_tPvRmT3_T4_T5_T6_T7_T9_mT8_P12ihipStream_tbDpT10_ENKUlT_T0_E_clISt17integral_constantIbLb1EES1A_EEDaS15_S16_EUlS15_E_NS1_11comp_targetILNS1_3genE10ELNS1_11target_archE1200ELNS1_3gpuE4ELNS1_3repE0EEENS1_30default_config_static_selectorELNS0_4arch9wavefront6targetE0EEEvT1_,"axG",@progbits,_ZN7rocprim17ROCPRIM_400000_NS6detail17trampoline_kernelINS0_14default_configENS1_25partition_config_selectorILNS1_17partition_subalgoE5E10large_dataNS0_10empty_typeEbEEZZNS1_14partition_implILS5_5ELb0ES3_mN6thrust23THRUST_200600_302600_NS6detail15normal_iteratorINSB_10device_ptrIS6_EEEEPS7_NSB_18transform_iteratorI5mod_3IS6_ESG_NSB_11use_defaultESL_EENS0_5tupleIJSG_S7_EEENSN_IJSH_SH_EEES7_PlJS7_EEE10hipError_tPvRmT3_T4_T5_T6_T7_T9_mT8_P12ihipStream_tbDpT10_ENKUlT_T0_E_clISt17integral_constantIbLb1EES1A_EEDaS15_S16_EUlS15_E_NS1_11comp_targetILNS1_3genE10ELNS1_11target_archE1200ELNS1_3gpuE4ELNS1_3repE0EEENS1_30default_config_static_selectorELNS0_4arch9wavefront6targetE0EEEvT1_,comdat
	.protected	_ZN7rocprim17ROCPRIM_400000_NS6detail17trampoline_kernelINS0_14default_configENS1_25partition_config_selectorILNS1_17partition_subalgoE5E10large_dataNS0_10empty_typeEbEEZZNS1_14partition_implILS5_5ELb0ES3_mN6thrust23THRUST_200600_302600_NS6detail15normal_iteratorINSB_10device_ptrIS6_EEEEPS7_NSB_18transform_iteratorI5mod_3IS6_ESG_NSB_11use_defaultESL_EENS0_5tupleIJSG_S7_EEENSN_IJSH_SH_EEES7_PlJS7_EEE10hipError_tPvRmT3_T4_T5_T6_T7_T9_mT8_P12ihipStream_tbDpT10_ENKUlT_T0_E_clISt17integral_constantIbLb1EES1A_EEDaS15_S16_EUlS15_E_NS1_11comp_targetILNS1_3genE10ELNS1_11target_archE1200ELNS1_3gpuE4ELNS1_3repE0EEENS1_30default_config_static_selectorELNS0_4arch9wavefront6targetE0EEEvT1_ ; -- Begin function _ZN7rocprim17ROCPRIM_400000_NS6detail17trampoline_kernelINS0_14default_configENS1_25partition_config_selectorILNS1_17partition_subalgoE5E10large_dataNS0_10empty_typeEbEEZZNS1_14partition_implILS5_5ELb0ES3_mN6thrust23THRUST_200600_302600_NS6detail15normal_iteratorINSB_10device_ptrIS6_EEEEPS7_NSB_18transform_iteratorI5mod_3IS6_ESG_NSB_11use_defaultESL_EENS0_5tupleIJSG_S7_EEENSN_IJSH_SH_EEES7_PlJS7_EEE10hipError_tPvRmT3_T4_T5_T6_T7_T9_mT8_P12ihipStream_tbDpT10_ENKUlT_T0_E_clISt17integral_constantIbLb1EES1A_EEDaS15_S16_EUlS15_E_NS1_11comp_targetILNS1_3genE10ELNS1_11target_archE1200ELNS1_3gpuE4ELNS1_3repE0EEENS1_30default_config_static_selectorELNS0_4arch9wavefront6targetE0EEEvT1_
	.globl	_ZN7rocprim17ROCPRIM_400000_NS6detail17trampoline_kernelINS0_14default_configENS1_25partition_config_selectorILNS1_17partition_subalgoE5E10large_dataNS0_10empty_typeEbEEZZNS1_14partition_implILS5_5ELb0ES3_mN6thrust23THRUST_200600_302600_NS6detail15normal_iteratorINSB_10device_ptrIS6_EEEEPS7_NSB_18transform_iteratorI5mod_3IS6_ESG_NSB_11use_defaultESL_EENS0_5tupleIJSG_S7_EEENSN_IJSH_SH_EEES7_PlJS7_EEE10hipError_tPvRmT3_T4_T5_T6_T7_T9_mT8_P12ihipStream_tbDpT10_ENKUlT_T0_E_clISt17integral_constantIbLb1EES1A_EEDaS15_S16_EUlS15_E_NS1_11comp_targetILNS1_3genE10ELNS1_11target_archE1200ELNS1_3gpuE4ELNS1_3repE0EEENS1_30default_config_static_selectorELNS0_4arch9wavefront6targetE0EEEvT1_
	.p2align	8
	.type	_ZN7rocprim17ROCPRIM_400000_NS6detail17trampoline_kernelINS0_14default_configENS1_25partition_config_selectorILNS1_17partition_subalgoE5E10large_dataNS0_10empty_typeEbEEZZNS1_14partition_implILS5_5ELb0ES3_mN6thrust23THRUST_200600_302600_NS6detail15normal_iteratorINSB_10device_ptrIS6_EEEEPS7_NSB_18transform_iteratorI5mod_3IS6_ESG_NSB_11use_defaultESL_EENS0_5tupleIJSG_S7_EEENSN_IJSH_SH_EEES7_PlJS7_EEE10hipError_tPvRmT3_T4_T5_T6_T7_T9_mT8_P12ihipStream_tbDpT10_ENKUlT_T0_E_clISt17integral_constantIbLb1EES1A_EEDaS15_S16_EUlS15_E_NS1_11comp_targetILNS1_3genE10ELNS1_11target_archE1200ELNS1_3gpuE4ELNS1_3repE0EEENS1_30default_config_static_selectorELNS0_4arch9wavefront6targetE0EEEvT1_,@function
_ZN7rocprim17ROCPRIM_400000_NS6detail17trampoline_kernelINS0_14default_configENS1_25partition_config_selectorILNS1_17partition_subalgoE5E10large_dataNS0_10empty_typeEbEEZZNS1_14partition_implILS5_5ELb0ES3_mN6thrust23THRUST_200600_302600_NS6detail15normal_iteratorINSB_10device_ptrIS6_EEEEPS7_NSB_18transform_iteratorI5mod_3IS6_ESG_NSB_11use_defaultESL_EENS0_5tupleIJSG_S7_EEENSN_IJSH_SH_EEES7_PlJS7_EEE10hipError_tPvRmT3_T4_T5_T6_T7_T9_mT8_P12ihipStream_tbDpT10_ENKUlT_T0_E_clISt17integral_constantIbLb1EES1A_EEDaS15_S16_EUlS15_E_NS1_11comp_targetILNS1_3genE10ELNS1_11target_archE1200ELNS1_3gpuE4ELNS1_3repE0EEENS1_30default_config_static_selectorELNS0_4arch9wavefront6targetE0EEEvT1_: ; @_ZN7rocprim17ROCPRIM_400000_NS6detail17trampoline_kernelINS0_14default_configENS1_25partition_config_selectorILNS1_17partition_subalgoE5E10large_dataNS0_10empty_typeEbEEZZNS1_14partition_implILS5_5ELb0ES3_mN6thrust23THRUST_200600_302600_NS6detail15normal_iteratorINSB_10device_ptrIS6_EEEEPS7_NSB_18transform_iteratorI5mod_3IS6_ESG_NSB_11use_defaultESL_EENS0_5tupleIJSG_S7_EEENSN_IJSH_SH_EEES7_PlJS7_EEE10hipError_tPvRmT3_T4_T5_T6_T7_T9_mT8_P12ihipStream_tbDpT10_ENKUlT_T0_E_clISt17integral_constantIbLb1EES1A_EEDaS15_S16_EUlS15_E_NS1_11comp_targetILNS1_3genE10ELNS1_11target_archE1200ELNS1_3gpuE4ELNS1_3repE0EEENS1_30default_config_static_selectorELNS0_4arch9wavefront6targetE0EEEvT1_
; %bb.0:
	.section	.rodata,"a",@progbits
	.p2align	6, 0x0
	.amdhsa_kernel _ZN7rocprim17ROCPRIM_400000_NS6detail17trampoline_kernelINS0_14default_configENS1_25partition_config_selectorILNS1_17partition_subalgoE5E10large_dataNS0_10empty_typeEbEEZZNS1_14partition_implILS5_5ELb0ES3_mN6thrust23THRUST_200600_302600_NS6detail15normal_iteratorINSB_10device_ptrIS6_EEEEPS7_NSB_18transform_iteratorI5mod_3IS6_ESG_NSB_11use_defaultESL_EENS0_5tupleIJSG_S7_EEENSN_IJSH_SH_EEES7_PlJS7_EEE10hipError_tPvRmT3_T4_T5_T6_T7_T9_mT8_P12ihipStream_tbDpT10_ENKUlT_T0_E_clISt17integral_constantIbLb1EES1A_EEDaS15_S16_EUlS15_E_NS1_11comp_targetILNS1_3genE10ELNS1_11target_archE1200ELNS1_3gpuE4ELNS1_3repE0EEENS1_30default_config_static_selectorELNS0_4arch9wavefront6targetE0EEEvT1_
		.amdhsa_group_segment_fixed_size 0
		.amdhsa_private_segment_fixed_size 0
		.amdhsa_kernarg_size 136
		.amdhsa_user_sgpr_count 15
		.amdhsa_user_sgpr_dispatch_ptr 0
		.amdhsa_user_sgpr_queue_ptr 0
		.amdhsa_user_sgpr_kernarg_segment_ptr 1
		.amdhsa_user_sgpr_dispatch_id 0
		.amdhsa_user_sgpr_private_segment_size 0
		.amdhsa_wavefront_size32 1
		.amdhsa_uses_dynamic_stack 0
		.amdhsa_enable_private_segment 0
		.amdhsa_system_sgpr_workgroup_id_x 1
		.amdhsa_system_sgpr_workgroup_id_y 0
		.amdhsa_system_sgpr_workgroup_id_z 0
		.amdhsa_system_sgpr_workgroup_info 0
		.amdhsa_system_vgpr_workitem_id 0
		.amdhsa_next_free_vgpr 1
		.amdhsa_next_free_sgpr 1
		.amdhsa_reserve_vcc 0
		.amdhsa_float_round_mode_32 0
		.amdhsa_float_round_mode_16_64 0
		.amdhsa_float_denorm_mode_32 3
		.amdhsa_float_denorm_mode_16_64 3
		.amdhsa_dx10_clamp 1
		.amdhsa_ieee_mode 1
		.amdhsa_fp16_overflow 0
		.amdhsa_workgroup_processor_mode 1
		.amdhsa_memory_ordered 1
		.amdhsa_forward_progress 0
		.amdhsa_shared_vgpr_count 0
		.amdhsa_exception_fp_ieee_invalid_op 0
		.amdhsa_exception_fp_denorm_src 0
		.amdhsa_exception_fp_ieee_div_zero 0
		.amdhsa_exception_fp_ieee_overflow 0
		.amdhsa_exception_fp_ieee_underflow 0
		.amdhsa_exception_fp_ieee_inexact 0
		.amdhsa_exception_int_div_zero 0
	.end_amdhsa_kernel
	.section	.text._ZN7rocprim17ROCPRIM_400000_NS6detail17trampoline_kernelINS0_14default_configENS1_25partition_config_selectorILNS1_17partition_subalgoE5E10large_dataNS0_10empty_typeEbEEZZNS1_14partition_implILS5_5ELb0ES3_mN6thrust23THRUST_200600_302600_NS6detail15normal_iteratorINSB_10device_ptrIS6_EEEEPS7_NSB_18transform_iteratorI5mod_3IS6_ESG_NSB_11use_defaultESL_EENS0_5tupleIJSG_S7_EEENSN_IJSH_SH_EEES7_PlJS7_EEE10hipError_tPvRmT3_T4_T5_T6_T7_T9_mT8_P12ihipStream_tbDpT10_ENKUlT_T0_E_clISt17integral_constantIbLb1EES1A_EEDaS15_S16_EUlS15_E_NS1_11comp_targetILNS1_3genE10ELNS1_11target_archE1200ELNS1_3gpuE4ELNS1_3repE0EEENS1_30default_config_static_selectorELNS0_4arch9wavefront6targetE0EEEvT1_,"axG",@progbits,_ZN7rocprim17ROCPRIM_400000_NS6detail17trampoline_kernelINS0_14default_configENS1_25partition_config_selectorILNS1_17partition_subalgoE5E10large_dataNS0_10empty_typeEbEEZZNS1_14partition_implILS5_5ELb0ES3_mN6thrust23THRUST_200600_302600_NS6detail15normal_iteratorINSB_10device_ptrIS6_EEEEPS7_NSB_18transform_iteratorI5mod_3IS6_ESG_NSB_11use_defaultESL_EENS0_5tupleIJSG_S7_EEENSN_IJSH_SH_EEES7_PlJS7_EEE10hipError_tPvRmT3_T4_T5_T6_T7_T9_mT8_P12ihipStream_tbDpT10_ENKUlT_T0_E_clISt17integral_constantIbLb1EES1A_EEDaS15_S16_EUlS15_E_NS1_11comp_targetILNS1_3genE10ELNS1_11target_archE1200ELNS1_3gpuE4ELNS1_3repE0EEENS1_30default_config_static_selectorELNS0_4arch9wavefront6targetE0EEEvT1_,comdat
.Lfunc_end700:
	.size	_ZN7rocprim17ROCPRIM_400000_NS6detail17trampoline_kernelINS0_14default_configENS1_25partition_config_selectorILNS1_17partition_subalgoE5E10large_dataNS0_10empty_typeEbEEZZNS1_14partition_implILS5_5ELb0ES3_mN6thrust23THRUST_200600_302600_NS6detail15normal_iteratorINSB_10device_ptrIS6_EEEEPS7_NSB_18transform_iteratorI5mod_3IS6_ESG_NSB_11use_defaultESL_EENS0_5tupleIJSG_S7_EEENSN_IJSH_SH_EEES7_PlJS7_EEE10hipError_tPvRmT3_T4_T5_T6_T7_T9_mT8_P12ihipStream_tbDpT10_ENKUlT_T0_E_clISt17integral_constantIbLb1EES1A_EEDaS15_S16_EUlS15_E_NS1_11comp_targetILNS1_3genE10ELNS1_11target_archE1200ELNS1_3gpuE4ELNS1_3repE0EEENS1_30default_config_static_selectorELNS0_4arch9wavefront6targetE0EEEvT1_, .Lfunc_end700-_ZN7rocprim17ROCPRIM_400000_NS6detail17trampoline_kernelINS0_14default_configENS1_25partition_config_selectorILNS1_17partition_subalgoE5E10large_dataNS0_10empty_typeEbEEZZNS1_14partition_implILS5_5ELb0ES3_mN6thrust23THRUST_200600_302600_NS6detail15normal_iteratorINSB_10device_ptrIS6_EEEEPS7_NSB_18transform_iteratorI5mod_3IS6_ESG_NSB_11use_defaultESL_EENS0_5tupleIJSG_S7_EEENSN_IJSH_SH_EEES7_PlJS7_EEE10hipError_tPvRmT3_T4_T5_T6_T7_T9_mT8_P12ihipStream_tbDpT10_ENKUlT_T0_E_clISt17integral_constantIbLb1EES1A_EEDaS15_S16_EUlS15_E_NS1_11comp_targetILNS1_3genE10ELNS1_11target_archE1200ELNS1_3gpuE4ELNS1_3repE0EEENS1_30default_config_static_selectorELNS0_4arch9wavefront6targetE0EEEvT1_
                                        ; -- End function
	.section	.AMDGPU.csdata,"",@progbits
; Kernel info:
; codeLenInByte = 0
; NumSgprs: 0
; NumVgprs: 0
; ScratchSize: 0
; MemoryBound: 0
; FloatMode: 240
; IeeeMode: 1
; LDSByteSize: 0 bytes/workgroup (compile time only)
; SGPRBlocks: 0
; VGPRBlocks: 0
; NumSGPRsForWavesPerEU: 1
; NumVGPRsForWavesPerEU: 1
; Occupancy: 16
; WaveLimiterHint : 0
; COMPUTE_PGM_RSRC2:SCRATCH_EN: 0
; COMPUTE_PGM_RSRC2:USER_SGPR: 15
; COMPUTE_PGM_RSRC2:TRAP_HANDLER: 0
; COMPUTE_PGM_RSRC2:TGID_X_EN: 1
; COMPUTE_PGM_RSRC2:TGID_Y_EN: 0
; COMPUTE_PGM_RSRC2:TGID_Z_EN: 0
; COMPUTE_PGM_RSRC2:TIDIG_COMP_CNT: 0
	.section	.text._ZN7rocprim17ROCPRIM_400000_NS6detail17trampoline_kernelINS0_14default_configENS1_25partition_config_selectorILNS1_17partition_subalgoE5E10large_dataNS0_10empty_typeEbEEZZNS1_14partition_implILS5_5ELb0ES3_mN6thrust23THRUST_200600_302600_NS6detail15normal_iteratorINSB_10device_ptrIS6_EEEEPS7_NSB_18transform_iteratorI5mod_3IS6_ESG_NSB_11use_defaultESL_EENS0_5tupleIJSG_S7_EEENSN_IJSH_SH_EEES7_PlJS7_EEE10hipError_tPvRmT3_T4_T5_T6_T7_T9_mT8_P12ihipStream_tbDpT10_ENKUlT_T0_E_clISt17integral_constantIbLb1EES1A_EEDaS15_S16_EUlS15_E_NS1_11comp_targetILNS1_3genE9ELNS1_11target_archE1100ELNS1_3gpuE3ELNS1_3repE0EEENS1_30default_config_static_selectorELNS0_4arch9wavefront6targetE0EEEvT1_,"axG",@progbits,_ZN7rocprim17ROCPRIM_400000_NS6detail17trampoline_kernelINS0_14default_configENS1_25partition_config_selectorILNS1_17partition_subalgoE5E10large_dataNS0_10empty_typeEbEEZZNS1_14partition_implILS5_5ELb0ES3_mN6thrust23THRUST_200600_302600_NS6detail15normal_iteratorINSB_10device_ptrIS6_EEEEPS7_NSB_18transform_iteratorI5mod_3IS6_ESG_NSB_11use_defaultESL_EENS0_5tupleIJSG_S7_EEENSN_IJSH_SH_EEES7_PlJS7_EEE10hipError_tPvRmT3_T4_T5_T6_T7_T9_mT8_P12ihipStream_tbDpT10_ENKUlT_T0_E_clISt17integral_constantIbLb1EES1A_EEDaS15_S16_EUlS15_E_NS1_11comp_targetILNS1_3genE9ELNS1_11target_archE1100ELNS1_3gpuE3ELNS1_3repE0EEENS1_30default_config_static_selectorELNS0_4arch9wavefront6targetE0EEEvT1_,comdat
	.protected	_ZN7rocprim17ROCPRIM_400000_NS6detail17trampoline_kernelINS0_14default_configENS1_25partition_config_selectorILNS1_17partition_subalgoE5E10large_dataNS0_10empty_typeEbEEZZNS1_14partition_implILS5_5ELb0ES3_mN6thrust23THRUST_200600_302600_NS6detail15normal_iteratorINSB_10device_ptrIS6_EEEEPS7_NSB_18transform_iteratorI5mod_3IS6_ESG_NSB_11use_defaultESL_EENS0_5tupleIJSG_S7_EEENSN_IJSH_SH_EEES7_PlJS7_EEE10hipError_tPvRmT3_T4_T5_T6_T7_T9_mT8_P12ihipStream_tbDpT10_ENKUlT_T0_E_clISt17integral_constantIbLb1EES1A_EEDaS15_S16_EUlS15_E_NS1_11comp_targetILNS1_3genE9ELNS1_11target_archE1100ELNS1_3gpuE3ELNS1_3repE0EEENS1_30default_config_static_selectorELNS0_4arch9wavefront6targetE0EEEvT1_ ; -- Begin function _ZN7rocprim17ROCPRIM_400000_NS6detail17trampoline_kernelINS0_14default_configENS1_25partition_config_selectorILNS1_17partition_subalgoE5E10large_dataNS0_10empty_typeEbEEZZNS1_14partition_implILS5_5ELb0ES3_mN6thrust23THRUST_200600_302600_NS6detail15normal_iteratorINSB_10device_ptrIS6_EEEEPS7_NSB_18transform_iteratorI5mod_3IS6_ESG_NSB_11use_defaultESL_EENS0_5tupleIJSG_S7_EEENSN_IJSH_SH_EEES7_PlJS7_EEE10hipError_tPvRmT3_T4_T5_T6_T7_T9_mT8_P12ihipStream_tbDpT10_ENKUlT_T0_E_clISt17integral_constantIbLb1EES1A_EEDaS15_S16_EUlS15_E_NS1_11comp_targetILNS1_3genE9ELNS1_11target_archE1100ELNS1_3gpuE3ELNS1_3repE0EEENS1_30default_config_static_selectorELNS0_4arch9wavefront6targetE0EEEvT1_
	.globl	_ZN7rocprim17ROCPRIM_400000_NS6detail17trampoline_kernelINS0_14default_configENS1_25partition_config_selectorILNS1_17partition_subalgoE5E10large_dataNS0_10empty_typeEbEEZZNS1_14partition_implILS5_5ELb0ES3_mN6thrust23THRUST_200600_302600_NS6detail15normal_iteratorINSB_10device_ptrIS6_EEEEPS7_NSB_18transform_iteratorI5mod_3IS6_ESG_NSB_11use_defaultESL_EENS0_5tupleIJSG_S7_EEENSN_IJSH_SH_EEES7_PlJS7_EEE10hipError_tPvRmT3_T4_T5_T6_T7_T9_mT8_P12ihipStream_tbDpT10_ENKUlT_T0_E_clISt17integral_constantIbLb1EES1A_EEDaS15_S16_EUlS15_E_NS1_11comp_targetILNS1_3genE9ELNS1_11target_archE1100ELNS1_3gpuE3ELNS1_3repE0EEENS1_30default_config_static_selectorELNS0_4arch9wavefront6targetE0EEEvT1_
	.p2align	8
	.type	_ZN7rocprim17ROCPRIM_400000_NS6detail17trampoline_kernelINS0_14default_configENS1_25partition_config_selectorILNS1_17partition_subalgoE5E10large_dataNS0_10empty_typeEbEEZZNS1_14partition_implILS5_5ELb0ES3_mN6thrust23THRUST_200600_302600_NS6detail15normal_iteratorINSB_10device_ptrIS6_EEEEPS7_NSB_18transform_iteratorI5mod_3IS6_ESG_NSB_11use_defaultESL_EENS0_5tupleIJSG_S7_EEENSN_IJSH_SH_EEES7_PlJS7_EEE10hipError_tPvRmT3_T4_T5_T6_T7_T9_mT8_P12ihipStream_tbDpT10_ENKUlT_T0_E_clISt17integral_constantIbLb1EES1A_EEDaS15_S16_EUlS15_E_NS1_11comp_targetILNS1_3genE9ELNS1_11target_archE1100ELNS1_3gpuE3ELNS1_3repE0EEENS1_30default_config_static_selectorELNS0_4arch9wavefront6targetE0EEEvT1_,@function
_ZN7rocprim17ROCPRIM_400000_NS6detail17trampoline_kernelINS0_14default_configENS1_25partition_config_selectorILNS1_17partition_subalgoE5E10large_dataNS0_10empty_typeEbEEZZNS1_14partition_implILS5_5ELb0ES3_mN6thrust23THRUST_200600_302600_NS6detail15normal_iteratorINSB_10device_ptrIS6_EEEEPS7_NSB_18transform_iteratorI5mod_3IS6_ESG_NSB_11use_defaultESL_EENS0_5tupleIJSG_S7_EEENSN_IJSH_SH_EEES7_PlJS7_EEE10hipError_tPvRmT3_T4_T5_T6_T7_T9_mT8_P12ihipStream_tbDpT10_ENKUlT_T0_E_clISt17integral_constantIbLb1EES1A_EEDaS15_S16_EUlS15_E_NS1_11comp_targetILNS1_3genE9ELNS1_11target_archE1100ELNS1_3gpuE3ELNS1_3repE0EEENS1_30default_config_static_selectorELNS0_4arch9wavefront6targetE0EEEvT1_: ; @_ZN7rocprim17ROCPRIM_400000_NS6detail17trampoline_kernelINS0_14default_configENS1_25partition_config_selectorILNS1_17partition_subalgoE5E10large_dataNS0_10empty_typeEbEEZZNS1_14partition_implILS5_5ELb0ES3_mN6thrust23THRUST_200600_302600_NS6detail15normal_iteratorINSB_10device_ptrIS6_EEEEPS7_NSB_18transform_iteratorI5mod_3IS6_ESG_NSB_11use_defaultESL_EENS0_5tupleIJSG_S7_EEENSN_IJSH_SH_EEES7_PlJS7_EEE10hipError_tPvRmT3_T4_T5_T6_T7_T9_mT8_P12ihipStream_tbDpT10_ENKUlT_T0_E_clISt17integral_constantIbLb1EES1A_EEDaS15_S16_EUlS15_E_NS1_11comp_targetILNS1_3genE9ELNS1_11target_archE1100ELNS1_3gpuE3ELNS1_3repE0EEENS1_30default_config_static_selectorELNS0_4arch9wavefront6targetE0EEEvT1_
; %bb.0:
	s_mov_b32 s2, s15
	s_clause 0x6
	s_load_b128 s[8:11], s[0:1], 0x0
	s_load_b64 s[20:21], s[0:1], 0x10
	s_load_b64 s[16:17], s[0:1], 0x20
	;; [unrolled: 1-line block ×4, first 2 shown]
	s_load_b128 s[4:7], s[0:1], 0x48
	s_load_b64 s[14:15], s[0:1], 0x68
	s_mov_b32 s3, 0
	s_delay_alu instid0(SALU_CYCLE_1) | instskip(SKIP_4) | instid1(VALU_DEP_1)
	s_lshl_b64 s[22:23], s[2:3], 18
	v_cmp_eq_u32_e64 s2, 0, v0
	s_waitcnt lgkmcnt(0)
	s_add_u32 s8, s8, s22
	s_addc_u32 s9, s9, s23
	s_and_saveexec_b32 s3, s2
	s_cbranch_execz .LBB701_4
; %bb.1:
	s_mov_b32 s23, exec_lo
	s_mov_b32 s22, exec_lo
	v_mbcnt_lo_u32_b32 v1, s23, 0
                                        ; implicit-def: $vgpr2
	s_delay_alu instid0(VALU_DEP_1)
	v_cmpx_eq_u32_e32 0, v1
	s_cbranch_execz .LBB701_3
; %bb.2:
	s_load_b64 s[24:25], s[0:1], 0x78
	s_bcnt1_i32_b32 s23, s23
	s_delay_alu instid0(SALU_CYCLE_1)
	v_dual_mov_b32 v2, 0 :: v_dual_mov_b32 v3, s23
	s_waitcnt lgkmcnt(0)
	global_atomic_add_u32 v2, v2, v3, s[24:25] glc
.LBB701_3:
	s_or_b32 exec_lo, exec_lo, s22
	s_waitcnt vmcnt(0)
	v_readfirstlane_b32 s22, v2
	s_delay_alu instid0(VALU_DEP_1)
	v_dual_mov_b32 v2, 0 :: v_dual_add_nc_u32 v1, s22, v1
	global_store_b32 v2, v1, s[8:9]
.LBB701_4:
	s_or_b32 exec_lo, exec_lo, s3
	v_mov_b32_e32 v1, 0
	s_waitcnt_vscnt null, 0x0
	s_barrier
	buffer_gl0_inv
	s_load_b32 s3, s[0:1], 0x70
	global_load_b32 v2, v1, s[8:9]
	s_waitcnt vmcnt(0) lgkmcnt(0)
	s_barrier
	buffer_gl0_inv
	global_load_b64 v[9:10], v1, s[6:7]
	s_lshl_b64 s[0:1], s[20:21], 9
	s_delay_alu instid0(SALU_CYCLE_1) | instskip(SKIP_4) | instid1(SALU_CYCLE_1)
	s_add_u32 s22, s10, s0
	s_addc_u32 s23, s11, s1
	s_add_i32 s10, s3, -1
	s_lshl_b32 s3, s3, 8
	s_lshl_b32 s6, s10, 8
	s_add_i32 s24, s20, s6
	s_add_u32 s6, s20, s3
	s_addc_u32 s7, s21, 0
	s_delay_alu instid0(SALU_CYCLE_1) | instskip(SKIP_3) | instid1(VALU_DEP_1)
	v_cmp_ge_u64_e64 s6, s[6:7], s[18:19]
	s_mov_b32 s19, -1
	s_mov_b32 s7, 0
	v_readfirstlane_b32 s11, v2
	s_cmp_eq_u32 s11, s10
	s_cselect_b32 s3, -1, 0
	s_delay_alu instid0(SALU_CYCLE_1) | instskip(NEXT) | instid1(SALU_CYCLE_1)
	s_and_b32 s6, s6, s3
	s_xor_b32 s10, s6, -1
	s_lshl_b32 s6, s11, 8
	s_and_b32 vcc_lo, exec_lo, s10
	s_cbranch_vccz .LBB701_6
; %bb.5:
	v_lshlrev_b32_e32 v3, 9, v0
	s_lshl_b64 s[20:21], s[6:7], 9
	s_delay_alu instid0(SALU_CYCLE_1) | instskip(SKIP_1) | instid1(VALU_DEP_1)
	s_add_u32 s19, s22, s20
	s_addc_u32 s20, s23, s21
	v_add_co_u32 v1, s19, s19, v3
	s_delay_alu instid0(VALU_DEP_1) | instskip(SKIP_2) | instid1(VALU_DEP_1)
	v_add_co_ci_u32_e64 v2, null, s20, 0, s19
	flat_load_u8 v4, v[1:2]
	v_add_co_u32 v1, s19, s8, v3
	v_add_co_ci_u32_e64 v2, null, s9, 0, s19
	s_mov_b32 s19, 0
	s_waitcnt vmcnt(0) lgkmcnt(0)
	global_store_b8 v3, v4, s[8:9]
	s_waitcnt_vscnt null, 0x0
	s_barrier
	s_branch .LBB701_7
.LBB701_6:
                                        ; implicit-def: $vgpr1_vgpr2
.LBB701_7:
	v_dual_mov_b32 v3, s6 :: v_dual_mov_b32 v4, s7
	s_and_not1_b32 vcc_lo, exec_lo, s19
	s_sub_i32 s18, s18, s24
	s_cbranch_vccnz .LBB701_13
; %bb.8:
	s_mov_b32 s7, exec_lo
	v_cmpx_le_u32_e64 s18, v0
	s_xor_b32 s19, exec_lo, s7
; %bb.9:
	v_mov_b32_e32 v1, 0
	s_mov_b32 s7, 0
; %bb.10:
	s_or_saveexec_b32 s19, s19
	v_dual_mov_b32 v3, s6 :: v_dual_mov_b32 v4, s7
	v_mov_b32_e32 v5, s7
	s_xor_b32 exec_lo, exec_lo, s19
	s_cbranch_execz .LBB701_12
; %bb.11:
	s_mov_b32 s7, 0
	v_lshlrev_b32_e32 v1, 9, v0
	s_lshl_b64 s[20:21], s[6:7], 9
	v_dual_mov_b32 v3, s6 :: v_dual_mov_b32 v4, s7
	s_add_u32 s20, s22, s20
	s_addc_u32 s21, s23, s21
	v_add_co_u32 v1, s20, s20, v1
	s_delay_alu instid0(VALU_DEP_1)
	v_add_co_ci_u32_e64 v2, null, s21, 0, s20
	flat_load_u8 v5, v[1:2]
	v_mov_b32_e32 v1, 0
.LBB701_12:
	s_or_b32 exec_lo, exec_lo, s19
	s_delay_alu instid0(VALU_DEP_1) | instskip(NEXT) | instid1(VALU_DEP_1)
	v_lshlrev_b64 v[1:2], 9, v[0:1]
	v_add_co_u32 v1, vcc_lo, s8, v1
	s_delay_alu instid0(VALU_DEP_2)
	v_add_co_ci_u32_e32 v2, vcc_lo, s9, v2, vcc_lo
	s_waitcnt vmcnt(0) lgkmcnt(0)
	global_store_b8 v[1:2], v5, off
	s_waitcnt_vscnt null, 0x0
	s_barrier
.LBB701_13:
	s_waitcnt vmcnt(0)
	buffer_gl0_inv
	global_load_u8 v19, v[1:2], off
	v_lshlrev_b64 v[1:2], 9, v[3:4]
	s_add_u32 s0, s16, s0
	s_addc_u32 s1, s17, s1
	s_waitcnt vmcnt(0)
	s_barrier
	buffer_gl0_inv
	v_add_co_u32 v3, vcc_lo, s0, v1
	v_add_co_ci_u32_e32 v4, vcc_lo, s1, v2, vcc_lo
	s_and_b32 vcc_lo, exec_lo, s10
	s_cbranch_vccz .LBB701_15
; %bb.14:
	v_lshlrev_b32_e32 v1, 9, v0
	s_delay_alu instid0(VALU_DEP_1) | instskip(SKIP_4) | instid1(VALU_DEP_1)
	v_add_co_u32 v1, vcc_lo, v3, v1
	v_add_co_ci_u32_e32 v2, vcc_lo, 0, v4, vcc_lo
	global_load_i8 v1, v[1:2], off
	s_waitcnt vmcnt(0)
	v_mul_lo_u32 v1, 0xaaaaaaab, v1
	v_cmp_lt_u32_e32 vcc_lo, 0x55555555, v1
	v_add_co_u32 v1, s0, s8, v0
	s_delay_alu instid0(VALU_DEP_1)
	v_add_co_ci_u32_e64 v2, null, s9, 0, s0
	v_cndmask_b32_e64 v5, 0, 1, vcc_lo
	global_store_b8 v0, v5, s[8:9]
	s_waitcnt_vscnt null, 0x0
	s_barrier
	s_cbranch_execz .LBB701_16
	s_branch .LBB701_19
.LBB701_15:
                                        ; implicit-def: $vgpr1_vgpr2
.LBB701_16:
	v_mov_b32_e32 v5, 0
	s_mov_b32 s0, exec_lo
	v_cmpx_gt_u32_e64 s18, v0
	s_cbranch_execz .LBB701_18
; %bb.17:
	v_lshlrev_b32_e32 v1, 9, v0
	s_delay_alu instid0(VALU_DEP_1) | instskip(SKIP_4) | instid1(VALU_DEP_1)
	v_add_co_u32 v1, vcc_lo, v3, v1
	v_add_co_ci_u32_e32 v2, vcc_lo, 0, v4, vcc_lo
	global_load_i8 v1, v[1:2], off
	s_waitcnt vmcnt(0)
	v_mul_lo_u32 v1, 0xaaaaaaab, v1
	v_cmp_lt_u32_e32 vcc_lo, 0x55555555, v1
	v_cndmask_b32_e64 v5, 0, 1, vcc_lo
.LBB701_18:
	s_or_b32 exec_lo, exec_lo, s0
	v_add_co_u32 v1, s0, s8, v0
	s_delay_alu instid0(VALU_DEP_1)
	v_add_co_ci_u32_e64 v2, null, s9, 0, s0
	global_store_b8 v[1:2], v5, off
	s_waitcnt_vscnt null, 0x0
	s_barrier
.LBB701_19:
	buffer_gl0_inv
	global_load_u8 v1, v[1:2], off
	v_mov_b32_e32 v12, 0
	v_mbcnt_lo_u32_b32 v20, -1, 0
	s_cmp_lg_u32 s11, 0
	s_waitcnt vmcnt(0)
	s_barrier
	buffer_gl0_inv
	v_and_b32_e32 v11, 1, v1
	v_and_b32_e32 v21, 0xff, v1
	s_cbranch_scc0 .LBB701_90
; %bb.20:
	v_dual_mov_b32 v2, v12 :: v_dual_and_b32 v7, 0xff, v1
	s_delay_alu instid0(VALU_DEP_3) | instskip(SKIP_2) | instid1(VALU_DEP_4)
	v_mov_b32_e32 v3, v11
	v_dual_mov_b32 v4, v12 :: v_dual_and_b32 v5, 15, v20
	v_mov_b32_dpp v6, v12 row_shr:1 row_mask:0xf bank_mask:0xf
	v_mov_b32_dpp v1, v7 row_shr:1 row_mask:0xf bank_mask:0xf
	s_mov_b32 s0, exec_lo
	s_delay_alu instid0(VALU_DEP_3)
	v_cmpx_ne_u32_e32 0, v5
; %bb.21:
	s_delay_alu instid0(VALU_DEP_2) | instskip(NEXT) | instid1(VALU_DEP_1)
	v_add_co_u32 v7, s1, v1, v11
	v_add_co_ci_u32_e64 v2, null, 0, 0, s1
	s_delay_alu instid0(VALU_DEP_2) | instskip(NEXT) | instid1(VALU_DEP_2)
	v_add_co_u32 v1, vcc_lo, 0, v7
	v_add_co_ci_u32_e32 v2, vcc_lo, v6, v2, vcc_lo
	s_delay_alu instid0(VALU_DEP_1)
	v_dual_mov_b32 v4, v2 :: v_dual_mov_b32 v3, v1
; %bb.22:
	s_or_b32 exec_lo, exec_lo, s0
	v_mov_b32_dpp v1, v7 row_shr:2 row_mask:0xf bank_mask:0xf
	v_mov_b32_dpp v6, v2 row_shr:2 row_mask:0xf bank_mask:0xf
	s_mov_b32 s0, exec_lo
	v_cmpx_lt_u32_e32 1, v5
; %bb.23:
	s_delay_alu instid0(VALU_DEP_3) | instskip(SKIP_1) | instid1(VALU_DEP_2)
	v_add_co_u32 v7, vcc_lo, v3, v1
	v_add_co_ci_u32_e32 v2, vcc_lo, 0, v4, vcc_lo
	v_add_co_u32 v1, vcc_lo, 0, v7
	s_delay_alu instid0(VALU_DEP_2) | instskip(NEXT) | instid1(VALU_DEP_1)
	v_add_co_ci_u32_e32 v2, vcc_lo, v6, v2, vcc_lo
	v_dual_mov_b32 v4, v2 :: v_dual_mov_b32 v3, v1
; %bb.24:
	s_or_b32 exec_lo, exec_lo, s0
	v_mov_b32_dpp v1, v7 row_shr:4 row_mask:0xf bank_mask:0xf
	v_mov_b32_dpp v6, v2 row_shr:4 row_mask:0xf bank_mask:0xf
	s_mov_b32 s0, exec_lo
	v_cmpx_lt_u32_e32 3, v5
; %bb.25:
	s_delay_alu instid0(VALU_DEP_3) | instskip(SKIP_1) | instid1(VALU_DEP_2)
	v_add_co_u32 v7, vcc_lo, v3, v1
	v_add_co_ci_u32_e32 v2, vcc_lo, 0, v4, vcc_lo
	v_add_co_u32 v1, vcc_lo, 0, v7
	s_delay_alu instid0(VALU_DEP_2) | instskip(NEXT) | instid1(VALU_DEP_1)
	v_add_co_ci_u32_e32 v2, vcc_lo, v6, v2, vcc_lo
	;; [unrolled: 14-line block ×3, first 2 shown]
	v_mov_b32_e32 v2, v4
; %bb.28:
	s_or_b32 exec_lo, exec_lo, s0
	ds_swizzle_b32 v1, v7 offset:swizzle(BROADCAST,32,15)
	ds_swizzle_b32 v5, v2 offset:swizzle(BROADCAST,32,15)
	v_and_b32_e32 v6, 16, v20
	s_mov_b32 s0, exec_lo
	s_delay_alu instid0(VALU_DEP_1)
	v_cmpx_ne_u32_e32 0, v6
	s_cbranch_execz .LBB701_30
; %bb.29:
	s_waitcnt lgkmcnt(1)
	v_add_co_u32 v7, vcc_lo, v3, v1
	v_add_co_ci_u32_e32 v2, vcc_lo, 0, v4, vcc_lo
	s_delay_alu instid0(VALU_DEP_2) | instskip(SKIP_1) | instid1(VALU_DEP_2)
	v_add_co_u32 v1, vcc_lo, 0, v7
	s_waitcnt lgkmcnt(0)
	v_add_co_ci_u32_e32 v2, vcc_lo, v5, v2, vcc_lo
	s_delay_alu instid0(VALU_DEP_1)
	v_dual_mov_b32 v4, v2 :: v_dual_mov_b32 v3, v1
.LBB701_30:
	s_or_b32 exec_lo, exec_lo, s0
	s_waitcnt lgkmcnt(0)
	v_or_b32_e32 v5, 31, v0
	v_lshrrev_b32_e32 v1, 5, v0
	s_mov_b32 s0, exec_lo
	s_delay_alu instid0(VALU_DEP_2)
	v_cmpx_eq_u32_e64 v5, v0
	s_cbranch_execz .LBB701_32
; %bb.31:
	s_delay_alu instid0(VALU_DEP_2)
	v_lshlrev_b32_e32 v5, 3, v1
	global_store_b64 v5, v[3:4], s[8:9]
.LBB701_32:
	s_or_b32 exec_lo, exec_lo, s0
	s_delay_alu instid0(SALU_CYCLE_1)
	s_mov_b32 s0, exec_lo
	s_waitcnt_vscnt null, 0x0
	s_barrier
	buffer_gl0_inv
	v_cmpx_gt_u32_e32 8, v0
	s_cbranch_execz .LBB701_40
; %bb.33:
	v_lshlrev_b32_e32 v5, 3, v0
	s_mov_b32 s1, exec_lo
	global_load_b64 v[3:4], v5, s[8:9]
	s_waitcnt vmcnt(0)
	v_dual_mov_b32 v13, v3 :: v_dual_and_b32 v8, 7, v20
	v_mov_b32_dpp v14, v3 row_shr:1 row_mask:0xf bank_mask:0xf
	v_mov_b32_dpp v6, v4 row_shr:1 row_mask:0xf bank_mask:0xf
	s_delay_alu instid0(VALU_DEP_3)
	v_cmpx_ne_u32_e32 0, v8
; %bb.34:
	s_delay_alu instid0(VALU_DEP_3) | instskip(SKIP_1) | instid1(VALU_DEP_2)
	v_add_co_u32 v13, vcc_lo, v3, v14
	v_add_co_ci_u32_e32 v4, vcc_lo, 0, v4, vcc_lo
	v_add_co_u32 v3, vcc_lo, 0, v13
	s_delay_alu instid0(VALU_DEP_2)
	v_add_co_ci_u32_e32 v4, vcc_lo, v6, v4, vcc_lo
; %bb.35:
	s_or_b32 exec_lo, exec_lo, s1
	v_add_co_u32 v5, s1, s8, v5
	s_delay_alu instid0(VALU_DEP_1)
	v_add_co_ci_u32_e64 v6, null, s9, 0, s1
	v_mov_b32_dpp v15, v13 row_shr:2 row_mask:0xf bank_mask:0xf
	v_mov_b32_dpp v14, v4 row_shr:2 row_mask:0xf bank_mask:0xf
	s_mov_b32 s1, exec_lo
	v_cmpx_lt_u32_e32 1, v8
; %bb.36:
	s_delay_alu instid0(VALU_DEP_3) | instskip(SKIP_1) | instid1(VALU_DEP_2)
	v_add_co_u32 v13, vcc_lo, v3, v15
	v_add_co_ci_u32_e32 v4, vcc_lo, 0, v4, vcc_lo
	v_add_co_u32 v3, vcc_lo, 0, v13
	s_delay_alu instid0(VALU_DEP_2)
	v_add_co_ci_u32_e32 v4, vcc_lo, v14, v4, vcc_lo
; %bb.37:
	s_or_b32 exec_lo, exec_lo, s1
	v_mov_b32_dpp v14, v13 row_shr:4 row_mask:0xf bank_mask:0xf
	s_delay_alu instid0(VALU_DEP_2)
	v_mov_b32_dpp v13, v4 row_shr:4 row_mask:0xf bank_mask:0xf
	s_mov_b32 s1, exec_lo
	v_cmpx_lt_u32_e32 3, v8
; %bb.38:
	s_delay_alu instid0(VALU_DEP_3) | instskip(SKIP_1) | instid1(VALU_DEP_2)
	v_add_co_u32 v3, vcc_lo, v3, v14
	v_add_co_ci_u32_e32 v4, vcc_lo, 0, v4, vcc_lo
	v_add_co_u32 v3, vcc_lo, v3, 0
	s_delay_alu instid0(VALU_DEP_2)
	v_add_co_ci_u32_e32 v4, vcc_lo, v4, v13, vcc_lo
; %bb.39:
	s_or_b32 exec_lo, exec_lo, s1
	global_store_b64 v[5:6], v[3:4], off
.LBB701_40:
	s_or_b32 exec_lo, exec_lo, s0
	v_cmp_gt_u32_e32 vcc_lo, 32, v0
	s_mov_b32 s1, exec_lo
	s_waitcnt_vscnt null, 0x0
	s_barrier
	buffer_gl0_inv
                                        ; implicit-def: $vgpr13_vgpr14
	v_cmpx_lt_u32_e32 31, v0
	s_cbranch_execz .LBB701_42
; %bb.41:
	v_dual_mov_b32 v4, 0 :: v_dual_add_nc_u32 v3, -1, v1
	s_delay_alu instid0(VALU_DEP_1) | instskip(NEXT) | instid1(VALU_DEP_1)
	v_lshlrev_b64 v[3:4], 3, v[3:4]
	v_add_co_u32 v3, s0, s8, v3
	s_delay_alu instid0(VALU_DEP_1) | instskip(SKIP_3) | instid1(VALU_DEP_1)
	v_add_co_ci_u32_e64 v4, s0, s9, v4, s0
	global_load_b64 v[13:14], v[3:4], off
	s_waitcnt vmcnt(0)
	v_add_co_u32 v7, s0, v7, v13
	v_add_co_ci_u32_e64 v2, s0, v2, v14, s0
.LBB701_42:
	s_or_b32 exec_lo, exec_lo, s1
	v_add_nc_u32_e32 v1, -1, v20
	s_delay_alu instid0(VALU_DEP_1) | instskip(NEXT) | instid1(VALU_DEP_1)
	v_cmp_gt_i32_e64 s0, 0, v1
	v_cndmask_b32_e64 v1, v1, v20, s0
	v_cmp_eq_u32_e64 s0, 0, v20
	s_delay_alu instid0(VALU_DEP_2)
	v_lshlrev_b32_e32 v1, 2, v1
	ds_bpermute_b32 v22, v1, v7
	ds_bpermute_b32 v23, v1, v2
	s_and_saveexec_b32 s1, vcc_lo
	s_cbranch_execz .LBB701_85
; %bb.43:
	v_mov_b32_e32 v4, 0
	global_load_b64 v[1:2], v4, s[8:9] offset:56
	s_and_saveexec_b32 s6, s0
	s_cbranch_execz .LBB701_45
; %bb.44:
	s_add_i32 s16, s11, 32
	s_mov_b32 s17, 0
	s_delay_alu instid0(SALU_CYCLE_1) | instskip(NEXT) | instid1(SALU_CYCLE_1)
	s_lshl_b64 s[16:17], s[16:17], 4
	s_add_u32 s16, s14, s16
	s_addc_u32 s17, s15, s17
	v_mov_b32_e32 v5, s16
	v_dual_mov_b32 v3, 1 :: v_dual_mov_b32 v6, s17
	s_waitcnt vmcnt(0)
	;;#ASMSTART
	global_store_dwordx4 v[5:6], v[1:4] off	
s_waitcnt vmcnt(0)
	;;#ASMEND
.LBB701_45:
	s_or_b32 exec_lo, exec_lo, s6
	v_xad_u32 v15, v20, -1, s11
	s_mov_b32 s7, 0
	s_mov_b32 s6, exec_lo
	s_delay_alu instid0(VALU_DEP_1) | instskip(NEXT) | instid1(VALU_DEP_1)
	v_add_nc_u32_e32 v3, 32, v15
	v_lshlrev_b64 v[3:4], 4, v[3:4]
	s_delay_alu instid0(VALU_DEP_1) | instskip(NEXT) | instid1(VALU_DEP_2)
	v_add_co_u32 v3, vcc_lo, s14, v3
	v_add_co_ci_u32_e32 v4, vcc_lo, s15, v4, vcc_lo
	;;#ASMSTART
	global_load_dwordx4 v[5:8], v[3:4] off glc	
s_waitcnt vmcnt(0)
	;;#ASMEND
	v_and_b32_e32 v8, 0xff, v6
	v_and_b32_e32 v16, 0xff00, v6
	v_or3_b32 v5, v5, 0, 0
	v_and_b32_e32 v17, 0xff000000, v6
	v_and_b32_e32 v6, 0xff0000, v6
	s_delay_alu instid0(VALU_DEP_4) | instskip(SKIP_2) | instid1(VALU_DEP_3)
	v_or3_b32 v8, 0, v8, v16
	v_and_b32_e32 v16, 0xff, v7
	v_or3_b32 v5, v5, 0, 0
	v_or3_b32 v6, v8, v6, v17
	s_delay_alu instid0(VALU_DEP_3)
	v_cmpx_eq_u16_e32 0, v16
	s_cbranch_execz .LBB701_51
; %bb.46:
	s_mov_b32 s16, 1
	.p2align	6
.LBB701_47:                             ; =>This Loop Header: Depth=1
                                        ;     Child Loop BB701_48 Depth 2
	s_delay_alu instid0(SALU_CYCLE_1)
	s_max_u32 s17, s16, 1
.LBB701_48:                             ;   Parent Loop BB701_47 Depth=1
                                        ; =>  This Inner Loop Header: Depth=2
	s_delay_alu instid0(SALU_CYCLE_1)
	s_add_i32 s17, s17, -1
	s_sleep 1
	s_cmp_eq_u32 s17, 0
	s_cbranch_scc0 .LBB701_48
; %bb.49:                               ;   in Loop: Header=BB701_47 Depth=1
	;;#ASMSTART
	global_load_dwordx4 v[5:8], v[3:4] off glc	
s_waitcnt vmcnt(0)
	;;#ASMEND
	v_and_b32_e32 v8, 0xff, v7
	s_cmp_lt_u32 s16, 32
	s_cselect_b32 s17, -1, 0
	s_delay_alu instid0(SALU_CYCLE_1) | instskip(NEXT) | instid1(VALU_DEP_1)
	s_cmp_lg_u32 s17, 0
	v_cmp_ne_u16_e32 vcc_lo, 0, v8
	s_addc_u32 s16, s16, 0
	s_or_b32 s7, vcc_lo, s7
	s_delay_alu instid0(SALU_CYCLE_1)
	s_and_not1_b32 exec_lo, exec_lo, s7
	s_cbranch_execnz .LBB701_47
; %bb.50:
	s_or_b32 exec_lo, exec_lo, s7
.LBB701_51:
	s_delay_alu instid0(SALU_CYCLE_1)
	s_or_b32 exec_lo, exec_lo, s6
	v_cmp_ne_u32_e32 vcc_lo, 31, v20
	v_and_b32_e32 v4, 0xff, v7
	v_lshlrev_b32_e64 v25, v20, -1
	s_mov_b32 s6, exec_lo
	v_add_co_ci_u32_e32 v3, vcc_lo, 0, v20, vcc_lo
	s_delay_alu instid0(VALU_DEP_3) | instskip(SKIP_1) | instid1(VALU_DEP_3)
	v_cmp_eq_u16_e32 vcc_lo, 2, v4
	v_mov_b32_e32 v4, v5
	v_lshlrev_b32_e32 v24, 2, v3
	v_and_or_b32 v3, vcc_lo, v25, 0x80000000
	ds_bpermute_b32 v16, v24, v5
	ds_bpermute_b32 v8, v24, v6
	v_ctz_i32_b32_e32 v3, v3
	s_delay_alu instid0(VALU_DEP_1)
	v_cmpx_lt_u32_e64 v20, v3
	s_cbranch_execz .LBB701_53
; %bb.52:
	s_waitcnt lgkmcnt(1)
	v_add_co_u32 v4, vcc_lo, v5, v16
	v_add_co_ci_u32_e32 v6, vcc_lo, 0, v6, vcc_lo
	s_delay_alu instid0(VALU_DEP_2) | instskip(SKIP_1) | instid1(VALU_DEP_2)
	v_add_co_u32 v5, vcc_lo, 0, v4
	s_waitcnt lgkmcnt(0)
	v_add_co_ci_u32_e32 v6, vcc_lo, v8, v6, vcc_lo
.LBB701_53:
	s_or_b32 exec_lo, exec_lo, s6
	v_cmp_gt_u32_e32 vcc_lo, 30, v20
	v_add_nc_u32_e32 v27, 2, v20
	s_mov_b32 s6, exec_lo
	s_waitcnt lgkmcnt(0)
	v_cndmask_b32_e64 v8, 0, 1, vcc_lo
	s_delay_alu instid0(VALU_DEP_1) | instskip(NEXT) | instid1(VALU_DEP_1)
	v_lshlrev_b32_e32 v8, 1, v8
	v_add_lshl_u32 v26, v8, v20, 2
	ds_bpermute_b32 v16, v26, v4
	ds_bpermute_b32 v8, v26, v6
	v_cmpx_le_u32_e64 v27, v3
	s_cbranch_execz .LBB701_55
; %bb.54:
	s_waitcnt lgkmcnt(1)
	v_add_co_u32 v4, vcc_lo, v5, v16
	v_add_co_ci_u32_e32 v6, vcc_lo, 0, v6, vcc_lo
	s_delay_alu instid0(VALU_DEP_2) | instskip(SKIP_1) | instid1(VALU_DEP_2)
	v_add_co_u32 v5, vcc_lo, 0, v4
	s_waitcnt lgkmcnt(0)
	v_add_co_ci_u32_e32 v6, vcc_lo, v8, v6, vcc_lo
.LBB701_55:
	s_or_b32 exec_lo, exec_lo, s6
	v_cmp_gt_u32_e32 vcc_lo, 28, v20
	v_add_nc_u32_e32 v29, 4, v20
	s_mov_b32 s6, exec_lo
	s_waitcnt lgkmcnt(0)
	v_cndmask_b32_e64 v8, 0, 1, vcc_lo
	s_delay_alu instid0(VALU_DEP_1) | instskip(NEXT) | instid1(VALU_DEP_1)
	v_lshlrev_b32_e32 v8, 2, v8
	v_add_lshl_u32 v28, v8, v20, 2
	ds_bpermute_b32 v16, v28, v4
	ds_bpermute_b32 v8, v28, v6
	v_cmpx_le_u32_e64 v29, v3
	;; [unrolled: 22-line block ×4, first 2 shown]
	s_cbranch_execz .LBB701_61
; %bb.60:
	s_waitcnt lgkmcnt(1)
	v_add_co_u32 v3, vcc_lo, v5, v8
	v_add_co_ci_u32_e32 v6, vcc_lo, 0, v6, vcc_lo
	s_delay_alu instid0(VALU_DEP_2) | instskip(SKIP_1) | instid1(VALU_DEP_2)
	v_add_co_u32 v5, vcc_lo, v3, 0
	s_waitcnt lgkmcnt(0)
	v_add_co_ci_u32_e32 v6, vcc_lo, v6, v4, vcc_lo
.LBB701_61:
	s_or_b32 exec_lo, exec_lo, s6
	v_mov_b32_e32 v16, 0
	s_branch .LBB701_63
.LBB701_62:                             ;   in Loop: Header=BB701_63 Depth=1
	s_or_b32 exec_lo, exec_lo, s6
	v_add_co_u32 v5, vcc_lo, v5, v3
	v_subrev_nc_u32_e32 v15, 32, v15
	v_add_co_ci_u32_e32 v6, vcc_lo, v6, v4, vcc_lo
.LBB701_63:                             ; =>This Loop Header: Depth=1
                                        ;     Child Loop BB701_66 Depth 2
                                        ;       Child Loop BB701_67 Depth 3
	v_and_b32_e32 v3, 0xff, v7
	s_delay_alu instid0(VALU_DEP_1) | instskip(SKIP_2) | instid1(VALU_DEP_1)
	v_cmp_ne_u16_e32 vcc_lo, 2, v3
	v_cndmask_b32_e64 v3, 0, 1, vcc_lo
	;;#ASMSTART
	;;#ASMEND
	v_cmp_ne_u32_e32 vcc_lo, 0, v3
	s_waitcnt lgkmcnt(0)
	v_dual_mov_b32 v3, v5 :: v_dual_mov_b32 v4, v6
	s_cmp_lg_u32 vcc_lo, exec_lo
	s_cbranch_scc1 .LBB701_80
; %bb.64:                               ;   in Loop: Header=BB701_63 Depth=1
	v_lshlrev_b64 v[5:6], 4, v[15:16]
	s_mov_b32 s6, exec_lo
	s_delay_alu instid0(VALU_DEP_1) | instskip(NEXT) | instid1(VALU_DEP_2)
	v_add_co_u32 v17, vcc_lo, s14, v5
	v_add_co_ci_u32_e32 v18, vcc_lo, s15, v6, vcc_lo
	;;#ASMSTART
	global_load_dwordx4 v[5:8], v[17:18] off glc	
s_waitcnt vmcnt(0)
	;;#ASMEND
	v_and_b32_e32 v8, 0xff, v6
	v_and_b32_e32 v34, 0xff00, v6
	v_or3_b32 v5, v5, 0, 0
	v_and_b32_e32 v35, 0xff000000, v6
	v_and_b32_e32 v6, 0xff0000, v6
	s_delay_alu instid0(VALU_DEP_4) | instskip(SKIP_2) | instid1(VALU_DEP_3)
	v_or3_b32 v8, 0, v8, v34
	v_and_b32_e32 v34, 0xff, v7
	v_or3_b32 v5, v5, 0, 0
	v_or3_b32 v6, v8, v6, v35
	s_delay_alu instid0(VALU_DEP_3)
	v_cmpx_eq_u16_e32 0, v34
	s_cbranch_execz .LBB701_70
; %bb.65:                               ;   in Loop: Header=BB701_63 Depth=1
	s_mov_b32 s16, 1
	s_mov_b32 s7, 0
	.p2align	6
.LBB701_66:                             ;   Parent Loop BB701_63 Depth=1
                                        ; =>  This Loop Header: Depth=2
                                        ;       Child Loop BB701_67 Depth 3
	s_max_u32 s17, s16, 1
.LBB701_67:                             ;   Parent Loop BB701_63 Depth=1
                                        ;     Parent Loop BB701_66 Depth=2
                                        ; =>    This Inner Loop Header: Depth=3
	s_delay_alu instid0(SALU_CYCLE_1)
	s_add_i32 s17, s17, -1
	s_sleep 1
	s_cmp_eq_u32 s17, 0
	s_cbranch_scc0 .LBB701_67
; %bb.68:                               ;   in Loop: Header=BB701_66 Depth=2
	;;#ASMSTART
	global_load_dwordx4 v[5:8], v[17:18] off glc	
s_waitcnt vmcnt(0)
	;;#ASMEND
	v_and_b32_e32 v8, 0xff, v7
	s_cmp_lt_u32 s16, 32
	s_cselect_b32 s17, -1, 0
	s_delay_alu instid0(SALU_CYCLE_1) | instskip(NEXT) | instid1(VALU_DEP_1)
	s_cmp_lg_u32 s17, 0
	v_cmp_ne_u16_e32 vcc_lo, 0, v8
	s_addc_u32 s16, s16, 0
	s_or_b32 s7, vcc_lo, s7
	s_delay_alu instid0(SALU_CYCLE_1)
	s_and_not1_b32 exec_lo, exec_lo, s7
	s_cbranch_execnz .LBB701_66
; %bb.69:                               ;   in Loop: Header=BB701_63 Depth=1
	s_or_b32 exec_lo, exec_lo, s7
.LBB701_70:                             ;   in Loop: Header=BB701_63 Depth=1
	s_delay_alu instid0(SALU_CYCLE_1)
	s_or_b32 exec_lo, exec_lo, s6
	v_dual_mov_b32 v17, v5 :: v_dual_and_b32 v8, 0xff, v7
	ds_bpermute_b32 v34, v24, v5
	ds_bpermute_b32 v18, v24, v6
	s_mov_b32 s6, exec_lo
	v_cmp_eq_u16_e32 vcc_lo, 2, v8
	v_and_or_b32 v8, vcc_lo, v25, 0x80000000
	s_delay_alu instid0(VALU_DEP_1) | instskip(NEXT) | instid1(VALU_DEP_1)
	v_ctz_i32_b32_e32 v8, v8
	v_cmpx_lt_u32_e64 v20, v8
	s_cbranch_execz .LBB701_72
; %bb.71:                               ;   in Loop: Header=BB701_63 Depth=1
	s_waitcnt lgkmcnt(1)
	v_add_co_u32 v17, vcc_lo, v5, v34
	v_add_co_ci_u32_e32 v6, vcc_lo, 0, v6, vcc_lo
	s_delay_alu instid0(VALU_DEP_2) | instskip(SKIP_1) | instid1(VALU_DEP_2)
	v_add_co_u32 v5, vcc_lo, 0, v17
	s_waitcnt lgkmcnt(0)
	v_add_co_ci_u32_e32 v6, vcc_lo, v18, v6, vcc_lo
.LBB701_72:                             ;   in Loop: Header=BB701_63 Depth=1
	s_or_b32 exec_lo, exec_lo, s6
	s_waitcnt lgkmcnt(1)
	ds_bpermute_b32 v34, v26, v17
	s_waitcnt lgkmcnt(1)
	ds_bpermute_b32 v18, v26, v6
	s_mov_b32 s6, exec_lo
	v_cmpx_le_u32_e64 v27, v8
	s_cbranch_execz .LBB701_74
; %bb.73:                               ;   in Loop: Header=BB701_63 Depth=1
	s_waitcnt lgkmcnt(1)
	v_add_co_u32 v17, vcc_lo, v5, v34
	v_add_co_ci_u32_e32 v6, vcc_lo, 0, v6, vcc_lo
	s_delay_alu instid0(VALU_DEP_2) | instskip(SKIP_1) | instid1(VALU_DEP_2)
	v_add_co_u32 v5, vcc_lo, 0, v17
	s_waitcnt lgkmcnt(0)
	v_add_co_ci_u32_e32 v6, vcc_lo, v18, v6, vcc_lo
.LBB701_74:                             ;   in Loop: Header=BB701_63 Depth=1
	s_or_b32 exec_lo, exec_lo, s6
	s_waitcnt lgkmcnt(1)
	ds_bpermute_b32 v34, v28, v17
	s_waitcnt lgkmcnt(1)
	ds_bpermute_b32 v18, v28, v6
	s_mov_b32 s6, exec_lo
	v_cmpx_le_u32_e64 v29, v8
	;; [unrolled: 17-line block ×3, first 2 shown]
	s_cbranch_execz .LBB701_78
; %bb.77:                               ;   in Loop: Header=BB701_63 Depth=1
	s_waitcnt lgkmcnt(1)
	v_add_co_u32 v17, vcc_lo, v5, v34
	v_add_co_ci_u32_e32 v6, vcc_lo, 0, v6, vcc_lo
	s_delay_alu instid0(VALU_DEP_2) | instskip(SKIP_1) | instid1(VALU_DEP_2)
	v_add_co_u32 v5, vcc_lo, 0, v17
	s_waitcnt lgkmcnt(0)
	v_add_co_ci_u32_e32 v6, vcc_lo, v18, v6, vcc_lo
.LBB701_78:                             ;   in Loop: Header=BB701_63 Depth=1
	s_or_b32 exec_lo, exec_lo, s6
	s_waitcnt lgkmcnt(0)
	ds_bpermute_b32 v18, v32, v17
	ds_bpermute_b32 v17, v32, v6
	s_mov_b32 s6, exec_lo
	v_cmpx_le_u32_e64 v33, v8
	s_cbranch_execz .LBB701_62
; %bb.79:                               ;   in Loop: Header=BB701_63 Depth=1
	s_waitcnt lgkmcnt(1)
	v_add_co_u32 v5, vcc_lo, v5, v18
	v_add_co_ci_u32_e32 v6, vcc_lo, 0, v6, vcc_lo
	s_delay_alu instid0(VALU_DEP_2) | instskip(SKIP_1) | instid1(VALU_DEP_2)
	v_add_co_u32 v5, vcc_lo, v5, 0
	s_waitcnt lgkmcnt(0)
	v_add_co_ci_u32_e32 v6, vcc_lo, v6, v17, vcc_lo
	s_branch .LBB701_62
.LBB701_80:                             ;   in Loop: Header=BB701_63 Depth=1
                                        ; implicit-def: $vgpr5_vgpr6
	s_cbranch_execz .LBB701_63
; %bb.81:
	s_and_saveexec_b32 s6, s0
	s_cbranch_execz .LBB701_83
; %bb.82:
	s_add_i32 s16, s11, 32
	s_mov_b32 s17, 0
	s_waitcnt vmcnt(0)
	v_add_co_u32 v5, vcc_lo, v3, v1
	s_lshl_b64 s[16:17], s[16:17], 4
	v_dual_mov_b32 v7, 2 :: v_dual_mov_b32 v8, 0
	s_add_u32 s16, s14, s16
	s_addc_u32 s17, s15, s17
	v_add_co_ci_u32_e32 v6, vcc_lo, v4, v2, vcc_lo
	v_dual_mov_b32 v15, s16 :: v_dual_mov_b32 v16, s17
	;;#ASMSTART
	global_store_dwordx4 v[15:16], v[5:8] off	
s_waitcnt vmcnt(0)
	;;#ASMEND
	ds_store_b128 v8, v[1:4]
.LBB701_83:
	s_or_b32 exec_lo, exec_lo, s6
	s_delay_alu instid0(SALU_CYCLE_1)
	s_and_b32 exec_lo, exec_lo, s2
	s_cbranch_execz .LBB701_85
; %bb.84:
	s_waitcnt vmcnt(0)
	v_mov_b32_e32 v1, 0
	global_store_b64 v1, v[3:4], s[8:9] offset:56
.LBB701_85:
	s_or_b32 exec_lo, exec_lo, s1
	s_waitcnt vmcnt(0)
	v_mov_b32_e32 v1, 0
	s_waitcnt lgkmcnt(0)
	s_waitcnt_vscnt null, 0x0
	s_barrier
	buffer_gl0_inv
	v_cndmask_b32_e64 v8, v23, v14, s0
	global_load_b64 v[6:7], v1, s[8:9] offset:56
	s_waitcnt vmcnt(0)
	s_barrier
	buffer_gl0_inv
	ds_load_b128 v[2:5], v1
	v_cndmask_b32_e64 v1, v22, v13, s0
	v_cndmask_b32_e64 v8, v8, 0, s2
	s_delay_alu instid0(VALU_DEP_2) | instskip(NEXT) | instid1(VALU_DEP_1)
	v_cndmask_b32_e64 v1, v1, 0, s2
	v_add_co_u32 v6, vcc_lo, v6, v1
	s_delay_alu instid0(VALU_DEP_3)
	v_add_co_ci_u32_e32 v7, vcc_lo, v7, v8, vcc_lo
.LBB701_86:
	s_waitcnt lgkmcnt(0)
	v_cmp_gt_u64_e32 vcc_lo, 0x101, v[2:3]
	s_mov_b32 s0, -1
	s_cbranch_vccnz .LBB701_116
.LBB701_87:
	s_and_not1_b32 vcc_lo, exec_lo, s0
	s_cbranch_vccz .LBB701_120
.LBB701_88:
	s_and_b32 s0, s2, s3
	s_delay_alu instid0(SALU_CYCLE_1)
	s_and_saveexec_b32 s1, s0
	s_cbranch_execnz .LBB701_126
.LBB701_89:
	s_nop 0
	s_sendmsg sendmsg(MSG_DEALLOC_VGPRS)
	s_endpgm
.LBB701_90:
                                        ; implicit-def: $vgpr4_vgpr5
                                        ; implicit-def: $vgpr6_vgpr7
	s_cbranch_execz .LBB701_86
; %bb.91:
	s_waitcnt lgkmcnt(0)
	v_dual_mov_b32 v4, 0 :: v_dual_and_b32 v5, 15, v20
	v_mov_b32_dpp v3, v21 row_shr:1 row_mask:0xf bank_mask:0xf
	v_dual_mov_b32 v1, v11 :: v_dual_mov_b32 v2, v12
	s_delay_alu instid0(VALU_DEP_3)
	v_mov_b32_dpp v6, v4 row_shr:1 row_mask:0xf bank_mask:0xf
	s_mov_b32 s0, exec_lo
	v_cmpx_ne_u32_e32 0, v5
; %bb.92:
	v_add_co_u32 v21, s1, v3, v11
	s_delay_alu instid0(VALU_DEP_1) | instskip(NEXT) | instid1(VALU_DEP_2)
	v_add_co_ci_u32_e64 v1, null, 0, 0, s1
	v_add_co_u32 v3, vcc_lo, 0, v21
	s_delay_alu instid0(VALU_DEP_2) | instskip(NEXT) | instid1(VALU_DEP_1)
	v_add_co_ci_u32_e32 v4, vcc_lo, v6, v1, vcc_lo
	v_dual_mov_b32 v1, v3 :: v_dual_mov_b32 v2, v4
; %bb.93:
	s_or_b32 exec_lo, exec_lo, s0
	v_mov_b32_dpp v3, v21 row_shr:2 row_mask:0xf bank_mask:0xf
	v_mov_b32_dpp v6, v4 row_shr:2 row_mask:0xf bank_mask:0xf
	s_mov_b32 s0, exec_lo
	v_cmpx_lt_u32_e32 1, v5
; %bb.94:
	s_delay_alu instid0(VALU_DEP_3) | instskip(SKIP_1) | instid1(VALU_DEP_2)
	v_add_co_u32 v21, vcc_lo, v1, v3
	v_add_co_ci_u32_e32 v1, vcc_lo, 0, v2, vcc_lo
	v_add_co_u32 v3, vcc_lo, 0, v21
	s_delay_alu instid0(VALU_DEP_2) | instskip(NEXT) | instid1(VALU_DEP_1)
	v_add_co_ci_u32_e32 v4, vcc_lo, v6, v1, vcc_lo
	v_dual_mov_b32 v1, v3 :: v_dual_mov_b32 v2, v4
; %bb.95:
	s_or_b32 exec_lo, exec_lo, s0
	v_mov_b32_dpp v3, v21 row_shr:4 row_mask:0xf bank_mask:0xf
	v_mov_b32_dpp v6, v4 row_shr:4 row_mask:0xf bank_mask:0xf
	s_mov_b32 s0, exec_lo
	v_cmpx_lt_u32_e32 3, v5
; %bb.96:
	s_delay_alu instid0(VALU_DEP_3) | instskip(SKIP_1) | instid1(VALU_DEP_2)
	v_add_co_u32 v21, vcc_lo, v1, v3
	v_add_co_ci_u32_e32 v1, vcc_lo, 0, v2, vcc_lo
	;; [unrolled: 14-line block ×3, first 2 shown]
	v_add_co_u32 v1, vcc_lo, 0, v21
	s_delay_alu instid0(VALU_DEP_2) | instskip(NEXT) | instid1(VALU_DEP_1)
	v_add_co_ci_u32_e32 v2, vcc_lo, v3, v2, vcc_lo
	v_mov_b32_e32 v4, v2
; %bb.99:
	s_or_b32 exec_lo, exec_lo, s0
	ds_swizzle_b32 v3, v21 offset:swizzle(BROADCAST,32,15)
	ds_swizzle_b32 v5, v4 offset:swizzle(BROADCAST,32,15)
	v_and_b32_e32 v6, 16, v20
	s_mov_b32 s0, exec_lo
	s_delay_alu instid0(VALU_DEP_1)
	v_cmpx_ne_u32_e32 0, v6
	s_cbranch_execz .LBB701_101
; %bb.100:
	s_waitcnt lgkmcnt(1)
	v_add_co_u32 v21, vcc_lo, v1, v3
	v_add_co_ci_u32_e32 v1, vcc_lo, 0, v2, vcc_lo
	s_delay_alu instid0(VALU_DEP_2) | instskip(SKIP_1) | instid1(VALU_DEP_2)
	v_add_co_u32 v3, vcc_lo, 0, v21
	s_waitcnt lgkmcnt(0)
	v_add_co_ci_u32_e32 v4, vcc_lo, v5, v1, vcc_lo
	s_delay_alu instid0(VALU_DEP_1)
	v_dual_mov_b32 v1, v3 :: v_dual_mov_b32 v2, v4
.LBB701_101:
	s_or_b32 exec_lo, exec_lo, s0
	s_waitcnt lgkmcnt(0)
	v_or_b32_e32 v5, 31, v0
	v_lshrrev_b32_e32 v3, 5, v0
	s_mov_b32 s0, exec_lo
	s_delay_alu instid0(VALU_DEP_2)
	v_cmpx_eq_u32_e64 v5, v0
	s_cbranch_execz .LBB701_103
; %bb.102:
	s_delay_alu instid0(VALU_DEP_2)
	v_lshlrev_b32_e32 v5, 3, v3
	global_store_b64 v5, v[1:2], s[8:9]
.LBB701_103:
	s_or_b32 exec_lo, exec_lo, s0
	s_delay_alu instid0(SALU_CYCLE_1)
	s_mov_b32 s0, exec_lo
	s_waitcnt_vscnt null, 0x0
	s_barrier
	buffer_gl0_inv
	v_cmpx_gt_u32_e32 8, v0
	s_cbranch_execz .LBB701_111
; %bb.104:
	v_lshlrev_b32_e32 v5, 3, v0
	v_and_b32_e32 v7, 7, v20
	s_mov_b32 s1, exec_lo
	global_load_b64 v[1:2], v5, s[8:9]
	s_waitcnt vmcnt(0)
	v_mov_b32_e32 v8, v1
	v_mov_b32_dpp v12, v1 row_shr:1 row_mask:0xf bank_mask:0xf
	v_mov_b32_dpp v6, v2 row_shr:1 row_mask:0xf bank_mask:0xf
	v_cmpx_ne_u32_e32 0, v7
; %bb.105:
	s_delay_alu instid0(VALU_DEP_3) | instskip(SKIP_1) | instid1(VALU_DEP_2)
	v_add_co_u32 v8, vcc_lo, v1, v12
	v_add_co_ci_u32_e32 v2, vcc_lo, 0, v2, vcc_lo
	v_add_co_u32 v1, vcc_lo, 0, v8
	s_delay_alu instid0(VALU_DEP_2)
	v_add_co_ci_u32_e32 v2, vcc_lo, v6, v2, vcc_lo
; %bb.106:
	s_or_b32 exec_lo, exec_lo, s1
	v_add_co_u32 v5, s1, s8, v5
	s_delay_alu instid0(VALU_DEP_1)
	v_add_co_ci_u32_e64 v6, null, s9, 0, s1
	v_mov_b32_dpp v13, v8 row_shr:2 row_mask:0xf bank_mask:0xf
	v_mov_b32_dpp v12, v2 row_shr:2 row_mask:0xf bank_mask:0xf
	s_mov_b32 s1, exec_lo
	v_cmpx_lt_u32_e32 1, v7
; %bb.107:
	s_delay_alu instid0(VALU_DEP_3) | instskip(SKIP_1) | instid1(VALU_DEP_2)
	v_add_co_u32 v8, vcc_lo, v1, v13
	v_add_co_ci_u32_e32 v2, vcc_lo, 0, v2, vcc_lo
	v_add_co_u32 v1, vcc_lo, 0, v8
	s_delay_alu instid0(VALU_DEP_2)
	v_add_co_ci_u32_e32 v2, vcc_lo, v12, v2, vcc_lo
; %bb.108:
	s_or_b32 exec_lo, exec_lo, s1
	v_mov_b32_dpp v12, v8 row_shr:4 row_mask:0xf bank_mask:0xf
	s_delay_alu instid0(VALU_DEP_2)
	v_mov_b32_dpp v8, v2 row_shr:4 row_mask:0xf bank_mask:0xf
	s_mov_b32 s1, exec_lo
	v_cmpx_lt_u32_e32 3, v7
; %bb.109:
	s_delay_alu instid0(VALU_DEP_3) | instskip(SKIP_1) | instid1(VALU_DEP_2)
	v_add_co_u32 v1, vcc_lo, v1, v12
	v_add_co_ci_u32_e32 v2, vcc_lo, 0, v2, vcc_lo
	v_add_co_u32 v1, vcc_lo, v1, 0
	s_delay_alu instid0(VALU_DEP_2)
	v_add_co_ci_u32_e32 v2, vcc_lo, v2, v8, vcc_lo
; %bb.110:
	s_or_b32 exec_lo, exec_lo, s1
	global_store_b64 v[5:6], v[1:2], off
.LBB701_111:
	s_or_b32 exec_lo, exec_lo, s0
	v_mov_b32_e32 v6, 0
	v_mov_b32_e32 v7, 0
	s_mov_b32 s0, exec_lo
	s_waitcnt_vscnt null, 0x0
	s_barrier
	buffer_gl0_inv
	v_cmpx_lt_u32_e32 31, v0
	s_cbranch_execz .LBB701_113
; %bb.112:
	v_dual_mov_b32 v2, 0 :: v_dual_add_nc_u32 v1, -1, v3
	s_delay_alu instid0(VALU_DEP_1) | instskip(NEXT) | instid1(VALU_DEP_1)
	v_lshlrev_b64 v[1:2], 3, v[1:2]
	v_add_co_u32 v1, vcc_lo, s8, v1
	s_delay_alu instid0(VALU_DEP_2)
	v_add_co_ci_u32_e32 v2, vcc_lo, s9, v2, vcc_lo
	global_load_b64 v[6:7], v[1:2], off
.LBB701_113:
	s_or_b32 exec_lo, exec_lo, s0
	v_add_nc_u32_e32 v1, -1, v20
	s_delay_alu instid0(VALU_DEP_1) | instskip(SKIP_1) | instid1(VALU_DEP_1)
	v_cmp_gt_i32_e32 vcc_lo, 0, v1
	v_cndmask_b32_e32 v1, v1, v20, vcc_lo
	v_dual_mov_b32 v5, 0 :: v_dual_lshlrev_b32 v8, 2, v1
	global_load_b64 v[2:3], v5, s[8:9] offset:56
	s_waitcnt vmcnt(1)
	v_add_co_u32 v1, vcc_lo, v21, v6
	v_add_co_ci_u32_e32 v4, vcc_lo, v4, v7, vcc_lo
	ds_bpermute_b32 v1, v8, v1
	ds_bpermute_b32 v8, v8, v4
	s_and_saveexec_b32 s0, s2
	s_cbranch_execz .LBB701_115
; %bb.114:
	s_add_u32 s6, s14, 0x200
	s_addc_u32 s7, s15, 0
	s_delay_alu instid0(SALU_CYCLE_1)
	v_dual_mov_b32 v4, 2 :: v_dual_mov_b32 v13, s7
	v_mov_b32_e32 v12, s6
	s_waitcnt vmcnt(0)
	;;#ASMSTART
	global_store_dwordx4 v[12:13], v[2:5] off	
s_waitcnt vmcnt(0)
	;;#ASMEND
.LBB701_115:
	s_or_b32 exec_lo, exec_lo, s0
	v_cmp_eq_u32_e32 vcc_lo, 0, v20
	s_waitcnt vmcnt(0) lgkmcnt(0)
	s_barrier
	buffer_gl0_inv
	v_dual_mov_b32 v4, 0 :: v_dual_cndmask_b32 v7, v8, v7
	v_dual_mov_b32 v5, 0 :: v_dual_cndmask_b32 v6, v1, v6
	v_cmp_gt_u64_e32 vcc_lo, 0x101, v[2:3]
	s_mov_b32 s0, -1
	s_cbranch_vccz .LBB701_87
.LBB701_116:
	v_add_co_u32 v12, vcc_lo, v4, v2
	v_add_co_ci_u32_e32 v13, vcc_lo, v5, v3, vcc_lo
	s_delay_alu instid0(VALU_DEP_1) | instskip(SKIP_1) | instid1(SALU_CYCLE_1)
	v_cmp_gt_u64_e32 vcc_lo, v[12:13], v[6:7]
	s_or_b32 s1, s10, vcc_lo
	s_and_saveexec_b32 s0, s1
	s_cbranch_execz .LBB701_119
; %bb.117:
	v_cmp_eq_u32_e32 vcc_lo, 1, v11
	s_and_b32 exec_lo, exec_lo, vcc_lo
	s_cbranch_execz .LBB701_119
; %bb.118:
	v_lshlrev_b64 v[12:13], 9, v[9:10]
	v_lshlrev_b64 v[7:8], 9, v[6:7]
	s_delay_alu instid0(VALU_DEP_2) | instskip(NEXT) | instid1(VALU_DEP_3)
	v_add_co_u32 v1, vcc_lo, s12, v12
	v_add_co_ci_u32_e32 v12, vcc_lo, s13, v13, vcc_lo
	s_delay_alu instid0(VALU_DEP_2) | instskip(NEXT) | instid1(VALU_DEP_2)
	v_add_co_u32 v7, vcc_lo, v1, v7
	v_add_co_ci_u32_e32 v8, vcc_lo, v12, v8, vcc_lo
	global_store_b8 v[7:8], v19, off
.LBB701_119:
	s_or_b32 exec_lo, exec_lo, s0
	s_cbranch_execnz .LBB701_88
.LBB701_120:
	s_mov_b32 s0, exec_lo
	v_cmpx_eq_u32_e32 1, v11
	s_cbranch_execz .LBB701_122
; %bb.121:
	v_sub_nc_u32_e32 v6, v6, v4
	v_mov_b32_e32 v7, 0
	s_delay_alu instid0(VALU_DEP_1) | instskip(NEXT) | instid1(VALU_DEP_1)
	v_lshlrev_b64 v[6:7], 9, v[6:7]
	v_add_co_u32 v6, vcc_lo, s8, v6
	s_delay_alu instid0(VALU_DEP_2)
	v_add_co_ci_u32_e32 v7, vcc_lo, s9, v7, vcc_lo
	global_store_b8 v[6:7], v19, off
.LBB701_122:
	s_or_b32 exec_lo, exec_lo, s0
	v_mov_b32_e32 v1, 0
	s_mov_b32 s1, exec_lo
	s_waitcnt_vscnt null, 0x0
	s_barrier
	buffer_gl0_inv
	v_cmpx_gt_u64_e64 v[2:3], v[0:1]
	s_cbranch_execz .LBB701_125
; %bb.123:
	v_lshlrev_b64 v[6:7], 9, v[4:5]
	v_lshlrev_b64 v[11:12], 9, v[9:10]
	s_mov_b32 s6, 0
	s_delay_alu instid0(VALU_DEP_2) | instskip(NEXT) | instid1(VALU_DEP_3)
	v_add_co_u32 v8, vcc_lo, s12, v6
	v_add_co_ci_u32_e32 v13, vcc_lo, s13, v7, vcc_lo
	v_dual_mov_b32 v7, v1 :: v_dual_mov_b32 v6, v0
	s_delay_alu instid0(VALU_DEP_3) | instskip(NEXT) | instid1(VALU_DEP_3)
	v_add_co_u32 v8, vcc_lo, v8, v11
	v_add_co_ci_u32_e32 v11, vcc_lo, v13, v12, vcc_lo
	v_or_b32_e32 v0, 0x100, v0
	.p2align	6
.LBB701_124:                            ; =>This Inner Loop Header: Depth=1
	s_delay_alu instid0(VALU_DEP_4) | instskip(NEXT) | instid1(VALU_DEP_1)
	v_lshlrev_b64 v[12:13], 9, v[6:7]
	v_add_co_u32 v6, vcc_lo, s8, v12
	s_delay_alu instid0(VALU_DEP_2) | instskip(NEXT) | instid1(VALU_DEP_4)
	v_add_co_ci_u32_e32 v7, vcc_lo, s9, v13, vcc_lo
	v_cmp_le_u64_e32 vcc_lo, v[2:3], v[0:1]
	v_add_co_u32 v12, s0, v8, v12
	global_load_u8 v14, v[6:7], off
	v_dual_mov_b32 v7, v1 :: v_dual_mov_b32 v6, v0
	v_add_co_ci_u32_e64 v13, s0, v11, v13, s0
	v_add_nc_u32_e32 v0, 0x100, v0
	s_or_b32 s6, vcc_lo, s6
	s_waitcnt vmcnt(0)
	global_store_b8 v[12:13], v14, off
	s_and_not1_b32 exec_lo, exec_lo, s6
	s_cbranch_execnz .LBB701_124
.LBB701_125:
	s_or_b32 exec_lo, exec_lo, s1
	s_and_b32 s0, s2, s3
	s_delay_alu instid0(SALU_CYCLE_1)
	s_and_saveexec_b32 s1, s0
	s_cbranch_execz .LBB701_89
.LBB701_126:
	v_add_co_u32 v0, vcc_lo, v4, v2
	v_add_co_ci_u32_e32 v1, vcc_lo, v5, v3, vcc_lo
	v_mov_b32_e32 v2, 0
	s_delay_alu instid0(VALU_DEP_3) | instskip(NEXT) | instid1(VALU_DEP_3)
	v_add_co_u32 v0, vcc_lo, v0, v9
	v_add_co_ci_u32_e32 v1, vcc_lo, v1, v10, vcc_lo
	global_store_b64 v2, v[0:1], s[4:5]
	s_nop 0
	s_sendmsg sendmsg(MSG_DEALLOC_VGPRS)
	s_endpgm
	.section	.rodata,"a",@progbits
	.p2align	6, 0x0
	.amdhsa_kernel _ZN7rocprim17ROCPRIM_400000_NS6detail17trampoline_kernelINS0_14default_configENS1_25partition_config_selectorILNS1_17partition_subalgoE5E10large_dataNS0_10empty_typeEbEEZZNS1_14partition_implILS5_5ELb0ES3_mN6thrust23THRUST_200600_302600_NS6detail15normal_iteratorINSB_10device_ptrIS6_EEEEPS7_NSB_18transform_iteratorI5mod_3IS6_ESG_NSB_11use_defaultESL_EENS0_5tupleIJSG_S7_EEENSN_IJSH_SH_EEES7_PlJS7_EEE10hipError_tPvRmT3_T4_T5_T6_T7_T9_mT8_P12ihipStream_tbDpT10_ENKUlT_T0_E_clISt17integral_constantIbLb1EES1A_EEDaS15_S16_EUlS15_E_NS1_11comp_targetILNS1_3genE9ELNS1_11target_archE1100ELNS1_3gpuE3ELNS1_3repE0EEENS1_30default_config_static_selectorELNS0_4arch9wavefront6targetE0EEEvT1_
		.amdhsa_group_segment_fixed_size 16
		.amdhsa_private_segment_fixed_size 0
		.amdhsa_kernarg_size 136
		.amdhsa_user_sgpr_count 15
		.amdhsa_user_sgpr_dispatch_ptr 0
		.amdhsa_user_sgpr_queue_ptr 0
		.amdhsa_user_sgpr_kernarg_segment_ptr 1
		.amdhsa_user_sgpr_dispatch_id 0
		.amdhsa_user_sgpr_private_segment_size 0
		.amdhsa_wavefront_size32 1
		.amdhsa_uses_dynamic_stack 0
		.amdhsa_enable_private_segment 0
		.amdhsa_system_sgpr_workgroup_id_x 1
		.amdhsa_system_sgpr_workgroup_id_y 0
		.amdhsa_system_sgpr_workgroup_id_z 0
		.amdhsa_system_sgpr_workgroup_info 0
		.amdhsa_system_vgpr_workitem_id 0
		.amdhsa_next_free_vgpr 36
		.amdhsa_next_free_sgpr 26
		.amdhsa_reserve_vcc 1
		.amdhsa_float_round_mode_32 0
		.amdhsa_float_round_mode_16_64 0
		.amdhsa_float_denorm_mode_32 3
		.amdhsa_float_denorm_mode_16_64 3
		.amdhsa_dx10_clamp 1
		.amdhsa_ieee_mode 1
		.amdhsa_fp16_overflow 0
		.amdhsa_workgroup_processor_mode 1
		.amdhsa_memory_ordered 1
		.amdhsa_forward_progress 0
		.amdhsa_shared_vgpr_count 0
		.amdhsa_exception_fp_ieee_invalid_op 0
		.amdhsa_exception_fp_denorm_src 0
		.amdhsa_exception_fp_ieee_div_zero 0
		.amdhsa_exception_fp_ieee_overflow 0
		.amdhsa_exception_fp_ieee_underflow 0
		.amdhsa_exception_fp_ieee_inexact 0
		.amdhsa_exception_int_div_zero 0
	.end_amdhsa_kernel
	.section	.text._ZN7rocprim17ROCPRIM_400000_NS6detail17trampoline_kernelINS0_14default_configENS1_25partition_config_selectorILNS1_17partition_subalgoE5E10large_dataNS0_10empty_typeEbEEZZNS1_14partition_implILS5_5ELb0ES3_mN6thrust23THRUST_200600_302600_NS6detail15normal_iteratorINSB_10device_ptrIS6_EEEEPS7_NSB_18transform_iteratorI5mod_3IS6_ESG_NSB_11use_defaultESL_EENS0_5tupleIJSG_S7_EEENSN_IJSH_SH_EEES7_PlJS7_EEE10hipError_tPvRmT3_T4_T5_T6_T7_T9_mT8_P12ihipStream_tbDpT10_ENKUlT_T0_E_clISt17integral_constantIbLb1EES1A_EEDaS15_S16_EUlS15_E_NS1_11comp_targetILNS1_3genE9ELNS1_11target_archE1100ELNS1_3gpuE3ELNS1_3repE0EEENS1_30default_config_static_selectorELNS0_4arch9wavefront6targetE0EEEvT1_,"axG",@progbits,_ZN7rocprim17ROCPRIM_400000_NS6detail17trampoline_kernelINS0_14default_configENS1_25partition_config_selectorILNS1_17partition_subalgoE5E10large_dataNS0_10empty_typeEbEEZZNS1_14partition_implILS5_5ELb0ES3_mN6thrust23THRUST_200600_302600_NS6detail15normal_iteratorINSB_10device_ptrIS6_EEEEPS7_NSB_18transform_iteratorI5mod_3IS6_ESG_NSB_11use_defaultESL_EENS0_5tupleIJSG_S7_EEENSN_IJSH_SH_EEES7_PlJS7_EEE10hipError_tPvRmT3_T4_T5_T6_T7_T9_mT8_P12ihipStream_tbDpT10_ENKUlT_T0_E_clISt17integral_constantIbLb1EES1A_EEDaS15_S16_EUlS15_E_NS1_11comp_targetILNS1_3genE9ELNS1_11target_archE1100ELNS1_3gpuE3ELNS1_3repE0EEENS1_30default_config_static_selectorELNS0_4arch9wavefront6targetE0EEEvT1_,comdat
.Lfunc_end701:
	.size	_ZN7rocprim17ROCPRIM_400000_NS6detail17trampoline_kernelINS0_14default_configENS1_25partition_config_selectorILNS1_17partition_subalgoE5E10large_dataNS0_10empty_typeEbEEZZNS1_14partition_implILS5_5ELb0ES3_mN6thrust23THRUST_200600_302600_NS6detail15normal_iteratorINSB_10device_ptrIS6_EEEEPS7_NSB_18transform_iteratorI5mod_3IS6_ESG_NSB_11use_defaultESL_EENS0_5tupleIJSG_S7_EEENSN_IJSH_SH_EEES7_PlJS7_EEE10hipError_tPvRmT3_T4_T5_T6_T7_T9_mT8_P12ihipStream_tbDpT10_ENKUlT_T0_E_clISt17integral_constantIbLb1EES1A_EEDaS15_S16_EUlS15_E_NS1_11comp_targetILNS1_3genE9ELNS1_11target_archE1100ELNS1_3gpuE3ELNS1_3repE0EEENS1_30default_config_static_selectorELNS0_4arch9wavefront6targetE0EEEvT1_, .Lfunc_end701-_ZN7rocprim17ROCPRIM_400000_NS6detail17trampoline_kernelINS0_14default_configENS1_25partition_config_selectorILNS1_17partition_subalgoE5E10large_dataNS0_10empty_typeEbEEZZNS1_14partition_implILS5_5ELb0ES3_mN6thrust23THRUST_200600_302600_NS6detail15normal_iteratorINSB_10device_ptrIS6_EEEEPS7_NSB_18transform_iteratorI5mod_3IS6_ESG_NSB_11use_defaultESL_EENS0_5tupleIJSG_S7_EEENSN_IJSH_SH_EEES7_PlJS7_EEE10hipError_tPvRmT3_T4_T5_T6_T7_T9_mT8_P12ihipStream_tbDpT10_ENKUlT_T0_E_clISt17integral_constantIbLb1EES1A_EEDaS15_S16_EUlS15_E_NS1_11comp_targetILNS1_3genE9ELNS1_11target_archE1100ELNS1_3gpuE3ELNS1_3repE0EEENS1_30default_config_static_selectorELNS0_4arch9wavefront6targetE0EEEvT1_
                                        ; -- End function
	.section	.AMDGPU.csdata,"",@progbits
; Kernel info:
; codeLenInByte = 5400
; NumSgprs: 28
; NumVgprs: 36
; ScratchSize: 0
; MemoryBound: 0
; FloatMode: 240
; IeeeMode: 1
; LDSByteSize: 16 bytes/workgroup (compile time only)
; SGPRBlocks: 3
; VGPRBlocks: 4
; NumSGPRsForWavesPerEU: 28
; NumVGPRsForWavesPerEU: 36
; Occupancy: 16
; WaveLimiterHint : 1
; COMPUTE_PGM_RSRC2:SCRATCH_EN: 0
; COMPUTE_PGM_RSRC2:USER_SGPR: 15
; COMPUTE_PGM_RSRC2:TRAP_HANDLER: 0
; COMPUTE_PGM_RSRC2:TGID_X_EN: 1
; COMPUTE_PGM_RSRC2:TGID_Y_EN: 0
; COMPUTE_PGM_RSRC2:TGID_Z_EN: 0
; COMPUTE_PGM_RSRC2:TIDIG_COMP_CNT: 0
	.section	.text._ZN7rocprim17ROCPRIM_400000_NS6detail17trampoline_kernelINS0_14default_configENS1_25partition_config_selectorILNS1_17partition_subalgoE5E10large_dataNS0_10empty_typeEbEEZZNS1_14partition_implILS5_5ELb0ES3_mN6thrust23THRUST_200600_302600_NS6detail15normal_iteratorINSB_10device_ptrIS6_EEEEPS7_NSB_18transform_iteratorI5mod_3IS6_ESG_NSB_11use_defaultESL_EENS0_5tupleIJSG_S7_EEENSN_IJSH_SH_EEES7_PlJS7_EEE10hipError_tPvRmT3_T4_T5_T6_T7_T9_mT8_P12ihipStream_tbDpT10_ENKUlT_T0_E_clISt17integral_constantIbLb1EES1A_EEDaS15_S16_EUlS15_E_NS1_11comp_targetILNS1_3genE8ELNS1_11target_archE1030ELNS1_3gpuE2ELNS1_3repE0EEENS1_30default_config_static_selectorELNS0_4arch9wavefront6targetE0EEEvT1_,"axG",@progbits,_ZN7rocprim17ROCPRIM_400000_NS6detail17trampoline_kernelINS0_14default_configENS1_25partition_config_selectorILNS1_17partition_subalgoE5E10large_dataNS0_10empty_typeEbEEZZNS1_14partition_implILS5_5ELb0ES3_mN6thrust23THRUST_200600_302600_NS6detail15normal_iteratorINSB_10device_ptrIS6_EEEEPS7_NSB_18transform_iteratorI5mod_3IS6_ESG_NSB_11use_defaultESL_EENS0_5tupleIJSG_S7_EEENSN_IJSH_SH_EEES7_PlJS7_EEE10hipError_tPvRmT3_T4_T5_T6_T7_T9_mT8_P12ihipStream_tbDpT10_ENKUlT_T0_E_clISt17integral_constantIbLb1EES1A_EEDaS15_S16_EUlS15_E_NS1_11comp_targetILNS1_3genE8ELNS1_11target_archE1030ELNS1_3gpuE2ELNS1_3repE0EEENS1_30default_config_static_selectorELNS0_4arch9wavefront6targetE0EEEvT1_,comdat
	.protected	_ZN7rocprim17ROCPRIM_400000_NS6detail17trampoline_kernelINS0_14default_configENS1_25partition_config_selectorILNS1_17partition_subalgoE5E10large_dataNS0_10empty_typeEbEEZZNS1_14partition_implILS5_5ELb0ES3_mN6thrust23THRUST_200600_302600_NS6detail15normal_iteratorINSB_10device_ptrIS6_EEEEPS7_NSB_18transform_iteratorI5mod_3IS6_ESG_NSB_11use_defaultESL_EENS0_5tupleIJSG_S7_EEENSN_IJSH_SH_EEES7_PlJS7_EEE10hipError_tPvRmT3_T4_T5_T6_T7_T9_mT8_P12ihipStream_tbDpT10_ENKUlT_T0_E_clISt17integral_constantIbLb1EES1A_EEDaS15_S16_EUlS15_E_NS1_11comp_targetILNS1_3genE8ELNS1_11target_archE1030ELNS1_3gpuE2ELNS1_3repE0EEENS1_30default_config_static_selectorELNS0_4arch9wavefront6targetE0EEEvT1_ ; -- Begin function _ZN7rocprim17ROCPRIM_400000_NS6detail17trampoline_kernelINS0_14default_configENS1_25partition_config_selectorILNS1_17partition_subalgoE5E10large_dataNS0_10empty_typeEbEEZZNS1_14partition_implILS5_5ELb0ES3_mN6thrust23THRUST_200600_302600_NS6detail15normal_iteratorINSB_10device_ptrIS6_EEEEPS7_NSB_18transform_iteratorI5mod_3IS6_ESG_NSB_11use_defaultESL_EENS0_5tupleIJSG_S7_EEENSN_IJSH_SH_EEES7_PlJS7_EEE10hipError_tPvRmT3_T4_T5_T6_T7_T9_mT8_P12ihipStream_tbDpT10_ENKUlT_T0_E_clISt17integral_constantIbLb1EES1A_EEDaS15_S16_EUlS15_E_NS1_11comp_targetILNS1_3genE8ELNS1_11target_archE1030ELNS1_3gpuE2ELNS1_3repE0EEENS1_30default_config_static_selectorELNS0_4arch9wavefront6targetE0EEEvT1_
	.globl	_ZN7rocprim17ROCPRIM_400000_NS6detail17trampoline_kernelINS0_14default_configENS1_25partition_config_selectorILNS1_17partition_subalgoE5E10large_dataNS0_10empty_typeEbEEZZNS1_14partition_implILS5_5ELb0ES3_mN6thrust23THRUST_200600_302600_NS6detail15normal_iteratorINSB_10device_ptrIS6_EEEEPS7_NSB_18transform_iteratorI5mod_3IS6_ESG_NSB_11use_defaultESL_EENS0_5tupleIJSG_S7_EEENSN_IJSH_SH_EEES7_PlJS7_EEE10hipError_tPvRmT3_T4_T5_T6_T7_T9_mT8_P12ihipStream_tbDpT10_ENKUlT_T0_E_clISt17integral_constantIbLb1EES1A_EEDaS15_S16_EUlS15_E_NS1_11comp_targetILNS1_3genE8ELNS1_11target_archE1030ELNS1_3gpuE2ELNS1_3repE0EEENS1_30default_config_static_selectorELNS0_4arch9wavefront6targetE0EEEvT1_
	.p2align	8
	.type	_ZN7rocprim17ROCPRIM_400000_NS6detail17trampoline_kernelINS0_14default_configENS1_25partition_config_selectorILNS1_17partition_subalgoE5E10large_dataNS0_10empty_typeEbEEZZNS1_14partition_implILS5_5ELb0ES3_mN6thrust23THRUST_200600_302600_NS6detail15normal_iteratorINSB_10device_ptrIS6_EEEEPS7_NSB_18transform_iteratorI5mod_3IS6_ESG_NSB_11use_defaultESL_EENS0_5tupleIJSG_S7_EEENSN_IJSH_SH_EEES7_PlJS7_EEE10hipError_tPvRmT3_T4_T5_T6_T7_T9_mT8_P12ihipStream_tbDpT10_ENKUlT_T0_E_clISt17integral_constantIbLb1EES1A_EEDaS15_S16_EUlS15_E_NS1_11comp_targetILNS1_3genE8ELNS1_11target_archE1030ELNS1_3gpuE2ELNS1_3repE0EEENS1_30default_config_static_selectorELNS0_4arch9wavefront6targetE0EEEvT1_,@function
_ZN7rocprim17ROCPRIM_400000_NS6detail17trampoline_kernelINS0_14default_configENS1_25partition_config_selectorILNS1_17partition_subalgoE5E10large_dataNS0_10empty_typeEbEEZZNS1_14partition_implILS5_5ELb0ES3_mN6thrust23THRUST_200600_302600_NS6detail15normal_iteratorINSB_10device_ptrIS6_EEEEPS7_NSB_18transform_iteratorI5mod_3IS6_ESG_NSB_11use_defaultESL_EENS0_5tupleIJSG_S7_EEENSN_IJSH_SH_EEES7_PlJS7_EEE10hipError_tPvRmT3_T4_T5_T6_T7_T9_mT8_P12ihipStream_tbDpT10_ENKUlT_T0_E_clISt17integral_constantIbLb1EES1A_EEDaS15_S16_EUlS15_E_NS1_11comp_targetILNS1_3genE8ELNS1_11target_archE1030ELNS1_3gpuE2ELNS1_3repE0EEENS1_30default_config_static_selectorELNS0_4arch9wavefront6targetE0EEEvT1_: ; @_ZN7rocprim17ROCPRIM_400000_NS6detail17trampoline_kernelINS0_14default_configENS1_25partition_config_selectorILNS1_17partition_subalgoE5E10large_dataNS0_10empty_typeEbEEZZNS1_14partition_implILS5_5ELb0ES3_mN6thrust23THRUST_200600_302600_NS6detail15normal_iteratorINSB_10device_ptrIS6_EEEEPS7_NSB_18transform_iteratorI5mod_3IS6_ESG_NSB_11use_defaultESL_EENS0_5tupleIJSG_S7_EEENSN_IJSH_SH_EEES7_PlJS7_EEE10hipError_tPvRmT3_T4_T5_T6_T7_T9_mT8_P12ihipStream_tbDpT10_ENKUlT_T0_E_clISt17integral_constantIbLb1EES1A_EEDaS15_S16_EUlS15_E_NS1_11comp_targetILNS1_3genE8ELNS1_11target_archE1030ELNS1_3gpuE2ELNS1_3repE0EEENS1_30default_config_static_selectorELNS0_4arch9wavefront6targetE0EEEvT1_
; %bb.0:
	.section	.rodata,"a",@progbits
	.p2align	6, 0x0
	.amdhsa_kernel _ZN7rocprim17ROCPRIM_400000_NS6detail17trampoline_kernelINS0_14default_configENS1_25partition_config_selectorILNS1_17partition_subalgoE5E10large_dataNS0_10empty_typeEbEEZZNS1_14partition_implILS5_5ELb0ES3_mN6thrust23THRUST_200600_302600_NS6detail15normal_iteratorINSB_10device_ptrIS6_EEEEPS7_NSB_18transform_iteratorI5mod_3IS6_ESG_NSB_11use_defaultESL_EENS0_5tupleIJSG_S7_EEENSN_IJSH_SH_EEES7_PlJS7_EEE10hipError_tPvRmT3_T4_T5_T6_T7_T9_mT8_P12ihipStream_tbDpT10_ENKUlT_T0_E_clISt17integral_constantIbLb1EES1A_EEDaS15_S16_EUlS15_E_NS1_11comp_targetILNS1_3genE8ELNS1_11target_archE1030ELNS1_3gpuE2ELNS1_3repE0EEENS1_30default_config_static_selectorELNS0_4arch9wavefront6targetE0EEEvT1_
		.amdhsa_group_segment_fixed_size 0
		.amdhsa_private_segment_fixed_size 0
		.amdhsa_kernarg_size 136
		.amdhsa_user_sgpr_count 15
		.amdhsa_user_sgpr_dispatch_ptr 0
		.amdhsa_user_sgpr_queue_ptr 0
		.amdhsa_user_sgpr_kernarg_segment_ptr 1
		.amdhsa_user_sgpr_dispatch_id 0
		.amdhsa_user_sgpr_private_segment_size 0
		.amdhsa_wavefront_size32 1
		.amdhsa_uses_dynamic_stack 0
		.amdhsa_enable_private_segment 0
		.amdhsa_system_sgpr_workgroup_id_x 1
		.amdhsa_system_sgpr_workgroup_id_y 0
		.amdhsa_system_sgpr_workgroup_id_z 0
		.amdhsa_system_sgpr_workgroup_info 0
		.amdhsa_system_vgpr_workitem_id 0
		.amdhsa_next_free_vgpr 1
		.amdhsa_next_free_sgpr 1
		.amdhsa_reserve_vcc 0
		.amdhsa_float_round_mode_32 0
		.amdhsa_float_round_mode_16_64 0
		.amdhsa_float_denorm_mode_32 3
		.amdhsa_float_denorm_mode_16_64 3
		.amdhsa_dx10_clamp 1
		.amdhsa_ieee_mode 1
		.amdhsa_fp16_overflow 0
		.amdhsa_workgroup_processor_mode 1
		.amdhsa_memory_ordered 1
		.amdhsa_forward_progress 0
		.amdhsa_shared_vgpr_count 0
		.amdhsa_exception_fp_ieee_invalid_op 0
		.amdhsa_exception_fp_denorm_src 0
		.amdhsa_exception_fp_ieee_div_zero 0
		.amdhsa_exception_fp_ieee_overflow 0
		.amdhsa_exception_fp_ieee_underflow 0
		.amdhsa_exception_fp_ieee_inexact 0
		.amdhsa_exception_int_div_zero 0
	.end_amdhsa_kernel
	.section	.text._ZN7rocprim17ROCPRIM_400000_NS6detail17trampoline_kernelINS0_14default_configENS1_25partition_config_selectorILNS1_17partition_subalgoE5E10large_dataNS0_10empty_typeEbEEZZNS1_14partition_implILS5_5ELb0ES3_mN6thrust23THRUST_200600_302600_NS6detail15normal_iteratorINSB_10device_ptrIS6_EEEEPS7_NSB_18transform_iteratorI5mod_3IS6_ESG_NSB_11use_defaultESL_EENS0_5tupleIJSG_S7_EEENSN_IJSH_SH_EEES7_PlJS7_EEE10hipError_tPvRmT3_T4_T5_T6_T7_T9_mT8_P12ihipStream_tbDpT10_ENKUlT_T0_E_clISt17integral_constantIbLb1EES1A_EEDaS15_S16_EUlS15_E_NS1_11comp_targetILNS1_3genE8ELNS1_11target_archE1030ELNS1_3gpuE2ELNS1_3repE0EEENS1_30default_config_static_selectorELNS0_4arch9wavefront6targetE0EEEvT1_,"axG",@progbits,_ZN7rocprim17ROCPRIM_400000_NS6detail17trampoline_kernelINS0_14default_configENS1_25partition_config_selectorILNS1_17partition_subalgoE5E10large_dataNS0_10empty_typeEbEEZZNS1_14partition_implILS5_5ELb0ES3_mN6thrust23THRUST_200600_302600_NS6detail15normal_iteratorINSB_10device_ptrIS6_EEEEPS7_NSB_18transform_iteratorI5mod_3IS6_ESG_NSB_11use_defaultESL_EENS0_5tupleIJSG_S7_EEENSN_IJSH_SH_EEES7_PlJS7_EEE10hipError_tPvRmT3_T4_T5_T6_T7_T9_mT8_P12ihipStream_tbDpT10_ENKUlT_T0_E_clISt17integral_constantIbLb1EES1A_EEDaS15_S16_EUlS15_E_NS1_11comp_targetILNS1_3genE8ELNS1_11target_archE1030ELNS1_3gpuE2ELNS1_3repE0EEENS1_30default_config_static_selectorELNS0_4arch9wavefront6targetE0EEEvT1_,comdat
.Lfunc_end702:
	.size	_ZN7rocprim17ROCPRIM_400000_NS6detail17trampoline_kernelINS0_14default_configENS1_25partition_config_selectorILNS1_17partition_subalgoE5E10large_dataNS0_10empty_typeEbEEZZNS1_14partition_implILS5_5ELb0ES3_mN6thrust23THRUST_200600_302600_NS6detail15normal_iteratorINSB_10device_ptrIS6_EEEEPS7_NSB_18transform_iteratorI5mod_3IS6_ESG_NSB_11use_defaultESL_EENS0_5tupleIJSG_S7_EEENSN_IJSH_SH_EEES7_PlJS7_EEE10hipError_tPvRmT3_T4_T5_T6_T7_T9_mT8_P12ihipStream_tbDpT10_ENKUlT_T0_E_clISt17integral_constantIbLb1EES1A_EEDaS15_S16_EUlS15_E_NS1_11comp_targetILNS1_3genE8ELNS1_11target_archE1030ELNS1_3gpuE2ELNS1_3repE0EEENS1_30default_config_static_selectorELNS0_4arch9wavefront6targetE0EEEvT1_, .Lfunc_end702-_ZN7rocprim17ROCPRIM_400000_NS6detail17trampoline_kernelINS0_14default_configENS1_25partition_config_selectorILNS1_17partition_subalgoE5E10large_dataNS0_10empty_typeEbEEZZNS1_14partition_implILS5_5ELb0ES3_mN6thrust23THRUST_200600_302600_NS6detail15normal_iteratorINSB_10device_ptrIS6_EEEEPS7_NSB_18transform_iteratorI5mod_3IS6_ESG_NSB_11use_defaultESL_EENS0_5tupleIJSG_S7_EEENSN_IJSH_SH_EEES7_PlJS7_EEE10hipError_tPvRmT3_T4_T5_T6_T7_T9_mT8_P12ihipStream_tbDpT10_ENKUlT_T0_E_clISt17integral_constantIbLb1EES1A_EEDaS15_S16_EUlS15_E_NS1_11comp_targetILNS1_3genE8ELNS1_11target_archE1030ELNS1_3gpuE2ELNS1_3repE0EEENS1_30default_config_static_selectorELNS0_4arch9wavefront6targetE0EEEvT1_
                                        ; -- End function
	.section	.AMDGPU.csdata,"",@progbits
; Kernel info:
; codeLenInByte = 0
; NumSgprs: 0
; NumVgprs: 0
; ScratchSize: 0
; MemoryBound: 0
; FloatMode: 240
; IeeeMode: 1
; LDSByteSize: 0 bytes/workgroup (compile time only)
; SGPRBlocks: 0
; VGPRBlocks: 0
; NumSGPRsForWavesPerEU: 1
; NumVGPRsForWavesPerEU: 1
; Occupancy: 16
; WaveLimiterHint : 0
; COMPUTE_PGM_RSRC2:SCRATCH_EN: 0
; COMPUTE_PGM_RSRC2:USER_SGPR: 15
; COMPUTE_PGM_RSRC2:TRAP_HANDLER: 0
; COMPUTE_PGM_RSRC2:TGID_X_EN: 1
; COMPUTE_PGM_RSRC2:TGID_Y_EN: 0
; COMPUTE_PGM_RSRC2:TGID_Z_EN: 0
; COMPUTE_PGM_RSRC2:TIDIG_COMP_CNT: 0
	.section	.text._ZN7rocprim17ROCPRIM_400000_NS6detail17trampoline_kernelINS0_14default_configENS1_25partition_config_selectorILNS1_17partition_subalgoE5E10large_dataNS0_10empty_typeEbEEZZNS1_14partition_implILS5_5ELb0ES3_mN6thrust23THRUST_200600_302600_NS6detail15normal_iteratorINSB_10device_ptrIS6_EEEEPS7_NSB_18transform_iteratorI5mod_3IS6_ESG_NSB_11use_defaultESL_EENS0_5tupleIJSG_S7_EEENSN_IJSH_SH_EEES7_PlJS7_EEE10hipError_tPvRmT3_T4_T5_T6_T7_T9_mT8_P12ihipStream_tbDpT10_ENKUlT_T0_E_clISt17integral_constantIbLb1EES19_IbLb0EEEEDaS15_S16_EUlS15_E_NS1_11comp_targetILNS1_3genE0ELNS1_11target_archE4294967295ELNS1_3gpuE0ELNS1_3repE0EEENS1_30default_config_static_selectorELNS0_4arch9wavefront6targetE0EEEvT1_,"axG",@progbits,_ZN7rocprim17ROCPRIM_400000_NS6detail17trampoline_kernelINS0_14default_configENS1_25partition_config_selectorILNS1_17partition_subalgoE5E10large_dataNS0_10empty_typeEbEEZZNS1_14partition_implILS5_5ELb0ES3_mN6thrust23THRUST_200600_302600_NS6detail15normal_iteratorINSB_10device_ptrIS6_EEEEPS7_NSB_18transform_iteratorI5mod_3IS6_ESG_NSB_11use_defaultESL_EENS0_5tupleIJSG_S7_EEENSN_IJSH_SH_EEES7_PlJS7_EEE10hipError_tPvRmT3_T4_T5_T6_T7_T9_mT8_P12ihipStream_tbDpT10_ENKUlT_T0_E_clISt17integral_constantIbLb1EES19_IbLb0EEEEDaS15_S16_EUlS15_E_NS1_11comp_targetILNS1_3genE0ELNS1_11target_archE4294967295ELNS1_3gpuE0ELNS1_3repE0EEENS1_30default_config_static_selectorELNS0_4arch9wavefront6targetE0EEEvT1_,comdat
	.protected	_ZN7rocprim17ROCPRIM_400000_NS6detail17trampoline_kernelINS0_14default_configENS1_25partition_config_selectorILNS1_17partition_subalgoE5E10large_dataNS0_10empty_typeEbEEZZNS1_14partition_implILS5_5ELb0ES3_mN6thrust23THRUST_200600_302600_NS6detail15normal_iteratorINSB_10device_ptrIS6_EEEEPS7_NSB_18transform_iteratorI5mod_3IS6_ESG_NSB_11use_defaultESL_EENS0_5tupleIJSG_S7_EEENSN_IJSH_SH_EEES7_PlJS7_EEE10hipError_tPvRmT3_T4_T5_T6_T7_T9_mT8_P12ihipStream_tbDpT10_ENKUlT_T0_E_clISt17integral_constantIbLb1EES19_IbLb0EEEEDaS15_S16_EUlS15_E_NS1_11comp_targetILNS1_3genE0ELNS1_11target_archE4294967295ELNS1_3gpuE0ELNS1_3repE0EEENS1_30default_config_static_selectorELNS0_4arch9wavefront6targetE0EEEvT1_ ; -- Begin function _ZN7rocprim17ROCPRIM_400000_NS6detail17trampoline_kernelINS0_14default_configENS1_25partition_config_selectorILNS1_17partition_subalgoE5E10large_dataNS0_10empty_typeEbEEZZNS1_14partition_implILS5_5ELb0ES3_mN6thrust23THRUST_200600_302600_NS6detail15normal_iteratorINSB_10device_ptrIS6_EEEEPS7_NSB_18transform_iteratorI5mod_3IS6_ESG_NSB_11use_defaultESL_EENS0_5tupleIJSG_S7_EEENSN_IJSH_SH_EEES7_PlJS7_EEE10hipError_tPvRmT3_T4_T5_T6_T7_T9_mT8_P12ihipStream_tbDpT10_ENKUlT_T0_E_clISt17integral_constantIbLb1EES19_IbLb0EEEEDaS15_S16_EUlS15_E_NS1_11comp_targetILNS1_3genE0ELNS1_11target_archE4294967295ELNS1_3gpuE0ELNS1_3repE0EEENS1_30default_config_static_selectorELNS0_4arch9wavefront6targetE0EEEvT1_
	.globl	_ZN7rocprim17ROCPRIM_400000_NS6detail17trampoline_kernelINS0_14default_configENS1_25partition_config_selectorILNS1_17partition_subalgoE5E10large_dataNS0_10empty_typeEbEEZZNS1_14partition_implILS5_5ELb0ES3_mN6thrust23THRUST_200600_302600_NS6detail15normal_iteratorINSB_10device_ptrIS6_EEEEPS7_NSB_18transform_iteratorI5mod_3IS6_ESG_NSB_11use_defaultESL_EENS0_5tupleIJSG_S7_EEENSN_IJSH_SH_EEES7_PlJS7_EEE10hipError_tPvRmT3_T4_T5_T6_T7_T9_mT8_P12ihipStream_tbDpT10_ENKUlT_T0_E_clISt17integral_constantIbLb1EES19_IbLb0EEEEDaS15_S16_EUlS15_E_NS1_11comp_targetILNS1_3genE0ELNS1_11target_archE4294967295ELNS1_3gpuE0ELNS1_3repE0EEENS1_30default_config_static_selectorELNS0_4arch9wavefront6targetE0EEEvT1_
	.p2align	8
	.type	_ZN7rocprim17ROCPRIM_400000_NS6detail17trampoline_kernelINS0_14default_configENS1_25partition_config_selectorILNS1_17partition_subalgoE5E10large_dataNS0_10empty_typeEbEEZZNS1_14partition_implILS5_5ELb0ES3_mN6thrust23THRUST_200600_302600_NS6detail15normal_iteratorINSB_10device_ptrIS6_EEEEPS7_NSB_18transform_iteratorI5mod_3IS6_ESG_NSB_11use_defaultESL_EENS0_5tupleIJSG_S7_EEENSN_IJSH_SH_EEES7_PlJS7_EEE10hipError_tPvRmT3_T4_T5_T6_T7_T9_mT8_P12ihipStream_tbDpT10_ENKUlT_T0_E_clISt17integral_constantIbLb1EES19_IbLb0EEEEDaS15_S16_EUlS15_E_NS1_11comp_targetILNS1_3genE0ELNS1_11target_archE4294967295ELNS1_3gpuE0ELNS1_3repE0EEENS1_30default_config_static_selectorELNS0_4arch9wavefront6targetE0EEEvT1_,@function
_ZN7rocprim17ROCPRIM_400000_NS6detail17trampoline_kernelINS0_14default_configENS1_25partition_config_selectorILNS1_17partition_subalgoE5E10large_dataNS0_10empty_typeEbEEZZNS1_14partition_implILS5_5ELb0ES3_mN6thrust23THRUST_200600_302600_NS6detail15normal_iteratorINSB_10device_ptrIS6_EEEEPS7_NSB_18transform_iteratorI5mod_3IS6_ESG_NSB_11use_defaultESL_EENS0_5tupleIJSG_S7_EEENSN_IJSH_SH_EEES7_PlJS7_EEE10hipError_tPvRmT3_T4_T5_T6_T7_T9_mT8_P12ihipStream_tbDpT10_ENKUlT_T0_E_clISt17integral_constantIbLb1EES19_IbLb0EEEEDaS15_S16_EUlS15_E_NS1_11comp_targetILNS1_3genE0ELNS1_11target_archE4294967295ELNS1_3gpuE0ELNS1_3repE0EEENS1_30default_config_static_selectorELNS0_4arch9wavefront6targetE0EEEvT1_: ; @_ZN7rocprim17ROCPRIM_400000_NS6detail17trampoline_kernelINS0_14default_configENS1_25partition_config_selectorILNS1_17partition_subalgoE5E10large_dataNS0_10empty_typeEbEEZZNS1_14partition_implILS5_5ELb0ES3_mN6thrust23THRUST_200600_302600_NS6detail15normal_iteratorINSB_10device_ptrIS6_EEEEPS7_NSB_18transform_iteratorI5mod_3IS6_ESG_NSB_11use_defaultESL_EENS0_5tupleIJSG_S7_EEENSN_IJSH_SH_EEES7_PlJS7_EEE10hipError_tPvRmT3_T4_T5_T6_T7_T9_mT8_P12ihipStream_tbDpT10_ENKUlT_T0_E_clISt17integral_constantIbLb1EES19_IbLb0EEEEDaS15_S16_EUlS15_E_NS1_11comp_targetILNS1_3genE0ELNS1_11target_archE4294967295ELNS1_3gpuE0ELNS1_3repE0EEENS1_30default_config_static_selectorELNS0_4arch9wavefront6targetE0EEEvT1_
; %bb.0:
	.section	.rodata,"a",@progbits
	.p2align	6, 0x0
	.amdhsa_kernel _ZN7rocprim17ROCPRIM_400000_NS6detail17trampoline_kernelINS0_14default_configENS1_25partition_config_selectorILNS1_17partition_subalgoE5E10large_dataNS0_10empty_typeEbEEZZNS1_14partition_implILS5_5ELb0ES3_mN6thrust23THRUST_200600_302600_NS6detail15normal_iteratorINSB_10device_ptrIS6_EEEEPS7_NSB_18transform_iteratorI5mod_3IS6_ESG_NSB_11use_defaultESL_EENS0_5tupleIJSG_S7_EEENSN_IJSH_SH_EEES7_PlJS7_EEE10hipError_tPvRmT3_T4_T5_T6_T7_T9_mT8_P12ihipStream_tbDpT10_ENKUlT_T0_E_clISt17integral_constantIbLb1EES19_IbLb0EEEEDaS15_S16_EUlS15_E_NS1_11comp_targetILNS1_3genE0ELNS1_11target_archE4294967295ELNS1_3gpuE0ELNS1_3repE0EEENS1_30default_config_static_selectorELNS0_4arch9wavefront6targetE0EEEvT1_
		.amdhsa_group_segment_fixed_size 0
		.amdhsa_private_segment_fixed_size 0
		.amdhsa_kernarg_size 120
		.amdhsa_user_sgpr_count 15
		.amdhsa_user_sgpr_dispatch_ptr 0
		.amdhsa_user_sgpr_queue_ptr 0
		.amdhsa_user_sgpr_kernarg_segment_ptr 1
		.amdhsa_user_sgpr_dispatch_id 0
		.amdhsa_user_sgpr_private_segment_size 0
		.amdhsa_wavefront_size32 1
		.amdhsa_uses_dynamic_stack 0
		.amdhsa_enable_private_segment 0
		.amdhsa_system_sgpr_workgroup_id_x 1
		.amdhsa_system_sgpr_workgroup_id_y 0
		.amdhsa_system_sgpr_workgroup_id_z 0
		.amdhsa_system_sgpr_workgroup_info 0
		.amdhsa_system_vgpr_workitem_id 0
		.amdhsa_next_free_vgpr 1
		.amdhsa_next_free_sgpr 1
		.amdhsa_reserve_vcc 0
		.amdhsa_float_round_mode_32 0
		.amdhsa_float_round_mode_16_64 0
		.amdhsa_float_denorm_mode_32 3
		.amdhsa_float_denorm_mode_16_64 3
		.amdhsa_dx10_clamp 1
		.amdhsa_ieee_mode 1
		.amdhsa_fp16_overflow 0
		.amdhsa_workgroup_processor_mode 1
		.amdhsa_memory_ordered 1
		.amdhsa_forward_progress 0
		.amdhsa_shared_vgpr_count 0
		.amdhsa_exception_fp_ieee_invalid_op 0
		.amdhsa_exception_fp_denorm_src 0
		.amdhsa_exception_fp_ieee_div_zero 0
		.amdhsa_exception_fp_ieee_overflow 0
		.amdhsa_exception_fp_ieee_underflow 0
		.amdhsa_exception_fp_ieee_inexact 0
		.amdhsa_exception_int_div_zero 0
	.end_amdhsa_kernel
	.section	.text._ZN7rocprim17ROCPRIM_400000_NS6detail17trampoline_kernelINS0_14default_configENS1_25partition_config_selectorILNS1_17partition_subalgoE5E10large_dataNS0_10empty_typeEbEEZZNS1_14partition_implILS5_5ELb0ES3_mN6thrust23THRUST_200600_302600_NS6detail15normal_iteratorINSB_10device_ptrIS6_EEEEPS7_NSB_18transform_iteratorI5mod_3IS6_ESG_NSB_11use_defaultESL_EENS0_5tupleIJSG_S7_EEENSN_IJSH_SH_EEES7_PlJS7_EEE10hipError_tPvRmT3_T4_T5_T6_T7_T9_mT8_P12ihipStream_tbDpT10_ENKUlT_T0_E_clISt17integral_constantIbLb1EES19_IbLb0EEEEDaS15_S16_EUlS15_E_NS1_11comp_targetILNS1_3genE0ELNS1_11target_archE4294967295ELNS1_3gpuE0ELNS1_3repE0EEENS1_30default_config_static_selectorELNS0_4arch9wavefront6targetE0EEEvT1_,"axG",@progbits,_ZN7rocprim17ROCPRIM_400000_NS6detail17trampoline_kernelINS0_14default_configENS1_25partition_config_selectorILNS1_17partition_subalgoE5E10large_dataNS0_10empty_typeEbEEZZNS1_14partition_implILS5_5ELb0ES3_mN6thrust23THRUST_200600_302600_NS6detail15normal_iteratorINSB_10device_ptrIS6_EEEEPS7_NSB_18transform_iteratorI5mod_3IS6_ESG_NSB_11use_defaultESL_EENS0_5tupleIJSG_S7_EEENSN_IJSH_SH_EEES7_PlJS7_EEE10hipError_tPvRmT3_T4_T5_T6_T7_T9_mT8_P12ihipStream_tbDpT10_ENKUlT_T0_E_clISt17integral_constantIbLb1EES19_IbLb0EEEEDaS15_S16_EUlS15_E_NS1_11comp_targetILNS1_3genE0ELNS1_11target_archE4294967295ELNS1_3gpuE0ELNS1_3repE0EEENS1_30default_config_static_selectorELNS0_4arch9wavefront6targetE0EEEvT1_,comdat
.Lfunc_end703:
	.size	_ZN7rocprim17ROCPRIM_400000_NS6detail17trampoline_kernelINS0_14default_configENS1_25partition_config_selectorILNS1_17partition_subalgoE5E10large_dataNS0_10empty_typeEbEEZZNS1_14partition_implILS5_5ELb0ES3_mN6thrust23THRUST_200600_302600_NS6detail15normal_iteratorINSB_10device_ptrIS6_EEEEPS7_NSB_18transform_iteratorI5mod_3IS6_ESG_NSB_11use_defaultESL_EENS0_5tupleIJSG_S7_EEENSN_IJSH_SH_EEES7_PlJS7_EEE10hipError_tPvRmT3_T4_T5_T6_T7_T9_mT8_P12ihipStream_tbDpT10_ENKUlT_T0_E_clISt17integral_constantIbLb1EES19_IbLb0EEEEDaS15_S16_EUlS15_E_NS1_11comp_targetILNS1_3genE0ELNS1_11target_archE4294967295ELNS1_3gpuE0ELNS1_3repE0EEENS1_30default_config_static_selectorELNS0_4arch9wavefront6targetE0EEEvT1_, .Lfunc_end703-_ZN7rocprim17ROCPRIM_400000_NS6detail17trampoline_kernelINS0_14default_configENS1_25partition_config_selectorILNS1_17partition_subalgoE5E10large_dataNS0_10empty_typeEbEEZZNS1_14partition_implILS5_5ELb0ES3_mN6thrust23THRUST_200600_302600_NS6detail15normal_iteratorINSB_10device_ptrIS6_EEEEPS7_NSB_18transform_iteratorI5mod_3IS6_ESG_NSB_11use_defaultESL_EENS0_5tupleIJSG_S7_EEENSN_IJSH_SH_EEES7_PlJS7_EEE10hipError_tPvRmT3_T4_T5_T6_T7_T9_mT8_P12ihipStream_tbDpT10_ENKUlT_T0_E_clISt17integral_constantIbLb1EES19_IbLb0EEEEDaS15_S16_EUlS15_E_NS1_11comp_targetILNS1_3genE0ELNS1_11target_archE4294967295ELNS1_3gpuE0ELNS1_3repE0EEENS1_30default_config_static_selectorELNS0_4arch9wavefront6targetE0EEEvT1_
                                        ; -- End function
	.section	.AMDGPU.csdata,"",@progbits
; Kernel info:
; codeLenInByte = 0
; NumSgprs: 0
; NumVgprs: 0
; ScratchSize: 0
; MemoryBound: 0
; FloatMode: 240
; IeeeMode: 1
; LDSByteSize: 0 bytes/workgroup (compile time only)
; SGPRBlocks: 0
; VGPRBlocks: 0
; NumSGPRsForWavesPerEU: 1
; NumVGPRsForWavesPerEU: 1
; Occupancy: 16
; WaveLimiterHint : 0
; COMPUTE_PGM_RSRC2:SCRATCH_EN: 0
; COMPUTE_PGM_RSRC2:USER_SGPR: 15
; COMPUTE_PGM_RSRC2:TRAP_HANDLER: 0
; COMPUTE_PGM_RSRC2:TGID_X_EN: 1
; COMPUTE_PGM_RSRC2:TGID_Y_EN: 0
; COMPUTE_PGM_RSRC2:TGID_Z_EN: 0
; COMPUTE_PGM_RSRC2:TIDIG_COMP_CNT: 0
	.section	.text._ZN7rocprim17ROCPRIM_400000_NS6detail17trampoline_kernelINS0_14default_configENS1_25partition_config_selectorILNS1_17partition_subalgoE5E10large_dataNS0_10empty_typeEbEEZZNS1_14partition_implILS5_5ELb0ES3_mN6thrust23THRUST_200600_302600_NS6detail15normal_iteratorINSB_10device_ptrIS6_EEEEPS7_NSB_18transform_iteratorI5mod_3IS6_ESG_NSB_11use_defaultESL_EENS0_5tupleIJSG_S7_EEENSN_IJSH_SH_EEES7_PlJS7_EEE10hipError_tPvRmT3_T4_T5_T6_T7_T9_mT8_P12ihipStream_tbDpT10_ENKUlT_T0_E_clISt17integral_constantIbLb1EES19_IbLb0EEEEDaS15_S16_EUlS15_E_NS1_11comp_targetILNS1_3genE5ELNS1_11target_archE942ELNS1_3gpuE9ELNS1_3repE0EEENS1_30default_config_static_selectorELNS0_4arch9wavefront6targetE0EEEvT1_,"axG",@progbits,_ZN7rocprim17ROCPRIM_400000_NS6detail17trampoline_kernelINS0_14default_configENS1_25partition_config_selectorILNS1_17partition_subalgoE5E10large_dataNS0_10empty_typeEbEEZZNS1_14partition_implILS5_5ELb0ES3_mN6thrust23THRUST_200600_302600_NS6detail15normal_iteratorINSB_10device_ptrIS6_EEEEPS7_NSB_18transform_iteratorI5mod_3IS6_ESG_NSB_11use_defaultESL_EENS0_5tupleIJSG_S7_EEENSN_IJSH_SH_EEES7_PlJS7_EEE10hipError_tPvRmT3_T4_T5_T6_T7_T9_mT8_P12ihipStream_tbDpT10_ENKUlT_T0_E_clISt17integral_constantIbLb1EES19_IbLb0EEEEDaS15_S16_EUlS15_E_NS1_11comp_targetILNS1_3genE5ELNS1_11target_archE942ELNS1_3gpuE9ELNS1_3repE0EEENS1_30default_config_static_selectorELNS0_4arch9wavefront6targetE0EEEvT1_,comdat
	.protected	_ZN7rocprim17ROCPRIM_400000_NS6detail17trampoline_kernelINS0_14default_configENS1_25partition_config_selectorILNS1_17partition_subalgoE5E10large_dataNS0_10empty_typeEbEEZZNS1_14partition_implILS5_5ELb0ES3_mN6thrust23THRUST_200600_302600_NS6detail15normal_iteratorINSB_10device_ptrIS6_EEEEPS7_NSB_18transform_iteratorI5mod_3IS6_ESG_NSB_11use_defaultESL_EENS0_5tupleIJSG_S7_EEENSN_IJSH_SH_EEES7_PlJS7_EEE10hipError_tPvRmT3_T4_T5_T6_T7_T9_mT8_P12ihipStream_tbDpT10_ENKUlT_T0_E_clISt17integral_constantIbLb1EES19_IbLb0EEEEDaS15_S16_EUlS15_E_NS1_11comp_targetILNS1_3genE5ELNS1_11target_archE942ELNS1_3gpuE9ELNS1_3repE0EEENS1_30default_config_static_selectorELNS0_4arch9wavefront6targetE0EEEvT1_ ; -- Begin function _ZN7rocprim17ROCPRIM_400000_NS6detail17trampoline_kernelINS0_14default_configENS1_25partition_config_selectorILNS1_17partition_subalgoE5E10large_dataNS0_10empty_typeEbEEZZNS1_14partition_implILS5_5ELb0ES3_mN6thrust23THRUST_200600_302600_NS6detail15normal_iteratorINSB_10device_ptrIS6_EEEEPS7_NSB_18transform_iteratorI5mod_3IS6_ESG_NSB_11use_defaultESL_EENS0_5tupleIJSG_S7_EEENSN_IJSH_SH_EEES7_PlJS7_EEE10hipError_tPvRmT3_T4_T5_T6_T7_T9_mT8_P12ihipStream_tbDpT10_ENKUlT_T0_E_clISt17integral_constantIbLb1EES19_IbLb0EEEEDaS15_S16_EUlS15_E_NS1_11comp_targetILNS1_3genE5ELNS1_11target_archE942ELNS1_3gpuE9ELNS1_3repE0EEENS1_30default_config_static_selectorELNS0_4arch9wavefront6targetE0EEEvT1_
	.globl	_ZN7rocprim17ROCPRIM_400000_NS6detail17trampoline_kernelINS0_14default_configENS1_25partition_config_selectorILNS1_17partition_subalgoE5E10large_dataNS0_10empty_typeEbEEZZNS1_14partition_implILS5_5ELb0ES3_mN6thrust23THRUST_200600_302600_NS6detail15normal_iteratorINSB_10device_ptrIS6_EEEEPS7_NSB_18transform_iteratorI5mod_3IS6_ESG_NSB_11use_defaultESL_EENS0_5tupleIJSG_S7_EEENSN_IJSH_SH_EEES7_PlJS7_EEE10hipError_tPvRmT3_T4_T5_T6_T7_T9_mT8_P12ihipStream_tbDpT10_ENKUlT_T0_E_clISt17integral_constantIbLb1EES19_IbLb0EEEEDaS15_S16_EUlS15_E_NS1_11comp_targetILNS1_3genE5ELNS1_11target_archE942ELNS1_3gpuE9ELNS1_3repE0EEENS1_30default_config_static_selectorELNS0_4arch9wavefront6targetE0EEEvT1_
	.p2align	8
	.type	_ZN7rocprim17ROCPRIM_400000_NS6detail17trampoline_kernelINS0_14default_configENS1_25partition_config_selectorILNS1_17partition_subalgoE5E10large_dataNS0_10empty_typeEbEEZZNS1_14partition_implILS5_5ELb0ES3_mN6thrust23THRUST_200600_302600_NS6detail15normal_iteratorINSB_10device_ptrIS6_EEEEPS7_NSB_18transform_iteratorI5mod_3IS6_ESG_NSB_11use_defaultESL_EENS0_5tupleIJSG_S7_EEENSN_IJSH_SH_EEES7_PlJS7_EEE10hipError_tPvRmT3_T4_T5_T6_T7_T9_mT8_P12ihipStream_tbDpT10_ENKUlT_T0_E_clISt17integral_constantIbLb1EES19_IbLb0EEEEDaS15_S16_EUlS15_E_NS1_11comp_targetILNS1_3genE5ELNS1_11target_archE942ELNS1_3gpuE9ELNS1_3repE0EEENS1_30default_config_static_selectorELNS0_4arch9wavefront6targetE0EEEvT1_,@function
_ZN7rocprim17ROCPRIM_400000_NS6detail17trampoline_kernelINS0_14default_configENS1_25partition_config_selectorILNS1_17partition_subalgoE5E10large_dataNS0_10empty_typeEbEEZZNS1_14partition_implILS5_5ELb0ES3_mN6thrust23THRUST_200600_302600_NS6detail15normal_iteratorINSB_10device_ptrIS6_EEEEPS7_NSB_18transform_iteratorI5mod_3IS6_ESG_NSB_11use_defaultESL_EENS0_5tupleIJSG_S7_EEENSN_IJSH_SH_EEES7_PlJS7_EEE10hipError_tPvRmT3_T4_T5_T6_T7_T9_mT8_P12ihipStream_tbDpT10_ENKUlT_T0_E_clISt17integral_constantIbLb1EES19_IbLb0EEEEDaS15_S16_EUlS15_E_NS1_11comp_targetILNS1_3genE5ELNS1_11target_archE942ELNS1_3gpuE9ELNS1_3repE0EEENS1_30default_config_static_selectorELNS0_4arch9wavefront6targetE0EEEvT1_: ; @_ZN7rocprim17ROCPRIM_400000_NS6detail17trampoline_kernelINS0_14default_configENS1_25partition_config_selectorILNS1_17partition_subalgoE5E10large_dataNS0_10empty_typeEbEEZZNS1_14partition_implILS5_5ELb0ES3_mN6thrust23THRUST_200600_302600_NS6detail15normal_iteratorINSB_10device_ptrIS6_EEEEPS7_NSB_18transform_iteratorI5mod_3IS6_ESG_NSB_11use_defaultESL_EENS0_5tupleIJSG_S7_EEENSN_IJSH_SH_EEES7_PlJS7_EEE10hipError_tPvRmT3_T4_T5_T6_T7_T9_mT8_P12ihipStream_tbDpT10_ENKUlT_T0_E_clISt17integral_constantIbLb1EES19_IbLb0EEEEDaS15_S16_EUlS15_E_NS1_11comp_targetILNS1_3genE5ELNS1_11target_archE942ELNS1_3gpuE9ELNS1_3repE0EEENS1_30default_config_static_selectorELNS0_4arch9wavefront6targetE0EEEvT1_
; %bb.0:
	.section	.rodata,"a",@progbits
	.p2align	6, 0x0
	.amdhsa_kernel _ZN7rocprim17ROCPRIM_400000_NS6detail17trampoline_kernelINS0_14default_configENS1_25partition_config_selectorILNS1_17partition_subalgoE5E10large_dataNS0_10empty_typeEbEEZZNS1_14partition_implILS5_5ELb0ES3_mN6thrust23THRUST_200600_302600_NS6detail15normal_iteratorINSB_10device_ptrIS6_EEEEPS7_NSB_18transform_iteratorI5mod_3IS6_ESG_NSB_11use_defaultESL_EENS0_5tupleIJSG_S7_EEENSN_IJSH_SH_EEES7_PlJS7_EEE10hipError_tPvRmT3_T4_T5_T6_T7_T9_mT8_P12ihipStream_tbDpT10_ENKUlT_T0_E_clISt17integral_constantIbLb1EES19_IbLb0EEEEDaS15_S16_EUlS15_E_NS1_11comp_targetILNS1_3genE5ELNS1_11target_archE942ELNS1_3gpuE9ELNS1_3repE0EEENS1_30default_config_static_selectorELNS0_4arch9wavefront6targetE0EEEvT1_
		.amdhsa_group_segment_fixed_size 0
		.amdhsa_private_segment_fixed_size 0
		.amdhsa_kernarg_size 120
		.amdhsa_user_sgpr_count 15
		.amdhsa_user_sgpr_dispatch_ptr 0
		.amdhsa_user_sgpr_queue_ptr 0
		.amdhsa_user_sgpr_kernarg_segment_ptr 1
		.amdhsa_user_sgpr_dispatch_id 0
		.amdhsa_user_sgpr_private_segment_size 0
		.amdhsa_wavefront_size32 1
		.amdhsa_uses_dynamic_stack 0
		.amdhsa_enable_private_segment 0
		.amdhsa_system_sgpr_workgroup_id_x 1
		.amdhsa_system_sgpr_workgroup_id_y 0
		.amdhsa_system_sgpr_workgroup_id_z 0
		.amdhsa_system_sgpr_workgroup_info 0
		.amdhsa_system_vgpr_workitem_id 0
		.amdhsa_next_free_vgpr 1
		.amdhsa_next_free_sgpr 1
		.amdhsa_reserve_vcc 0
		.amdhsa_float_round_mode_32 0
		.amdhsa_float_round_mode_16_64 0
		.amdhsa_float_denorm_mode_32 3
		.amdhsa_float_denorm_mode_16_64 3
		.amdhsa_dx10_clamp 1
		.amdhsa_ieee_mode 1
		.amdhsa_fp16_overflow 0
		.amdhsa_workgroup_processor_mode 1
		.amdhsa_memory_ordered 1
		.amdhsa_forward_progress 0
		.amdhsa_shared_vgpr_count 0
		.amdhsa_exception_fp_ieee_invalid_op 0
		.amdhsa_exception_fp_denorm_src 0
		.amdhsa_exception_fp_ieee_div_zero 0
		.amdhsa_exception_fp_ieee_overflow 0
		.amdhsa_exception_fp_ieee_underflow 0
		.amdhsa_exception_fp_ieee_inexact 0
		.amdhsa_exception_int_div_zero 0
	.end_amdhsa_kernel
	.section	.text._ZN7rocprim17ROCPRIM_400000_NS6detail17trampoline_kernelINS0_14default_configENS1_25partition_config_selectorILNS1_17partition_subalgoE5E10large_dataNS0_10empty_typeEbEEZZNS1_14partition_implILS5_5ELb0ES3_mN6thrust23THRUST_200600_302600_NS6detail15normal_iteratorINSB_10device_ptrIS6_EEEEPS7_NSB_18transform_iteratorI5mod_3IS6_ESG_NSB_11use_defaultESL_EENS0_5tupleIJSG_S7_EEENSN_IJSH_SH_EEES7_PlJS7_EEE10hipError_tPvRmT3_T4_T5_T6_T7_T9_mT8_P12ihipStream_tbDpT10_ENKUlT_T0_E_clISt17integral_constantIbLb1EES19_IbLb0EEEEDaS15_S16_EUlS15_E_NS1_11comp_targetILNS1_3genE5ELNS1_11target_archE942ELNS1_3gpuE9ELNS1_3repE0EEENS1_30default_config_static_selectorELNS0_4arch9wavefront6targetE0EEEvT1_,"axG",@progbits,_ZN7rocprim17ROCPRIM_400000_NS6detail17trampoline_kernelINS0_14default_configENS1_25partition_config_selectorILNS1_17partition_subalgoE5E10large_dataNS0_10empty_typeEbEEZZNS1_14partition_implILS5_5ELb0ES3_mN6thrust23THRUST_200600_302600_NS6detail15normal_iteratorINSB_10device_ptrIS6_EEEEPS7_NSB_18transform_iteratorI5mod_3IS6_ESG_NSB_11use_defaultESL_EENS0_5tupleIJSG_S7_EEENSN_IJSH_SH_EEES7_PlJS7_EEE10hipError_tPvRmT3_T4_T5_T6_T7_T9_mT8_P12ihipStream_tbDpT10_ENKUlT_T0_E_clISt17integral_constantIbLb1EES19_IbLb0EEEEDaS15_S16_EUlS15_E_NS1_11comp_targetILNS1_3genE5ELNS1_11target_archE942ELNS1_3gpuE9ELNS1_3repE0EEENS1_30default_config_static_selectorELNS0_4arch9wavefront6targetE0EEEvT1_,comdat
.Lfunc_end704:
	.size	_ZN7rocprim17ROCPRIM_400000_NS6detail17trampoline_kernelINS0_14default_configENS1_25partition_config_selectorILNS1_17partition_subalgoE5E10large_dataNS0_10empty_typeEbEEZZNS1_14partition_implILS5_5ELb0ES3_mN6thrust23THRUST_200600_302600_NS6detail15normal_iteratorINSB_10device_ptrIS6_EEEEPS7_NSB_18transform_iteratorI5mod_3IS6_ESG_NSB_11use_defaultESL_EENS0_5tupleIJSG_S7_EEENSN_IJSH_SH_EEES7_PlJS7_EEE10hipError_tPvRmT3_T4_T5_T6_T7_T9_mT8_P12ihipStream_tbDpT10_ENKUlT_T0_E_clISt17integral_constantIbLb1EES19_IbLb0EEEEDaS15_S16_EUlS15_E_NS1_11comp_targetILNS1_3genE5ELNS1_11target_archE942ELNS1_3gpuE9ELNS1_3repE0EEENS1_30default_config_static_selectorELNS0_4arch9wavefront6targetE0EEEvT1_, .Lfunc_end704-_ZN7rocprim17ROCPRIM_400000_NS6detail17trampoline_kernelINS0_14default_configENS1_25partition_config_selectorILNS1_17partition_subalgoE5E10large_dataNS0_10empty_typeEbEEZZNS1_14partition_implILS5_5ELb0ES3_mN6thrust23THRUST_200600_302600_NS6detail15normal_iteratorINSB_10device_ptrIS6_EEEEPS7_NSB_18transform_iteratorI5mod_3IS6_ESG_NSB_11use_defaultESL_EENS0_5tupleIJSG_S7_EEENSN_IJSH_SH_EEES7_PlJS7_EEE10hipError_tPvRmT3_T4_T5_T6_T7_T9_mT8_P12ihipStream_tbDpT10_ENKUlT_T0_E_clISt17integral_constantIbLb1EES19_IbLb0EEEEDaS15_S16_EUlS15_E_NS1_11comp_targetILNS1_3genE5ELNS1_11target_archE942ELNS1_3gpuE9ELNS1_3repE0EEENS1_30default_config_static_selectorELNS0_4arch9wavefront6targetE0EEEvT1_
                                        ; -- End function
	.section	.AMDGPU.csdata,"",@progbits
; Kernel info:
; codeLenInByte = 0
; NumSgprs: 0
; NumVgprs: 0
; ScratchSize: 0
; MemoryBound: 0
; FloatMode: 240
; IeeeMode: 1
; LDSByteSize: 0 bytes/workgroup (compile time only)
; SGPRBlocks: 0
; VGPRBlocks: 0
; NumSGPRsForWavesPerEU: 1
; NumVGPRsForWavesPerEU: 1
; Occupancy: 16
; WaveLimiterHint : 0
; COMPUTE_PGM_RSRC2:SCRATCH_EN: 0
; COMPUTE_PGM_RSRC2:USER_SGPR: 15
; COMPUTE_PGM_RSRC2:TRAP_HANDLER: 0
; COMPUTE_PGM_RSRC2:TGID_X_EN: 1
; COMPUTE_PGM_RSRC2:TGID_Y_EN: 0
; COMPUTE_PGM_RSRC2:TGID_Z_EN: 0
; COMPUTE_PGM_RSRC2:TIDIG_COMP_CNT: 0
	.section	.text._ZN7rocprim17ROCPRIM_400000_NS6detail17trampoline_kernelINS0_14default_configENS1_25partition_config_selectorILNS1_17partition_subalgoE5E10large_dataNS0_10empty_typeEbEEZZNS1_14partition_implILS5_5ELb0ES3_mN6thrust23THRUST_200600_302600_NS6detail15normal_iteratorINSB_10device_ptrIS6_EEEEPS7_NSB_18transform_iteratorI5mod_3IS6_ESG_NSB_11use_defaultESL_EENS0_5tupleIJSG_S7_EEENSN_IJSH_SH_EEES7_PlJS7_EEE10hipError_tPvRmT3_T4_T5_T6_T7_T9_mT8_P12ihipStream_tbDpT10_ENKUlT_T0_E_clISt17integral_constantIbLb1EES19_IbLb0EEEEDaS15_S16_EUlS15_E_NS1_11comp_targetILNS1_3genE4ELNS1_11target_archE910ELNS1_3gpuE8ELNS1_3repE0EEENS1_30default_config_static_selectorELNS0_4arch9wavefront6targetE0EEEvT1_,"axG",@progbits,_ZN7rocprim17ROCPRIM_400000_NS6detail17trampoline_kernelINS0_14default_configENS1_25partition_config_selectorILNS1_17partition_subalgoE5E10large_dataNS0_10empty_typeEbEEZZNS1_14partition_implILS5_5ELb0ES3_mN6thrust23THRUST_200600_302600_NS6detail15normal_iteratorINSB_10device_ptrIS6_EEEEPS7_NSB_18transform_iteratorI5mod_3IS6_ESG_NSB_11use_defaultESL_EENS0_5tupleIJSG_S7_EEENSN_IJSH_SH_EEES7_PlJS7_EEE10hipError_tPvRmT3_T4_T5_T6_T7_T9_mT8_P12ihipStream_tbDpT10_ENKUlT_T0_E_clISt17integral_constantIbLb1EES19_IbLb0EEEEDaS15_S16_EUlS15_E_NS1_11comp_targetILNS1_3genE4ELNS1_11target_archE910ELNS1_3gpuE8ELNS1_3repE0EEENS1_30default_config_static_selectorELNS0_4arch9wavefront6targetE0EEEvT1_,comdat
	.protected	_ZN7rocprim17ROCPRIM_400000_NS6detail17trampoline_kernelINS0_14default_configENS1_25partition_config_selectorILNS1_17partition_subalgoE5E10large_dataNS0_10empty_typeEbEEZZNS1_14partition_implILS5_5ELb0ES3_mN6thrust23THRUST_200600_302600_NS6detail15normal_iteratorINSB_10device_ptrIS6_EEEEPS7_NSB_18transform_iteratorI5mod_3IS6_ESG_NSB_11use_defaultESL_EENS0_5tupleIJSG_S7_EEENSN_IJSH_SH_EEES7_PlJS7_EEE10hipError_tPvRmT3_T4_T5_T6_T7_T9_mT8_P12ihipStream_tbDpT10_ENKUlT_T0_E_clISt17integral_constantIbLb1EES19_IbLb0EEEEDaS15_S16_EUlS15_E_NS1_11comp_targetILNS1_3genE4ELNS1_11target_archE910ELNS1_3gpuE8ELNS1_3repE0EEENS1_30default_config_static_selectorELNS0_4arch9wavefront6targetE0EEEvT1_ ; -- Begin function _ZN7rocprim17ROCPRIM_400000_NS6detail17trampoline_kernelINS0_14default_configENS1_25partition_config_selectorILNS1_17partition_subalgoE5E10large_dataNS0_10empty_typeEbEEZZNS1_14partition_implILS5_5ELb0ES3_mN6thrust23THRUST_200600_302600_NS6detail15normal_iteratorINSB_10device_ptrIS6_EEEEPS7_NSB_18transform_iteratorI5mod_3IS6_ESG_NSB_11use_defaultESL_EENS0_5tupleIJSG_S7_EEENSN_IJSH_SH_EEES7_PlJS7_EEE10hipError_tPvRmT3_T4_T5_T6_T7_T9_mT8_P12ihipStream_tbDpT10_ENKUlT_T0_E_clISt17integral_constantIbLb1EES19_IbLb0EEEEDaS15_S16_EUlS15_E_NS1_11comp_targetILNS1_3genE4ELNS1_11target_archE910ELNS1_3gpuE8ELNS1_3repE0EEENS1_30default_config_static_selectorELNS0_4arch9wavefront6targetE0EEEvT1_
	.globl	_ZN7rocprim17ROCPRIM_400000_NS6detail17trampoline_kernelINS0_14default_configENS1_25partition_config_selectorILNS1_17partition_subalgoE5E10large_dataNS0_10empty_typeEbEEZZNS1_14partition_implILS5_5ELb0ES3_mN6thrust23THRUST_200600_302600_NS6detail15normal_iteratorINSB_10device_ptrIS6_EEEEPS7_NSB_18transform_iteratorI5mod_3IS6_ESG_NSB_11use_defaultESL_EENS0_5tupleIJSG_S7_EEENSN_IJSH_SH_EEES7_PlJS7_EEE10hipError_tPvRmT3_T4_T5_T6_T7_T9_mT8_P12ihipStream_tbDpT10_ENKUlT_T0_E_clISt17integral_constantIbLb1EES19_IbLb0EEEEDaS15_S16_EUlS15_E_NS1_11comp_targetILNS1_3genE4ELNS1_11target_archE910ELNS1_3gpuE8ELNS1_3repE0EEENS1_30default_config_static_selectorELNS0_4arch9wavefront6targetE0EEEvT1_
	.p2align	8
	.type	_ZN7rocprim17ROCPRIM_400000_NS6detail17trampoline_kernelINS0_14default_configENS1_25partition_config_selectorILNS1_17partition_subalgoE5E10large_dataNS0_10empty_typeEbEEZZNS1_14partition_implILS5_5ELb0ES3_mN6thrust23THRUST_200600_302600_NS6detail15normal_iteratorINSB_10device_ptrIS6_EEEEPS7_NSB_18transform_iteratorI5mod_3IS6_ESG_NSB_11use_defaultESL_EENS0_5tupleIJSG_S7_EEENSN_IJSH_SH_EEES7_PlJS7_EEE10hipError_tPvRmT3_T4_T5_T6_T7_T9_mT8_P12ihipStream_tbDpT10_ENKUlT_T0_E_clISt17integral_constantIbLb1EES19_IbLb0EEEEDaS15_S16_EUlS15_E_NS1_11comp_targetILNS1_3genE4ELNS1_11target_archE910ELNS1_3gpuE8ELNS1_3repE0EEENS1_30default_config_static_selectorELNS0_4arch9wavefront6targetE0EEEvT1_,@function
_ZN7rocprim17ROCPRIM_400000_NS6detail17trampoline_kernelINS0_14default_configENS1_25partition_config_selectorILNS1_17partition_subalgoE5E10large_dataNS0_10empty_typeEbEEZZNS1_14partition_implILS5_5ELb0ES3_mN6thrust23THRUST_200600_302600_NS6detail15normal_iteratorINSB_10device_ptrIS6_EEEEPS7_NSB_18transform_iteratorI5mod_3IS6_ESG_NSB_11use_defaultESL_EENS0_5tupleIJSG_S7_EEENSN_IJSH_SH_EEES7_PlJS7_EEE10hipError_tPvRmT3_T4_T5_T6_T7_T9_mT8_P12ihipStream_tbDpT10_ENKUlT_T0_E_clISt17integral_constantIbLb1EES19_IbLb0EEEEDaS15_S16_EUlS15_E_NS1_11comp_targetILNS1_3genE4ELNS1_11target_archE910ELNS1_3gpuE8ELNS1_3repE0EEENS1_30default_config_static_selectorELNS0_4arch9wavefront6targetE0EEEvT1_: ; @_ZN7rocprim17ROCPRIM_400000_NS6detail17trampoline_kernelINS0_14default_configENS1_25partition_config_selectorILNS1_17partition_subalgoE5E10large_dataNS0_10empty_typeEbEEZZNS1_14partition_implILS5_5ELb0ES3_mN6thrust23THRUST_200600_302600_NS6detail15normal_iteratorINSB_10device_ptrIS6_EEEEPS7_NSB_18transform_iteratorI5mod_3IS6_ESG_NSB_11use_defaultESL_EENS0_5tupleIJSG_S7_EEENSN_IJSH_SH_EEES7_PlJS7_EEE10hipError_tPvRmT3_T4_T5_T6_T7_T9_mT8_P12ihipStream_tbDpT10_ENKUlT_T0_E_clISt17integral_constantIbLb1EES19_IbLb0EEEEDaS15_S16_EUlS15_E_NS1_11comp_targetILNS1_3genE4ELNS1_11target_archE910ELNS1_3gpuE8ELNS1_3repE0EEENS1_30default_config_static_selectorELNS0_4arch9wavefront6targetE0EEEvT1_
; %bb.0:
	.section	.rodata,"a",@progbits
	.p2align	6, 0x0
	.amdhsa_kernel _ZN7rocprim17ROCPRIM_400000_NS6detail17trampoline_kernelINS0_14default_configENS1_25partition_config_selectorILNS1_17partition_subalgoE5E10large_dataNS0_10empty_typeEbEEZZNS1_14partition_implILS5_5ELb0ES3_mN6thrust23THRUST_200600_302600_NS6detail15normal_iteratorINSB_10device_ptrIS6_EEEEPS7_NSB_18transform_iteratorI5mod_3IS6_ESG_NSB_11use_defaultESL_EENS0_5tupleIJSG_S7_EEENSN_IJSH_SH_EEES7_PlJS7_EEE10hipError_tPvRmT3_T4_T5_T6_T7_T9_mT8_P12ihipStream_tbDpT10_ENKUlT_T0_E_clISt17integral_constantIbLb1EES19_IbLb0EEEEDaS15_S16_EUlS15_E_NS1_11comp_targetILNS1_3genE4ELNS1_11target_archE910ELNS1_3gpuE8ELNS1_3repE0EEENS1_30default_config_static_selectorELNS0_4arch9wavefront6targetE0EEEvT1_
		.amdhsa_group_segment_fixed_size 0
		.amdhsa_private_segment_fixed_size 0
		.amdhsa_kernarg_size 120
		.amdhsa_user_sgpr_count 15
		.amdhsa_user_sgpr_dispatch_ptr 0
		.amdhsa_user_sgpr_queue_ptr 0
		.amdhsa_user_sgpr_kernarg_segment_ptr 1
		.amdhsa_user_sgpr_dispatch_id 0
		.amdhsa_user_sgpr_private_segment_size 0
		.amdhsa_wavefront_size32 1
		.amdhsa_uses_dynamic_stack 0
		.amdhsa_enable_private_segment 0
		.amdhsa_system_sgpr_workgroup_id_x 1
		.amdhsa_system_sgpr_workgroup_id_y 0
		.amdhsa_system_sgpr_workgroup_id_z 0
		.amdhsa_system_sgpr_workgroup_info 0
		.amdhsa_system_vgpr_workitem_id 0
		.amdhsa_next_free_vgpr 1
		.amdhsa_next_free_sgpr 1
		.amdhsa_reserve_vcc 0
		.amdhsa_float_round_mode_32 0
		.amdhsa_float_round_mode_16_64 0
		.amdhsa_float_denorm_mode_32 3
		.amdhsa_float_denorm_mode_16_64 3
		.amdhsa_dx10_clamp 1
		.amdhsa_ieee_mode 1
		.amdhsa_fp16_overflow 0
		.amdhsa_workgroup_processor_mode 1
		.amdhsa_memory_ordered 1
		.amdhsa_forward_progress 0
		.amdhsa_shared_vgpr_count 0
		.amdhsa_exception_fp_ieee_invalid_op 0
		.amdhsa_exception_fp_denorm_src 0
		.amdhsa_exception_fp_ieee_div_zero 0
		.amdhsa_exception_fp_ieee_overflow 0
		.amdhsa_exception_fp_ieee_underflow 0
		.amdhsa_exception_fp_ieee_inexact 0
		.amdhsa_exception_int_div_zero 0
	.end_amdhsa_kernel
	.section	.text._ZN7rocprim17ROCPRIM_400000_NS6detail17trampoline_kernelINS0_14default_configENS1_25partition_config_selectorILNS1_17partition_subalgoE5E10large_dataNS0_10empty_typeEbEEZZNS1_14partition_implILS5_5ELb0ES3_mN6thrust23THRUST_200600_302600_NS6detail15normal_iteratorINSB_10device_ptrIS6_EEEEPS7_NSB_18transform_iteratorI5mod_3IS6_ESG_NSB_11use_defaultESL_EENS0_5tupleIJSG_S7_EEENSN_IJSH_SH_EEES7_PlJS7_EEE10hipError_tPvRmT3_T4_T5_T6_T7_T9_mT8_P12ihipStream_tbDpT10_ENKUlT_T0_E_clISt17integral_constantIbLb1EES19_IbLb0EEEEDaS15_S16_EUlS15_E_NS1_11comp_targetILNS1_3genE4ELNS1_11target_archE910ELNS1_3gpuE8ELNS1_3repE0EEENS1_30default_config_static_selectorELNS0_4arch9wavefront6targetE0EEEvT1_,"axG",@progbits,_ZN7rocprim17ROCPRIM_400000_NS6detail17trampoline_kernelINS0_14default_configENS1_25partition_config_selectorILNS1_17partition_subalgoE5E10large_dataNS0_10empty_typeEbEEZZNS1_14partition_implILS5_5ELb0ES3_mN6thrust23THRUST_200600_302600_NS6detail15normal_iteratorINSB_10device_ptrIS6_EEEEPS7_NSB_18transform_iteratorI5mod_3IS6_ESG_NSB_11use_defaultESL_EENS0_5tupleIJSG_S7_EEENSN_IJSH_SH_EEES7_PlJS7_EEE10hipError_tPvRmT3_T4_T5_T6_T7_T9_mT8_P12ihipStream_tbDpT10_ENKUlT_T0_E_clISt17integral_constantIbLb1EES19_IbLb0EEEEDaS15_S16_EUlS15_E_NS1_11comp_targetILNS1_3genE4ELNS1_11target_archE910ELNS1_3gpuE8ELNS1_3repE0EEENS1_30default_config_static_selectorELNS0_4arch9wavefront6targetE0EEEvT1_,comdat
.Lfunc_end705:
	.size	_ZN7rocprim17ROCPRIM_400000_NS6detail17trampoline_kernelINS0_14default_configENS1_25partition_config_selectorILNS1_17partition_subalgoE5E10large_dataNS0_10empty_typeEbEEZZNS1_14partition_implILS5_5ELb0ES3_mN6thrust23THRUST_200600_302600_NS6detail15normal_iteratorINSB_10device_ptrIS6_EEEEPS7_NSB_18transform_iteratorI5mod_3IS6_ESG_NSB_11use_defaultESL_EENS0_5tupleIJSG_S7_EEENSN_IJSH_SH_EEES7_PlJS7_EEE10hipError_tPvRmT3_T4_T5_T6_T7_T9_mT8_P12ihipStream_tbDpT10_ENKUlT_T0_E_clISt17integral_constantIbLb1EES19_IbLb0EEEEDaS15_S16_EUlS15_E_NS1_11comp_targetILNS1_3genE4ELNS1_11target_archE910ELNS1_3gpuE8ELNS1_3repE0EEENS1_30default_config_static_selectorELNS0_4arch9wavefront6targetE0EEEvT1_, .Lfunc_end705-_ZN7rocprim17ROCPRIM_400000_NS6detail17trampoline_kernelINS0_14default_configENS1_25partition_config_selectorILNS1_17partition_subalgoE5E10large_dataNS0_10empty_typeEbEEZZNS1_14partition_implILS5_5ELb0ES3_mN6thrust23THRUST_200600_302600_NS6detail15normal_iteratorINSB_10device_ptrIS6_EEEEPS7_NSB_18transform_iteratorI5mod_3IS6_ESG_NSB_11use_defaultESL_EENS0_5tupleIJSG_S7_EEENSN_IJSH_SH_EEES7_PlJS7_EEE10hipError_tPvRmT3_T4_T5_T6_T7_T9_mT8_P12ihipStream_tbDpT10_ENKUlT_T0_E_clISt17integral_constantIbLb1EES19_IbLb0EEEEDaS15_S16_EUlS15_E_NS1_11comp_targetILNS1_3genE4ELNS1_11target_archE910ELNS1_3gpuE8ELNS1_3repE0EEENS1_30default_config_static_selectorELNS0_4arch9wavefront6targetE0EEEvT1_
                                        ; -- End function
	.section	.AMDGPU.csdata,"",@progbits
; Kernel info:
; codeLenInByte = 0
; NumSgprs: 0
; NumVgprs: 0
; ScratchSize: 0
; MemoryBound: 0
; FloatMode: 240
; IeeeMode: 1
; LDSByteSize: 0 bytes/workgroup (compile time only)
; SGPRBlocks: 0
; VGPRBlocks: 0
; NumSGPRsForWavesPerEU: 1
; NumVGPRsForWavesPerEU: 1
; Occupancy: 16
; WaveLimiterHint : 0
; COMPUTE_PGM_RSRC2:SCRATCH_EN: 0
; COMPUTE_PGM_RSRC2:USER_SGPR: 15
; COMPUTE_PGM_RSRC2:TRAP_HANDLER: 0
; COMPUTE_PGM_RSRC2:TGID_X_EN: 1
; COMPUTE_PGM_RSRC2:TGID_Y_EN: 0
; COMPUTE_PGM_RSRC2:TGID_Z_EN: 0
; COMPUTE_PGM_RSRC2:TIDIG_COMP_CNT: 0
	.section	.text._ZN7rocprim17ROCPRIM_400000_NS6detail17trampoline_kernelINS0_14default_configENS1_25partition_config_selectorILNS1_17partition_subalgoE5E10large_dataNS0_10empty_typeEbEEZZNS1_14partition_implILS5_5ELb0ES3_mN6thrust23THRUST_200600_302600_NS6detail15normal_iteratorINSB_10device_ptrIS6_EEEEPS7_NSB_18transform_iteratorI5mod_3IS6_ESG_NSB_11use_defaultESL_EENS0_5tupleIJSG_S7_EEENSN_IJSH_SH_EEES7_PlJS7_EEE10hipError_tPvRmT3_T4_T5_T6_T7_T9_mT8_P12ihipStream_tbDpT10_ENKUlT_T0_E_clISt17integral_constantIbLb1EES19_IbLb0EEEEDaS15_S16_EUlS15_E_NS1_11comp_targetILNS1_3genE3ELNS1_11target_archE908ELNS1_3gpuE7ELNS1_3repE0EEENS1_30default_config_static_selectorELNS0_4arch9wavefront6targetE0EEEvT1_,"axG",@progbits,_ZN7rocprim17ROCPRIM_400000_NS6detail17trampoline_kernelINS0_14default_configENS1_25partition_config_selectorILNS1_17partition_subalgoE5E10large_dataNS0_10empty_typeEbEEZZNS1_14partition_implILS5_5ELb0ES3_mN6thrust23THRUST_200600_302600_NS6detail15normal_iteratorINSB_10device_ptrIS6_EEEEPS7_NSB_18transform_iteratorI5mod_3IS6_ESG_NSB_11use_defaultESL_EENS0_5tupleIJSG_S7_EEENSN_IJSH_SH_EEES7_PlJS7_EEE10hipError_tPvRmT3_T4_T5_T6_T7_T9_mT8_P12ihipStream_tbDpT10_ENKUlT_T0_E_clISt17integral_constantIbLb1EES19_IbLb0EEEEDaS15_S16_EUlS15_E_NS1_11comp_targetILNS1_3genE3ELNS1_11target_archE908ELNS1_3gpuE7ELNS1_3repE0EEENS1_30default_config_static_selectorELNS0_4arch9wavefront6targetE0EEEvT1_,comdat
	.protected	_ZN7rocprim17ROCPRIM_400000_NS6detail17trampoline_kernelINS0_14default_configENS1_25partition_config_selectorILNS1_17partition_subalgoE5E10large_dataNS0_10empty_typeEbEEZZNS1_14partition_implILS5_5ELb0ES3_mN6thrust23THRUST_200600_302600_NS6detail15normal_iteratorINSB_10device_ptrIS6_EEEEPS7_NSB_18transform_iteratorI5mod_3IS6_ESG_NSB_11use_defaultESL_EENS0_5tupleIJSG_S7_EEENSN_IJSH_SH_EEES7_PlJS7_EEE10hipError_tPvRmT3_T4_T5_T6_T7_T9_mT8_P12ihipStream_tbDpT10_ENKUlT_T0_E_clISt17integral_constantIbLb1EES19_IbLb0EEEEDaS15_S16_EUlS15_E_NS1_11comp_targetILNS1_3genE3ELNS1_11target_archE908ELNS1_3gpuE7ELNS1_3repE0EEENS1_30default_config_static_selectorELNS0_4arch9wavefront6targetE0EEEvT1_ ; -- Begin function _ZN7rocprim17ROCPRIM_400000_NS6detail17trampoline_kernelINS0_14default_configENS1_25partition_config_selectorILNS1_17partition_subalgoE5E10large_dataNS0_10empty_typeEbEEZZNS1_14partition_implILS5_5ELb0ES3_mN6thrust23THRUST_200600_302600_NS6detail15normal_iteratorINSB_10device_ptrIS6_EEEEPS7_NSB_18transform_iteratorI5mod_3IS6_ESG_NSB_11use_defaultESL_EENS0_5tupleIJSG_S7_EEENSN_IJSH_SH_EEES7_PlJS7_EEE10hipError_tPvRmT3_T4_T5_T6_T7_T9_mT8_P12ihipStream_tbDpT10_ENKUlT_T0_E_clISt17integral_constantIbLb1EES19_IbLb0EEEEDaS15_S16_EUlS15_E_NS1_11comp_targetILNS1_3genE3ELNS1_11target_archE908ELNS1_3gpuE7ELNS1_3repE0EEENS1_30default_config_static_selectorELNS0_4arch9wavefront6targetE0EEEvT1_
	.globl	_ZN7rocprim17ROCPRIM_400000_NS6detail17trampoline_kernelINS0_14default_configENS1_25partition_config_selectorILNS1_17partition_subalgoE5E10large_dataNS0_10empty_typeEbEEZZNS1_14partition_implILS5_5ELb0ES3_mN6thrust23THRUST_200600_302600_NS6detail15normal_iteratorINSB_10device_ptrIS6_EEEEPS7_NSB_18transform_iteratorI5mod_3IS6_ESG_NSB_11use_defaultESL_EENS0_5tupleIJSG_S7_EEENSN_IJSH_SH_EEES7_PlJS7_EEE10hipError_tPvRmT3_T4_T5_T6_T7_T9_mT8_P12ihipStream_tbDpT10_ENKUlT_T0_E_clISt17integral_constantIbLb1EES19_IbLb0EEEEDaS15_S16_EUlS15_E_NS1_11comp_targetILNS1_3genE3ELNS1_11target_archE908ELNS1_3gpuE7ELNS1_3repE0EEENS1_30default_config_static_selectorELNS0_4arch9wavefront6targetE0EEEvT1_
	.p2align	8
	.type	_ZN7rocprim17ROCPRIM_400000_NS6detail17trampoline_kernelINS0_14default_configENS1_25partition_config_selectorILNS1_17partition_subalgoE5E10large_dataNS0_10empty_typeEbEEZZNS1_14partition_implILS5_5ELb0ES3_mN6thrust23THRUST_200600_302600_NS6detail15normal_iteratorINSB_10device_ptrIS6_EEEEPS7_NSB_18transform_iteratorI5mod_3IS6_ESG_NSB_11use_defaultESL_EENS0_5tupleIJSG_S7_EEENSN_IJSH_SH_EEES7_PlJS7_EEE10hipError_tPvRmT3_T4_T5_T6_T7_T9_mT8_P12ihipStream_tbDpT10_ENKUlT_T0_E_clISt17integral_constantIbLb1EES19_IbLb0EEEEDaS15_S16_EUlS15_E_NS1_11comp_targetILNS1_3genE3ELNS1_11target_archE908ELNS1_3gpuE7ELNS1_3repE0EEENS1_30default_config_static_selectorELNS0_4arch9wavefront6targetE0EEEvT1_,@function
_ZN7rocprim17ROCPRIM_400000_NS6detail17trampoline_kernelINS0_14default_configENS1_25partition_config_selectorILNS1_17partition_subalgoE5E10large_dataNS0_10empty_typeEbEEZZNS1_14partition_implILS5_5ELb0ES3_mN6thrust23THRUST_200600_302600_NS6detail15normal_iteratorINSB_10device_ptrIS6_EEEEPS7_NSB_18transform_iteratorI5mod_3IS6_ESG_NSB_11use_defaultESL_EENS0_5tupleIJSG_S7_EEENSN_IJSH_SH_EEES7_PlJS7_EEE10hipError_tPvRmT3_T4_T5_T6_T7_T9_mT8_P12ihipStream_tbDpT10_ENKUlT_T0_E_clISt17integral_constantIbLb1EES19_IbLb0EEEEDaS15_S16_EUlS15_E_NS1_11comp_targetILNS1_3genE3ELNS1_11target_archE908ELNS1_3gpuE7ELNS1_3repE0EEENS1_30default_config_static_selectorELNS0_4arch9wavefront6targetE0EEEvT1_: ; @_ZN7rocprim17ROCPRIM_400000_NS6detail17trampoline_kernelINS0_14default_configENS1_25partition_config_selectorILNS1_17partition_subalgoE5E10large_dataNS0_10empty_typeEbEEZZNS1_14partition_implILS5_5ELb0ES3_mN6thrust23THRUST_200600_302600_NS6detail15normal_iteratorINSB_10device_ptrIS6_EEEEPS7_NSB_18transform_iteratorI5mod_3IS6_ESG_NSB_11use_defaultESL_EENS0_5tupleIJSG_S7_EEENSN_IJSH_SH_EEES7_PlJS7_EEE10hipError_tPvRmT3_T4_T5_T6_T7_T9_mT8_P12ihipStream_tbDpT10_ENKUlT_T0_E_clISt17integral_constantIbLb1EES19_IbLb0EEEEDaS15_S16_EUlS15_E_NS1_11comp_targetILNS1_3genE3ELNS1_11target_archE908ELNS1_3gpuE7ELNS1_3repE0EEENS1_30default_config_static_selectorELNS0_4arch9wavefront6targetE0EEEvT1_
; %bb.0:
	.section	.rodata,"a",@progbits
	.p2align	6, 0x0
	.amdhsa_kernel _ZN7rocprim17ROCPRIM_400000_NS6detail17trampoline_kernelINS0_14default_configENS1_25partition_config_selectorILNS1_17partition_subalgoE5E10large_dataNS0_10empty_typeEbEEZZNS1_14partition_implILS5_5ELb0ES3_mN6thrust23THRUST_200600_302600_NS6detail15normal_iteratorINSB_10device_ptrIS6_EEEEPS7_NSB_18transform_iteratorI5mod_3IS6_ESG_NSB_11use_defaultESL_EENS0_5tupleIJSG_S7_EEENSN_IJSH_SH_EEES7_PlJS7_EEE10hipError_tPvRmT3_T4_T5_T6_T7_T9_mT8_P12ihipStream_tbDpT10_ENKUlT_T0_E_clISt17integral_constantIbLb1EES19_IbLb0EEEEDaS15_S16_EUlS15_E_NS1_11comp_targetILNS1_3genE3ELNS1_11target_archE908ELNS1_3gpuE7ELNS1_3repE0EEENS1_30default_config_static_selectorELNS0_4arch9wavefront6targetE0EEEvT1_
		.amdhsa_group_segment_fixed_size 0
		.amdhsa_private_segment_fixed_size 0
		.amdhsa_kernarg_size 120
		.amdhsa_user_sgpr_count 15
		.amdhsa_user_sgpr_dispatch_ptr 0
		.amdhsa_user_sgpr_queue_ptr 0
		.amdhsa_user_sgpr_kernarg_segment_ptr 1
		.amdhsa_user_sgpr_dispatch_id 0
		.amdhsa_user_sgpr_private_segment_size 0
		.amdhsa_wavefront_size32 1
		.amdhsa_uses_dynamic_stack 0
		.amdhsa_enable_private_segment 0
		.amdhsa_system_sgpr_workgroup_id_x 1
		.amdhsa_system_sgpr_workgroup_id_y 0
		.amdhsa_system_sgpr_workgroup_id_z 0
		.amdhsa_system_sgpr_workgroup_info 0
		.amdhsa_system_vgpr_workitem_id 0
		.amdhsa_next_free_vgpr 1
		.amdhsa_next_free_sgpr 1
		.amdhsa_reserve_vcc 0
		.amdhsa_float_round_mode_32 0
		.amdhsa_float_round_mode_16_64 0
		.amdhsa_float_denorm_mode_32 3
		.amdhsa_float_denorm_mode_16_64 3
		.amdhsa_dx10_clamp 1
		.amdhsa_ieee_mode 1
		.amdhsa_fp16_overflow 0
		.amdhsa_workgroup_processor_mode 1
		.amdhsa_memory_ordered 1
		.amdhsa_forward_progress 0
		.amdhsa_shared_vgpr_count 0
		.amdhsa_exception_fp_ieee_invalid_op 0
		.amdhsa_exception_fp_denorm_src 0
		.amdhsa_exception_fp_ieee_div_zero 0
		.amdhsa_exception_fp_ieee_overflow 0
		.amdhsa_exception_fp_ieee_underflow 0
		.amdhsa_exception_fp_ieee_inexact 0
		.amdhsa_exception_int_div_zero 0
	.end_amdhsa_kernel
	.section	.text._ZN7rocprim17ROCPRIM_400000_NS6detail17trampoline_kernelINS0_14default_configENS1_25partition_config_selectorILNS1_17partition_subalgoE5E10large_dataNS0_10empty_typeEbEEZZNS1_14partition_implILS5_5ELb0ES3_mN6thrust23THRUST_200600_302600_NS6detail15normal_iteratorINSB_10device_ptrIS6_EEEEPS7_NSB_18transform_iteratorI5mod_3IS6_ESG_NSB_11use_defaultESL_EENS0_5tupleIJSG_S7_EEENSN_IJSH_SH_EEES7_PlJS7_EEE10hipError_tPvRmT3_T4_T5_T6_T7_T9_mT8_P12ihipStream_tbDpT10_ENKUlT_T0_E_clISt17integral_constantIbLb1EES19_IbLb0EEEEDaS15_S16_EUlS15_E_NS1_11comp_targetILNS1_3genE3ELNS1_11target_archE908ELNS1_3gpuE7ELNS1_3repE0EEENS1_30default_config_static_selectorELNS0_4arch9wavefront6targetE0EEEvT1_,"axG",@progbits,_ZN7rocprim17ROCPRIM_400000_NS6detail17trampoline_kernelINS0_14default_configENS1_25partition_config_selectorILNS1_17partition_subalgoE5E10large_dataNS0_10empty_typeEbEEZZNS1_14partition_implILS5_5ELb0ES3_mN6thrust23THRUST_200600_302600_NS6detail15normal_iteratorINSB_10device_ptrIS6_EEEEPS7_NSB_18transform_iteratorI5mod_3IS6_ESG_NSB_11use_defaultESL_EENS0_5tupleIJSG_S7_EEENSN_IJSH_SH_EEES7_PlJS7_EEE10hipError_tPvRmT3_T4_T5_T6_T7_T9_mT8_P12ihipStream_tbDpT10_ENKUlT_T0_E_clISt17integral_constantIbLb1EES19_IbLb0EEEEDaS15_S16_EUlS15_E_NS1_11comp_targetILNS1_3genE3ELNS1_11target_archE908ELNS1_3gpuE7ELNS1_3repE0EEENS1_30default_config_static_selectorELNS0_4arch9wavefront6targetE0EEEvT1_,comdat
.Lfunc_end706:
	.size	_ZN7rocprim17ROCPRIM_400000_NS6detail17trampoline_kernelINS0_14default_configENS1_25partition_config_selectorILNS1_17partition_subalgoE5E10large_dataNS0_10empty_typeEbEEZZNS1_14partition_implILS5_5ELb0ES3_mN6thrust23THRUST_200600_302600_NS6detail15normal_iteratorINSB_10device_ptrIS6_EEEEPS7_NSB_18transform_iteratorI5mod_3IS6_ESG_NSB_11use_defaultESL_EENS0_5tupleIJSG_S7_EEENSN_IJSH_SH_EEES7_PlJS7_EEE10hipError_tPvRmT3_T4_T5_T6_T7_T9_mT8_P12ihipStream_tbDpT10_ENKUlT_T0_E_clISt17integral_constantIbLb1EES19_IbLb0EEEEDaS15_S16_EUlS15_E_NS1_11comp_targetILNS1_3genE3ELNS1_11target_archE908ELNS1_3gpuE7ELNS1_3repE0EEENS1_30default_config_static_selectorELNS0_4arch9wavefront6targetE0EEEvT1_, .Lfunc_end706-_ZN7rocprim17ROCPRIM_400000_NS6detail17trampoline_kernelINS0_14default_configENS1_25partition_config_selectorILNS1_17partition_subalgoE5E10large_dataNS0_10empty_typeEbEEZZNS1_14partition_implILS5_5ELb0ES3_mN6thrust23THRUST_200600_302600_NS6detail15normal_iteratorINSB_10device_ptrIS6_EEEEPS7_NSB_18transform_iteratorI5mod_3IS6_ESG_NSB_11use_defaultESL_EENS0_5tupleIJSG_S7_EEENSN_IJSH_SH_EEES7_PlJS7_EEE10hipError_tPvRmT3_T4_T5_T6_T7_T9_mT8_P12ihipStream_tbDpT10_ENKUlT_T0_E_clISt17integral_constantIbLb1EES19_IbLb0EEEEDaS15_S16_EUlS15_E_NS1_11comp_targetILNS1_3genE3ELNS1_11target_archE908ELNS1_3gpuE7ELNS1_3repE0EEENS1_30default_config_static_selectorELNS0_4arch9wavefront6targetE0EEEvT1_
                                        ; -- End function
	.section	.AMDGPU.csdata,"",@progbits
; Kernel info:
; codeLenInByte = 0
; NumSgprs: 0
; NumVgprs: 0
; ScratchSize: 0
; MemoryBound: 0
; FloatMode: 240
; IeeeMode: 1
; LDSByteSize: 0 bytes/workgroup (compile time only)
; SGPRBlocks: 0
; VGPRBlocks: 0
; NumSGPRsForWavesPerEU: 1
; NumVGPRsForWavesPerEU: 1
; Occupancy: 16
; WaveLimiterHint : 0
; COMPUTE_PGM_RSRC2:SCRATCH_EN: 0
; COMPUTE_PGM_RSRC2:USER_SGPR: 15
; COMPUTE_PGM_RSRC2:TRAP_HANDLER: 0
; COMPUTE_PGM_RSRC2:TGID_X_EN: 1
; COMPUTE_PGM_RSRC2:TGID_Y_EN: 0
; COMPUTE_PGM_RSRC2:TGID_Z_EN: 0
; COMPUTE_PGM_RSRC2:TIDIG_COMP_CNT: 0
	.section	.text._ZN7rocprim17ROCPRIM_400000_NS6detail17trampoline_kernelINS0_14default_configENS1_25partition_config_selectorILNS1_17partition_subalgoE5E10large_dataNS0_10empty_typeEbEEZZNS1_14partition_implILS5_5ELb0ES3_mN6thrust23THRUST_200600_302600_NS6detail15normal_iteratorINSB_10device_ptrIS6_EEEEPS7_NSB_18transform_iteratorI5mod_3IS6_ESG_NSB_11use_defaultESL_EENS0_5tupleIJSG_S7_EEENSN_IJSH_SH_EEES7_PlJS7_EEE10hipError_tPvRmT3_T4_T5_T6_T7_T9_mT8_P12ihipStream_tbDpT10_ENKUlT_T0_E_clISt17integral_constantIbLb1EES19_IbLb0EEEEDaS15_S16_EUlS15_E_NS1_11comp_targetILNS1_3genE2ELNS1_11target_archE906ELNS1_3gpuE6ELNS1_3repE0EEENS1_30default_config_static_selectorELNS0_4arch9wavefront6targetE0EEEvT1_,"axG",@progbits,_ZN7rocprim17ROCPRIM_400000_NS6detail17trampoline_kernelINS0_14default_configENS1_25partition_config_selectorILNS1_17partition_subalgoE5E10large_dataNS0_10empty_typeEbEEZZNS1_14partition_implILS5_5ELb0ES3_mN6thrust23THRUST_200600_302600_NS6detail15normal_iteratorINSB_10device_ptrIS6_EEEEPS7_NSB_18transform_iteratorI5mod_3IS6_ESG_NSB_11use_defaultESL_EENS0_5tupleIJSG_S7_EEENSN_IJSH_SH_EEES7_PlJS7_EEE10hipError_tPvRmT3_T4_T5_T6_T7_T9_mT8_P12ihipStream_tbDpT10_ENKUlT_T0_E_clISt17integral_constantIbLb1EES19_IbLb0EEEEDaS15_S16_EUlS15_E_NS1_11comp_targetILNS1_3genE2ELNS1_11target_archE906ELNS1_3gpuE6ELNS1_3repE0EEENS1_30default_config_static_selectorELNS0_4arch9wavefront6targetE0EEEvT1_,comdat
	.protected	_ZN7rocprim17ROCPRIM_400000_NS6detail17trampoline_kernelINS0_14default_configENS1_25partition_config_selectorILNS1_17partition_subalgoE5E10large_dataNS0_10empty_typeEbEEZZNS1_14partition_implILS5_5ELb0ES3_mN6thrust23THRUST_200600_302600_NS6detail15normal_iteratorINSB_10device_ptrIS6_EEEEPS7_NSB_18transform_iteratorI5mod_3IS6_ESG_NSB_11use_defaultESL_EENS0_5tupleIJSG_S7_EEENSN_IJSH_SH_EEES7_PlJS7_EEE10hipError_tPvRmT3_T4_T5_T6_T7_T9_mT8_P12ihipStream_tbDpT10_ENKUlT_T0_E_clISt17integral_constantIbLb1EES19_IbLb0EEEEDaS15_S16_EUlS15_E_NS1_11comp_targetILNS1_3genE2ELNS1_11target_archE906ELNS1_3gpuE6ELNS1_3repE0EEENS1_30default_config_static_selectorELNS0_4arch9wavefront6targetE0EEEvT1_ ; -- Begin function _ZN7rocprim17ROCPRIM_400000_NS6detail17trampoline_kernelINS0_14default_configENS1_25partition_config_selectorILNS1_17partition_subalgoE5E10large_dataNS0_10empty_typeEbEEZZNS1_14partition_implILS5_5ELb0ES3_mN6thrust23THRUST_200600_302600_NS6detail15normal_iteratorINSB_10device_ptrIS6_EEEEPS7_NSB_18transform_iteratorI5mod_3IS6_ESG_NSB_11use_defaultESL_EENS0_5tupleIJSG_S7_EEENSN_IJSH_SH_EEES7_PlJS7_EEE10hipError_tPvRmT3_T4_T5_T6_T7_T9_mT8_P12ihipStream_tbDpT10_ENKUlT_T0_E_clISt17integral_constantIbLb1EES19_IbLb0EEEEDaS15_S16_EUlS15_E_NS1_11comp_targetILNS1_3genE2ELNS1_11target_archE906ELNS1_3gpuE6ELNS1_3repE0EEENS1_30default_config_static_selectorELNS0_4arch9wavefront6targetE0EEEvT1_
	.globl	_ZN7rocprim17ROCPRIM_400000_NS6detail17trampoline_kernelINS0_14default_configENS1_25partition_config_selectorILNS1_17partition_subalgoE5E10large_dataNS0_10empty_typeEbEEZZNS1_14partition_implILS5_5ELb0ES3_mN6thrust23THRUST_200600_302600_NS6detail15normal_iteratorINSB_10device_ptrIS6_EEEEPS7_NSB_18transform_iteratorI5mod_3IS6_ESG_NSB_11use_defaultESL_EENS0_5tupleIJSG_S7_EEENSN_IJSH_SH_EEES7_PlJS7_EEE10hipError_tPvRmT3_T4_T5_T6_T7_T9_mT8_P12ihipStream_tbDpT10_ENKUlT_T0_E_clISt17integral_constantIbLb1EES19_IbLb0EEEEDaS15_S16_EUlS15_E_NS1_11comp_targetILNS1_3genE2ELNS1_11target_archE906ELNS1_3gpuE6ELNS1_3repE0EEENS1_30default_config_static_selectorELNS0_4arch9wavefront6targetE0EEEvT1_
	.p2align	8
	.type	_ZN7rocprim17ROCPRIM_400000_NS6detail17trampoline_kernelINS0_14default_configENS1_25partition_config_selectorILNS1_17partition_subalgoE5E10large_dataNS0_10empty_typeEbEEZZNS1_14partition_implILS5_5ELb0ES3_mN6thrust23THRUST_200600_302600_NS6detail15normal_iteratorINSB_10device_ptrIS6_EEEEPS7_NSB_18transform_iteratorI5mod_3IS6_ESG_NSB_11use_defaultESL_EENS0_5tupleIJSG_S7_EEENSN_IJSH_SH_EEES7_PlJS7_EEE10hipError_tPvRmT3_T4_T5_T6_T7_T9_mT8_P12ihipStream_tbDpT10_ENKUlT_T0_E_clISt17integral_constantIbLb1EES19_IbLb0EEEEDaS15_S16_EUlS15_E_NS1_11comp_targetILNS1_3genE2ELNS1_11target_archE906ELNS1_3gpuE6ELNS1_3repE0EEENS1_30default_config_static_selectorELNS0_4arch9wavefront6targetE0EEEvT1_,@function
_ZN7rocprim17ROCPRIM_400000_NS6detail17trampoline_kernelINS0_14default_configENS1_25partition_config_selectorILNS1_17partition_subalgoE5E10large_dataNS0_10empty_typeEbEEZZNS1_14partition_implILS5_5ELb0ES3_mN6thrust23THRUST_200600_302600_NS6detail15normal_iteratorINSB_10device_ptrIS6_EEEEPS7_NSB_18transform_iteratorI5mod_3IS6_ESG_NSB_11use_defaultESL_EENS0_5tupleIJSG_S7_EEENSN_IJSH_SH_EEES7_PlJS7_EEE10hipError_tPvRmT3_T4_T5_T6_T7_T9_mT8_P12ihipStream_tbDpT10_ENKUlT_T0_E_clISt17integral_constantIbLb1EES19_IbLb0EEEEDaS15_S16_EUlS15_E_NS1_11comp_targetILNS1_3genE2ELNS1_11target_archE906ELNS1_3gpuE6ELNS1_3repE0EEENS1_30default_config_static_selectorELNS0_4arch9wavefront6targetE0EEEvT1_: ; @_ZN7rocprim17ROCPRIM_400000_NS6detail17trampoline_kernelINS0_14default_configENS1_25partition_config_selectorILNS1_17partition_subalgoE5E10large_dataNS0_10empty_typeEbEEZZNS1_14partition_implILS5_5ELb0ES3_mN6thrust23THRUST_200600_302600_NS6detail15normal_iteratorINSB_10device_ptrIS6_EEEEPS7_NSB_18transform_iteratorI5mod_3IS6_ESG_NSB_11use_defaultESL_EENS0_5tupleIJSG_S7_EEENSN_IJSH_SH_EEES7_PlJS7_EEE10hipError_tPvRmT3_T4_T5_T6_T7_T9_mT8_P12ihipStream_tbDpT10_ENKUlT_T0_E_clISt17integral_constantIbLb1EES19_IbLb0EEEEDaS15_S16_EUlS15_E_NS1_11comp_targetILNS1_3genE2ELNS1_11target_archE906ELNS1_3gpuE6ELNS1_3repE0EEENS1_30default_config_static_selectorELNS0_4arch9wavefront6targetE0EEEvT1_
; %bb.0:
	.section	.rodata,"a",@progbits
	.p2align	6, 0x0
	.amdhsa_kernel _ZN7rocprim17ROCPRIM_400000_NS6detail17trampoline_kernelINS0_14default_configENS1_25partition_config_selectorILNS1_17partition_subalgoE5E10large_dataNS0_10empty_typeEbEEZZNS1_14partition_implILS5_5ELb0ES3_mN6thrust23THRUST_200600_302600_NS6detail15normal_iteratorINSB_10device_ptrIS6_EEEEPS7_NSB_18transform_iteratorI5mod_3IS6_ESG_NSB_11use_defaultESL_EENS0_5tupleIJSG_S7_EEENSN_IJSH_SH_EEES7_PlJS7_EEE10hipError_tPvRmT3_T4_T5_T6_T7_T9_mT8_P12ihipStream_tbDpT10_ENKUlT_T0_E_clISt17integral_constantIbLb1EES19_IbLb0EEEEDaS15_S16_EUlS15_E_NS1_11comp_targetILNS1_3genE2ELNS1_11target_archE906ELNS1_3gpuE6ELNS1_3repE0EEENS1_30default_config_static_selectorELNS0_4arch9wavefront6targetE0EEEvT1_
		.amdhsa_group_segment_fixed_size 0
		.amdhsa_private_segment_fixed_size 0
		.amdhsa_kernarg_size 120
		.amdhsa_user_sgpr_count 15
		.amdhsa_user_sgpr_dispatch_ptr 0
		.amdhsa_user_sgpr_queue_ptr 0
		.amdhsa_user_sgpr_kernarg_segment_ptr 1
		.amdhsa_user_sgpr_dispatch_id 0
		.amdhsa_user_sgpr_private_segment_size 0
		.amdhsa_wavefront_size32 1
		.amdhsa_uses_dynamic_stack 0
		.amdhsa_enable_private_segment 0
		.amdhsa_system_sgpr_workgroup_id_x 1
		.amdhsa_system_sgpr_workgroup_id_y 0
		.amdhsa_system_sgpr_workgroup_id_z 0
		.amdhsa_system_sgpr_workgroup_info 0
		.amdhsa_system_vgpr_workitem_id 0
		.amdhsa_next_free_vgpr 1
		.amdhsa_next_free_sgpr 1
		.amdhsa_reserve_vcc 0
		.amdhsa_float_round_mode_32 0
		.amdhsa_float_round_mode_16_64 0
		.amdhsa_float_denorm_mode_32 3
		.amdhsa_float_denorm_mode_16_64 3
		.amdhsa_dx10_clamp 1
		.amdhsa_ieee_mode 1
		.amdhsa_fp16_overflow 0
		.amdhsa_workgroup_processor_mode 1
		.amdhsa_memory_ordered 1
		.amdhsa_forward_progress 0
		.amdhsa_shared_vgpr_count 0
		.amdhsa_exception_fp_ieee_invalid_op 0
		.amdhsa_exception_fp_denorm_src 0
		.amdhsa_exception_fp_ieee_div_zero 0
		.amdhsa_exception_fp_ieee_overflow 0
		.amdhsa_exception_fp_ieee_underflow 0
		.amdhsa_exception_fp_ieee_inexact 0
		.amdhsa_exception_int_div_zero 0
	.end_amdhsa_kernel
	.section	.text._ZN7rocprim17ROCPRIM_400000_NS6detail17trampoline_kernelINS0_14default_configENS1_25partition_config_selectorILNS1_17partition_subalgoE5E10large_dataNS0_10empty_typeEbEEZZNS1_14partition_implILS5_5ELb0ES3_mN6thrust23THRUST_200600_302600_NS6detail15normal_iteratorINSB_10device_ptrIS6_EEEEPS7_NSB_18transform_iteratorI5mod_3IS6_ESG_NSB_11use_defaultESL_EENS0_5tupleIJSG_S7_EEENSN_IJSH_SH_EEES7_PlJS7_EEE10hipError_tPvRmT3_T4_T5_T6_T7_T9_mT8_P12ihipStream_tbDpT10_ENKUlT_T0_E_clISt17integral_constantIbLb1EES19_IbLb0EEEEDaS15_S16_EUlS15_E_NS1_11comp_targetILNS1_3genE2ELNS1_11target_archE906ELNS1_3gpuE6ELNS1_3repE0EEENS1_30default_config_static_selectorELNS0_4arch9wavefront6targetE0EEEvT1_,"axG",@progbits,_ZN7rocprim17ROCPRIM_400000_NS6detail17trampoline_kernelINS0_14default_configENS1_25partition_config_selectorILNS1_17partition_subalgoE5E10large_dataNS0_10empty_typeEbEEZZNS1_14partition_implILS5_5ELb0ES3_mN6thrust23THRUST_200600_302600_NS6detail15normal_iteratorINSB_10device_ptrIS6_EEEEPS7_NSB_18transform_iteratorI5mod_3IS6_ESG_NSB_11use_defaultESL_EENS0_5tupleIJSG_S7_EEENSN_IJSH_SH_EEES7_PlJS7_EEE10hipError_tPvRmT3_T4_T5_T6_T7_T9_mT8_P12ihipStream_tbDpT10_ENKUlT_T0_E_clISt17integral_constantIbLb1EES19_IbLb0EEEEDaS15_S16_EUlS15_E_NS1_11comp_targetILNS1_3genE2ELNS1_11target_archE906ELNS1_3gpuE6ELNS1_3repE0EEENS1_30default_config_static_selectorELNS0_4arch9wavefront6targetE0EEEvT1_,comdat
.Lfunc_end707:
	.size	_ZN7rocprim17ROCPRIM_400000_NS6detail17trampoline_kernelINS0_14default_configENS1_25partition_config_selectorILNS1_17partition_subalgoE5E10large_dataNS0_10empty_typeEbEEZZNS1_14partition_implILS5_5ELb0ES3_mN6thrust23THRUST_200600_302600_NS6detail15normal_iteratorINSB_10device_ptrIS6_EEEEPS7_NSB_18transform_iteratorI5mod_3IS6_ESG_NSB_11use_defaultESL_EENS0_5tupleIJSG_S7_EEENSN_IJSH_SH_EEES7_PlJS7_EEE10hipError_tPvRmT3_T4_T5_T6_T7_T9_mT8_P12ihipStream_tbDpT10_ENKUlT_T0_E_clISt17integral_constantIbLb1EES19_IbLb0EEEEDaS15_S16_EUlS15_E_NS1_11comp_targetILNS1_3genE2ELNS1_11target_archE906ELNS1_3gpuE6ELNS1_3repE0EEENS1_30default_config_static_selectorELNS0_4arch9wavefront6targetE0EEEvT1_, .Lfunc_end707-_ZN7rocprim17ROCPRIM_400000_NS6detail17trampoline_kernelINS0_14default_configENS1_25partition_config_selectorILNS1_17partition_subalgoE5E10large_dataNS0_10empty_typeEbEEZZNS1_14partition_implILS5_5ELb0ES3_mN6thrust23THRUST_200600_302600_NS6detail15normal_iteratorINSB_10device_ptrIS6_EEEEPS7_NSB_18transform_iteratorI5mod_3IS6_ESG_NSB_11use_defaultESL_EENS0_5tupleIJSG_S7_EEENSN_IJSH_SH_EEES7_PlJS7_EEE10hipError_tPvRmT3_T4_T5_T6_T7_T9_mT8_P12ihipStream_tbDpT10_ENKUlT_T0_E_clISt17integral_constantIbLb1EES19_IbLb0EEEEDaS15_S16_EUlS15_E_NS1_11comp_targetILNS1_3genE2ELNS1_11target_archE906ELNS1_3gpuE6ELNS1_3repE0EEENS1_30default_config_static_selectorELNS0_4arch9wavefront6targetE0EEEvT1_
                                        ; -- End function
	.section	.AMDGPU.csdata,"",@progbits
; Kernel info:
; codeLenInByte = 0
; NumSgprs: 0
; NumVgprs: 0
; ScratchSize: 0
; MemoryBound: 0
; FloatMode: 240
; IeeeMode: 1
; LDSByteSize: 0 bytes/workgroup (compile time only)
; SGPRBlocks: 0
; VGPRBlocks: 0
; NumSGPRsForWavesPerEU: 1
; NumVGPRsForWavesPerEU: 1
; Occupancy: 16
; WaveLimiterHint : 0
; COMPUTE_PGM_RSRC2:SCRATCH_EN: 0
; COMPUTE_PGM_RSRC2:USER_SGPR: 15
; COMPUTE_PGM_RSRC2:TRAP_HANDLER: 0
; COMPUTE_PGM_RSRC2:TGID_X_EN: 1
; COMPUTE_PGM_RSRC2:TGID_Y_EN: 0
; COMPUTE_PGM_RSRC2:TGID_Z_EN: 0
; COMPUTE_PGM_RSRC2:TIDIG_COMP_CNT: 0
	.section	.text._ZN7rocprim17ROCPRIM_400000_NS6detail17trampoline_kernelINS0_14default_configENS1_25partition_config_selectorILNS1_17partition_subalgoE5E10large_dataNS0_10empty_typeEbEEZZNS1_14partition_implILS5_5ELb0ES3_mN6thrust23THRUST_200600_302600_NS6detail15normal_iteratorINSB_10device_ptrIS6_EEEEPS7_NSB_18transform_iteratorI5mod_3IS6_ESG_NSB_11use_defaultESL_EENS0_5tupleIJSG_S7_EEENSN_IJSH_SH_EEES7_PlJS7_EEE10hipError_tPvRmT3_T4_T5_T6_T7_T9_mT8_P12ihipStream_tbDpT10_ENKUlT_T0_E_clISt17integral_constantIbLb1EES19_IbLb0EEEEDaS15_S16_EUlS15_E_NS1_11comp_targetILNS1_3genE10ELNS1_11target_archE1200ELNS1_3gpuE4ELNS1_3repE0EEENS1_30default_config_static_selectorELNS0_4arch9wavefront6targetE0EEEvT1_,"axG",@progbits,_ZN7rocprim17ROCPRIM_400000_NS6detail17trampoline_kernelINS0_14default_configENS1_25partition_config_selectorILNS1_17partition_subalgoE5E10large_dataNS0_10empty_typeEbEEZZNS1_14partition_implILS5_5ELb0ES3_mN6thrust23THRUST_200600_302600_NS6detail15normal_iteratorINSB_10device_ptrIS6_EEEEPS7_NSB_18transform_iteratorI5mod_3IS6_ESG_NSB_11use_defaultESL_EENS0_5tupleIJSG_S7_EEENSN_IJSH_SH_EEES7_PlJS7_EEE10hipError_tPvRmT3_T4_T5_T6_T7_T9_mT8_P12ihipStream_tbDpT10_ENKUlT_T0_E_clISt17integral_constantIbLb1EES19_IbLb0EEEEDaS15_S16_EUlS15_E_NS1_11comp_targetILNS1_3genE10ELNS1_11target_archE1200ELNS1_3gpuE4ELNS1_3repE0EEENS1_30default_config_static_selectorELNS0_4arch9wavefront6targetE0EEEvT1_,comdat
	.protected	_ZN7rocprim17ROCPRIM_400000_NS6detail17trampoline_kernelINS0_14default_configENS1_25partition_config_selectorILNS1_17partition_subalgoE5E10large_dataNS0_10empty_typeEbEEZZNS1_14partition_implILS5_5ELb0ES3_mN6thrust23THRUST_200600_302600_NS6detail15normal_iteratorINSB_10device_ptrIS6_EEEEPS7_NSB_18transform_iteratorI5mod_3IS6_ESG_NSB_11use_defaultESL_EENS0_5tupleIJSG_S7_EEENSN_IJSH_SH_EEES7_PlJS7_EEE10hipError_tPvRmT3_T4_T5_T6_T7_T9_mT8_P12ihipStream_tbDpT10_ENKUlT_T0_E_clISt17integral_constantIbLb1EES19_IbLb0EEEEDaS15_S16_EUlS15_E_NS1_11comp_targetILNS1_3genE10ELNS1_11target_archE1200ELNS1_3gpuE4ELNS1_3repE0EEENS1_30default_config_static_selectorELNS0_4arch9wavefront6targetE0EEEvT1_ ; -- Begin function _ZN7rocprim17ROCPRIM_400000_NS6detail17trampoline_kernelINS0_14default_configENS1_25partition_config_selectorILNS1_17partition_subalgoE5E10large_dataNS0_10empty_typeEbEEZZNS1_14partition_implILS5_5ELb0ES3_mN6thrust23THRUST_200600_302600_NS6detail15normal_iteratorINSB_10device_ptrIS6_EEEEPS7_NSB_18transform_iteratorI5mod_3IS6_ESG_NSB_11use_defaultESL_EENS0_5tupleIJSG_S7_EEENSN_IJSH_SH_EEES7_PlJS7_EEE10hipError_tPvRmT3_T4_T5_T6_T7_T9_mT8_P12ihipStream_tbDpT10_ENKUlT_T0_E_clISt17integral_constantIbLb1EES19_IbLb0EEEEDaS15_S16_EUlS15_E_NS1_11comp_targetILNS1_3genE10ELNS1_11target_archE1200ELNS1_3gpuE4ELNS1_3repE0EEENS1_30default_config_static_selectorELNS0_4arch9wavefront6targetE0EEEvT1_
	.globl	_ZN7rocprim17ROCPRIM_400000_NS6detail17trampoline_kernelINS0_14default_configENS1_25partition_config_selectorILNS1_17partition_subalgoE5E10large_dataNS0_10empty_typeEbEEZZNS1_14partition_implILS5_5ELb0ES3_mN6thrust23THRUST_200600_302600_NS6detail15normal_iteratorINSB_10device_ptrIS6_EEEEPS7_NSB_18transform_iteratorI5mod_3IS6_ESG_NSB_11use_defaultESL_EENS0_5tupleIJSG_S7_EEENSN_IJSH_SH_EEES7_PlJS7_EEE10hipError_tPvRmT3_T4_T5_T6_T7_T9_mT8_P12ihipStream_tbDpT10_ENKUlT_T0_E_clISt17integral_constantIbLb1EES19_IbLb0EEEEDaS15_S16_EUlS15_E_NS1_11comp_targetILNS1_3genE10ELNS1_11target_archE1200ELNS1_3gpuE4ELNS1_3repE0EEENS1_30default_config_static_selectorELNS0_4arch9wavefront6targetE0EEEvT1_
	.p2align	8
	.type	_ZN7rocprim17ROCPRIM_400000_NS6detail17trampoline_kernelINS0_14default_configENS1_25partition_config_selectorILNS1_17partition_subalgoE5E10large_dataNS0_10empty_typeEbEEZZNS1_14partition_implILS5_5ELb0ES3_mN6thrust23THRUST_200600_302600_NS6detail15normal_iteratorINSB_10device_ptrIS6_EEEEPS7_NSB_18transform_iteratorI5mod_3IS6_ESG_NSB_11use_defaultESL_EENS0_5tupleIJSG_S7_EEENSN_IJSH_SH_EEES7_PlJS7_EEE10hipError_tPvRmT3_T4_T5_T6_T7_T9_mT8_P12ihipStream_tbDpT10_ENKUlT_T0_E_clISt17integral_constantIbLb1EES19_IbLb0EEEEDaS15_S16_EUlS15_E_NS1_11comp_targetILNS1_3genE10ELNS1_11target_archE1200ELNS1_3gpuE4ELNS1_3repE0EEENS1_30default_config_static_selectorELNS0_4arch9wavefront6targetE0EEEvT1_,@function
_ZN7rocprim17ROCPRIM_400000_NS6detail17trampoline_kernelINS0_14default_configENS1_25partition_config_selectorILNS1_17partition_subalgoE5E10large_dataNS0_10empty_typeEbEEZZNS1_14partition_implILS5_5ELb0ES3_mN6thrust23THRUST_200600_302600_NS6detail15normal_iteratorINSB_10device_ptrIS6_EEEEPS7_NSB_18transform_iteratorI5mod_3IS6_ESG_NSB_11use_defaultESL_EENS0_5tupleIJSG_S7_EEENSN_IJSH_SH_EEES7_PlJS7_EEE10hipError_tPvRmT3_T4_T5_T6_T7_T9_mT8_P12ihipStream_tbDpT10_ENKUlT_T0_E_clISt17integral_constantIbLb1EES19_IbLb0EEEEDaS15_S16_EUlS15_E_NS1_11comp_targetILNS1_3genE10ELNS1_11target_archE1200ELNS1_3gpuE4ELNS1_3repE0EEENS1_30default_config_static_selectorELNS0_4arch9wavefront6targetE0EEEvT1_: ; @_ZN7rocprim17ROCPRIM_400000_NS6detail17trampoline_kernelINS0_14default_configENS1_25partition_config_selectorILNS1_17partition_subalgoE5E10large_dataNS0_10empty_typeEbEEZZNS1_14partition_implILS5_5ELb0ES3_mN6thrust23THRUST_200600_302600_NS6detail15normal_iteratorINSB_10device_ptrIS6_EEEEPS7_NSB_18transform_iteratorI5mod_3IS6_ESG_NSB_11use_defaultESL_EENS0_5tupleIJSG_S7_EEENSN_IJSH_SH_EEES7_PlJS7_EEE10hipError_tPvRmT3_T4_T5_T6_T7_T9_mT8_P12ihipStream_tbDpT10_ENKUlT_T0_E_clISt17integral_constantIbLb1EES19_IbLb0EEEEDaS15_S16_EUlS15_E_NS1_11comp_targetILNS1_3genE10ELNS1_11target_archE1200ELNS1_3gpuE4ELNS1_3repE0EEENS1_30default_config_static_selectorELNS0_4arch9wavefront6targetE0EEEvT1_
; %bb.0:
	.section	.rodata,"a",@progbits
	.p2align	6, 0x0
	.amdhsa_kernel _ZN7rocprim17ROCPRIM_400000_NS6detail17trampoline_kernelINS0_14default_configENS1_25partition_config_selectorILNS1_17partition_subalgoE5E10large_dataNS0_10empty_typeEbEEZZNS1_14partition_implILS5_5ELb0ES3_mN6thrust23THRUST_200600_302600_NS6detail15normal_iteratorINSB_10device_ptrIS6_EEEEPS7_NSB_18transform_iteratorI5mod_3IS6_ESG_NSB_11use_defaultESL_EENS0_5tupleIJSG_S7_EEENSN_IJSH_SH_EEES7_PlJS7_EEE10hipError_tPvRmT3_T4_T5_T6_T7_T9_mT8_P12ihipStream_tbDpT10_ENKUlT_T0_E_clISt17integral_constantIbLb1EES19_IbLb0EEEEDaS15_S16_EUlS15_E_NS1_11comp_targetILNS1_3genE10ELNS1_11target_archE1200ELNS1_3gpuE4ELNS1_3repE0EEENS1_30default_config_static_selectorELNS0_4arch9wavefront6targetE0EEEvT1_
		.amdhsa_group_segment_fixed_size 0
		.amdhsa_private_segment_fixed_size 0
		.amdhsa_kernarg_size 120
		.amdhsa_user_sgpr_count 15
		.amdhsa_user_sgpr_dispatch_ptr 0
		.amdhsa_user_sgpr_queue_ptr 0
		.amdhsa_user_sgpr_kernarg_segment_ptr 1
		.amdhsa_user_sgpr_dispatch_id 0
		.amdhsa_user_sgpr_private_segment_size 0
		.amdhsa_wavefront_size32 1
		.amdhsa_uses_dynamic_stack 0
		.amdhsa_enable_private_segment 0
		.amdhsa_system_sgpr_workgroup_id_x 1
		.amdhsa_system_sgpr_workgroup_id_y 0
		.amdhsa_system_sgpr_workgroup_id_z 0
		.amdhsa_system_sgpr_workgroup_info 0
		.amdhsa_system_vgpr_workitem_id 0
		.amdhsa_next_free_vgpr 1
		.amdhsa_next_free_sgpr 1
		.amdhsa_reserve_vcc 0
		.amdhsa_float_round_mode_32 0
		.amdhsa_float_round_mode_16_64 0
		.amdhsa_float_denorm_mode_32 3
		.amdhsa_float_denorm_mode_16_64 3
		.amdhsa_dx10_clamp 1
		.amdhsa_ieee_mode 1
		.amdhsa_fp16_overflow 0
		.amdhsa_workgroup_processor_mode 1
		.amdhsa_memory_ordered 1
		.amdhsa_forward_progress 0
		.amdhsa_shared_vgpr_count 0
		.amdhsa_exception_fp_ieee_invalid_op 0
		.amdhsa_exception_fp_denorm_src 0
		.amdhsa_exception_fp_ieee_div_zero 0
		.amdhsa_exception_fp_ieee_overflow 0
		.amdhsa_exception_fp_ieee_underflow 0
		.amdhsa_exception_fp_ieee_inexact 0
		.amdhsa_exception_int_div_zero 0
	.end_amdhsa_kernel
	.section	.text._ZN7rocprim17ROCPRIM_400000_NS6detail17trampoline_kernelINS0_14default_configENS1_25partition_config_selectorILNS1_17partition_subalgoE5E10large_dataNS0_10empty_typeEbEEZZNS1_14partition_implILS5_5ELb0ES3_mN6thrust23THRUST_200600_302600_NS6detail15normal_iteratorINSB_10device_ptrIS6_EEEEPS7_NSB_18transform_iteratorI5mod_3IS6_ESG_NSB_11use_defaultESL_EENS0_5tupleIJSG_S7_EEENSN_IJSH_SH_EEES7_PlJS7_EEE10hipError_tPvRmT3_T4_T5_T6_T7_T9_mT8_P12ihipStream_tbDpT10_ENKUlT_T0_E_clISt17integral_constantIbLb1EES19_IbLb0EEEEDaS15_S16_EUlS15_E_NS1_11comp_targetILNS1_3genE10ELNS1_11target_archE1200ELNS1_3gpuE4ELNS1_3repE0EEENS1_30default_config_static_selectorELNS0_4arch9wavefront6targetE0EEEvT1_,"axG",@progbits,_ZN7rocprim17ROCPRIM_400000_NS6detail17trampoline_kernelINS0_14default_configENS1_25partition_config_selectorILNS1_17partition_subalgoE5E10large_dataNS0_10empty_typeEbEEZZNS1_14partition_implILS5_5ELb0ES3_mN6thrust23THRUST_200600_302600_NS6detail15normal_iteratorINSB_10device_ptrIS6_EEEEPS7_NSB_18transform_iteratorI5mod_3IS6_ESG_NSB_11use_defaultESL_EENS0_5tupleIJSG_S7_EEENSN_IJSH_SH_EEES7_PlJS7_EEE10hipError_tPvRmT3_T4_T5_T6_T7_T9_mT8_P12ihipStream_tbDpT10_ENKUlT_T0_E_clISt17integral_constantIbLb1EES19_IbLb0EEEEDaS15_S16_EUlS15_E_NS1_11comp_targetILNS1_3genE10ELNS1_11target_archE1200ELNS1_3gpuE4ELNS1_3repE0EEENS1_30default_config_static_selectorELNS0_4arch9wavefront6targetE0EEEvT1_,comdat
.Lfunc_end708:
	.size	_ZN7rocprim17ROCPRIM_400000_NS6detail17trampoline_kernelINS0_14default_configENS1_25partition_config_selectorILNS1_17partition_subalgoE5E10large_dataNS0_10empty_typeEbEEZZNS1_14partition_implILS5_5ELb0ES3_mN6thrust23THRUST_200600_302600_NS6detail15normal_iteratorINSB_10device_ptrIS6_EEEEPS7_NSB_18transform_iteratorI5mod_3IS6_ESG_NSB_11use_defaultESL_EENS0_5tupleIJSG_S7_EEENSN_IJSH_SH_EEES7_PlJS7_EEE10hipError_tPvRmT3_T4_T5_T6_T7_T9_mT8_P12ihipStream_tbDpT10_ENKUlT_T0_E_clISt17integral_constantIbLb1EES19_IbLb0EEEEDaS15_S16_EUlS15_E_NS1_11comp_targetILNS1_3genE10ELNS1_11target_archE1200ELNS1_3gpuE4ELNS1_3repE0EEENS1_30default_config_static_selectorELNS0_4arch9wavefront6targetE0EEEvT1_, .Lfunc_end708-_ZN7rocprim17ROCPRIM_400000_NS6detail17trampoline_kernelINS0_14default_configENS1_25partition_config_selectorILNS1_17partition_subalgoE5E10large_dataNS0_10empty_typeEbEEZZNS1_14partition_implILS5_5ELb0ES3_mN6thrust23THRUST_200600_302600_NS6detail15normal_iteratorINSB_10device_ptrIS6_EEEEPS7_NSB_18transform_iteratorI5mod_3IS6_ESG_NSB_11use_defaultESL_EENS0_5tupleIJSG_S7_EEENSN_IJSH_SH_EEES7_PlJS7_EEE10hipError_tPvRmT3_T4_T5_T6_T7_T9_mT8_P12ihipStream_tbDpT10_ENKUlT_T0_E_clISt17integral_constantIbLb1EES19_IbLb0EEEEDaS15_S16_EUlS15_E_NS1_11comp_targetILNS1_3genE10ELNS1_11target_archE1200ELNS1_3gpuE4ELNS1_3repE0EEENS1_30default_config_static_selectorELNS0_4arch9wavefront6targetE0EEEvT1_
                                        ; -- End function
	.section	.AMDGPU.csdata,"",@progbits
; Kernel info:
; codeLenInByte = 0
; NumSgprs: 0
; NumVgprs: 0
; ScratchSize: 0
; MemoryBound: 0
; FloatMode: 240
; IeeeMode: 1
; LDSByteSize: 0 bytes/workgroup (compile time only)
; SGPRBlocks: 0
; VGPRBlocks: 0
; NumSGPRsForWavesPerEU: 1
; NumVGPRsForWavesPerEU: 1
; Occupancy: 16
; WaveLimiterHint : 0
; COMPUTE_PGM_RSRC2:SCRATCH_EN: 0
; COMPUTE_PGM_RSRC2:USER_SGPR: 15
; COMPUTE_PGM_RSRC2:TRAP_HANDLER: 0
; COMPUTE_PGM_RSRC2:TGID_X_EN: 1
; COMPUTE_PGM_RSRC2:TGID_Y_EN: 0
; COMPUTE_PGM_RSRC2:TGID_Z_EN: 0
; COMPUTE_PGM_RSRC2:TIDIG_COMP_CNT: 0
	.section	.text._ZN7rocprim17ROCPRIM_400000_NS6detail17trampoline_kernelINS0_14default_configENS1_25partition_config_selectorILNS1_17partition_subalgoE5E10large_dataNS0_10empty_typeEbEEZZNS1_14partition_implILS5_5ELb0ES3_mN6thrust23THRUST_200600_302600_NS6detail15normal_iteratorINSB_10device_ptrIS6_EEEEPS7_NSB_18transform_iteratorI5mod_3IS6_ESG_NSB_11use_defaultESL_EENS0_5tupleIJSG_S7_EEENSN_IJSH_SH_EEES7_PlJS7_EEE10hipError_tPvRmT3_T4_T5_T6_T7_T9_mT8_P12ihipStream_tbDpT10_ENKUlT_T0_E_clISt17integral_constantIbLb1EES19_IbLb0EEEEDaS15_S16_EUlS15_E_NS1_11comp_targetILNS1_3genE9ELNS1_11target_archE1100ELNS1_3gpuE3ELNS1_3repE0EEENS1_30default_config_static_selectorELNS0_4arch9wavefront6targetE0EEEvT1_,"axG",@progbits,_ZN7rocprim17ROCPRIM_400000_NS6detail17trampoline_kernelINS0_14default_configENS1_25partition_config_selectorILNS1_17partition_subalgoE5E10large_dataNS0_10empty_typeEbEEZZNS1_14partition_implILS5_5ELb0ES3_mN6thrust23THRUST_200600_302600_NS6detail15normal_iteratorINSB_10device_ptrIS6_EEEEPS7_NSB_18transform_iteratorI5mod_3IS6_ESG_NSB_11use_defaultESL_EENS0_5tupleIJSG_S7_EEENSN_IJSH_SH_EEES7_PlJS7_EEE10hipError_tPvRmT3_T4_T5_T6_T7_T9_mT8_P12ihipStream_tbDpT10_ENKUlT_T0_E_clISt17integral_constantIbLb1EES19_IbLb0EEEEDaS15_S16_EUlS15_E_NS1_11comp_targetILNS1_3genE9ELNS1_11target_archE1100ELNS1_3gpuE3ELNS1_3repE0EEENS1_30default_config_static_selectorELNS0_4arch9wavefront6targetE0EEEvT1_,comdat
	.protected	_ZN7rocprim17ROCPRIM_400000_NS6detail17trampoline_kernelINS0_14default_configENS1_25partition_config_selectorILNS1_17partition_subalgoE5E10large_dataNS0_10empty_typeEbEEZZNS1_14partition_implILS5_5ELb0ES3_mN6thrust23THRUST_200600_302600_NS6detail15normal_iteratorINSB_10device_ptrIS6_EEEEPS7_NSB_18transform_iteratorI5mod_3IS6_ESG_NSB_11use_defaultESL_EENS0_5tupleIJSG_S7_EEENSN_IJSH_SH_EEES7_PlJS7_EEE10hipError_tPvRmT3_T4_T5_T6_T7_T9_mT8_P12ihipStream_tbDpT10_ENKUlT_T0_E_clISt17integral_constantIbLb1EES19_IbLb0EEEEDaS15_S16_EUlS15_E_NS1_11comp_targetILNS1_3genE9ELNS1_11target_archE1100ELNS1_3gpuE3ELNS1_3repE0EEENS1_30default_config_static_selectorELNS0_4arch9wavefront6targetE0EEEvT1_ ; -- Begin function _ZN7rocprim17ROCPRIM_400000_NS6detail17trampoline_kernelINS0_14default_configENS1_25partition_config_selectorILNS1_17partition_subalgoE5E10large_dataNS0_10empty_typeEbEEZZNS1_14partition_implILS5_5ELb0ES3_mN6thrust23THRUST_200600_302600_NS6detail15normal_iteratorINSB_10device_ptrIS6_EEEEPS7_NSB_18transform_iteratorI5mod_3IS6_ESG_NSB_11use_defaultESL_EENS0_5tupleIJSG_S7_EEENSN_IJSH_SH_EEES7_PlJS7_EEE10hipError_tPvRmT3_T4_T5_T6_T7_T9_mT8_P12ihipStream_tbDpT10_ENKUlT_T0_E_clISt17integral_constantIbLb1EES19_IbLb0EEEEDaS15_S16_EUlS15_E_NS1_11comp_targetILNS1_3genE9ELNS1_11target_archE1100ELNS1_3gpuE3ELNS1_3repE0EEENS1_30default_config_static_selectorELNS0_4arch9wavefront6targetE0EEEvT1_
	.globl	_ZN7rocprim17ROCPRIM_400000_NS6detail17trampoline_kernelINS0_14default_configENS1_25partition_config_selectorILNS1_17partition_subalgoE5E10large_dataNS0_10empty_typeEbEEZZNS1_14partition_implILS5_5ELb0ES3_mN6thrust23THRUST_200600_302600_NS6detail15normal_iteratorINSB_10device_ptrIS6_EEEEPS7_NSB_18transform_iteratorI5mod_3IS6_ESG_NSB_11use_defaultESL_EENS0_5tupleIJSG_S7_EEENSN_IJSH_SH_EEES7_PlJS7_EEE10hipError_tPvRmT3_T4_T5_T6_T7_T9_mT8_P12ihipStream_tbDpT10_ENKUlT_T0_E_clISt17integral_constantIbLb1EES19_IbLb0EEEEDaS15_S16_EUlS15_E_NS1_11comp_targetILNS1_3genE9ELNS1_11target_archE1100ELNS1_3gpuE3ELNS1_3repE0EEENS1_30default_config_static_selectorELNS0_4arch9wavefront6targetE0EEEvT1_
	.p2align	8
	.type	_ZN7rocprim17ROCPRIM_400000_NS6detail17trampoline_kernelINS0_14default_configENS1_25partition_config_selectorILNS1_17partition_subalgoE5E10large_dataNS0_10empty_typeEbEEZZNS1_14partition_implILS5_5ELb0ES3_mN6thrust23THRUST_200600_302600_NS6detail15normal_iteratorINSB_10device_ptrIS6_EEEEPS7_NSB_18transform_iteratorI5mod_3IS6_ESG_NSB_11use_defaultESL_EENS0_5tupleIJSG_S7_EEENSN_IJSH_SH_EEES7_PlJS7_EEE10hipError_tPvRmT3_T4_T5_T6_T7_T9_mT8_P12ihipStream_tbDpT10_ENKUlT_T0_E_clISt17integral_constantIbLb1EES19_IbLb0EEEEDaS15_S16_EUlS15_E_NS1_11comp_targetILNS1_3genE9ELNS1_11target_archE1100ELNS1_3gpuE3ELNS1_3repE0EEENS1_30default_config_static_selectorELNS0_4arch9wavefront6targetE0EEEvT1_,@function
_ZN7rocprim17ROCPRIM_400000_NS6detail17trampoline_kernelINS0_14default_configENS1_25partition_config_selectorILNS1_17partition_subalgoE5E10large_dataNS0_10empty_typeEbEEZZNS1_14partition_implILS5_5ELb0ES3_mN6thrust23THRUST_200600_302600_NS6detail15normal_iteratorINSB_10device_ptrIS6_EEEEPS7_NSB_18transform_iteratorI5mod_3IS6_ESG_NSB_11use_defaultESL_EENS0_5tupleIJSG_S7_EEENSN_IJSH_SH_EEES7_PlJS7_EEE10hipError_tPvRmT3_T4_T5_T6_T7_T9_mT8_P12ihipStream_tbDpT10_ENKUlT_T0_E_clISt17integral_constantIbLb1EES19_IbLb0EEEEDaS15_S16_EUlS15_E_NS1_11comp_targetILNS1_3genE9ELNS1_11target_archE1100ELNS1_3gpuE3ELNS1_3repE0EEENS1_30default_config_static_selectorELNS0_4arch9wavefront6targetE0EEEvT1_: ; @_ZN7rocprim17ROCPRIM_400000_NS6detail17trampoline_kernelINS0_14default_configENS1_25partition_config_selectorILNS1_17partition_subalgoE5E10large_dataNS0_10empty_typeEbEEZZNS1_14partition_implILS5_5ELb0ES3_mN6thrust23THRUST_200600_302600_NS6detail15normal_iteratorINSB_10device_ptrIS6_EEEEPS7_NSB_18transform_iteratorI5mod_3IS6_ESG_NSB_11use_defaultESL_EENS0_5tupleIJSG_S7_EEENSN_IJSH_SH_EEES7_PlJS7_EEE10hipError_tPvRmT3_T4_T5_T6_T7_T9_mT8_P12ihipStream_tbDpT10_ENKUlT_T0_E_clISt17integral_constantIbLb1EES19_IbLb0EEEEDaS15_S16_EUlS15_E_NS1_11comp_targetILNS1_3genE9ELNS1_11target_archE1100ELNS1_3gpuE3ELNS1_3repE0EEENS1_30default_config_static_selectorELNS0_4arch9wavefront6targetE0EEEvT1_
; %bb.0:
	s_clause 0x4
	s_load_b128 s[8:11], s[0:1], 0x0
	s_load_b64 s[16:17], s[0:1], 0x10
	s_load_b32 s18, s[0:1], 0x70
	s_load_b128 s[4:7], s[0:1], 0x48
	s_load_b64 s[20:21], s[0:1], 0x58
	s_mov_b32 s12, s15
	s_mov_b32 s13, 0
	s_mov_b32 s26, -1
	s_lshl_b64 s[2:3], s[12:13], 18
	s_waitcnt lgkmcnt(0)
	s_add_u32 s8, s8, s2
	s_addc_u32 s9, s9, s3
	s_lshl_b64 s[14:15], s[16:17], 9
	s_load_b64 s[2:3], s[6:7], 0x0
	s_add_u32 s23, s10, s14
	s_addc_u32 s24, s11, s15
	s_add_i32 s10, s18, -1
	s_lshl_b32 s7, s18, 8
	s_lshl_b32 s6, s10, 8
	s_delay_alu instid0(SALU_CYCLE_1)
	s_add_i32 s25, s16, s6
	s_add_u32 s6, s16, s7
	s_addc_u32 s7, s17, 0
	s_cmp_eq_u32 s12, s10
	v_cmp_ge_u64_e64 s6, s[6:7], s[20:21]
	s_cselect_b32 s21, -1, 0
	s_lshl_b32 s16, s12, 8
	s_delay_alu instid0(VALU_DEP_1) | instskip(NEXT) | instid1(SALU_CYCLE_1)
	s_and_b32 s6, s21, s6
	s_xor_b32 s22, s6, -1
	s_delay_alu instid0(SALU_CYCLE_1)
	s_and_b32 vcc_lo, exec_lo, s22
	s_cbranch_vccz .LBB709_2
; %bb.1:
	s_mov_b32 s17, s13
	v_lshlrev_b32_e32 v3, 9, v0
	s_lshl_b64 s[6:7], s[16:17], 9
	s_mov_b32 s26, 0
	s_add_u32 s6, s23, s6
	s_addc_u32 s7, s24, s7
	v_add_co_u32 v1, s6, s6, v3
	s_delay_alu instid0(VALU_DEP_1) | instskip(SKIP_2) | instid1(VALU_DEP_1)
	v_add_co_ci_u32_e64 v2, null, s7, 0, s6
	flat_load_u8 v4, v[1:2]
	v_add_co_u32 v1, s6, s8, v3
	v_add_co_ci_u32_e64 v2, null, s9, 0, s6
	s_waitcnt vmcnt(0) lgkmcnt(0)
	global_store_b8 v3, v4, s[8:9]
	s_waitcnt_vscnt null, 0x0
	s_barrier
	s_branch .LBB709_3
.LBB709_2:
                                        ; implicit-def: $vgpr1_vgpr2
.LBB709_3:
	s_clause 0x2
	s_load_b64 s[18:19], s[0:1], 0x20
	s_load_b64 s[6:7], s[0:1], 0x30
	s_load_b64 s[10:11], s[0:1], 0x68
	v_dual_mov_b32 v3, s16 :: v_dual_mov_b32 v4, s17
	s_and_not1_b32 vcc_lo, exec_lo, s26
	s_sub_i32 s0, s20, s25
	s_cbranch_vccnz .LBB709_9
; %bb.4:
	s_mov_b32 s1, exec_lo
	v_cmpx_le_u32_e64 s0, v0
	s_xor_b32 s1, exec_lo, s1
; %bb.5:
	v_mov_b32_e32 v1, 0
	s_mov_b32 s17, 0
; %bb.6:
	s_or_saveexec_b32 s1, s1
	v_dual_mov_b32 v3, s16 :: v_dual_mov_b32 v4, s17
	v_mov_b32_e32 v5, s17
	s_xor_b32 exec_lo, exec_lo, s1
	s_cbranch_execz .LBB709_8
; %bb.7:
	s_mov_b32 s17, 0
	v_lshlrev_b32_e32 v1, 9, v0
	s_lshl_b64 s[26:27], s[16:17], 9
	v_dual_mov_b32 v3, s16 :: v_dual_mov_b32 v4, s17
	s_add_u32 s13, s23, s26
	s_addc_u32 s20, s24, s27
	v_add_co_u32 v1, s13, s13, v1
	s_delay_alu instid0(VALU_DEP_1)
	v_add_co_ci_u32_e64 v2, null, s20, 0, s13
	flat_load_u8 v5, v[1:2]
	v_mov_b32_e32 v1, 0
.LBB709_8:
	s_or_b32 exec_lo, exec_lo, s1
	s_delay_alu instid0(VALU_DEP_1) | instskip(NEXT) | instid1(VALU_DEP_1)
	v_lshlrev_b64 v[1:2], 9, v[0:1]
	v_add_co_u32 v1, vcc_lo, s8, v1
	s_delay_alu instid0(VALU_DEP_2)
	v_add_co_ci_u32_e32 v2, vcc_lo, s9, v2, vcc_lo
	s_waitcnt vmcnt(0) lgkmcnt(0)
	global_store_b8 v[1:2], v5, off
	s_waitcnt_vscnt null, 0x0
	s_barrier
.LBB709_9:
	s_waitcnt lgkmcnt(0)
	buffer_gl0_inv
	global_load_u8 v17, v[1:2], off
	v_lshlrev_b64 v[1:2], 9, v[3:4]
	s_add_u32 s1, s18, s14
	s_addc_u32 s13, s19, s15
	s_waitcnt vmcnt(0)
	s_barrier
	buffer_gl0_inv
	v_add_co_u32 v3, vcc_lo, s1, v1
	v_add_co_ci_u32_e32 v4, vcc_lo, s13, v2, vcc_lo
	s_and_b32 vcc_lo, exec_lo, s22
	s_cbranch_vccz .LBB709_11
; %bb.10:
	v_lshlrev_b32_e32 v1, 9, v0
	s_delay_alu instid0(VALU_DEP_1) | instskip(SKIP_4) | instid1(VALU_DEP_1)
	v_add_co_u32 v1, vcc_lo, v3, v1
	v_add_co_ci_u32_e32 v2, vcc_lo, 0, v4, vcc_lo
	global_load_i8 v1, v[1:2], off
	s_waitcnt vmcnt(0)
	v_mul_lo_u32 v1, 0xaaaaaaab, v1
	v_cmp_lt_u32_e32 vcc_lo, 0x55555555, v1
	v_add_co_u32 v1, s1, s8, v0
	s_delay_alu instid0(VALU_DEP_1)
	v_add_co_ci_u32_e64 v2, null, s9, 0, s1
	v_cndmask_b32_e64 v5, 0, 1, vcc_lo
	global_store_b8 v0, v5, s[8:9]
	s_waitcnt_vscnt null, 0x0
	s_barrier
	s_cbranch_execz .LBB709_12
	s_branch .LBB709_15
.LBB709_11:
                                        ; implicit-def: $vgpr1_vgpr2
.LBB709_12:
	v_cmp_gt_u32_e32 vcc_lo, s0, v0
	v_mov_b32_e32 v5, 0
	s_and_saveexec_b32 s0, vcc_lo
	s_cbranch_execz .LBB709_14
; %bb.13:
	v_lshlrev_b32_e32 v1, 9, v0
	s_delay_alu instid0(VALU_DEP_1) | instskip(SKIP_4) | instid1(VALU_DEP_1)
	v_add_co_u32 v1, vcc_lo, v3, v1
	v_add_co_ci_u32_e32 v2, vcc_lo, 0, v4, vcc_lo
	global_load_i8 v1, v[1:2], off
	s_waitcnt vmcnt(0)
	v_mul_lo_u32 v1, 0xaaaaaaab, v1
	v_cmp_lt_u32_e32 vcc_lo, 0x55555555, v1
	v_cndmask_b32_e64 v5, 0, 1, vcc_lo
.LBB709_14:
	s_or_b32 exec_lo, exec_lo, s0
	v_add_co_u32 v1, s0, s8, v0
	s_delay_alu instid0(VALU_DEP_1)
	v_add_co_ci_u32_e64 v2, null, s9, 0, s0
	global_store_b8 v[1:2], v5, off
	s_waitcnt_vscnt null, 0x0
	s_barrier
.LBB709_15:
	buffer_gl0_inv
	global_load_u8 v1, v[1:2], off
	v_mov_b32_e32 v10, 0
	v_mbcnt_lo_u32_b32 v18, -1, 0
	s_cmp_lg_u32 s12, 0
	s_waitcnt vmcnt(0)
	s_barrier
	buffer_gl0_inv
	v_and_b32_e32 v9, 1, v1
	v_and_b32_e32 v19, 0xff, v1
	s_cbranch_scc0 .LBB709_86
; %bb.16:
	v_dual_mov_b32 v2, v10 :: v_dual_and_b32 v7, 0xff, v1
	s_delay_alu instid0(VALU_DEP_3) | instskip(SKIP_2) | instid1(VALU_DEP_4)
	v_mov_b32_e32 v3, v9
	v_dual_mov_b32 v4, v10 :: v_dual_and_b32 v5, 15, v18
	v_mov_b32_dpp v6, v10 row_shr:1 row_mask:0xf bank_mask:0xf
	v_mov_b32_dpp v1, v7 row_shr:1 row_mask:0xf bank_mask:0xf
	s_mov_b32 s0, exec_lo
	s_delay_alu instid0(VALU_DEP_3)
	v_cmpx_ne_u32_e32 0, v5
; %bb.17:
	s_delay_alu instid0(VALU_DEP_2) | instskip(NEXT) | instid1(VALU_DEP_1)
	v_add_co_u32 v7, s1, v1, v9
	v_add_co_ci_u32_e64 v2, null, 0, 0, s1
	s_delay_alu instid0(VALU_DEP_2) | instskip(NEXT) | instid1(VALU_DEP_2)
	v_add_co_u32 v1, vcc_lo, 0, v7
	v_add_co_ci_u32_e32 v2, vcc_lo, v6, v2, vcc_lo
	s_delay_alu instid0(VALU_DEP_1)
	v_dual_mov_b32 v4, v2 :: v_dual_mov_b32 v3, v1
; %bb.18:
	s_or_b32 exec_lo, exec_lo, s0
	v_mov_b32_dpp v1, v7 row_shr:2 row_mask:0xf bank_mask:0xf
	v_mov_b32_dpp v6, v2 row_shr:2 row_mask:0xf bank_mask:0xf
	s_mov_b32 s0, exec_lo
	v_cmpx_lt_u32_e32 1, v5
; %bb.19:
	s_delay_alu instid0(VALU_DEP_3) | instskip(SKIP_1) | instid1(VALU_DEP_2)
	v_add_co_u32 v7, vcc_lo, v3, v1
	v_add_co_ci_u32_e32 v2, vcc_lo, 0, v4, vcc_lo
	v_add_co_u32 v1, vcc_lo, 0, v7
	s_delay_alu instid0(VALU_DEP_2) | instskip(NEXT) | instid1(VALU_DEP_1)
	v_add_co_ci_u32_e32 v2, vcc_lo, v6, v2, vcc_lo
	v_dual_mov_b32 v4, v2 :: v_dual_mov_b32 v3, v1
; %bb.20:
	s_or_b32 exec_lo, exec_lo, s0
	v_mov_b32_dpp v1, v7 row_shr:4 row_mask:0xf bank_mask:0xf
	v_mov_b32_dpp v6, v2 row_shr:4 row_mask:0xf bank_mask:0xf
	s_mov_b32 s0, exec_lo
	v_cmpx_lt_u32_e32 3, v5
; %bb.21:
	s_delay_alu instid0(VALU_DEP_3) | instskip(SKIP_1) | instid1(VALU_DEP_2)
	v_add_co_u32 v7, vcc_lo, v3, v1
	v_add_co_ci_u32_e32 v2, vcc_lo, 0, v4, vcc_lo
	v_add_co_u32 v1, vcc_lo, 0, v7
	s_delay_alu instid0(VALU_DEP_2) | instskip(NEXT) | instid1(VALU_DEP_1)
	v_add_co_ci_u32_e32 v2, vcc_lo, v6, v2, vcc_lo
	v_dual_mov_b32 v4, v2 :: v_dual_mov_b32 v3, v1
; %bb.22:
	s_or_b32 exec_lo, exec_lo, s0
	v_mov_b32_dpp v6, v7 row_shr:8 row_mask:0xf bank_mask:0xf
	v_mov_b32_dpp v1, v2 row_shr:8 row_mask:0xf bank_mask:0xf
	s_mov_b32 s0, exec_lo
	v_cmpx_lt_u32_e32 7, v5
; %bb.23:
	s_delay_alu instid0(VALU_DEP_3) | instskip(SKIP_1) | instid1(VALU_DEP_2)
	v_add_co_u32 v7, vcc_lo, v3, v6
	v_add_co_ci_u32_e32 v2, vcc_lo, 0, v4, vcc_lo
	v_add_co_u32 v3, vcc_lo, 0, v7
	s_delay_alu instid0(VALU_DEP_2) | instskip(NEXT) | instid1(VALU_DEP_1)
	v_add_co_ci_u32_e32 v4, vcc_lo, v1, v2, vcc_lo
	v_mov_b32_e32 v2, v4
; %bb.24:
	s_or_b32 exec_lo, exec_lo, s0
	ds_swizzle_b32 v1, v7 offset:swizzle(BROADCAST,32,15)
	ds_swizzle_b32 v5, v2 offset:swizzle(BROADCAST,32,15)
	v_and_b32_e32 v6, 16, v18
	s_mov_b32 s0, exec_lo
	s_delay_alu instid0(VALU_DEP_1)
	v_cmpx_ne_u32_e32 0, v6
	s_cbranch_execz .LBB709_26
; %bb.25:
	s_waitcnt lgkmcnt(1)
	v_add_co_u32 v7, vcc_lo, v3, v1
	v_add_co_ci_u32_e32 v2, vcc_lo, 0, v4, vcc_lo
	s_delay_alu instid0(VALU_DEP_2) | instskip(SKIP_1) | instid1(VALU_DEP_2)
	v_add_co_u32 v1, vcc_lo, 0, v7
	s_waitcnt lgkmcnt(0)
	v_add_co_ci_u32_e32 v2, vcc_lo, v5, v2, vcc_lo
	s_delay_alu instid0(VALU_DEP_1)
	v_dual_mov_b32 v4, v2 :: v_dual_mov_b32 v3, v1
.LBB709_26:
	s_or_b32 exec_lo, exec_lo, s0
	s_waitcnt lgkmcnt(0)
	v_or_b32_e32 v5, 31, v0
	v_lshrrev_b32_e32 v1, 5, v0
	s_mov_b32 s0, exec_lo
	s_delay_alu instid0(VALU_DEP_2)
	v_cmpx_eq_u32_e64 v5, v0
	s_cbranch_execz .LBB709_28
; %bb.27:
	s_delay_alu instid0(VALU_DEP_2)
	v_lshlrev_b32_e32 v5, 3, v1
	global_store_b64 v5, v[3:4], s[8:9]
.LBB709_28:
	s_or_b32 exec_lo, exec_lo, s0
	s_delay_alu instid0(SALU_CYCLE_1)
	s_mov_b32 s0, exec_lo
	s_waitcnt_vscnt null, 0x0
	s_barrier
	buffer_gl0_inv
	v_cmpx_gt_u32_e32 8, v0
	s_cbranch_execz .LBB709_36
; %bb.29:
	v_lshlrev_b32_e32 v5, 3, v0
	s_mov_b32 s1, exec_lo
	global_load_b64 v[3:4], v5, s[8:9]
	s_waitcnt vmcnt(0)
	v_dual_mov_b32 v11, v3 :: v_dual_and_b32 v8, 7, v18
	v_mov_b32_dpp v12, v3 row_shr:1 row_mask:0xf bank_mask:0xf
	v_mov_b32_dpp v6, v4 row_shr:1 row_mask:0xf bank_mask:0xf
	s_delay_alu instid0(VALU_DEP_3)
	v_cmpx_ne_u32_e32 0, v8
; %bb.30:
	s_delay_alu instid0(VALU_DEP_3) | instskip(SKIP_1) | instid1(VALU_DEP_2)
	v_add_co_u32 v11, vcc_lo, v3, v12
	v_add_co_ci_u32_e32 v4, vcc_lo, 0, v4, vcc_lo
	v_add_co_u32 v3, vcc_lo, 0, v11
	s_delay_alu instid0(VALU_DEP_2)
	v_add_co_ci_u32_e32 v4, vcc_lo, v6, v4, vcc_lo
; %bb.31:
	s_or_b32 exec_lo, exec_lo, s1
	v_add_co_u32 v5, s1, s8, v5
	s_delay_alu instid0(VALU_DEP_1)
	v_add_co_ci_u32_e64 v6, null, s9, 0, s1
	v_mov_b32_dpp v13, v11 row_shr:2 row_mask:0xf bank_mask:0xf
	v_mov_b32_dpp v12, v4 row_shr:2 row_mask:0xf bank_mask:0xf
	s_mov_b32 s1, exec_lo
	v_cmpx_lt_u32_e32 1, v8
; %bb.32:
	s_delay_alu instid0(VALU_DEP_3) | instskip(SKIP_1) | instid1(VALU_DEP_2)
	v_add_co_u32 v11, vcc_lo, v3, v13
	v_add_co_ci_u32_e32 v4, vcc_lo, 0, v4, vcc_lo
	v_add_co_u32 v3, vcc_lo, 0, v11
	s_delay_alu instid0(VALU_DEP_2)
	v_add_co_ci_u32_e32 v4, vcc_lo, v12, v4, vcc_lo
; %bb.33:
	s_or_b32 exec_lo, exec_lo, s1
	v_mov_b32_dpp v12, v11 row_shr:4 row_mask:0xf bank_mask:0xf
	s_delay_alu instid0(VALU_DEP_2)
	v_mov_b32_dpp v11, v4 row_shr:4 row_mask:0xf bank_mask:0xf
	s_mov_b32 s1, exec_lo
	v_cmpx_lt_u32_e32 3, v8
; %bb.34:
	s_delay_alu instid0(VALU_DEP_3) | instskip(SKIP_1) | instid1(VALU_DEP_2)
	v_add_co_u32 v3, vcc_lo, v3, v12
	v_add_co_ci_u32_e32 v4, vcc_lo, 0, v4, vcc_lo
	v_add_co_u32 v3, vcc_lo, v3, 0
	s_delay_alu instid0(VALU_DEP_2)
	v_add_co_ci_u32_e32 v4, vcc_lo, v4, v11, vcc_lo
; %bb.35:
	s_or_b32 exec_lo, exec_lo, s1
	global_store_b64 v[5:6], v[3:4], off
.LBB709_36:
	s_or_b32 exec_lo, exec_lo, s0
	v_cmp_gt_u32_e32 vcc_lo, 32, v0
	s_mov_b32 s1, exec_lo
	s_waitcnt_vscnt null, 0x0
	s_barrier
	buffer_gl0_inv
                                        ; implicit-def: $vgpr11_vgpr12
	v_cmpx_lt_u32_e32 31, v0
	s_cbranch_execz .LBB709_38
; %bb.37:
	v_dual_mov_b32 v4, 0 :: v_dual_add_nc_u32 v3, -1, v1
	s_delay_alu instid0(VALU_DEP_1) | instskip(NEXT) | instid1(VALU_DEP_1)
	v_lshlrev_b64 v[3:4], 3, v[3:4]
	v_add_co_u32 v3, s0, s8, v3
	s_delay_alu instid0(VALU_DEP_1) | instskip(SKIP_3) | instid1(VALU_DEP_1)
	v_add_co_ci_u32_e64 v4, s0, s9, v4, s0
	global_load_b64 v[11:12], v[3:4], off
	s_waitcnt vmcnt(0)
	v_add_co_u32 v7, s0, v7, v11
	v_add_co_ci_u32_e64 v2, s0, v2, v12, s0
.LBB709_38:
	s_or_b32 exec_lo, exec_lo, s1
	v_add_nc_u32_e32 v1, -1, v18
	s_delay_alu instid0(VALU_DEP_1) | instskip(NEXT) | instid1(VALU_DEP_1)
	v_cmp_gt_i32_e64 s0, 0, v1
	v_cndmask_b32_e64 v1, v1, v18, s0
	v_cmp_eq_u32_e64 s0, 0, v18
	s_delay_alu instid0(VALU_DEP_2)
	v_lshlrev_b32_e32 v1, 2, v1
	ds_bpermute_b32 v20, v1, v7
	ds_bpermute_b32 v21, v1, v2
	s_and_saveexec_b32 s1, vcc_lo
	s_cbranch_execz .LBB709_81
; %bb.39:
	v_mov_b32_e32 v4, 0
	global_load_b64 v[1:2], v4, s[8:9] offset:56
	s_and_saveexec_b32 s13, s0
	s_cbranch_execz .LBB709_41
; %bb.40:
	s_add_i32 s14, s12, 32
	s_mov_b32 s15, 0
	s_delay_alu instid0(SALU_CYCLE_1) | instskip(NEXT) | instid1(SALU_CYCLE_1)
	s_lshl_b64 s[14:15], s[14:15], 4
	s_add_u32 s14, s10, s14
	s_addc_u32 s15, s11, s15
	v_mov_b32_e32 v5, s14
	v_dual_mov_b32 v3, 1 :: v_dual_mov_b32 v6, s15
	s_waitcnt vmcnt(0)
	;;#ASMSTART
	global_store_dwordx4 v[5:6], v[1:4] off	
s_waitcnt vmcnt(0)
	;;#ASMEND
.LBB709_41:
	s_or_b32 exec_lo, exec_lo, s13
	v_xad_u32 v13, v18, -1, s12
	s_mov_b32 s14, 0
	s_mov_b32 s13, exec_lo
	s_delay_alu instid0(VALU_DEP_1) | instskip(NEXT) | instid1(VALU_DEP_1)
	v_add_nc_u32_e32 v3, 32, v13
	v_lshlrev_b64 v[3:4], 4, v[3:4]
	s_delay_alu instid0(VALU_DEP_1) | instskip(NEXT) | instid1(VALU_DEP_2)
	v_add_co_u32 v3, vcc_lo, s10, v3
	v_add_co_ci_u32_e32 v4, vcc_lo, s11, v4, vcc_lo
	;;#ASMSTART
	global_load_dwordx4 v[5:8], v[3:4] off glc	
s_waitcnt vmcnt(0)
	;;#ASMEND
	v_and_b32_e32 v8, 0xff, v6
	v_and_b32_e32 v14, 0xff00, v6
	v_or3_b32 v5, v5, 0, 0
	v_and_b32_e32 v15, 0xff000000, v6
	v_and_b32_e32 v6, 0xff0000, v6
	s_delay_alu instid0(VALU_DEP_4) | instskip(SKIP_2) | instid1(VALU_DEP_3)
	v_or3_b32 v8, 0, v8, v14
	v_and_b32_e32 v14, 0xff, v7
	v_or3_b32 v5, v5, 0, 0
	v_or3_b32 v6, v8, v6, v15
	s_delay_alu instid0(VALU_DEP_3)
	v_cmpx_eq_u16_e32 0, v14
	s_cbranch_execz .LBB709_47
; %bb.42:
	s_mov_b32 s15, 1
	.p2align	6
.LBB709_43:                             ; =>This Loop Header: Depth=1
                                        ;     Child Loop BB709_44 Depth 2
	s_delay_alu instid0(SALU_CYCLE_1)
	s_max_u32 s16, s15, 1
.LBB709_44:                             ;   Parent Loop BB709_43 Depth=1
                                        ; =>  This Inner Loop Header: Depth=2
	s_delay_alu instid0(SALU_CYCLE_1)
	s_add_i32 s16, s16, -1
	s_sleep 1
	s_cmp_eq_u32 s16, 0
	s_cbranch_scc0 .LBB709_44
; %bb.45:                               ;   in Loop: Header=BB709_43 Depth=1
	;;#ASMSTART
	global_load_dwordx4 v[5:8], v[3:4] off glc	
s_waitcnt vmcnt(0)
	;;#ASMEND
	v_and_b32_e32 v8, 0xff, v7
	s_cmp_lt_u32 s15, 32
	s_cselect_b32 s16, -1, 0
	s_delay_alu instid0(SALU_CYCLE_1) | instskip(NEXT) | instid1(VALU_DEP_1)
	s_cmp_lg_u32 s16, 0
	v_cmp_ne_u16_e32 vcc_lo, 0, v8
	s_addc_u32 s15, s15, 0
	s_or_b32 s14, vcc_lo, s14
	s_delay_alu instid0(SALU_CYCLE_1)
	s_and_not1_b32 exec_lo, exec_lo, s14
	s_cbranch_execnz .LBB709_43
; %bb.46:
	s_or_b32 exec_lo, exec_lo, s14
.LBB709_47:
	s_delay_alu instid0(SALU_CYCLE_1)
	s_or_b32 exec_lo, exec_lo, s13
	v_cmp_ne_u32_e32 vcc_lo, 31, v18
	v_and_b32_e32 v4, 0xff, v7
	v_lshlrev_b32_e64 v23, v18, -1
	s_mov_b32 s13, exec_lo
	v_add_co_ci_u32_e32 v3, vcc_lo, 0, v18, vcc_lo
	s_delay_alu instid0(VALU_DEP_3) | instskip(SKIP_1) | instid1(VALU_DEP_3)
	v_cmp_eq_u16_e32 vcc_lo, 2, v4
	v_mov_b32_e32 v4, v5
	v_lshlrev_b32_e32 v22, 2, v3
	v_and_or_b32 v3, vcc_lo, v23, 0x80000000
	ds_bpermute_b32 v14, v22, v5
	ds_bpermute_b32 v8, v22, v6
	v_ctz_i32_b32_e32 v3, v3
	s_delay_alu instid0(VALU_DEP_1)
	v_cmpx_lt_u32_e64 v18, v3
	s_cbranch_execz .LBB709_49
; %bb.48:
	s_waitcnt lgkmcnt(1)
	v_add_co_u32 v4, vcc_lo, v5, v14
	v_add_co_ci_u32_e32 v6, vcc_lo, 0, v6, vcc_lo
	s_delay_alu instid0(VALU_DEP_2) | instskip(SKIP_1) | instid1(VALU_DEP_2)
	v_add_co_u32 v5, vcc_lo, 0, v4
	s_waitcnt lgkmcnt(0)
	v_add_co_ci_u32_e32 v6, vcc_lo, v8, v6, vcc_lo
.LBB709_49:
	s_or_b32 exec_lo, exec_lo, s13
	v_cmp_gt_u32_e32 vcc_lo, 30, v18
	v_add_nc_u32_e32 v25, 2, v18
	s_mov_b32 s13, exec_lo
	s_waitcnt lgkmcnt(0)
	v_cndmask_b32_e64 v8, 0, 1, vcc_lo
	s_delay_alu instid0(VALU_DEP_1) | instskip(NEXT) | instid1(VALU_DEP_1)
	v_lshlrev_b32_e32 v8, 1, v8
	v_add_lshl_u32 v24, v8, v18, 2
	ds_bpermute_b32 v14, v24, v4
	ds_bpermute_b32 v8, v24, v6
	v_cmpx_le_u32_e64 v25, v3
	s_cbranch_execz .LBB709_51
; %bb.50:
	s_waitcnt lgkmcnt(1)
	v_add_co_u32 v4, vcc_lo, v5, v14
	v_add_co_ci_u32_e32 v6, vcc_lo, 0, v6, vcc_lo
	s_delay_alu instid0(VALU_DEP_2) | instskip(SKIP_1) | instid1(VALU_DEP_2)
	v_add_co_u32 v5, vcc_lo, 0, v4
	s_waitcnt lgkmcnt(0)
	v_add_co_ci_u32_e32 v6, vcc_lo, v8, v6, vcc_lo
.LBB709_51:
	s_or_b32 exec_lo, exec_lo, s13
	v_cmp_gt_u32_e32 vcc_lo, 28, v18
	v_add_nc_u32_e32 v27, 4, v18
	s_mov_b32 s13, exec_lo
	s_waitcnt lgkmcnt(0)
	v_cndmask_b32_e64 v8, 0, 1, vcc_lo
	s_delay_alu instid0(VALU_DEP_1) | instskip(NEXT) | instid1(VALU_DEP_1)
	v_lshlrev_b32_e32 v8, 2, v8
	v_add_lshl_u32 v26, v8, v18, 2
	ds_bpermute_b32 v14, v26, v4
	ds_bpermute_b32 v8, v26, v6
	v_cmpx_le_u32_e64 v27, v3
	;; [unrolled: 22-line block ×4, first 2 shown]
	s_cbranch_execz .LBB709_57
; %bb.56:
	s_waitcnt lgkmcnt(1)
	v_add_co_u32 v3, vcc_lo, v5, v8
	v_add_co_ci_u32_e32 v6, vcc_lo, 0, v6, vcc_lo
	s_delay_alu instid0(VALU_DEP_2) | instskip(SKIP_1) | instid1(VALU_DEP_2)
	v_add_co_u32 v5, vcc_lo, v3, 0
	s_waitcnt lgkmcnt(0)
	v_add_co_ci_u32_e32 v6, vcc_lo, v6, v4, vcc_lo
.LBB709_57:
	s_or_b32 exec_lo, exec_lo, s13
	v_mov_b32_e32 v14, 0
	s_branch .LBB709_59
.LBB709_58:                             ;   in Loop: Header=BB709_59 Depth=1
	s_or_b32 exec_lo, exec_lo, s13
	v_add_co_u32 v5, vcc_lo, v5, v3
	v_subrev_nc_u32_e32 v13, 32, v13
	v_add_co_ci_u32_e32 v6, vcc_lo, v6, v4, vcc_lo
.LBB709_59:                             ; =>This Loop Header: Depth=1
                                        ;     Child Loop BB709_62 Depth 2
                                        ;       Child Loop BB709_63 Depth 3
	v_and_b32_e32 v3, 0xff, v7
	s_delay_alu instid0(VALU_DEP_1) | instskip(SKIP_2) | instid1(VALU_DEP_1)
	v_cmp_ne_u16_e32 vcc_lo, 2, v3
	v_cndmask_b32_e64 v3, 0, 1, vcc_lo
	;;#ASMSTART
	;;#ASMEND
	v_cmp_ne_u32_e32 vcc_lo, 0, v3
	s_waitcnt lgkmcnt(0)
	v_dual_mov_b32 v3, v5 :: v_dual_mov_b32 v4, v6
	s_cmp_lg_u32 vcc_lo, exec_lo
	s_cbranch_scc1 .LBB709_76
; %bb.60:                               ;   in Loop: Header=BB709_59 Depth=1
	v_lshlrev_b64 v[5:6], 4, v[13:14]
	s_mov_b32 s13, exec_lo
	s_delay_alu instid0(VALU_DEP_1) | instskip(NEXT) | instid1(VALU_DEP_2)
	v_add_co_u32 v15, vcc_lo, s10, v5
	v_add_co_ci_u32_e32 v16, vcc_lo, s11, v6, vcc_lo
	;;#ASMSTART
	global_load_dwordx4 v[5:8], v[15:16] off glc	
s_waitcnt vmcnt(0)
	;;#ASMEND
	v_and_b32_e32 v8, 0xff, v6
	v_and_b32_e32 v32, 0xff00, v6
	v_or3_b32 v5, v5, 0, 0
	v_and_b32_e32 v33, 0xff000000, v6
	v_and_b32_e32 v6, 0xff0000, v6
	s_delay_alu instid0(VALU_DEP_4) | instskip(SKIP_2) | instid1(VALU_DEP_3)
	v_or3_b32 v8, 0, v8, v32
	v_and_b32_e32 v32, 0xff, v7
	v_or3_b32 v5, v5, 0, 0
	v_or3_b32 v6, v8, v6, v33
	s_delay_alu instid0(VALU_DEP_3)
	v_cmpx_eq_u16_e32 0, v32
	s_cbranch_execz .LBB709_66
; %bb.61:                               ;   in Loop: Header=BB709_59 Depth=1
	s_mov_b32 s15, 1
	s_mov_b32 s14, 0
	.p2align	6
.LBB709_62:                             ;   Parent Loop BB709_59 Depth=1
                                        ; =>  This Loop Header: Depth=2
                                        ;       Child Loop BB709_63 Depth 3
	s_max_u32 s16, s15, 1
.LBB709_63:                             ;   Parent Loop BB709_59 Depth=1
                                        ;     Parent Loop BB709_62 Depth=2
                                        ; =>    This Inner Loop Header: Depth=3
	s_delay_alu instid0(SALU_CYCLE_1)
	s_add_i32 s16, s16, -1
	s_sleep 1
	s_cmp_eq_u32 s16, 0
	s_cbranch_scc0 .LBB709_63
; %bb.64:                               ;   in Loop: Header=BB709_62 Depth=2
	;;#ASMSTART
	global_load_dwordx4 v[5:8], v[15:16] off glc	
s_waitcnt vmcnt(0)
	;;#ASMEND
	v_and_b32_e32 v8, 0xff, v7
	s_cmp_lt_u32 s15, 32
	s_cselect_b32 s16, -1, 0
	s_delay_alu instid0(SALU_CYCLE_1) | instskip(NEXT) | instid1(VALU_DEP_1)
	s_cmp_lg_u32 s16, 0
	v_cmp_ne_u16_e32 vcc_lo, 0, v8
	s_addc_u32 s15, s15, 0
	s_or_b32 s14, vcc_lo, s14
	s_delay_alu instid0(SALU_CYCLE_1)
	s_and_not1_b32 exec_lo, exec_lo, s14
	s_cbranch_execnz .LBB709_62
; %bb.65:                               ;   in Loop: Header=BB709_59 Depth=1
	s_or_b32 exec_lo, exec_lo, s14
.LBB709_66:                             ;   in Loop: Header=BB709_59 Depth=1
	s_delay_alu instid0(SALU_CYCLE_1)
	s_or_b32 exec_lo, exec_lo, s13
	v_dual_mov_b32 v15, v5 :: v_dual_and_b32 v8, 0xff, v7
	ds_bpermute_b32 v32, v22, v5
	ds_bpermute_b32 v16, v22, v6
	s_mov_b32 s13, exec_lo
	v_cmp_eq_u16_e32 vcc_lo, 2, v8
	v_and_or_b32 v8, vcc_lo, v23, 0x80000000
	s_delay_alu instid0(VALU_DEP_1) | instskip(NEXT) | instid1(VALU_DEP_1)
	v_ctz_i32_b32_e32 v8, v8
	v_cmpx_lt_u32_e64 v18, v8
	s_cbranch_execz .LBB709_68
; %bb.67:                               ;   in Loop: Header=BB709_59 Depth=1
	s_waitcnt lgkmcnt(1)
	v_add_co_u32 v15, vcc_lo, v5, v32
	v_add_co_ci_u32_e32 v6, vcc_lo, 0, v6, vcc_lo
	s_delay_alu instid0(VALU_DEP_2) | instskip(SKIP_1) | instid1(VALU_DEP_2)
	v_add_co_u32 v5, vcc_lo, 0, v15
	s_waitcnt lgkmcnt(0)
	v_add_co_ci_u32_e32 v6, vcc_lo, v16, v6, vcc_lo
.LBB709_68:                             ;   in Loop: Header=BB709_59 Depth=1
	s_or_b32 exec_lo, exec_lo, s13
	s_waitcnt lgkmcnt(1)
	ds_bpermute_b32 v32, v24, v15
	s_waitcnt lgkmcnt(1)
	ds_bpermute_b32 v16, v24, v6
	s_mov_b32 s13, exec_lo
	v_cmpx_le_u32_e64 v25, v8
	s_cbranch_execz .LBB709_70
; %bb.69:                               ;   in Loop: Header=BB709_59 Depth=1
	s_waitcnt lgkmcnt(1)
	v_add_co_u32 v15, vcc_lo, v5, v32
	v_add_co_ci_u32_e32 v6, vcc_lo, 0, v6, vcc_lo
	s_delay_alu instid0(VALU_DEP_2) | instskip(SKIP_1) | instid1(VALU_DEP_2)
	v_add_co_u32 v5, vcc_lo, 0, v15
	s_waitcnt lgkmcnt(0)
	v_add_co_ci_u32_e32 v6, vcc_lo, v16, v6, vcc_lo
.LBB709_70:                             ;   in Loop: Header=BB709_59 Depth=1
	s_or_b32 exec_lo, exec_lo, s13
	s_waitcnt lgkmcnt(1)
	ds_bpermute_b32 v32, v26, v15
	s_waitcnt lgkmcnt(1)
	ds_bpermute_b32 v16, v26, v6
	s_mov_b32 s13, exec_lo
	v_cmpx_le_u32_e64 v27, v8
	;; [unrolled: 17-line block ×3, first 2 shown]
	s_cbranch_execz .LBB709_74
; %bb.73:                               ;   in Loop: Header=BB709_59 Depth=1
	s_waitcnt lgkmcnt(1)
	v_add_co_u32 v15, vcc_lo, v5, v32
	v_add_co_ci_u32_e32 v6, vcc_lo, 0, v6, vcc_lo
	s_delay_alu instid0(VALU_DEP_2) | instskip(SKIP_1) | instid1(VALU_DEP_2)
	v_add_co_u32 v5, vcc_lo, 0, v15
	s_waitcnt lgkmcnt(0)
	v_add_co_ci_u32_e32 v6, vcc_lo, v16, v6, vcc_lo
.LBB709_74:                             ;   in Loop: Header=BB709_59 Depth=1
	s_or_b32 exec_lo, exec_lo, s13
	s_waitcnt lgkmcnt(0)
	ds_bpermute_b32 v16, v30, v15
	ds_bpermute_b32 v15, v30, v6
	s_mov_b32 s13, exec_lo
	v_cmpx_le_u32_e64 v31, v8
	s_cbranch_execz .LBB709_58
; %bb.75:                               ;   in Loop: Header=BB709_59 Depth=1
	s_waitcnt lgkmcnt(1)
	v_add_co_u32 v5, vcc_lo, v5, v16
	v_add_co_ci_u32_e32 v6, vcc_lo, 0, v6, vcc_lo
	s_delay_alu instid0(VALU_DEP_2) | instskip(SKIP_1) | instid1(VALU_DEP_2)
	v_add_co_u32 v5, vcc_lo, v5, 0
	s_waitcnt lgkmcnt(0)
	v_add_co_ci_u32_e32 v6, vcc_lo, v6, v15, vcc_lo
	s_branch .LBB709_58
.LBB709_76:                             ;   in Loop: Header=BB709_59 Depth=1
                                        ; implicit-def: $vgpr5_vgpr6
	s_cbranch_execz .LBB709_59
; %bb.77:
	s_and_saveexec_b32 s13, s0
	s_cbranch_execz .LBB709_79
; %bb.78:
	s_add_i32 s14, s12, 32
	s_mov_b32 s15, 0
	s_waitcnt vmcnt(0)
	v_add_co_u32 v5, vcc_lo, v3, v1
	s_lshl_b64 s[14:15], s[14:15], 4
	v_dual_mov_b32 v7, 2 :: v_dual_mov_b32 v8, 0
	s_add_u32 s14, s10, s14
	s_addc_u32 s15, s11, s15
	v_add_co_ci_u32_e32 v6, vcc_lo, v4, v2, vcc_lo
	v_dual_mov_b32 v13, s14 :: v_dual_mov_b32 v14, s15
	;;#ASMSTART
	global_store_dwordx4 v[13:14], v[5:8] off	
s_waitcnt vmcnt(0)
	;;#ASMEND
	ds_store_b128 v8, v[1:4]
.LBB709_79:
	s_or_b32 exec_lo, exec_lo, s13
	v_cmp_eq_u32_e32 vcc_lo, 0, v0
	s_and_b32 exec_lo, exec_lo, vcc_lo
	s_cbranch_execz .LBB709_81
; %bb.80:
	s_waitcnt vmcnt(0)
	v_mov_b32_e32 v1, 0
	global_store_b64 v1, v[3:4], s[8:9] offset:56
.LBB709_81:
	s_or_b32 exec_lo, exec_lo, s1
	s_waitcnt lgkmcnt(0)
	v_cndmask_b32_e64 v8, v21, v12, s0
	v_cmp_ne_u32_e32 vcc_lo, 0, v0
	s_waitcnt vmcnt(0)
	v_mov_b32_e32 v1, 0
	s_waitcnt_vscnt null, 0x0
	s_barrier
	buffer_gl0_inv
	v_cndmask_b32_e32 v8, 0, v8, vcc_lo
	global_load_b64 v[6:7], v1, s[8:9] offset:56
	s_waitcnt vmcnt(0)
	s_barrier
	buffer_gl0_inv
	ds_load_b128 v[2:5], v1
	v_cndmask_b32_e64 v1, v20, v11, s0
	s_delay_alu instid0(VALU_DEP_1) | instskip(NEXT) | instid1(VALU_DEP_1)
	v_cndmask_b32_e32 v1, 0, v1, vcc_lo
	v_add_co_u32 v6, vcc_lo, v6, v1
	v_add_co_ci_u32_e32 v7, vcc_lo, v7, v8, vcc_lo
.LBB709_82:
	s_waitcnt lgkmcnt(0)
	v_cmp_gt_u64_e32 vcc_lo, 0x101, v[2:3]
	s_mov_b32 s0, -1
	s_cbranch_vccnz .LBB709_112
.LBB709_83:
	s_and_not1_b32 vcc_lo, exec_lo, s0
	s_cbranch_vccz .LBB709_116
.LBB709_84:
	v_cmp_eq_u32_e32 vcc_lo, 0, v0
	s_and_b32 s0, vcc_lo, s21
	s_delay_alu instid0(SALU_CYCLE_1)
	s_and_saveexec_b32 s1, s0
	s_cbranch_execnz .LBB709_122
.LBB709_85:
	s_nop 0
	s_sendmsg sendmsg(MSG_DEALLOC_VGPRS)
	s_endpgm
.LBB709_86:
                                        ; implicit-def: $vgpr4_vgpr5
                                        ; implicit-def: $vgpr6_vgpr7
	s_cbranch_execz .LBB709_82
; %bb.87:
	s_waitcnt lgkmcnt(0)
	v_dual_mov_b32 v4, 0 :: v_dual_and_b32 v5, 15, v18
	v_mov_b32_dpp v3, v19 row_shr:1 row_mask:0xf bank_mask:0xf
	v_dual_mov_b32 v1, v9 :: v_dual_mov_b32 v2, v10
	s_delay_alu instid0(VALU_DEP_3)
	v_mov_b32_dpp v6, v4 row_shr:1 row_mask:0xf bank_mask:0xf
	s_mov_b32 s0, exec_lo
	v_cmpx_ne_u32_e32 0, v5
; %bb.88:
	v_add_co_u32 v19, s1, v3, v9
	s_delay_alu instid0(VALU_DEP_1) | instskip(NEXT) | instid1(VALU_DEP_2)
	v_add_co_ci_u32_e64 v1, null, 0, 0, s1
	v_add_co_u32 v3, vcc_lo, 0, v19
	s_delay_alu instid0(VALU_DEP_2) | instskip(NEXT) | instid1(VALU_DEP_1)
	v_add_co_ci_u32_e32 v4, vcc_lo, v6, v1, vcc_lo
	v_dual_mov_b32 v1, v3 :: v_dual_mov_b32 v2, v4
; %bb.89:
	s_or_b32 exec_lo, exec_lo, s0
	v_mov_b32_dpp v3, v19 row_shr:2 row_mask:0xf bank_mask:0xf
	v_mov_b32_dpp v6, v4 row_shr:2 row_mask:0xf bank_mask:0xf
	s_mov_b32 s0, exec_lo
	v_cmpx_lt_u32_e32 1, v5
; %bb.90:
	s_delay_alu instid0(VALU_DEP_3) | instskip(SKIP_1) | instid1(VALU_DEP_2)
	v_add_co_u32 v19, vcc_lo, v1, v3
	v_add_co_ci_u32_e32 v1, vcc_lo, 0, v2, vcc_lo
	v_add_co_u32 v3, vcc_lo, 0, v19
	s_delay_alu instid0(VALU_DEP_2) | instskip(NEXT) | instid1(VALU_DEP_1)
	v_add_co_ci_u32_e32 v4, vcc_lo, v6, v1, vcc_lo
	v_dual_mov_b32 v1, v3 :: v_dual_mov_b32 v2, v4
; %bb.91:
	s_or_b32 exec_lo, exec_lo, s0
	v_mov_b32_dpp v3, v19 row_shr:4 row_mask:0xf bank_mask:0xf
	v_mov_b32_dpp v6, v4 row_shr:4 row_mask:0xf bank_mask:0xf
	s_mov_b32 s0, exec_lo
	v_cmpx_lt_u32_e32 3, v5
; %bb.92:
	s_delay_alu instid0(VALU_DEP_3) | instskip(SKIP_1) | instid1(VALU_DEP_2)
	v_add_co_u32 v19, vcc_lo, v1, v3
	v_add_co_ci_u32_e32 v1, vcc_lo, 0, v2, vcc_lo
	;; [unrolled: 14-line block ×3, first 2 shown]
	v_add_co_u32 v1, vcc_lo, 0, v19
	s_delay_alu instid0(VALU_DEP_2) | instskip(NEXT) | instid1(VALU_DEP_1)
	v_add_co_ci_u32_e32 v2, vcc_lo, v3, v2, vcc_lo
	v_mov_b32_e32 v4, v2
; %bb.95:
	s_or_b32 exec_lo, exec_lo, s0
	ds_swizzle_b32 v3, v19 offset:swizzle(BROADCAST,32,15)
	ds_swizzle_b32 v5, v4 offset:swizzle(BROADCAST,32,15)
	v_and_b32_e32 v6, 16, v18
	s_mov_b32 s0, exec_lo
	s_delay_alu instid0(VALU_DEP_1)
	v_cmpx_ne_u32_e32 0, v6
	s_cbranch_execz .LBB709_97
; %bb.96:
	s_waitcnt lgkmcnt(1)
	v_add_co_u32 v19, vcc_lo, v1, v3
	v_add_co_ci_u32_e32 v1, vcc_lo, 0, v2, vcc_lo
	s_delay_alu instid0(VALU_DEP_2) | instskip(SKIP_1) | instid1(VALU_DEP_2)
	v_add_co_u32 v3, vcc_lo, 0, v19
	s_waitcnt lgkmcnt(0)
	v_add_co_ci_u32_e32 v4, vcc_lo, v5, v1, vcc_lo
	s_delay_alu instid0(VALU_DEP_1)
	v_dual_mov_b32 v1, v3 :: v_dual_mov_b32 v2, v4
.LBB709_97:
	s_or_b32 exec_lo, exec_lo, s0
	s_waitcnt lgkmcnt(0)
	v_or_b32_e32 v5, 31, v0
	v_lshrrev_b32_e32 v3, 5, v0
	s_mov_b32 s0, exec_lo
	s_delay_alu instid0(VALU_DEP_2)
	v_cmpx_eq_u32_e64 v5, v0
	s_cbranch_execz .LBB709_99
; %bb.98:
	s_delay_alu instid0(VALU_DEP_2)
	v_lshlrev_b32_e32 v5, 3, v3
	global_store_b64 v5, v[1:2], s[8:9]
.LBB709_99:
	s_or_b32 exec_lo, exec_lo, s0
	s_delay_alu instid0(SALU_CYCLE_1)
	s_mov_b32 s0, exec_lo
	s_waitcnt_vscnt null, 0x0
	s_barrier
	buffer_gl0_inv
	v_cmpx_gt_u32_e32 8, v0
	s_cbranch_execz .LBB709_107
; %bb.100:
	v_lshlrev_b32_e32 v5, 3, v0
	v_and_b32_e32 v7, 7, v18
	s_mov_b32 s1, exec_lo
	global_load_b64 v[1:2], v5, s[8:9]
	s_waitcnt vmcnt(0)
	v_mov_b32_e32 v8, v1
	v_mov_b32_dpp v10, v1 row_shr:1 row_mask:0xf bank_mask:0xf
	v_mov_b32_dpp v6, v2 row_shr:1 row_mask:0xf bank_mask:0xf
	v_cmpx_ne_u32_e32 0, v7
; %bb.101:
	s_delay_alu instid0(VALU_DEP_3) | instskip(SKIP_1) | instid1(VALU_DEP_2)
	v_add_co_u32 v8, vcc_lo, v1, v10
	v_add_co_ci_u32_e32 v2, vcc_lo, 0, v2, vcc_lo
	v_add_co_u32 v1, vcc_lo, 0, v8
	s_delay_alu instid0(VALU_DEP_2)
	v_add_co_ci_u32_e32 v2, vcc_lo, v6, v2, vcc_lo
; %bb.102:
	s_or_b32 exec_lo, exec_lo, s1
	v_add_co_u32 v5, s1, s8, v5
	s_delay_alu instid0(VALU_DEP_1)
	v_add_co_ci_u32_e64 v6, null, s9, 0, s1
	v_mov_b32_dpp v11, v8 row_shr:2 row_mask:0xf bank_mask:0xf
	v_mov_b32_dpp v10, v2 row_shr:2 row_mask:0xf bank_mask:0xf
	s_mov_b32 s1, exec_lo
	v_cmpx_lt_u32_e32 1, v7
; %bb.103:
	s_delay_alu instid0(VALU_DEP_3) | instskip(SKIP_1) | instid1(VALU_DEP_2)
	v_add_co_u32 v8, vcc_lo, v1, v11
	v_add_co_ci_u32_e32 v2, vcc_lo, 0, v2, vcc_lo
	v_add_co_u32 v1, vcc_lo, 0, v8
	s_delay_alu instid0(VALU_DEP_2)
	v_add_co_ci_u32_e32 v2, vcc_lo, v10, v2, vcc_lo
; %bb.104:
	s_or_b32 exec_lo, exec_lo, s1
	v_mov_b32_dpp v10, v8 row_shr:4 row_mask:0xf bank_mask:0xf
	s_delay_alu instid0(VALU_DEP_2)
	v_mov_b32_dpp v8, v2 row_shr:4 row_mask:0xf bank_mask:0xf
	s_mov_b32 s1, exec_lo
	v_cmpx_lt_u32_e32 3, v7
; %bb.105:
	s_delay_alu instid0(VALU_DEP_3) | instskip(SKIP_1) | instid1(VALU_DEP_2)
	v_add_co_u32 v1, vcc_lo, v1, v10
	v_add_co_ci_u32_e32 v2, vcc_lo, 0, v2, vcc_lo
	v_add_co_u32 v1, vcc_lo, v1, 0
	s_delay_alu instid0(VALU_DEP_2)
	v_add_co_ci_u32_e32 v2, vcc_lo, v2, v8, vcc_lo
; %bb.106:
	s_or_b32 exec_lo, exec_lo, s1
	global_store_b64 v[5:6], v[1:2], off
.LBB709_107:
	s_or_b32 exec_lo, exec_lo, s0
	v_mov_b32_e32 v6, 0
	v_mov_b32_e32 v7, 0
	s_mov_b32 s0, exec_lo
	s_waitcnt_vscnt null, 0x0
	s_barrier
	buffer_gl0_inv
	v_cmpx_lt_u32_e32 31, v0
	s_cbranch_execz .LBB709_109
; %bb.108:
	v_dual_mov_b32 v2, 0 :: v_dual_add_nc_u32 v1, -1, v3
	s_delay_alu instid0(VALU_DEP_1) | instskip(NEXT) | instid1(VALU_DEP_1)
	v_lshlrev_b64 v[1:2], 3, v[1:2]
	v_add_co_u32 v1, vcc_lo, s8, v1
	s_delay_alu instid0(VALU_DEP_2)
	v_add_co_ci_u32_e32 v2, vcc_lo, s9, v2, vcc_lo
	global_load_b64 v[6:7], v[1:2], off
.LBB709_109:
	s_or_b32 exec_lo, exec_lo, s0
	v_add_nc_u32_e32 v1, -1, v18
	s_mov_b32 s0, exec_lo
	s_delay_alu instid0(VALU_DEP_1) | instskip(SKIP_1) | instid1(VALU_DEP_1)
	v_cmp_gt_i32_e32 vcc_lo, 0, v1
	v_cndmask_b32_e32 v1, v1, v18, vcc_lo
	v_dual_mov_b32 v5, 0 :: v_dual_lshlrev_b32 v8, 2, v1
	global_load_b64 v[2:3], v5, s[8:9] offset:56
	s_waitcnt vmcnt(1)
	v_add_co_u32 v1, vcc_lo, v19, v6
	v_add_co_ci_u32_e32 v4, vcc_lo, v4, v7, vcc_lo
	ds_bpermute_b32 v1, v8, v1
	ds_bpermute_b32 v8, v8, v4
	v_cmpx_eq_u32_e32 0, v0
	s_cbranch_execz .LBB709_111
; %bb.110:
	s_add_u32 s10, s10, 0x200
	s_addc_u32 s11, s11, 0
	v_mov_b32_e32 v10, s10
	v_dual_mov_b32 v4, 2 :: v_dual_mov_b32 v11, s11
	s_waitcnt vmcnt(0)
	;;#ASMSTART
	global_store_dwordx4 v[10:11], v[2:5] off	
s_waitcnt vmcnt(0)
	;;#ASMEND
.LBB709_111:
	s_or_b32 exec_lo, exec_lo, s0
	v_cmp_eq_u32_e32 vcc_lo, 0, v18
	s_waitcnt vmcnt(0) lgkmcnt(0)
	s_barrier
	buffer_gl0_inv
	v_dual_mov_b32 v4, 0 :: v_dual_cndmask_b32 v7, v8, v7
	v_dual_mov_b32 v5, 0 :: v_dual_cndmask_b32 v6, v1, v6
	v_cmp_gt_u64_e32 vcc_lo, 0x101, v[2:3]
	s_mov_b32 s0, -1
	s_cbranch_vccz .LBB709_83
.LBB709_112:
	v_add_co_u32 v10, vcc_lo, v4, v2
	v_add_co_ci_u32_e32 v11, vcc_lo, v5, v3, vcc_lo
	s_delay_alu instid0(VALU_DEP_1) | instskip(SKIP_1) | instid1(SALU_CYCLE_1)
	v_cmp_gt_u64_e32 vcc_lo, v[10:11], v[6:7]
	s_or_b32 s1, s22, vcc_lo
	s_and_saveexec_b32 s0, s1
	s_cbranch_execz .LBB709_115
; %bb.113:
	v_cmp_eq_u32_e32 vcc_lo, 1, v9
	s_and_b32 exec_lo, exec_lo, vcc_lo
	s_cbranch_execz .LBB709_115
; %bb.114:
	v_lshlrev_b64 v[7:8], 9, v[6:7]
	s_lshl_b64 s[10:11], s[2:3], 9
	s_delay_alu instid0(SALU_CYCLE_1) | instskip(SKIP_1) | instid1(VALU_DEP_1)
	s_add_u32 s1, s6, s10
	s_addc_u32 s10, s7, s11
	v_add_co_u32 v7, vcc_lo, s1, v7
	s_delay_alu instid0(VALU_DEP_2)
	v_add_co_ci_u32_e32 v8, vcc_lo, s10, v8, vcc_lo
	global_store_b8 v[7:8], v17, off
.LBB709_115:
	s_or_b32 exec_lo, exec_lo, s0
	s_cbranch_execnz .LBB709_84
.LBB709_116:
	s_mov_b32 s0, exec_lo
	v_cmpx_eq_u32_e32 1, v9
	s_cbranch_execz .LBB709_118
; %bb.117:
	v_sub_nc_u32_e32 v6, v6, v4
	v_mov_b32_e32 v7, 0
	s_delay_alu instid0(VALU_DEP_1) | instskip(NEXT) | instid1(VALU_DEP_1)
	v_lshlrev_b64 v[6:7], 9, v[6:7]
	v_add_co_u32 v6, vcc_lo, s8, v6
	s_delay_alu instid0(VALU_DEP_2)
	v_add_co_ci_u32_e32 v7, vcc_lo, s9, v7, vcc_lo
	global_store_b8 v[6:7], v17, off
.LBB709_118:
	s_or_b32 exec_lo, exec_lo, s0
	v_mov_b32_e32 v7, 0
	s_mov_b32 s1, exec_lo
	s_waitcnt_vscnt null, 0x0
	s_barrier
	buffer_gl0_inv
	v_mov_b32_e32 v1, v7
	s_delay_alu instid0(VALU_DEP_1)
	v_cmpx_gt_u64_e64 v[2:3], v[0:1]
	s_cbranch_execz .LBB709_121
; %bb.119:
	v_lshlrev_b64 v[8:9], 9, v[4:5]
	s_lshl_b64 s[10:11], s[2:3], 9
	v_or_b32_e32 v6, 0x100, v0
	s_delay_alu instid0(VALU_DEP_2) | instskip(NEXT) | instid1(VALU_DEP_3)
	v_add_co_u32 v8, vcc_lo, s6, v8
	v_add_co_ci_u32_e32 v9, vcc_lo, s7, v9, vcc_lo
	s_mov_b32 s6, 0
	s_delay_alu instid0(VALU_DEP_2) | instskip(NEXT) | instid1(VALU_DEP_2)
	v_add_co_u32 v10, vcc_lo, v8, s10
	v_add_co_ci_u32_e32 v11, vcc_lo, s11, v9, vcc_lo
	v_dual_mov_b32 v9, v1 :: v_dual_mov_b32 v8, v0
	.p2align	6
.LBB709_120:                            ; =>This Inner Loop Header: Depth=1
	s_delay_alu instid0(VALU_DEP_1) | instskip(NEXT) | instid1(VALU_DEP_1)
	v_lshlrev_b64 v[12:13], 9, v[8:9]
	v_add_co_u32 v8, vcc_lo, s8, v12
	s_delay_alu instid0(VALU_DEP_2)
	v_add_co_ci_u32_e32 v9, vcc_lo, s9, v13, vcc_lo
	v_cmp_le_u64_e32 vcc_lo, v[2:3], v[6:7]
	v_add_co_u32 v12, s0, v10, v12
	global_load_u8 v1, v[8:9], off
	v_dual_mov_b32 v9, v7 :: v_dual_mov_b32 v8, v6
	v_add_co_ci_u32_e64 v13, s0, v11, v13, s0
	v_add_nc_u32_e32 v6, 0x100, v6
	s_or_b32 s6, vcc_lo, s6
	s_waitcnt vmcnt(0)
	global_store_b8 v[12:13], v1, off
	s_and_not1_b32 exec_lo, exec_lo, s6
	s_cbranch_execnz .LBB709_120
.LBB709_121:
	s_or_b32 exec_lo, exec_lo, s1
	v_cmp_eq_u32_e32 vcc_lo, 0, v0
	s_and_b32 s0, vcc_lo, s21
	s_delay_alu instid0(SALU_CYCLE_1)
	s_and_saveexec_b32 s1, s0
	s_cbranch_execz .LBB709_85
.LBB709_122:
	v_add_co_u32 v0, vcc_lo, v4, v2
	v_add_co_ci_u32_e32 v1, vcc_lo, v5, v3, vcc_lo
	v_mov_b32_e32 v2, 0
	s_delay_alu instid0(VALU_DEP_3) | instskip(NEXT) | instid1(VALU_DEP_3)
	v_add_co_u32 v0, vcc_lo, v0, s2
	v_add_co_ci_u32_e32 v1, vcc_lo, s3, v1, vcc_lo
	global_store_b64 v2, v[0:1], s[4:5]
	s_nop 0
	s_sendmsg sendmsg(MSG_DEALLOC_VGPRS)
	s_endpgm
	.section	.rodata,"a",@progbits
	.p2align	6, 0x0
	.amdhsa_kernel _ZN7rocprim17ROCPRIM_400000_NS6detail17trampoline_kernelINS0_14default_configENS1_25partition_config_selectorILNS1_17partition_subalgoE5E10large_dataNS0_10empty_typeEbEEZZNS1_14partition_implILS5_5ELb0ES3_mN6thrust23THRUST_200600_302600_NS6detail15normal_iteratorINSB_10device_ptrIS6_EEEEPS7_NSB_18transform_iteratorI5mod_3IS6_ESG_NSB_11use_defaultESL_EENS0_5tupleIJSG_S7_EEENSN_IJSH_SH_EEES7_PlJS7_EEE10hipError_tPvRmT3_T4_T5_T6_T7_T9_mT8_P12ihipStream_tbDpT10_ENKUlT_T0_E_clISt17integral_constantIbLb1EES19_IbLb0EEEEDaS15_S16_EUlS15_E_NS1_11comp_targetILNS1_3genE9ELNS1_11target_archE1100ELNS1_3gpuE3ELNS1_3repE0EEENS1_30default_config_static_selectorELNS0_4arch9wavefront6targetE0EEEvT1_
		.amdhsa_group_segment_fixed_size 16
		.amdhsa_private_segment_fixed_size 0
		.amdhsa_kernarg_size 120
		.amdhsa_user_sgpr_count 15
		.amdhsa_user_sgpr_dispatch_ptr 0
		.amdhsa_user_sgpr_queue_ptr 0
		.amdhsa_user_sgpr_kernarg_segment_ptr 1
		.amdhsa_user_sgpr_dispatch_id 0
		.amdhsa_user_sgpr_private_segment_size 0
		.amdhsa_wavefront_size32 1
		.amdhsa_uses_dynamic_stack 0
		.amdhsa_enable_private_segment 0
		.amdhsa_system_sgpr_workgroup_id_x 1
		.amdhsa_system_sgpr_workgroup_id_y 0
		.amdhsa_system_sgpr_workgroup_id_z 0
		.amdhsa_system_sgpr_workgroup_info 0
		.amdhsa_system_vgpr_workitem_id 0
		.amdhsa_next_free_vgpr 34
		.amdhsa_next_free_sgpr 28
		.amdhsa_reserve_vcc 1
		.amdhsa_float_round_mode_32 0
		.amdhsa_float_round_mode_16_64 0
		.amdhsa_float_denorm_mode_32 3
		.amdhsa_float_denorm_mode_16_64 3
		.amdhsa_dx10_clamp 1
		.amdhsa_ieee_mode 1
		.amdhsa_fp16_overflow 0
		.amdhsa_workgroup_processor_mode 1
		.amdhsa_memory_ordered 1
		.amdhsa_forward_progress 0
		.amdhsa_shared_vgpr_count 0
		.amdhsa_exception_fp_ieee_invalid_op 0
		.amdhsa_exception_fp_denorm_src 0
		.amdhsa_exception_fp_ieee_div_zero 0
		.amdhsa_exception_fp_ieee_overflow 0
		.amdhsa_exception_fp_ieee_underflow 0
		.amdhsa_exception_fp_ieee_inexact 0
		.amdhsa_exception_int_div_zero 0
	.end_amdhsa_kernel
	.section	.text._ZN7rocprim17ROCPRIM_400000_NS6detail17trampoline_kernelINS0_14default_configENS1_25partition_config_selectorILNS1_17partition_subalgoE5E10large_dataNS0_10empty_typeEbEEZZNS1_14partition_implILS5_5ELb0ES3_mN6thrust23THRUST_200600_302600_NS6detail15normal_iteratorINSB_10device_ptrIS6_EEEEPS7_NSB_18transform_iteratorI5mod_3IS6_ESG_NSB_11use_defaultESL_EENS0_5tupleIJSG_S7_EEENSN_IJSH_SH_EEES7_PlJS7_EEE10hipError_tPvRmT3_T4_T5_T6_T7_T9_mT8_P12ihipStream_tbDpT10_ENKUlT_T0_E_clISt17integral_constantIbLb1EES19_IbLb0EEEEDaS15_S16_EUlS15_E_NS1_11comp_targetILNS1_3genE9ELNS1_11target_archE1100ELNS1_3gpuE3ELNS1_3repE0EEENS1_30default_config_static_selectorELNS0_4arch9wavefront6targetE0EEEvT1_,"axG",@progbits,_ZN7rocprim17ROCPRIM_400000_NS6detail17trampoline_kernelINS0_14default_configENS1_25partition_config_selectorILNS1_17partition_subalgoE5E10large_dataNS0_10empty_typeEbEEZZNS1_14partition_implILS5_5ELb0ES3_mN6thrust23THRUST_200600_302600_NS6detail15normal_iteratorINSB_10device_ptrIS6_EEEEPS7_NSB_18transform_iteratorI5mod_3IS6_ESG_NSB_11use_defaultESL_EENS0_5tupleIJSG_S7_EEENSN_IJSH_SH_EEES7_PlJS7_EEE10hipError_tPvRmT3_T4_T5_T6_T7_T9_mT8_P12ihipStream_tbDpT10_ENKUlT_T0_E_clISt17integral_constantIbLb1EES19_IbLb0EEEEDaS15_S16_EUlS15_E_NS1_11comp_targetILNS1_3genE9ELNS1_11target_archE1100ELNS1_3gpuE3ELNS1_3repE0EEENS1_30default_config_static_selectorELNS0_4arch9wavefront6targetE0EEEvT1_,comdat
.Lfunc_end709:
	.size	_ZN7rocprim17ROCPRIM_400000_NS6detail17trampoline_kernelINS0_14default_configENS1_25partition_config_selectorILNS1_17partition_subalgoE5E10large_dataNS0_10empty_typeEbEEZZNS1_14partition_implILS5_5ELb0ES3_mN6thrust23THRUST_200600_302600_NS6detail15normal_iteratorINSB_10device_ptrIS6_EEEEPS7_NSB_18transform_iteratorI5mod_3IS6_ESG_NSB_11use_defaultESL_EENS0_5tupleIJSG_S7_EEENSN_IJSH_SH_EEES7_PlJS7_EEE10hipError_tPvRmT3_T4_T5_T6_T7_T9_mT8_P12ihipStream_tbDpT10_ENKUlT_T0_E_clISt17integral_constantIbLb1EES19_IbLb0EEEEDaS15_S16_EUlS15_E_NS1_11comp_targetILNS1_3genE9ELNS1_11target_archE1100ELNS1_3gpuE3ELNS1_3repE0EEENS1_30default_config_static_selectorELNS0_4arch9wavefront6targetE0EEEvT1_, .Lfunc_end709-_ZN7rocprim17ROCPRIM_400000_NS6detail17trampoline_kernelINS0_14default_configENS1_25partition_config_selectorILNS1_17partition_subalgoE5E10large_dataNS0_10empty_typeEbEEZZNS1_14partition_implILS5_5ELb0ES3_mN6thrust23THRUST_200600_302600_NS6detail15normal_iteratorINSB_10device_ptrIS6_EEEEPS7_NSB_18transform_iteratorI5mod_3IS6_ESG_NSB_11use_defaultESL_EENS0_5tupleIJSG_S7_EEENSN_IJSH_SH_EEES7_PlJS7_EEE10hipError_tPvRmT3_T4_T5_T6_T7_T9_mT8_P12ihipStream_tbDpT10_ENKUlT_T0_E_clISt17integral_constantIbLb1EES19_IbLb0EEEEDaS15_S16_EUlS15_E_NS1_11comp_targetILNS1_3genE9ELNS1_11target_archE1100ELNS1_3gpuE3ELNS1_3repE0EEENS1_30default_config_static_selectorELNS0_4arch9wavefront6targetE0EEEvT1_
                                        ; -- End function
	.section	.AMDGPU.csdata,"",@progbits
; Kernel info:
; codeLenInByte = 5224
; NumSgprs: 30
; NumVgprs: 34
; ScratchSize: 0
; MemoryBound: 0
; FloatMode: 240
; IeeeMode: 1
; LDSByteSize: 16 bytes/workgroup (compile time only)
; SGPRBlocks: 3
; VGPRBlocks: 4
; NumSGPRsForWavesPerEU: 30
; NumVGPRsForWavesPerEU: 34
; Occupancy: 16
; WaveLimiterHint : 1
; COMPUTE_PGM_RSRC2:SCRATCH_EN: 0
; COMPUTE_PGM_RSRC2:USER_SGPR: 15
; COMPUTE_PGM_RSRC2:TRAP_HANDLER: 0
; COMPUTE_PGM_RSRC2:TGID_X_EN: 1
; COMPUTE_PGM_RSRC2:TGID_Y_EN: 0
; COMPUTE_PGM_RSRC2:TGID_Z_EN: 0
; COMPUTE_PGM_RSRC2:TIDIG_COMP_CNT: 0
	.section	.text._ZN7rocprim17ROCPRIM_400000_NS6detail17trampoline_kernelINS0_14default_configENS1_25partition_config_selectorILNS1_17partition_subalgoE5E10large_dataNS0_10empty_typeEbEEZZNS1_14partition_implILS5_5ELb0ES3_mN6thrust23THRUST_200600_302600_NS6detail15normal_iteratorINSB_10device_ptrIS6_EEEEPS7_NSB_18transform_iteratorI5mod_3IS6_ESG_NSB_11use_defaultESL_EENS0_5tupleIJSG_S7_EEENSN_IJSH_SH_EEES7_PlJS7_EEE10hipError_tPvRmT3_T4_T5_T6_T7_T9_mT8_P12ihipStream_tbDpT10_ENKUlT_T0_E_clISt17integral_constantIbLb1EES19_IbLb0EEEEDaS15_S16_EUlS15_E_NS1_11comp_targetILNS1_3genE8ELNS1_11target_archE1030ELNS1_3gpuE2ELNS1_3repE0EEENS1_30default_config_static_selectorELNS0_4arch9wavefront6targetE0EEEvT1_,"axG",@progbits,_ZN7rocprim17ROCPRIM_400000_NS6detail17trampoline_kernelINS0_14default_configENS1_25partition_config_selectorILNS1_17partition_subalgoE5E10large_dataNS0_10empty_typeEbEEZZNS1_14partition_implILS5_5ELb0ES3_mN6thrust23THRUST_200600_302600_NS6detail15normal_iteratorINSB_10device_ptrIS6_EEEEPS7_NSB_18transform_iteratorI5mod_3IS6_ESG_NSB_11use_defaultESL_EENS0_5tupleIJSG_S7_EEENSN_IJSH_SH_EEES7_PlJS7_EEE10hipError_tPvRmT3_T4_T5_T6_T7_T9_mT8_P12ihipStream_tbDpT10_ENKUlT_T0_E_clISt17integral_constantIbLb1EES19_IbLb0EEEEDaS15_S16_EUlS15_E_NS1_11comp_targetILNS1_3genE8ELNS1_11target_archE1030ELNS1_3gpuE2ELNS1_3repE0EEENS1_30default_config_static_selectorELNS0_4arch9wavefront6targetE0EEEvT1_,comdat
	.protected	_ZN7rocprim17ROCPRIM_400000_NS6detail17trampoline_kernelINS0_14default_configENS1_25partition_config_selectorILNS1_17partition_subalgoE5E10large_dataNS0_10empty_typeEbEEZZNS1_14partition_implILS5_5ELb0ES3_mN6thrust23THRUST_200600_302600_NS6detail15normal_iteratorINSB_10device_ptrIS6_EEEEPS7_NSB_18transform_iteratorI5mod_3IS6_ESG_NSB_11use_defaultESL_EENS0_5tupleIJSG_S7_EEENSN_IJSH_SH_EEES7_PlJS7_EEE10hipError_tPvRmT3_T4_T5_T6_T7_T9_mT8_P12ihipStream_tbDpT10_ENKUlT_T0_E_clISt17integral_constantIbLb1EES19_IbLb0EEEEDaS15_S16_EUlS15_E_NS1_11comp_targetILNS1_3genE8ELNS1_11target_archE1030ELNS1_3gpuE2ELNS1_3repE0EEENS1_30default_config_static_selectorELNS0_4arch9wavefront6targetE0EEEvT1_ ; -- Begin function _ZN7rocprim17ROCPRIM_400000_NS6detail17trampoline_kernelINS0_14default_configENS1_25partition_config_selectorILNS1_17partition_subalgoE5E10large_dataNS0_10empty_typeEbEEZZNS1_14partition_implILS5_5ELb0ES3_mN6thrust23THRUST_200600_302600_NS6detail15normal_iteratorINSB_10device_ptrIS6_EEEEPS7_NSB_18transform_iteratorI5mod_3IS6_ESG_NSB_11use_defaultESL_EENS0_5tupleIJSG_S7_EEENSN_IJSH_SH_EEES7_PlJS7_EEE10hipError_tPvRmT3_T4_T5_T6_T7_T9_mT8_P12ihipStream_tbDpT10_ENKUlT_T0_E_clISt17integral_constantIbLb1EES19_IbLb0EEEEDaS15_S16_EUlS15_E_NS1_11comp_targetILNS1_3genE8ELNS1_11target_archE1030ELNS1_3gpuE2ELNS1_3repE0EEENS1_30default_config_static_selectorELNS0_4arch9wavefront6targetE0EEEvT1_
	.globl	_ZN7rocprim17ROCPRIM_400000_NS6detail17trampoline_kernelINS0_14default_configENS1_25partition_config_selectorILNS1_17partition_subalgoE5E10large_dataNS0_10empty_typeEbEEZZNS1_14partition_implILS5_5ELb0ES3_mN6thrust23THRUST_200600_302600_NS6detail15normal_iteratorINSB_10device_ptrIS6_EEEEPS7_NSB_18transform_iteratorI5mod_3IS6_ESG_NSB_11use_defaultESL_EENS0_5tupleIJSG_S7_EEENSN_IJSH_SH_EEES7_PlJS7_EEE10hipError_tPvRmT3_T4_T5_T6_T7_T9_mT8_P12ihipStream_tbDpT10_ENKUlT_T0_E_clISt17integral_constantIbLb1EES19_IbLb0EEEEDaS15_S16_EUlS15_E_NS1_11comp_targetILNS1_3genE8ELNS1_11target_archE1030ELNS1_3gpuE2ELNS1_3repE0EEENS1_30default_config_static_selectorELNS0_4arch9wavefront6targetE0EEEvT1_
	.p2align	8
	.type	_ZN7rocprim17ROCPRIM_400000_NS6detail17trampoline_kernelINS0_14default_configENS1_25partition_config_selectorILNS1_17partition_subalgoE5E10large_dataNS0_10empty_typeEbEEZZNS1_14partition_implILS5_5ELb0ES3_mN6thrust23THRUST_200600_302600_NS6detail15normal_iteratorINSB_10device_ptrIS6_EEEEPS7_NSB_18transform_iteratorI5mod_3IS6_ESG_NSB_11use_defaultESL_EENS0_5tupleIJSG_S7_EEENSN_IJSH_SH_EEES7_PlJS7_EEE10hipError_tPvRmT3_T4_T5_T6_T7_T9_mT8_P12ihipStream_tbDpT10_ENKUlT_T0_E_clISt17integral_constantIbLb1EES19_IbLb0EEEEDaS15_S16_EUlS15_E_NS1_11comp_targetILNS1_3genE8ELNS1_11target_archE1030ELNS1_3gpuE2ELNS1_3repE0EEENS1_30default_config_static_selectorELNS0_4arch9wavefront6targetE0EEEvT1_,@function
_ZN7rocprim17ROCPRIM_400000_NS6detail17trampoline_kernelINS0_14default_configENS1_25partition_config_selectorILNS1_17partition_subalgoE5E10large_dataNS0_10empty_typeEbEEZZNS1_14partition_implILS5_5ELb0ES3_mN6thrust23THRUST_200600_302600_NS6detail15normal_iteratorINSB_10device_ptrIS6_EEEEPS7_NSB_18transform_iteratorI5mod_3IS6_ESG_NSB_11use_defaultESL_EENS0_5tupleIJSG_S7_EEENSN_IJSH_SH_EEES7_PlJS7_EEE10hipError_tPvRmT3_T4_T5_T6_T7_T9_mT8_P12ihipStream_tbDpT10_ENKUlT_T0_E_clISt17integral_constantIbLb1EES19_IbLb0EEEEDaS15_S16_EUlS15_E_NS1_11comp_targetILNS1_3genE8ELNS1_11target_archE1030ELNS1_3gpuE2ELNS1_3repE0EEENS1_30default_config_static_selectorELNS0_4arch9wavefront6targetE0EEEvT1_: ; @_ZN7rocprim17ROCPRIM_400000_NS6detail17trampoline_kernelINS0_14default_configENS1_25partition_config_selectorILNS1_17partition_subalgoE5E10large_dataNS0_10empty_typeEbEEZZNS1_14partition_implILS5_5ELb0ES3_mN6thrust23THRUST_200600_302600_NS6detail15normal_iteratorINSB_10device_ptrIS6_EEEEPS7_NSB_18transform_iteratorI5mod_3IS6_ESG_NSB_11use_defaultESL_EENS0_5tupleIJSG_S7_EEENSN_IJSH_SH_EEES7_PlJS7_EEE10hipError_tPvRmT3_T4_T5_T6_T7_T9_mT8_P12ihipStream_tbDpT10_ENKUlT_T0_E_clISt17integral_constantIbLb1EES19_IbLb0EEEEDaS15_S16_EUlS15_E_NS1_11comp_targetILNS1_3genE8ELNS1_11target_archE1030ELNS1_3gpuE2ELNS1_3repE0EEENS1_30default_config_static_selectorELNS0_4arch9wavefront6targetE0EEEvT1_
; %bb.0:
	.section	.rodata,"a",@progbits
	.p2align	6, 0x0
	.amdhsa_kernel _ZN7rocprim17ROCPRIM_400000_NS6detail17trampoline_kernelINS0_14default_configENS1_25partition_config_selectorILNS1_17partition_subalgoE5E10large_dataNS0_10empty_typeEbEEZZNS1_14partition_implILS5_5ELb0ES3_mN6thrust23THRUST_200600_302600_NS6detail15normal_iteratorINSB_10device_ptrIS6_EEEEPS7_NSB_18transform_iteratorI5mod_3IS6_ESG_NSB_11use_defaultESL_EENS0_5tupleIJSG_S7_EEENSN_IJSH_SH_EEES7_PlJS7_EEE10hipError_tPvRmT3_T4_T5_T6_T7_T9_mT8_P12ihipStream_tbDpT10_ENKUlT_T0_E_clISt17integral_constantIbLb1EES19_IbLb0EEEEDaS15_S16_EUlS15_E_NS1_11comp_targetILNS1_3genE8ELNS1_11target_archE1030ELNS1_3gpuE2ELNS1_3repE0EEENS1_30default_config_static_selectorELNS0_4arch9wavefront6targetE0EEEvT1_
		.amdhsa_group_segment_fixed_size 0
		.amdhsa_private_segment_fixed_size 0
		.amdhsa_kernarg_size 120
		.amdhsa_user_sgpr_count 15
		.amdhsa_user_sgpr_dispatch_ptr 0
		.amdhsa_user_sgpr_queue_ptr 0
		.amdhsa_user_sgpr_kernarg_segment_ptr 1
		.amdhsa_user_sgpr_dispatch_id 0
		.amdhsa_user_sgpr_private_segment_size 0
		.amdhsa_wavefront_size32 1
		.amdhsa_uses_dynamic_stack 0
		.amdhsa_enable_private_segment 0
		.amdhsa_system_sgpr_workgroup_id_x 1
		.amdhsa_system_sgpr_workgroup_id_y 0
		.amdhsa_system_sgpr_workgroup_id_z 0
		.amdhsa_system_sgpr_workgroup_info 0
		.amdhsa_system_vgpr_workitem_id 0
		.amdhsa_next_free_vgpr 1
		.amdhsa_next_free_sgpr 1
		.amdhsa_reserve_vcc 0
		.amdhsa_float_round_mode_32 0
		.amdhsa_float_round_mode_16_64 0
		.amdhsa_float_denorm_mode_32 3
		.amdhsa_float_denorm_mode_16_64 3
		.amdhsa_dx10_clamp 1
		.amdhsa_ieee_mode 1
		.amdhsa_fp16_overflow 0
		.amdhsa_workgroup_processor_mode 1
		.amdhsa_memory_ordered 1
		.amdhsa_forward_progress 0
		.amdhsa_shared_vgpr_count 0
		.amdhsa_exception_fp_ieee_invalid_op 0
		.amdhsa_exception_fp_denorm_src 0
		.amdhsa_exception_fp_ieee_div_zero 0
		.amdhsa_exception_fp_ieee_overflow 0
		.amdhsa_exception_fp_ieee_underflow 0
		.amdhsa_exception_fp_ieee_inexact 0
		.amdhsa_exception_int_div_zero 0
	.end_amdhsa_kernel
	.section	.text._ZN7rocprim17ROCPRIM_400000_NS6detail17trampoline_kernelINS0_14default_configENS1_25partition_config_selectorILNS1_17partition_subalgoE5E10large_dataNS0_10empty_typeEbEEZZNS1_14partition_implILS5_5ELb0ES3_mN6thrust23THRUST_200600_302600_NS6detail15normal_iteratorINSB_10device_ptrIS6_EEEEPS7_NSB_18transform_iteratorI5mod_3IS6_ESG_NSB_11use_defaultESL_EENS0_5tupleIJSG_S7_EEENSN_IJSH_SH_EEES7_PlJS7_EEE10hipError_tPvRmT3_T4_T5_T6_T7_T9_mT8_P12ihipStream_tbDpT10_ENKUlT_T0_E_clISt17integral_constantIbLb1EES19_IbLb0EEEEDaS15_S16_EUlS15_E_NS1_11comp_targetILNS1_3genE8ELNS1_11target_archE1030ELNS1_3gpuE2ELNS1_3repE0EEENS1_30default_config_static_selectorELNS0_4arch9wavefront6targetE0EEEvT1_,"axG",@progbits,_ZN7rocprim17ROCPRIM_400000_NS6detail17trampoline_kernelINS0_14default_configENS1_25partition_config_selectorILNS1_17partition_subalgoE5E10large_dataNS0_10empty_typeEbEEZZNS1_14partition_implILS5_5ELb0ES3_mN6thrust23THRUST_200600_302600_NS6detail15normal_iteratorINSB_10device_ptrIS6_EEEEPS7_NSB_18transform_iteratorI5mod_3IS6_ESG_NSB_11use_defaultESL_EENS0_5tupleIJSG_S7_EEENSN_IJSH_SH_EEES7_PlJS7_EEE10hipError_tPvRmT3_T4_T5_T6_T7_T9_mT8_P12ihipStream_tbDpT10_ENKUlT_T0_E_clISt17integral_constantIbLb1EES19_IbLb0EEEEDaS15_S16_EUlS15_E_NS1_11comp_targetILNS1_3genE8ELNS1_11target_archE1030ELNS1_3gpuE2ELNS1_3repE0EEENS1_30default_config_static_selectorELNS0_4arch9wavefront6targetE0EEEvT1_,comdat
.Lfunc_end710:
	.size	_ZN7rocprim17ROCPRIM_400000_NS6detail17trampoline_kernelINS0_14default_configENS1_25partition_config_selectorILNS1_17partition_subalgoE5E10large_dataNS0_10empty_typeEbEEZZNS1_14partition_implILS5_5ELb0ES3_mN6thrust23THRUST_200600_302600_NS6detail15normal_iteratorINSB_10device_ptrIS6_EEEEPS7_NSB_18transform_iteratorI5mod_3IS6_ESG_NSB_11use_defaultESL_EENS0_5tupleIJSG_S7_EEENSN_IJSH_SH_EEES7_PlJS7_EEE10hipError_tPvRmT3_T4_T5_T6_T7_T9_mT8_P12ihipStream_tbDpT10_ENKUlT_T0_E_clISt17integral_constantIbLb1EES19_IbLb0EEEEDaS15_S16_EUlS15_E_NS1_11comp_targetILNS1_3genE8ELNS1_11target_archE1030ELNS1_3gpuE2ELNS1_3repE0EEENS1_30default_config_static_selectorELNS0_4arch9wavefront6targetE0EEEvT1_, .Lfunc_end710-_ZN7rocprim17ROCPRIM_400000_NS6detail17trampoline_kernelINS0_14default_configENS1_25partition_config_selectorILNS1_17partition_subalgoE5E10large_dataNS0_10empty_typeEbEEZZNS1_14partition_implILS5_5ELb0ES3_mN6thrust23THRUST_200600_302600_NS6detail15normal_iteratorINSB_10device_ptrIS6_EEEEPS7_NSB_18transform_iteratorI5mod_3IS6_ESG_NSB_11use_defaultESL_EENS0_5tupleIJSG_S7_EEENSN_IJSH_SH_EEES7_PlJS7_EEE10hipError_tPvRmT3_T4_T5_T6_T7_T9_mT8_P12ihipStream_tbDpT10_ENKUlT_T0_E_clISt17integral_constantIbLb1EES19_IbLb0EEEEDaS15_S16_EUlS15_E_NS1_11comp_targetILNS1_3genE8ELNS1_11target_archE1030ELNS1_3gpuE2ELNS1_3repE0EEENS1_30default_config_static_selectorELNS0_4arch9wavefront6targetE0EEEvT1_
                                        ; -- End function
	.section	.AMDGPU.csdata,"",@progbits
; Kernel info:
; codeLenInByte = 0
; NumSgprs: 0
; NumVgprs: 0
; ScratchSize: 0
; MemoryBound: 0
; FloatMode: 240
; IeeeMode: 1
; LDSByteSize: 0 bytes/workgroup (compile time only)
; SGPRBlocks: 0
; VGPRBlocks: 0
; NumSGPRsForWavesPerEU: 1
; NumVGPRsForWavesPerEU: 1
; Occupancy: 16
; WaveLimiterHint : 0
; COMPUTE_PGM_RSRC2:SCRATCH_EN: 0
; COMPUTE_PGM_RSRC2:USER_SGPR: 15
; COMPUTE_PGM_RSRC2:TRAP_HANDLER: 0
; COMPUTE_PGM_RSRC2:TGID_X_EN: 1
; COMPUTE_PGM_RSRC2:TGID_Y_EN: 0
; COMPUTE_PGM_RSRC2:TGID_Z_EN: 0
; COMPUTE_PGM_RSRC2:TIDIG_COMP_CNT: 0
	.section	.text._ZN7rocprim17ROCPRIM_400000_NS6detail17trampoline_kernelINS0_14default_configENS1_25partition_config_selectorILNS1_17partition_subalgoE5E10large_dataNS0_10empty_typeEbEEZZNS1_14partition_implILS5_5ELb0ES3_mN6thrust23THRUST_200600_302600_NS6detail15normal_iteratorINSB_10device_ptrIS6_EEEEPS7_NSB_18transform_iteratorI5mod_3IS6_ESG_NSB_11use_defaultESL_EENS0_5tupleIJSG_S7_EEENSN_IJSH_SH_EEES7_PlJS7_EEE10hipError_tPvRmT3_T4_T5_T6_T7_T9_mT8_P12ihipStream_tbDpT10_ENKUlT_T0_E_clISt17integral_constantIbLb0EES19_IbLb1EEEEDaS15_S16_EUlS15_E_NS1_11comp_targetILNS1_3genE0ELNS1_11target_archE4294967295ELNS1_3gpuE0ELNS1_3repE0EEENS1_30default_config_static_selectorELNS0_4arch9wavefront6targetE0EEEvT1_,"axG",@progbits,_ZN7rocprim17ROCPRIM_400000_NS6detail17trampoline_kernelINS0_14default_configENS1_25partition_config_selectorILNS1_17partition_subalgoE5E10large_dataNS0_10empty_typeEbEEZZNS1_14partition_implILS5_5ELb0ES3_mN6thrust23THRUST_200600_302600_NS6detail15normal_iteratorINSB_10device_ptrIS6_EEEEPS7_NSB_18transform_iteratorI5mod_3IS6_ESG_NSB_11use_defaultESL_EENS0_5tupleIJSG_S7_EEENSN_IJSH_SH_EEES7_PlJS7_EEE10hipError_tPvRmT3_T4_T5_T6_T7_T9_mT8_P12ihipStream_tbDpT10_ENKUlT_T0_E_clISt17integral_constantIbLb0EES19_IbLb1EEEEDaS15_S16_EUlS15_E_NS1_11comp_targetILNS1_3genE0ELNS1_11target_archE4294967295ELNS1_3gpuE0ELNS1_3repE0EEENS1_30default_config_static_selectorELNS0_4arch9wavefront6targetE0EEEvT1_,comdat
	.protected	_ZN7rocprim17ROCPRIM_400000_NS6detail17trampoline_kernelINS0_14default_configENS1_25partition_config_selectorILNS1_17partition_subalgoE5E10large_dataNS0_10empty_typeEbEEZZNS1_14partition_implILS5_5ELb0ES3_mN6thrust23THRUST_200600_302600_NS6detail15normal_iteratorINSB_10device_ptrIS6_EEEEPS7_NSB_18transform_iteratorI5mod_3IS6_ESG_NSB_11use_defaultESL_EENS0_5tupleIJSG_S7_EEENSN_IJSH_SH_EEES7_PlJS7_EEE10hipError_tPvRmT3_T4_T5_T6_T7_T9_mT8_P12ihipStream_tbDpT10_ENKUlT_T0_E_clISt17integral_constantIbLb0EES19_IbLb1EEEEDaS15_S16_EUlS15_E_NS1_11comp_targetILNS1_3genE0ELNS1_11target_archE4294967295ELNS1_3gpuE0ELNS1_3repE0EEENS1_30default_config_static_selectorELNS0_4arch9wavefront6targetE0EEEvT1_ ; -- Begin function _ZN7rocprim17ROCPRIM_400000_NS6detail17trampoline_kernelINS0_14default_configENS1_25partition_config_selectorILNS1_17partition_subalgoE5E10large_dataNS0_10empty_typeEbEEZZNS1_14partition_implILS5_5ELb0ES3_mN6thrust23THRUST_200600_302600_NS6detail15normal_iteratorINSB_10device_ptrIS6_EEEEPS7_NSB_18transform_iteratorI5mod_3IS6_ESG_NSB_11use_defaultESL_EENS0_5tupleIJSG_S7_EEENSN_IJSH_SH_EEES7_PlJS7_EEE10hipError_tPvRmT3_T4_T5_T6_T7_T9_mT8_P12ihipStream_tbDpT10_ENKUlT_T0_E_clISt17integral_constantIbLb0EES19_IbLb1EEEEDaS15_S16_EUlS15_E_NS1_11comp_targetILNS1_3genE0ELNS1_11target_archE4294967295ELNS1_3gpuE0ELNS1_3repE0EEENS1_30default_config_static_selectorELNS0_4arch9wavefront6targetE0EEEvT1_
	.globl	_ZN7rocprim17ROCPRIM_400000_NS6detail17trampoline_kernelINS0_14default_configENS1_25partition_config_selectorILNS1_17partition_subalgoE5E10large_dataNS0_10empty_typeEbEEZZNS1_14partition_implILS5_5ELb0ES3_mN6thrust23THRUST_200600_302600_NS6detail15normal_iteratorINSB_10device_ptrIS6_EEEEPS7_NSB_18transform_iteratorI5mod_3IS6_ESG_NSB_11use_defaultESL_EENS0_5tupleIJSG_S7_EEENSN_IJSH_SH_EEES7_PlJS7_EEE10hipError_tPvRmT3_T4_T5_T6_T7_T9_mT8_P12ihipStream_tbDpT10_ENKUlT_T0_E_clISt17integral_constantIbLb0EES19_IbLb1EEEEDaS15_S16_EUlS15_E_NS1_11comp_targetILNS1_3genE0ELNS1_11target_archE4294967295ELNS1_3gpuE0ELNS1_3repE0EEENS1_30default_config_static_selectorELNS0_4arch9wavefront6targetE0EEEvT1_
	.p2align	8
	.type	_ZN7rocprim17ROCPRIM_400000_NS6detail17trampoline_kernelINS0_14default_configENS1_25partition_config_selectorILNS1_17partition_subalgoE5E10large_dataNS0_10empty_typeEbEEZZNS1_14partition_implILS5_5ELb0ES3_mN6thrust23THRUST_200600_302600_NS6detail15normal_iteratorINSB_10device_ptrIS6_EEEEPS7_NSB_18transform_iteratorI5mod_3IS6_ESG_NSB_11use_defaultESL_EENS0_5tupleIJSG_S7_EEENSN_IJSH_SH_EEES7_PlJS7_EEE10hipError_tPvRmT3_T4_T5_T6_T7_T9_mT8_P12ihipStream_tbDpT10_ENKUlT_T0_E_clISt17integral_constantIbLb0EES19_IbLb1EEEEDaS15_S16_EUlS15_E_NS1_11comp_targetILNS1_3genE0ELNS1_11target_archE4294967295ELNS1_3gpuE0ELNS1_3repE0EEENS1_30default_config_static_selectorELNS0_4arch9wavefront6targetE0EEEvT1_,@function
_ZN7rocprim17ROCPRIM_400000_NS6detail17trampoline_kernelINS0_14default_configENS1_25partition_config_selectorILNS1_17partition_subalgoE5E10large_dataNS0_10empty_typeEbEEZZNS1_14partition_implILS5_5ELb0ES3_mN6thrust23THRUST_200600_302600_NS6detail15normal_iteratorINSB_10device_ptrIS6_EEEEPS7_NSB_18transform_iteratorI5mod_3IS6_ESG_NSB_11use_defaultESL_EENS0_5tupleIJSG_S7_EEENSN_IJSH_SH_EEES7_PlJS7_EEE10hipError_tPvRmT3_T4_T5_T6_T7_T9_mT8_P12ihipStream_tbDpT10_ENKUlT_T0_E_clISt17integral_constantIbLb0EES19_IbLb1EEEEDaS15_S16_EUlS15_E_NS1_11comp_targetILNS1_3genE0ELNS1_11target_archE4294967295ELNS1_3gpuE0ELNS1_3repE0EEENS1_30default_config_static_selectorELNS0_4arch9wavefront6targetE0EEEvT1_: ; @_ZN7rocprim17ROCPRIM_400000_NS6detail17trampoline_kernelINS0_14default_configENS1_25partition_config_selectorILNS1_17partition_subalgoE5E10large_dataNS0_10empty_typeEbEEZZNS1_14partition_implILS5_5ELb0ES3_mN6thrust23THRUST_200600_302600_NS6detail15normal_iteratorINSB_10device_ptrIS6_EEEEPS7_NSB_18transform_iteratorI5mod_3IS6_ESG_NSB_11use_defaultESL_EENS0_5tupleIJSG_S7_EEENSN_IJSH_SH_EEES7_PlJS7_EEE10hipError_tPvRmT3_T4_T5_T6_T7_T9_mT8_P12ihipStream_tbDpT10_ENKUlT_T0_E_clISt17integral_constantIbLb0EES19_IbLb1EEEEDaS15_S16_EUlS15_E_NS1_11comp_targetILNS1_3genE0ELNS1_11target_archE4294967295ELNS1_3gpuE0ELNS1_3repE0EEENS1_30default_config_static_selectorELNS0_4arch9wavefront6targetE0EEEvT1_
; %bb.0:
	.section	.rodata,"a",@progbits
	.p2align	6, 0x0
	.amdhsa_kernel _ZN7rocprim17ROCPRIM_400000_NS6detail17trampoline_kernelINS0_14default_configENS1_25partition_config_selectorILNS1_17partition_subalgoE5E10large_dataNS0_10empty_typeEbEEZZNS1_14partition_implILS5_5ELb0ES3_mN6thrust23THRUST_200600_302600_NS6detail15normal_iteratorINSB_10device_ptrIS6_EEEEPS7_NSB_18transform_iteratorI5mod_3IS6_ESG_NSB_11use_defaultESL_EENS0_5tupleIJSG_S7_EEENSN_IJSH_SH_EEES7_PlJS7_EEE10hipError_tPvRmT3_T4_T5_T6_T7_T9_mT8_P12ihipStream_tbDpT10_ENKUlT_T0_E_clISt17integral_constantIbLb0EES19_IbLb1EEEEDaS15_S16_EUlS15_E_NS1_11comp_targetILNS1_3genE0ELNS1_11target_archE4294967295ELNS1_3gpuE0ELNS1_3repE0EEENS1_30default_config_static_selectorELNS0_4arch9wavefront6targetE0EEEvT1_
		.amdhsa_group_segment_fixed_size 0
		.amdhsa_private_segment_fixed_size 0
		.amdhsa_kernarg_size 136
		.amdhsa_user_sgpr_count 15
		.amdhsa_user_sgpr_dispatch_ptr 0
		.amdhsa_user_sgpr_queue_ptr 0
		.amdhsa_user_sgpr_kernarg_segment_ptr 1
		.amdhsa_user_sgpr_dispatch_id 0
		.amdhsa_user_sgpr_private_segment_size 0
		.amdhsa_wavefront_size32 1
		.amdhsa_uses_dynamic_stack 0
		.amdhsa_enable_private_segment 0
		.amdhsa_system_sgpr_workgroup_id_x 1
		.amdhsa_system_sgpr_workgroup_id_y 0
		.amdhsa_system_sgpr_workgroup_id_z 0
		.amdhsa_system_sgpr_workgroup_info 0
		.amdhsa_system_vgpr_workitem_id 0
		.amdhsa_next_free_vgpr 1
		.amdhsa_next_free_sgpr 1
		.amdhsa_reserve_vcc 0
		.amdhsa_float_round_mode_32 0
		.amdhsa_float_round_mode_16_64 0
		.amdhsa_float_denorm_mode_32 3
		.amdhsa_float_denorm_mode_16_64 3
		.amdhsa_dx10_clamp 1
		.amdhsa_ieee_mode 1
		.amdhsa_fp16_overflow 0
		.amdhsa_workgroup_processor_mode 1
		.amdhsa_memory_ordered 1
		.amdhsa_forward_progress 0
		.amdhsa_shared_vgpr_count 0
		.amdhsa_exception_fp_ieee_invalid_op 0
		.amdhsa_exception_fp_denorm_src 0
		.amdhsa_exception_fp_ieee_div_zero 0
		.amdhsa_exception_fp_ieee_overflow 0
		.amdhsa_exception_fp_ieee_underflow 0
		.amdhsa_exception_fp_ieee_inexact 0
		.amdhsa_exception_int_div_zero 0
	.end_amdhsa_kernel
	.section	.text._ZN7rocprim17ROCPRIM_400000_NS6detail17trampoline_kernelINS0_14default_configENS1_25partition_config_selectorILNS1_17partition_subalgoE5E10large_dataNS0_10empty_typeEbEEZZNS1_14partition_implILS5_5ELb0ES3_mN6thrust23THRUST_200600_302600_NS6detail15normal_iteratorINSB_10device_ptrIS6_EEEEPS7_NSB_18transform_iteratorI5mod_3IS6_ESG_NSB_11use_defaultESL_EENS0_5tupleIJSG_S7_EEENSN_IJSH_SH_EEES7_PlJS7_EEE10hipError_tPvRmT3_T4_T5_T6_T7_T9_mT8_P12ihipStream_tbDpT10_ENKUlT_T0_E_clISt17integral_constantIbLb0EES19_IbLb1EEEEDaS15_S16_EUlS15_E_NS1_11comp_targetILNS1_3genE0ELNS1_11target_archE4294967295ELNS1_3gpuE0ELNS1_3repE0EEENS1_30default_config_static_selectorELNS0_4arch9wavefront6targetE0EEEvT1_,"axG",@progbits,_ZN7rocprim17ROCPRIM_400000_NS6detail17trampoline_kernelINS0_14default_configENS1_25partition_config_selectorILNS1_17partition_subalgoE5E10large_dataNS0_10empty_typeEbEEZZNS1_14partition_implILS5_5ELb0ES3_mN6thrust23THRUST_200600_302600_NS6detail15normal_iteratorINSB_10device_ptrIS6_EEEEPS7_NSB_18transform_iteratorI5mod_3IS6_ESG_NSB_11use_defaultESL_EENS0_5tupleIJSG_S7_EEENSN_IJSH_SH_EEES7_PlJS7_EEE10hipError_tPvRmT3_T4_T5_T6_T7_T9_mT8_P12ihipStream_tbDpT10_ENKUlT_T0_E_clISt17integral_constantIbLb0EES19_IbLb1EEEEDaS15_S16_EUlS15_E_NS1_11comp_targetILNS1_3genE0ELNS1_11target_archE4294967295ELNS1_3gpuE0ELNS1_3repE0EEENS1_30default_config_static_selectorELNS0_4arch9wavefront6targetE0EEEvT1_,comdat
.Lfunc_end711:
	.size	_ZN7rocprim17ROCPRIM_400000_NS6detail17trampoline_kernelINS0_14default_configENS1_25partition_config_selectorILNS1_17partition_subalgoE5E10large_dataNS0_10empty_typeEbEEZZNS1_14partition_implILS5_5ELb0ES3_mN6thrust23THRUST_200600_302600_NS6detail15normal_iteratorINSB_10device_ptrIS6_EEEEPS7_NSB_18transform_iteratorI5mod_3IS6_ESG_NSB_11use_defaultESL_EENS0_5tupleIJSG_S7_EEENSN_IJSH_SH_EEES7_PlJS7_EEE10hipError_tPvRmT3_T4_T5_T6_T7_T9_mT8_P12ihipStream_tbDpT10_ENKUlT_T0_E_clISt17integral_constantIbLb0EES19_IbLb1EEEEDaS15_S16_EUlS15_E_NS1_11comp_targetILNS1_3genE0ELNS1_11target_archE4294967295ELNS1_3gpuE0ELNS1_3repE0EEENS1_30default_config_static_selectorELNS0_4arch9wavefront6targetE0EEEvT1_, .Lfunc_end711-_ZN7rocprim17ROCPRIM_400000_NS6detail17trampoline_kernelINS0_14default_configENS1_25partition_config_selectorILNS1_17partition_subalgoE5E10large_dataNS0_10empty_typeEbEEZZNS1_14partition_implILS5_5ELb0ES3_mN6thrust23THRUST_200600_302600_NS6detail15normal_iteratorINSB_10device_ptrIS6_EEEEPS7_NSB_18transform_iteratorI5mod_3IS6_ESG_NSB_11use_defaultESL_EENS0_5tupleIJSG_S7_EEENSN_IJSH_SH_EEES7_PlJS7_EEE10hipError_tPvRmT3_T4_T5_T6_T7_T9_mT8_P12ihipStream_tbDpT10_ENKUlT_T0_E_clISt17integral_constantIbLb0EES19_IbLb1EEEEDaS15_S16_EUlS15_E_NS1_11comp_targetILNS1_3genE0ELNS1_11target_archE4294967295ELNS1_3gpuE0ELNS1_3repE0EEENS1_30default_config_static_selectorELNS0_4arch9wavefront6targetE0EEEvT1_
                                        ; -- End function
	.section	.AMDGPU.csdata,"",@progbits
; Kernel info:
; codeLenInByte = 0
; NumSgprs: 0
; NumVgprs: 0
; ScratchSize: 0
; MemoryBound: 0
; FloatMode: 240
; IeeeMode: 1
; LDSByteSize: 0 bytes/workgroup (compile time only)
; SGPRBlocks: 0
; VGPRBlocks: 0
; NumSGPRsForWavesPerEU: 1
; NumVGPRsForWavesPerEU: 1
; Occupancy: 16
; WaveLimiterHint : 0
; COMPUTE_PGM_RSRC2:SCRATCH_EN: 0
; COMPUTE_PGM_RSRC2:USER_SGPR: 15
; COMPUTE_PGM_RSRC2:TRAP_HANDLER: 0
; COMPUTE_PGM_RSRC2:TGID_X_EN: 1
; COMPUTE_PGM_RSRC2:TGID_Y_EN: 0
; COMPUTE_PGM_RSRC2:TGID_Z_EN: 0
; COMPUTE_PGM_RSRC2:TIDIG_COMP_CNT: 0
	.section	.text._ZN7rocprim17ROCPRIM_400000_NS6detail17trampoline_kernelINS0_14default_configENS1_25partition_config_selectorILNS1_17partition_subalgoE5E10large_dataNS0_10empty_typeEbEEZZNS1_14partition_implILS5_5ELb0ES3_mN6thrust23THRUST_200600_302600_NS6detail15normal_iteratorINSB_10device_ptrIS6_EEEEPS7_NSB_18transform_iteratorI5mod_3IS6_ESG_NSB_11use_defaultESL_EENS0_5tupleIJSG_S7_EEENSN_IJSH_SH_EEES7_PlJS7_EEE10hipError_tPvRmT3_T4_T5_T6_T7_T9_mT8_P12ihipStream_tbDpT10_ENKUlT_T0_E_clISt17integral_constantIbLb0EES19_IbLb1EEEEDaS15_S16_EUlS15_E_NS1_11comp_targetILNS1_3genE5ELNS1_11target_archE942ELNS1_3gpuE9ELNS1_3repE0EEENS1_30default_config_static_selectorELNS0_4arch9wavefront6targetE0EEEvT1_,"axG",@progbits,_ZN7rocprim17ROCPRIM_400000_NS6detail17trampoline_kernelINS0_14default_configENS1_25partition_config_selectorILNS1_17partition_subalgoE5E10large_dataNS0_10empty_typeEbEEZZNS1_14partition_implILS5_5ELb0ES3_mN6thrust23THRUST_200600_302600_NS6detail15normal_iteratorINSB_10device_ptrIS6_EEEEPS7_NSB_18transform_iteratorI5mod_3IS6_ESG_NSB_11use_defaultESL_EENS0_5tupleIJSG_S7_EEENSN_IJSH_SH_EEES7_PlJS7_EEE10hipError_tPvRmT3_T4_T5_T6_T7_T9_mT8_P12ihipStream_tbDpT10_ENKUlT_T0_E_clISt17integral_constantIbLb0EES19_IbLb1EEEEDaS15_S16_EUlS15_E_NS1_11comp_targetILNS1_3genE5ELNS1_11target_archE942ELNS1_3gpuE9ELNS1_3repE0EEENS1_30default_config_static_selectorELNS0_4arch9wavefront6targetE0EEEvT1_,comdat
	.protected	_ZN7rocprim17ROCPRIM_400000_NS6detail17trampoline_kernelINS0_14default_configENS1_25partition_config_selectorILNS1_17partition_subalgoE5E10large_dataNS0_10empty_typeEbEEZZNS1_14partition_implILS5_5ELb0ES3_mN6thrust23THRUST_200600_302600_NS6detail15normal_iteratorINSB_10device_ptrIS6_EEEEPS7_NSB_18transform_iteratorI5mod_3IS6_ESG_NSB_11use_defaultESL_EENS0_5tupleIJSG_S7_EEENSN_IJSH_SH_EEES7_PlJS7_EEE10hipError_tPvRmT3_T4_T5_T6_T7_T9_mT8_P12ihipStream_tbDpT10_ENKUlT_T0_E_clISt17integral_constantIbLb0EES19_IbLb1EEEEDaS15_S16_EUlS15_E_NS1_11comp_targetILNS1_3genE5ELNS1_11target_archE942ELNS1_3gpuE9ELNS1_3repE0EEENS1_30default_config_static_selectorELNS0_4arch9wavefront6targetE0EEEvT1_ ; -- Begin function _ZN7rocprim17ROCPRIM_400000_NS6detail17trampoline_kernelINS0_14default_configENS1_25partition_config_selectorILNS1_17partition_subalgoE5E10large_dataNS0_10empty_typeEbEEZZNS1_14partition_implILS5_5ELb0ES3_mN6thrust23THRUST_200600_302600_NS6detail15normal_iteratorINSB_10device_ptrIS6_EEEEPS7_NSB_18transform_iteratorI5mod_3IS6_ESG_NSB_11use_defaultESL_EENS0_5tupleIJSG_S7_EEENSN_IJSH_SH_EEES7_PlJS7_EEE10hipError_tPvRmT3_T4_T5_T6_T7_T9_mT8_P12ihipStream_tbDpT10_ENKUlT_T0_E_clISt17integral_constantIbLb0EES19_IbLb1EEEEDaS15_S16_EUlS15_E_NS1_11comp_targetILNS1_3genE5ELNS1_11target_archE942ELNS1_3gpuE9ELNS1_3repE0EEENS1_30default_config_static_selectorELNS0_4arch9wavefront6targetE0EEEvT1_
	.globl	_ZN7rocprim17ROCPRIM_400000_NS6detail17trampoline_kernelINS0_14default_configENS1_25partition_config_selectorILNS1_17partition_subalgoE5E10large_dataNS0_10empty_typeEbEEZZNS1_14partition_implILS5_5ELb0ES3_mN6thrust23THRUST_200600_302600_NS6detail15normal_iteratorINSB_10device_ptrIS6_EEEEPS7_NSB_18transform_iteratorI5mod_3IS6_ESG_NSB_11use_defaultESL_EENS0_5tupleIJSG_S7_EEENSN_IJSH_SH_EEES7_PlJS7_EEE10hipError_tPvRmT3_T4_T5_T6_T7_T9_mT8_P12ihipStream_tbDpT10_ENKUlT_T0_E_clISt17integral_constantIbLb0EES19_IbLb1EEEEDaS15_S16_EUlS15_E_NS1_11comp_targetILNS1_3genE5ELNS1_11target_archE942ELNS1_3gpuE9ELNS1_3repE0EEENS1_30default_config_static_selectorELNS0_4arch9wavefront6targetE0EEEvT1_
	.p2align	8
	.type	_ZN7rocprim17ROCPRIM_400000_NS6detail17trampoline_kernelINS0_14default_configENS1_25partition_config_selectorILNS1_17partition_subalgoE5E10large_dataNS0_10empty_typeEbEEZZNS1_14partition_implILS5_5ELb0ES3_mN6thrust23THRUST_200600_302600_NS6detail15normal_iteratorINSB_10device_ptrIS6_EEEEPS7_NSB_18transform_iteratorI5mod_3IS6_ESG_NSB_11use_defaultESL_EENS0_5tupleIJSG_S7_EEENSN_IJSH_SH_EEES7_PlJS7_EEE10hipError_tPvRmT3_T4_T5_T6_T7_T9_mT8_P12ihipStream_tbDpT10_ENKUlT_T0_E_clISt17integral_constantIbLb0EES19_IbLb1EEEEDaS15_S16_EUlS15_E_NS1_11comp_targetILNS1_3genE5ELNS1_11target_archE942ELNS1_3gpuE9ELNS1_3repE0EEENS1_30default_config_static_selectorELNS0_4arch9wavefront6targetE0EEEvT1_,@function
_ZN7rocprim17ROCPRIM_400000_NS6detail17trampoline_kernelINS0_14default_configENS1_25partition_config_selectorILNS1_17partition_subalgoE5E10large_dataNS0_10empty_typeEbEEZZNS1_14partition_implILS5_5ELb0ES3_mN6thrust23THRUST_200600_302600_NS6detail15normal_iteratorINSB_10device_ptrIS6_EEEEPS7_NSB_18transform_iteratorI5mod_3IS6_ESG_NSB_11use_defaultESL_EENS0_5tupleIJSG_S7_EEENSN_IJSH_SH_EEES7_PlJS7_EEE10hipError_tPvRmT3_T4_T5_T6_T7_T9_mT8_P12ihipStream_tbDpT10_ENKUlT_T0_E_clISt17integral_constantIbLb0EES19_IbLb1EEEEDaS15_S16_EUlS15_E_NS1_11comp_targetILNS1_3genE5ELNS1_11target_archE942ELNS1_3gpuE9ELNS1_3repE0EEENS1_30default_config_static_selectorELNS0_4arch9wavefront6targetE0EEEvT1_: ; @_ZN7rocprim17ROCPRIM_400000_NS6detail17trampoline_kernelINS0_14default_configENS1_25partition_config_selectorILNS1_17partition_subalgoE5E10large_dataNS0_10empty_typeEbEEZZNS1_14partition_implILS5_5ELb0ES3_mN6thrust23THRUST_200600_302600_NS6detail15normal_iteratorINSB_10device_ptrIS6_EEEEPS7_NSB_18transform_iteratorI5mod_3IS6_ESG_NSB_11use_defaultESL_EENS0_5tupleIJSG_S7_EEENSN_IJSH_SH_EEES7_PlJS7_EEE10hipError_tPvRmT3_T4_T5_T6_T7_T9_mT8_P12ihipStream_tbDpT10_ENKUlT_T0_E_clISt17integral_constantIbLb0EES19_IbLb1EEEEDaS15_S16_EUlS15_E_NS1_11comp_targetILNS1_3genE5ELNS1_11target_archE942ELNS1_3gpuE9ELNS1_3repE0EEENS1_30default_config_static_selectorELNS0_4arch9wavefront6targetE0EEEvT1_
; %bb.0:
	.section	.rodata,"a",@progbits
	.p2align	6, 0x0
	.amdhsa_kernel _ZN7rocprim17ROCPRIM_400000_NS6detail17trampoline_kernelINS0_14default_configENS1_25partition_config_selectorILNS1_17partition_subalgoE5E10large_dataNS0_10empty_typeEbEEZZNS1_14partition_implILS5_5ELb0ES3_mN6thrust23THRUST_200600_302600_NS6detail15normal_iteratorINSB_10device_ptrIS6_EEEEPS7_NSB_18transform_iteratorI5mod_3IS6_ESG_NSB_11use_defaultESL_EENS0_5tupleIJSG_S7_EEENSN_IJSH_SH_EEES7_PlJS7_EEE10hipError_tPvRmT3_T4_T5_T6_T7_T9_mT8_P12ihipStream_tbDpT10_ENKUlT_T0_E_clISt17integral_constantIbLb0EES19_IbLb1EEEEDaS15_S16_EUlS15_E_NS1_11comp_targetILNS1_3genE5ELNS1_11target_archE942ELNS1_3gpuE9ELNS1_3repE0EEENS1_30default_config_static_selectorELNS0_4arch9wavefront6targetE0EEEvT1_
		.amdhsa_group_segment_fixed_size 0
		.amdhsa_private_segment_fixed_size 0
		.amdhsa_kernarg_size 136
		.amdhsa_user_sgpr_count 15
		.amdhsa_user_sgpr_dispatch_ptr 0
		.amdhsa_user_sgpr_queue_ptr 0
		.amdhsa_user_sgpr_kernarg_segment_ptr 1
		.amdhsa_user_sgpr_dispatch_id 0
		.amdhsa_user_sgpr_private_segment_size 0
		.amdhsa_wavefront_size32 1
		.amdhsa_uses_dynamic_stack 0
		.amdhsa_enable_private_segment 0
		.amdhsa_system_sgpr_workgroup_id_x 1
		.amdhsa_system_sgpr_workgroup_id_y 0
		.amdhsa_system_sgpr_workgroup_id_z 0
		.amdhsa_system_sgpr_workgroup_info 0
		.amdhsa_system_vgpr_workitem_id 0
		.amdhsa_next_free_vgpr 1
		.amdhsa_next_free_sgpr 1
		.amdhsa_reserve_vcc 0
		.amdhsa_float_round_mode_32 0
		.amdhsa_float_round_mode_16_64 0
		.amdhsa_float_denorm_mode_32 3
		.amdhsa_float_denorm_mode_16_64 3
		.amdhsa_dx10_clamp 1
		.amdhsa_ieee_mode 1
		.amdhsa_fp16_overflow 0
		.amdhsa_workgroup_processor_mode 1
		.amdhsa_memory_ordered 1
		.amdhsa_forward_progress 0
		.amdhsa_shared_vgpr_count 0
		.amdhsa_exception_fp_ieee_invalid_op 0
		.amdhsa_exception_fp_denorm_src 0
		.amdhsa_exception_fp_ieee_div_zero 0
		.amdhsa_exception_fp_ieee_overflow 0
		.amdhsa_exception_fp_ieee_underflow 0
		.amdhsa_exception_fp_ieee_inexact 0
		.amdhsa_exception_int_div_zero 0
	.end_amdhsa_kernel
	.section	.text._ZN7rocprim17ROCPRIM_400000_NS6detail17trampoline_kernelINS0_14default_configENS1_25partition_config_selectorILNS1_17partition_subalgoE5E10large_dataNS0_10empty_typeEbEEZZNS1_14partition_implILS5_5ELb0ES3_mN6thrust23THRUST_200600_302600_NS6detail15normal_iteratorINSB_10device_ptrIS6_EEEEPS7_NSB_18transform_iteratorI5mod_3IS6_ESG_NSB_11use_defaultESL_EENS0_5tupleIJSG_S7_EEENSN_IJSH_SH_EEES7_PlJS7_EEE10hipError_tPvRmT3_T4_T5_T6_T7_T9_mT8_P12ihipStream_tbDpT10_ENKUlT_T0_E_clISt17integral_constantIbLb0EES19_IbLb1EEEEDaS15_S16_EUlS15_E_NS1_11comp_targetILNS1_3genE5ELNS1_11target_archE942ELNS1_3gpuE9ELNS1_3repE0EEENS1_30default_config_static_selectorELNS0_4arch9wavefront6targetE0EEEvT1_,"axG",@progbits,_ZN7rocprim17ROCPRIM_400000_NS6detail17trampoline_kernelINS0_14default_configENS1_25partition_config_selectorILNS1_17partition_subalgoE5E10large_dataNS0_10empty_typeEbEEZZNS1_14partition_implILS5_5ELb0ES3_mN6thrust23THRUST_200600_302600_NS6detail15normal_iteratorINSB_10device_ptrIS6_EEEEPS7_NSB_18transform_iteratorI5mod_3IS6_ESG_NSB_11use_defaultESL_EENS0_5tupleIJSG_S7_EEENSN_IJSH_SH_EEES7_PlJS7_EEE10hipError_tPvRmT3_T4_T5_T6_T7_T9_mT8_P12ihipStream_tbDpT10_ENKUlT_T0_E_clISt17integral_constantIbLb0EES19_IbLb1EEEEDaS15_S16_EUlS15_E_NS1_11comp_targetILNS1_3genE5ELNS1_11target_archE942ELNS1_3gpuE9ELNS1_3repE0EEENS1_30default_config_static_selectorELNS0_4arch9wavefront6targetE0EEEvT1_,comdat
.Lfunc_end712:
	.size	_ZN7rocprim17ROCPRIM_400000_NS6detail17trampoline_kernelINS0_14default_configENS1_25partition_config_selectorILNS1_17partition_subalgoE5E10large_dataNS0_10empty_typeEbEEZZNS1_14partition_implILS5_5ELb0ES3_mN6thrust23THRUST_200600_302600_NS6detail15normal_iteratorINSB_10device_ptrIS6_EEEEPS7_NSB_18transform_iteratorI5mod_3IS6_ESG_NSB_11use_defaultESL_EENS0_5tupleIJSG_S7_EEENSN_IJSH_SH_EEES7_PlJS7_EEE10hipError_tPvRmT3_T4_T5_T6_T7_T9_mT8_P12ihipStream_tbDpT10_ENKUlT_T0_E_clISt17integral_constantIbLb0EES19_IbLb1EEEEDaS15_S16_EUlS15_E_NS1_11comp_targetILNS1_3genE5ELNS1_11target_archE942ELNS1_3gpuE9ELNS1_3repE0EEENS1_30default_config_static_selectorELNS0_4arch9wavefront6targetE0EEEvT1_, .Lfunc_end712-_ZN7rocprim17ROCPRIM_400000_NS6detail17trampoline_kernelINS0_14default_configENS1_25partition_config_selectorILNS1_17partition_subalgoE5E10large_dataNS0_10empty_typeEbEEZZNS1_14partition_implILS5_5ELb0ES3_mN6thrust23THRUST_200600_302600_NS6detail15normal_iteratorINSB_10device_ptrIS6_EEEEPS7_NSB_18transform_iteratorI5mod_3IS6_ESG_NSB_11use_defaultESL_EENS0_5tupleIJSG_S7_EEENSN_IJSH_SH_EEES7_PlJS7_EEE10hipError_tPvRmT3_T4_T5_T6_T7_T9_mT8_P12ihipStream_tbDpT10_ENKUlT_T0_E_clISt17integral_constantIbLb0EES19_IbLb1EEEEDaS15_S16_EUlS15_E_NS1_11comp_targetILNS1_3genE5ELNS1_11target_archE942ELNS1_3gpuE9ELNS1_3repE0EEENS1_30default_config_static_selectorELNS0_4arch9wavefront6targetE0EEEvT1_
                                        ; -- End function
	.section	.AMDGPU.csdata,"",@progbits
; Kernel info:
; codeLenInByte = 0
; NumSgprs: 0
; NumVgprs: 0
; ScratchSize: 0
; MemoryBound: 0
; FloatMode: 240
; IeeeMode: 1
; LDSByteSize: 0 bytes/workgroup (compile time only)
; SGPRBlocks: 0
; VGPRBlocks: 0
; NumSGPRsForWavesPerEU: 1
; NumVGPRsForWavesPerEU: 1
; Occupancy: 16
; WaveLimiterHint : 0
; COMPUTE_PGM_RSRC2:SCRATCH_EN: 0
; COMPUTE_PGM_RSRC2:USER_SGPR: 15
; COMPUTE_PGM_RSRC2:TRAP_HANDLER: 0
; COMPUTE_PGM_RSRC2:TGID_X_EN: 1
; COMPUTE_PGM_RSRC2:TGID_Y_EN: 0
; COMPUTE_PGM_RSRC2:TGID_Z_EN: 0
; COMPUTE_PGM_RSRC2:TIDIG_COMP_CNT: 0
	.section	.text._ZN7rocprim17ROCPRIM_400000_NS6detail17trampoline_kernelINS0_14default_configENS1_25partition_config_selectorILNS1_17partition_subalgoE5E10large_dataNS0_10empty_typeEbEEZZNS1_14partition_implILS5_5ELb0ES3_mN6thrust23THRUST_200600_302600_NS6detail15normal_iteratorINSB_10device_ptrIS6_EEEEPS7_NSB_18transform_iteratorI5mod_3IS6_ESG_NSB_11use_defaultESL_EENS0_5tupleIJSG_S7_EEENSN_IJSH_SH_EEES7_PlJS7_EEE10hipError_tPvRmT3_T4_T5_T6_T7_T9_mT8_P12ihipStream_tbDpT10_ENKUlT_T0_E_clISt17integral_constantIbLb0EES19_IbLb1EEEEDaS15_S16_EUlS15_E_NS1_11comp_targetILNS1_3genE4ELNS1_11target_archE910ELNS1_3gpuE8ELNS1_3repE0EEENS1_30default_config_static_selectorELNS0_4arch9wavefront6targetE0EEEvT1_,"axG",@progbits,_ZN7rocprim17ROCPRIM_400000_NS6detail17trampoline_kernelINS0_14default_configENS1_25partition_config_selectorILNS1_17partition_subalgoE5E10large_dataNS0_10empty_typeEbEEZZNS1_14partition_implILS5_5ELb0ES3_mN6thrust23THRUST_200600_302600_NS6detail15normal_iteratorINSB_10device_ptrIS6_EEEEPS7_NSB_18transform_iteratorI5mod_3IS6_ESG_NSB_11use_defaultESL_EENS0_5tupleIJSG_S7_EEENSN_IJSH_SH_EEES7_PlJS7_EEE10hipError_tPvRmT3_T4_T5_T6_T7_T9_mT8_P12ihipStream_tbDpT10_ENKUlT_T0_E_clISt17integral_constantIbLb0EES19_IbLb1EEEEDaS15_S16_EUlS15_E_NS1_11comp_targetILNS1_3genE4ELNS1_11target_archE910ELNS1_3gpuE8ELNS1_3repE0EEENS1_30default_config_static_selectorELNS0_4arch9wavefront6targetE0EEEvT1_,comdat
	.protected	_ZN7rocprim17ROCPRIM_400000_NS6detail17trampoline_kernelINS0_14default_configENS1_25partition_config_selectorILNS1_17partition_subalgoE5E10large_dataNS0_10empty_typeEbEEZZNS1_14partition_implILS5_5ELb0ES3_mN6thrust23THRUST_200600_302600_NS6detail15normal_iteratorINSB_10device_ptrIS6_EEEEPS7_NSB_18transform_iteratorI5mod_3IS6_ESG_NSB_11use_defaultESL_EENS0_5tupleIJSG_S7_EEENSN_IJSH_SH_EEES7_PlJS7_EEE10hipError_tPvRmT3_T4_T5_T6_T7_T9_mT8_P12ihipStream_tbDpT10_ENKUlT_T0_E_clISt17integral_constantIbLb0EES19_IbLb1EEEEDaS15_S16_EUlS15_E_NS1_11comp_targetILNS1_3genE4ELNS1_11target_archE910ELNS1_3gpuE8ELNS1_3repE0EEENS1_30default_config_static_selectorELNS0_4arch9wavefront6targetE0EEEvT1_ ; -- Begin function _ZN7rocprim17ROCPRIM_400000_NS6detail17trampoline_kernelINS0_14default_configENS1_25partition_config_selectorILNS1_17partition_subalgoE5E10large_dataNS0_10empty_typeEbEEZZNS1_14partition_implILS5_5ELb0ES3_mN6thrust23THRUST_200600_302600_NS6detail15normal_iteratorINSB_10device_ptrIS6_EEEEPS7_NSB_18transform_iteratorI5mod_3IS6_ESG_NSB_11use_defaultESL_EENS0_5tupleIJSG_S7_EEENSN_IJSH_SH_EEES7_PlJS7_EEE10hipError_tPvRmT3_T4_T5_T6_T7_T9_mT8_P12ihipStream_tbDpT10_ENKUlT_T0_E_clISt17integral_constantIbLb0EES19_IbLb1EEEEDaS15_S16_EUlS15_E_NS1_11comp_targetILNS1_3genE4ELNS1_11target_archE910ELNS1_3gpuE8ELNS1_3repE0EEENS1_30default_config_static_selectorELNS0_4arch9wavefront6targetE0EEEvT1_
	.globl	_ZN7rocprim17ROCPRIM_400000_NS6detail17trampoline_kernelINS0_14default_configENS1_25partition_config_selectorILNS1_17partition_subalgoE5E10large_dataNS0_10empty_typeEbEEZZNS1_14partition_implILS5_5ELb0ES3_mN6thrust23THRUST_200600_302600_NS6detail15normal_iteratorINSB_10device_ptrIS6_EEEEPS7_NSB_18transform_iteratorI5mod_3IS6_ESG_NSB_11use_defaultESL_EENS0_5tupleIJSG_S7_EEENSN_IJSH_SH_EEES7_PlJS7_EEE10hipError_tPvRmT3_T4_T5_T6_T7_T9_mT8_P12ihipStream_tbDpT10_ENKUlT_T0_E_clISt17integral_constantIbLb0EES19_IbLb1EEEEDaS15_S16_EUlS15_E_NS1_11comp_targetILNS1_3genE4ELNS1_11target_archE910ELNS1_3gpuE8ELNS1_3repE0EEENS1_30default_config_static_selectorELNS0_4arch9wavefront6targetE0EEEvT1_
	.p2align	8
	.type	_ZN7rocprim17ROCPRIM_400000_NS6detail17trampoline_kernelINS0_14default_configENS1_25partition_config_selectorILNS1_17partition_subalgoE5E10large_dataNS0_10empty_typeEbEEZZNS1_14partition_implILS5_5ELb0ES3_mN6thrust23THRUST_200600_302600_NS6detail15normal_iteratorINSB_10device_ptrIS6_EEEEPS7_NSB_18transform_iteratorI5mod_3IS6_ESG_NSB_11use_defaultESL_EENS0_5tupleIJSG_S7_EEENSN_IJSH_SH_EEES7_PlJS7_EEE10hipError_tPvRmT3_T4_T5_T6_T7_T9_mT8_P12ihipStream_tbDpT10_ENKUlT_T0_E_clISt17integral_constantIbLb0EES19_IbLb1EEEEDaS15_S16_EUlS15_E_NS1_11comp_targetILNS1_3genE4ELNS1_11target_archE910ELNS1_3gpuE8ELNS1_3repE0EEENS1_30default_config_static_selectorELNS0_4arch9wavefront6targetE0EEEvT1_,@function
_ZN7rocprim17ROCPRIM_400000_NS6detail17trampoline_kernelINS0_14default_configENS1_25partition_config_selectorILNS1_17partition_subalgoE5E10large_dataNS0_10empty_typeEbEEZZNS1_14partition_implILS5_5ELb0ES3_mN6thrust23THRUST_200600_302600_NS6detail15normal_iteratorINSB_10device_ptrIS6_EEEEPS7_NSB_18transform_iteratorI5mod_3IS6_ESG_NSB_11use_defaultESL_EENS0_5tupleIJSG_S7_EEENSN_IJSH_SH_EEES7_PlJS7_EEE10hipError_tPvRmT3_T4_T5_T6_T7_T9_mT8_P12ihipStream_tbDpT10_ENKUlT_T0_E_clISt17integral_constantIbLb0EES19_IbLb1EEEEDaS15_S16_EUlS15_E_NS1_11comp_targetILNS1_3genE4ELNS1_11target_archE910ELNS1_3gpuE8ELNS1_3repE0EEENS1_30default_config_static_selectorELNS0_4arch9wavefront6targetE0EEEvT1_: ; @_ZN7rocprim17ROCPRIM_400000_NS6detail17trampoline_kernelINS0_14default_configENS1_25partition_config_selectorILNS1_17partition_subalgoE5E10large_dataNS0_10empty_typeEbEEZZNS1_14partition_implILS5_5ELb0ES3_mN6thrust23THRUST_200600_302600_NS6detail15normal_iteratorINSB_10device_ptrIS6_EEEEPS7_NSB_18transform_iteratorI5mod_3IS6_ESG_NSB_11use_defaultESL_EENS0_5tupleIJSG_S7_EEENSN_IJSH_SH_EEES7_PlJS7_EEE10hipError_tPvRmT3_T4_T5_T6_T7_T9_mT8_P12ihipStream_tbDpT10_ENKUlT_T0_E_clISt17integral_constantIbLb0EES19_IbLb1EEEEDaS15_S16_EUlS15_E_NS1_11comp_targetILNS1_3genE4ELNS1_11target_archE910ELNS1_3gpuE8ELNS1_3repE0EEENS1_30default_config_static_selectorELNS0_4arch9wavefront6targetE0EEEvT1_
; %bb.0:
	.section	.rodata,"a",@progbits
	.p2align	6, 0x0
	.amdhsa_kernel _ZN7rocprim17ROCPRIM_400000_NS6detail17trampoline_kernelINS0_14default_configENS1_25partition_config_selectorILNS1_17partition_subalgoE5E10large_dataNS0_10empty_typeEbEEZZNS1_14partition_implILS5_5ELb0ES3_mN6thrust23THRUST_200600_302600_NS6detail15normal_iteratorINSB_10device_ptrIS6_EEEEPS7_NSB_18transform_iteratorI5mod_3IS6_ESG_NSB_11use_defaultESL_EENS0_5tupleIJSG_S7_EEENSN_IJSH_SH_EEES7_PlJS7_EEE10hipError_tPvRmT3_T4_T5_T6_T7_T9_mT8_P12ihipStream_tbDpT10_ENKUlT_T0_E_clISt17integral_constantIbLb0EES19_IbLb1EEEEDaS15_S16_EUlS15_E_NS1_11comp_targetILNS1_3genE4ELNS1_11target_archE910ELNS1_3gpuE8ELNS1_3repE0EEENS1_30default_config_static_selectorELNS0_4arch9wavefront6targetE0EEEvT1_
		.amdhsa_group_segment_fixed_size 0
		.amdhsa_private_segment_fixed_size 0
		.amdhsa_kernarg_size 136
		.amdhsa_user_sgpr_count 15
		.amdhsa_user_sgpr_dispatch_ptr 0
		.amdhsa_user_sgpr_queue_ptr 0
		.amdhsa_user_sgpr_kernarg_segment_ptr 1
		.amdhsa_user_sgpr_dispatch_id 0
		.amdhsa_user_sgpr_private_segment_size 0
		.amdhsa_wavefront_size32 1
		.amdhsa_uses_dynamic_stack 0
		.amdhsa_enable_private_segment 0
		.amdhsa_system_sgpr_workgroup_id_x 1
		.amdhsa_system_sgpr_workgroup_id_y 0
		.amdhsa_system_sgpr_workgroup_id_z 0
		.amdhsa_system_sgpr_workgroup_info 0
		.amdhsa_system_vgpr_workitem_id 0
		.amdhsa_next_free_vgpr 1
		.amdhsa_next_free_sgpr 1
		.amdhsa_reserve_vcc 0
		.amdhsa_float_round_mode_32 0
		.amdhsa_float_round_mode_16_64 0
		.amdhsa_float_denorm_mode_32 3
		.amdhsa_float_denorm_mode_16_64 3
		.amdhsa_dx10_clamp 1
		.amdhsa_ieee_mode 1
		.amdhsa_fp16_overflow 0
		.amdhsa_workgroup_processor_mode 1
		.amdhsa_memory_ordered 1
		.amdhsa_forward_progress 0
		.amdhsa_shared_vgpr_count 0
		.amdhsa_exception_fp_ieee_invalid_op 0
		.amdhsa_exception_fp_denorm_src 0
		.amdhsa_exception_fp_ieee_div_zero 0
		.amdhsa_exception_fp_ieee_overflow 0
		.amdhsa_exception_fp_ieee_underflow 0
		.amdhsa_exception_fp_ieee_inexact 0
		.amdhsa_exception_int_div_zero 0
	.end_amdhsa_kernel
	.section	.text._ZN7rocprim17ROCPRIM_400000_NS6detail17trampoline_kernelINS0_14default_configENS1_25partition_config_selectorILNS1_17partition_subalgoE5E10large_dataNS0_10empty_typeEbEEZZNS1_14partition_implILS5_5ELb0ES3_mN6thrust23THRUST_200600_302600_NS6detail15normal_iteratorINSB_10device_ptrIS6_EEEEPS7_NSB_18transform_iteratorI5mod_3IS6_ESG_NSB_11use_defaultESL_EENS0_5tupleIJSG_S7_EEENSN_IJSH_SH_EEES7_PlJS7_EEE10hipError_tPvRmT3_T4_T5_T6_T7_T9_mT8_P12ihipStream_tbDpT10_ENKUlT_T0_E_clISt17integral_constantIbLb0EES19_IbLb1EEEEDaS15_S16_EUlS15_E_NS1_11comp_targetILNS1_3genE4ELNS1_11target_archE910ELNS1_3gpuE8ELNS1_3repE0EEENS1_30default_config_static_selectorELNS0_4arch9wavefront6targetE0EEEvT1_,"axG",@progbits,_ZN7rocprim17ROCPRIM_400000_NS6detail17trampoline_kernelINS0_14default_configENS1_25partition_config_selectorILNS1_17partition_subalgoE5E10large_dataNS0_10empty_typeEbEEZZNS1_14partition_implILS5_5ELb0ES3_mN6thrust23THRUST_200600_302600_NS6detail15normal_iteratorINSB_10device_ptrIS6_EEEEPS7_NSB_18transform_iteratorI5mod_3IS6_ESG_NSB_11use_defaultESL_EENS0_5tupleIJSG_S7_EEENSN_IJSH_SH_EEES7_PlJS7_EEE10hipError_tPvRmT3_T4_T5_T6_T7_T9_mT8_P12ihipStream_tbDpT10_ENKUlT_T0_E_clISt17integral_constantIbLb0EES19_IbLb1EEEEDaS15_S16_EUlS15_E_NS1_11comp_targetILNS1_3genE4ELNS1_11target_archE910ELNS1_3gpuE8ELNS1_3repE0EEENS1_30default_config_static_selectorELNS0_4arch9wavefront6targetE0EEEvT1_,comdat
.Lfunc_end713:
	.size	_ZN7rocprim17ROCPRIM_400000_NS6detail17trampoline_kernelINS0_14default_configENS1_25partition_config_selectorILNS1_17partition_subalgoE5E10large_dataNS0_10empty_typeEbEEZZNS1_14partition_implILS5_5ELb0ES3_mN6thrust23THRUST_200600_302600_NS6detail15normal_iteratorINSB_10device_ptrIS6_EEEEPS7_NSB_18transform_iteratorI5mod_3IS6_ESG_NSB_11use_defaultESL_EENS0_5tupleIJSG_S7_EEENSN_IJSH_SH_EEES7_PlJS7_EEE10hipError_tPvRmT3_T4_T5_T6_T7_T9_mT8_P12ihipStream_tbDpT10_ENKUlT_T0_E_clISt17integral_constantIbLb0EES19_IbLb1EEEEDaS15_S16_EUlS15_E_NS1_11comp_targetILNS1_3genE4ELNS1_11target_archE910ELNS1_3gpuE8ELNS1_3repE0EEENS1_30default_config_static_selectorELNS0_4arch9wavefront6targetE0EEEvT1_, .Lfunc_end713-_ZN7rocprim17ROCPRIM_400000_NS6detail17trampoline_kernelINS0_14default_configENS1_25partition_config_selectorILNS1_17partition_subalgoE5E10large_dataNS0_10empty_typeEbEEZZNS1_14partition_implILS5_5ELb0ES3_mN6thrust23THRUST_200600_302600_NS6detail15normal_iteratorINSB_10device_ptrIS6_EEEEPS7_NSB_18transform_iteratorI5mod_3IS6_ESG_NSB_11use_defaultESL_EENS0_5tupleIJSG_S7_EEENSN_IJSH_SH_EEES7_PlJS7_EEE10hipError_tPvRmT3_T4_T5_T6_T7_T9_mT8_P12ihipStream_tbDpT10_ENKUlT_T0_E_clISt17integral_constantIbLb0EES19_IbLb1EEEEDaS15_S16_EUlS15_E_NS1_11comp_targetILNS1_3genE4ELNS1_11target_archE910ELNS1_3gpuE8ELNS1_3repE0EEENS1_30default_config_static_selectorELNS0_4arch9wavefront6targetE0EEEvT1_
                                        ; -- End function
	.section	.AMDGPU.csdata,"",@progbits
; Kernel info:
; codeLenInByte = 0
; NumSgprs: 0
; NumVgprs: 0
; ScratchSize: 0
; MemoryBound: 0
; FloatMode: 240
; IeeeMode: 1
; LDSByteSize: 0 bytes/workgroup (compile time only)
; SGPRBlocks: 0
; VGPRBlocks: 0
; NumSGPRsForWavesPerEU: 1
; NumVGPRsForWavesPerEU: 1
; Occupancy: 16
; WaveLimiterHint : 0
; COMPUTE_PGM_RSRC2:SCRATCH_EN: 0
; COMPUTE_PGM_RSRC2:USER_SGPR: 15
; COMPUTE_PGM_RSRC2:TRAP_HANDLER: 0
; COMPUTE_PGM_RSRC2:TGID_X_EN: 1
; COMPUTE_PGM_RSRC2:TGID_Y_EN: 0
; COMPUTE_PGM_RSRC2:TGID_Z_EN: 0
; COMPUTE_PGM_RSRC2:TIDIG_COMP_CNT: 0
	.section	.text._ZN7rocprim17ROCPRIM_400000_NS6detail17trampoline_kernelINS0_14default_configENS1_25partition_config_selectorILNS1_17partition_subalgoE5E10large_dataNS0_10empty_typeEbEEZZNS1_14partition_implILS5_5ELb0ES3_mN6thrust23THRUST_200600_302600_NS6detail15normal_iteratorINSB_10device_ptrIS6_EEEEPS7_NSB_18transform_iteratorI5mod_3IS6_ESG_NSB_11use_defaultESL_EENS0_5tupleIJSG_S7_EEENSN_IJSH_SH_EEES7_PlJS7_EEE10hipError_tPvRmT3_T4_T5_T6_T7_T9_mT8_P12ihipStream_tbDpT10_ENKUlT_T0_E_clISt17integral_constantIbLb0EES19_IbLb1EEEEDaS15_S16_EUlS15_E_NS1_11comp_targetILNS1_3genE3ELNS1_11target_archE908ELNS1_3gpuE7ELNS1_3repE0EEENS1_30default_config_static_selectorELNS0_4arch9wavefront6targetE0EEEvT1_,"axG",@progbits,_ZN7rocprim17ROCPRIM_400000_NS6detail17trampoline_kernelINS0_14default_configENS1_25partition_config_selectorILNS1_17partition_subalgoE5E10large_dataNS0_10empty_typeEbEEZZNS1_14partition_implILS5_5ELb0ES3_mN6thrust23THRUST_200600_302600_NS6detail15normal_iteratorINSB_10device_ptrIS6_EEEEPS7_NSB_18transform_iteratorI5mod_3IS6_ESG_NSB_11use_defaultESL_EENS0_5tupleIJSG_S7_EEENSN_IJSH_SH_EEES7_PlJS7_EEE10hipError_tPvRmT3_T4_T5_T6_T7_T9_mT8_P12ihipStream_tbDpT10_ENKUlT_T0_E_clISt17integral_constantIbLb0EES19_IbLb1EEEEDaS15_S16_EUlS15_E_NS1_11comp_targetILNS1_3genE3ELNS1_11target_archE908ELNS1_3gpuE7ELNS1_3repE0EEENS1_30default_config_static_selectorELNS0_4arch9wavefront6targetE0EEEvT1_,comdat
	.protected	_ZN7rocprim17ROCPRIM_400000_NS6detail17trampoline_kernelINS0_14default_configENS1_25partition_config_selectorILNS1_17partition_subalgoE5E10large_dataNS0_10empty_typeEbEEZZNS1_14partition_implILS5_5ELb0ES3_mN6thrust23THRUST_200600_302600_NS6detail15normal_iteratorINSB_10device_ptrIS6_EEEEPS7_NSB_18transform_iteratorI5mod_3IS6_ESG_NSB_11use_defaultESL_EENS0_5tupleIJSG_S7_EEENSN_IJSH_SH_EEES7_PlJS7_EEE10hipError_tPvRmT3_T4_T5_T6_T7_T9_mT8_P12ihipStream_tbDpT10_ENKUlT_T0_E_clISt17integral_constantIbLb0EES19_IbLb1EEEEDaS15_S16_EUlS15_E_NS1_11comp_targetILNS1_3genE3ELNS1_11target_archE908ELNS1_3gpuE7ELNS1_3repE0EEENS1_30default_config_static_selectorELNS0_4arch9wavefront6targetE0EEEvT1_ ; -- Begin function _ZN7rocprim17ROCPRIM_400000_NS6detail17trampoline_kernelINS0_14default_configENS1_25partition_config_selectorILNS1_17partition_subalgoE5E10large_dataNS0_10empty_typeEbEEZZNS1_14partition_implILS5_5ELb0ES3_mN6thrust23THRUST_200600_302600_NS6detail15normal_iteratorINSB_10device_ptrIS6_EEEEPS7_NSB_18transform_iteratorI5mod_3IS6_ESG_NSB_11use_defaultESL_EENS0_5tupleIJSG_S7_EEENSN_IJSH_SH_EEES7_PlJS7_EEE10hipError_tPvRmT3_T4_T5_T6_T7_T9_mT8_P12ihipStream_tbDpT10_ENKUlT_T0_E_clISt17integral_constantIbLb0EES19_IbLb1EEEEDaS15_S16_EUlS15_E_NS1_11comp_targetILNS1_3genE3ELNS1_11target_archE908ELNS1_3gpuE7ELNS1_3repE0EEENS1_30default_config_static_selectorELNS0_4arch9wavefront6targetE0EEEvT1_
	.globl	_ZN7rocprim17ROCPRIM_400000_NS6detail17trampoline_kernelINS0_14default_configENS1_25partition_config_selectorILNS1_17partition_subalgoE5E10large_dataNS0_10empty_typeEbEEZZNS1_14partition_implILS5_5ELb0ES3_mN6thrust23THRUST_200600_302600_NS6detail15normal_iteratorINSB_10device_ptrIS6_EEEEPS7_NSB_18transform_iteratorI5mod_3IS6_ESG_NSB_11use_defaultESL_EENS0_5tupleIJSG_S7_EEENSN_IJSH_SH_EEES7_PlJS7_EEE10hipError_tPvRmT3_T4_T5_T6_T7_T9_mT8_P12ihipStream_tbDpT10_ENKUlT_T0_E_clISt17integral_constantIbLb0EES19_IbLb1EEEEDaS15_S16_EUlS15_E_NS1_11comp_targetILNS1_3genE3ELNS1_11target_archE908ELNS1_3gpuE7ELNS1_3repE0EEENS1_30default_config_static_selectorELNS0_4arch9wavefront6targetE0EEEvT1_
	.p2align	8
	.type	_ZN7rocprim17ROCPRIM_400000_NS6detail17trampoline_kernelINS0_14default_configENS1_25partition_config_selectorILNS1_17partition_subalgoE5E10large_dataNS0_10empty_typeEbEEZZNS1_14partition_implILS5_5ELb0ES3_mN6thrust23THRUST_200600_302600_NS6detail15normal_iteratorINSB_10device_ptrIS6_EEEEPS7_NSB_18transform_iteratorI5mod_3IS6_ESG_NSB_11use_defaultESL_EENS0_5tupleIJSG_S7_EEENSN_IJSH_SH_EEES7_PlJS7_EEE10hipError_tPvRmT3_T4_T5_T6_T7_T9_mT8_P12ihipStream_tbDpT10_ENKUlT_T0_E_clISt17integral_constantIbLb0EES19_IbLb1EEEEDaS15_S16_EUlS15_E_NS1_11comp_targetILNS1_3genE3ELNS1_11target_archE908ELNS1_3gpuE7ELNS1_3repE0EEENS1_30default_config_static_selectorELNS0_4arch9wavefront6targetE0EEEvT1_,@function
_ZN7rocprim17ROCPRIM_400000_NS6detail17trampoline_kernelINS0_14default_configENS1_25partition_config_selectorILNS1_17partition_subalgoE5E10large_dataNS0_10empty_typeEbEEZZNS1_14partition_implILS5_5ELb0ES3_mN6thrust23THRUST_200600_302600_NS6detail15normal_iteratorINSB_10device_ptrIS6_EEEEPS7_NSB_18transform_iteratorI5mod_3IS6_ESG_NSB_11use_defaultESL_EENS0_5tupleIJSG_S7_EEENSN_IJSH_SH_EEES7_PlJS7_EEE10hipError_tPvRmT3_T4_T5_T6_T7_T9_mT8_P12ihipStream_tbDpT10_ENKUlT_T0_E_clISt17integral_constantIbLb0EES19_IbLb1EEEEDaS15_S16_EUlS15_E_NS1_11comp_targetILNS1_3genE3ELNS1_11target_archE908ELNS1_3gpuE7ELNS1_3repE0EEENS1_30default_config_static_selectorELNS0_4arch9wavefront6targetE0EEEvT1_: ; @_ZN7rocprim17ROCPRIM_400000_NS6detail17trampoline_kernelINS0_14default_configENS1_25partition_config_selectorILNS1_17partition_subalgoE5E10large_dataNS0_10empty_typeEbEEZZNS1_14partition_implILS5_5ELb0ES3_mN6thrust23THRUST_200600_302600_NS6detail15normal_iteratorINSB_10device_ptrIS6_EEEEPS7_NSB_18transform_iteratorI5mod_3IS6_ESG_NSB_11use_defaultESL_EENS0_5tupleIJSG_S7_EEENSN_IJSH_SH_EEES7_PlJS7_EEE10hipError_tPvRmT3_T4_T5_T6_T7_T9_mT8_P12ihipStream_tbDpT10_ENKUlT_T0_E_clISt17integral_constantIbLb0EES19_IbLb1EEEEDaS15_S16_EUlS15_E_NS1_11comp_targetILNS1_3genE3ELNS1_11target_archE908ELNS1_3gpuE7ELNS1_3repE0EEENS1_30default_config_static_selectorELNS0_4arch9wavefront6targetE0EEEvT1_
; %bb.0:
	.section	.rodata,"a",@progbits
	.p2align	6, 0x0
	.amdhsa_kernel _ZN7rocprim17ROCPRIM_400000_NS6detail17trampoline_kernelINS0_14default_configENS1_25partition_config_selectorILNS1_17partition_subalgoE5E10large_dataNS0_10empty_typeEbEEZZNS1_14partition_implILS5_5ELb0ES3_mN6thrust23THRUST_200600_302600_NS6detail15normal_iteratorINSB_10device_ptrIS6_EEEEPS7_NSB_18transform_iteratorI5mod_3IS6_ESG_NSB_11use_defaultESL_EENS0_5tupleIJSG_S7_EEENSN_IJSH_SH_EEES7_PlJS7_EEE10hipError_tPvRmT3_T4_T5_T6_T7_T9_mT8_P12ihipStream_tbDpT10_ENKUlT_T0_E_clISt17integral_constantIbLb0EES19_IbLb1EEEEDaS15_S16_EUlS15_E_NS1_11comp_targetILNS1_3genE3ELNS1_11target_archE908ELNS1_3gpuE7ELNS1_3repE0EEENS1_30default_config_static_selectorELNS0_4arch9wavefront6targetE0EEEvT1_
		.amdhsa_group_segment_fixed_size 0
		.amdhsa_private_segment_fixed_size 0
		.amdhsa_kernarg_size 136
		.amdhsa_user_sgpr_count 15
		.amdhsa_user_sgpr_dispatch_ptr 0
		.amdhsa_user_sgpr_queue_ptr 0
		.amdhsa_user_sgpr_kernarg_segment_ptr 1
		.amdhsa_user_sgpr_dispatch_id 0
		.amdhsa_user_sgpr_private_segment_size 0
		.amdhsa_wavefront_size32 1
		.amdhsa_uses_dynamic_stack 0
		.amdhsa_enable_private_segment 0
		.amdhsa_system_sgpr_workgroup_id_x 1
		.amdhsa_system_sgpr_workgroup_id_y 0
		.amdhsa_system_sgpr_workgroup_id_z 0
		.amdhsa_system_sgpr_workgroup_info 0
		.amdhsa_system_vgpr_workitem_id 0
		.amdhsa_next_free_vgpr 1
		.amdhsa_next_free_sgpr 1
		.amdhsa_reserve_vcc 0
		.amdhsa_float_round_mode_32 0
		.amdhsa_float_round_mode_16_64 0
		.amdhsa_float_denorm_mode_32 3
		.amdhsa_float_denorm_mode_16_64 3
		.amdhsa_dx10_clamp 1
		.amdhsa_ieee_mode 1
		.amdhsa_fp16_overflow 0
		.amdhsa_workgroup_processor_mode 1
		.amdhsa_memory_ordered 1
		.amdhsa_forward_progress 0
		.amdhsa_shared_vgpr_count 0
		.amdhsa_exception_fp_ieee_invalid_op 0
		.amdhsa_exception_fp_denorm_src 0
		.amdhsa_exception_fp_ieee_div_zero 0
		.amdhsa_exception_fp_ieee_overflow 0
		.amdhsa_exception_fp_ieee_underflow 0
		.amdhsa_exception_fp_ieee_inexact 0
		.amdhsa_exception_int_div_zero 0
	.end_amdhsa_kernel
	.section	.text._ZN7rocprim17ROCPRIM_400000_NS6detail17trampoline_kernelINS0_14default_configENS1_25partition_config_selectorILNS1_17partition_subalgoE5E10large_dataNS0_10empty_typeEbEEZZNS1_14partition_implILS5_5ELb0ES3_mN6thrust23THRUST_200600_302600_NS6detail15normal_iteratorINSB_10device_ptrIS6_EEEEPS7_NSB_18transform_iteratorI5mod_3IS6_ESG_NSB_11use_defaultESL_EENS0_5tupleIJSG_S7_EEENSN_IJSH_SH_EEES7_PlJS7_EEE10hipError_tPvRmT3_T4_T5_T6_T7_T9_mT8_P12ihipStream_tbDpT10_ENKUlT_T0_E_clISt17integral_constantIbLb0EES19_IbLb1EEEEDaS15_S16_EUlS15_E_NS1_11comp_targetILNS1_3genE3ELNS1_11target_archE908ELNS1_3gpuE7ELNS1_3repE0EEENS1_30default_config_static_selectorELNS0_4arch9wavefront6targetE0EEEvT1_,"axG",@progbits,_ZN7rocprim17ROCPRIM_400000_NS6detail17trampoline_kernelINS0_14default_configENS1_25partition_config_selectorILNS1_17partition_subalgoE5E10large_dataNS0_10empty_typeEbEEZZNS1_14partition_implILS5_5ELb0ES3_mN6thrust23THRUST_200600_302600_NS6detail15normal_iteratorINSB_10device_ptrIS6_EEEEPS7_NSB_18transform_iteratorI5mod_3IS6_ESG_NSB_11use_defaultESL_EENS0_5tupleIJSG_S7_EEENSN_IJSH_SH_EEES7_PlJS7_EEE10hipError_tPvRmT3_T4_T5_T6_T7_T9_mT8_P12ihipStream_tbDpT10_ENKUlT_T0_E_clISt17integral_constantIbLb0EES19_IbLb1EEEEDaS15_S16_EUlS15_E_NS1_11comp_targetILNS1_3genE3ELNS1_11target_archE908ELNS1_3gpuE7ELNS1_3repE0EEENS1_30default_config_static_selectorELNS0_4arch9wavefront6targetE0EEEvT1_,comdat
.Lfunc_end714:
	.size	_ZN7rocprim17ROCPRIM_400000_NS6detail17trampoline_kernelINS0_14default_configENS1_25partition_config_selectorILNS1_17partition_subalgoE5E10large_dataNS0_10empty_typeEbEEZZNS1_14partition_implILS5_5ELb0ES3_mN6thrust23THRUST_200600_302600_NS6detail15normal_iteratorINSB_10device_ptrIS6_EEEEPS7_NSB_18transform_iteratorI5mod_3IS6_ESG_NSB_11use_defaultESL_EENS0_5tupleIJSG_S7_EEENSN_IJSH_SH_EEES7_PlJS7_EEE10hipError_tPvRmT3_T4_T5_T6_T7_T9_mT8_P12ihipStream_tbDpT10_ENKUlT_T0_E_clISt17integral_constantIbLb0EES19_IbLb1EEEEDaS15_S16_EUlS15_E_NS1_11comp_targetILNS1_3genE3ELNS1_11target_archE908ELNS1_3gpuE7ELNS1_3repE0EEENS1_30default_config_static_selectorELNS0_4arch9wavefront6targetE0EEEvT1_, .Lfunc_end714-_ZN7rocprim17ROCPRIM_400000_NS6detail17trampoline_kernelINS0_14default_configENS1_25partition_config_selectorILNS1_17partition_subalgoE5E10large_dataNS0_10empty_typeEbEEZZNS1_14partition_implILS5_5ELb0ES3_mN6thrust23THRUST_200600_302600_NS6detail15normal_iteratorINSB_10device_ptrIS6_EEEEPS7_NSB_18transform_iteratorI5mod_3IS6_ESG_NSB_11use_defaultESL_EENS0_5tupleIJSG_S7_EEENSN_IJSH_SH_EEES7_PlJS7_EEE10hipError_tPvRmT3_T4_T5_T6_T7_T9_mT8_P12ihipStream_tbDpT10_ENKUlT_T0_E_clISt17integral_constantIbLb0EES19_IbLb1EEEEDaS15_S16_EUlS15_E_NS1_11comp_targetILNS1_3genE3ELNS1_11target_archE908ELNS1_3gpuE7ELNS1_3repE0EEENS1_30default_config_static_selectorELNS0_4arch9wavefront6targetE0EEEvT1_
                                        ; -- End function
	.section	.AMDGPU.csdata,"",@progbits
; Kernel info:
; codeLenInByte = 0
; NumSgprs: 0
; NumVgprs: 0
; ScratchSize: 0
; MemoryBound: 0
; FloatMode: 240
; IeeeMode: 1
; LDSByteSize: 0 bytes/workgroup (compile time only)
; SGPRBlocks: 0
; VGPRBlocks: 0
; NumSGPRsForWavesPerEU: 1
; NumVGPRsForWavesPerEU: 1
; Occupancy: 16
; WaveLimiterHint : 0
; COMPUTE_PGM_RSRC2:SCRATCH_EN: 0
; COMPUTE_PGM_RSRC2:USER_SGPR: 15
; COMPUTE_PGM_RSRC2:TRAP_HANDLER: 0
; COMPUTE_PGM_RSRC2:TGID_X_EN: 1
; COMPUTE_PGM_RSRC2:TGID_Y_EN: 0
; COMPUTE_PGM_RSRC2:TGID_Z_EN: 0
; COMPUTE_PGM_RSRC2:TIDIG_COMP_CNT: 0
	.section	.text._ZN7rocprim17ROCPRIM_400000_NS6detail17trampoline_kernelINS0_14default_configENS1_25partition_config_selectorILNS1_17partition_subalgoE5E10large_dataNS0_10empty_typeEbEEZZNS1_14partition_implILS5_5ELb0ES3_mN6thrust23THRUST_200600_302600_NS6detail15normal_iteratorINSB_10device_ptrIS6_EEEEPS7_NSB_18transform_iteratorI5mod_3IS6_ESG_NSB_11use_defaultESL_EENS0_5tupleIJSG_S7_EEENSN_IJSH_SH_EEES7_PlJS7_EEE10hipError_tPvRmT3_T4_T5_T6_T7_T9_mT8_P12ihipStream_tbDpT10_ENKUlT_T0_E_clISt17integral_constantIbLb0EES19_IbLb1EEEEDaS15_S16_EUlS15_E_NS1_11comp_targetILNS1_3genE2ELNS1_11target_archE906ELNS1_3gpuE6ELNS1_3repE0EEENS1_30default_config_static_selectorELNS0_4arch9wavefront6targetE0EEEvT1_,"axG",@progbits,_ZN7rocprim17ROCPRIM_400000_NS6detail17trampoline_kernelINS0_14default_configENS1_25partition_config_selectorILNS1_17partition_subalgoE5E10large_dataNS0_10empty_typeEbEEZZNS1_14partition_implILS5_5ELb0ES3_mN6thrust23THRUST_200600_302600_NS6detail15normal_iteratorINSB_10device_ptrIS6_EEEEPS7_NSB_18transform_iteratorI5mod_3IS6_ESG_NSB_11use_defaultESL_EENS0_5tupleIJSG_S7_EEENSN_IJSH_SH_EEES7_PlJS7_EEE10hipError_tPvRmT3_T4_T5_T6_T7_T9_mT8_P12ihipStream_tbDpT10_ENKUlT_T0_E_clISt17integral_constantIbLb0EES19_IbLb1EEEEDaS15_S16_EUlS15_E_NS1_11comp_targetILNS1_3genE2ELNS1_11target_archE906ELNS1_3gpuE6ELNS1_3repE0EEENS1_30default_config_static_selectorELNS0_4arch9wavefront6targetE0EEEvT1_,comdat
	.protected	_ZN7rocprim17ROCPRIM_400000_NS6detail17trampoline_kernelINS0_14default_configENS1_25partition_config_selectorILNS1_17partition_subalgoE5E10large_dataNS0_10empty_typeEbEEZZNS1_14partition_implILS5_5ELb0ES3_mN6thrust23THRUST_200600_302600_NS6detail15normal_iteratorINSB_10device_ptrIS6_EEEEPS7_NSB_18transform_iteratorI5mod_3IS6_ESG_NSB_11use_defaultESL_EENS0_5tupleIJSG_S7_EEENSN_IJSH_SH_EEES7_PlJS7_EEE10hipError_tPvRmT3_T4_T5_T6_T7_T9_mT8_P12ihipStream_tbDpT10_ENKUlT_T0_E_clISt17integral_constantIbLb0EES19_IbLb1EEEEDaS15_S16_EUlS15_E_NS1_11comp_targetILNS1_3genE2ELNS1_11target_archE906ELNS1_3gpuE6ELNS1_3repE0EEENS1_30default_config_static_selectorELNS0_4arch9wavefront6targetE0EEEvT1_ ; -- Begin function _ZN7rocprim17ROCPRIM_400000_NS6detail17trampoline_kernelINS0_14default_configENS1_25partition_config_selectorILNS1_17partition_subalgoE5E10large_dataNS0_10empty_typeEbEEZZNS1_14partition_implILS5_5ELb0ES3_mN6thrust23THRUST_200600_302600_NS6detail15normal_iteratorINSB_10device_ptrIS6_EEEEPS7_NSB_18transform_iteratorI5mod_3IS6_ESG_NSB_11use_defaultESL_EENS0_5tupleIJSG_S7_EEENSN_IJSH_SH_EEES7_PlJS7_EEE10hipError_tPvRmT3_T4_T5_T6_T7_T9_mT8_P12ihipStream_tbDpT10_ENKUlT_T0_E_clISt17integral_constantIbLb0EES19_IbLb1EEEEDaS15_S16_EUlS15_E_NS1_11comp_targetILNS1_3genE2ELNS1_11target_archE906ELNS1_3gpuE6ELNS1_3repE0EEENS1_30default_config_static_selectorELNS0_4arch9wavefront6targetE0EEEvT1_
	.globl	_ZN7rocprim17ROCPRIM_400000_NS6detail17trampoline_kernelINS0_14default_configENS1_25partition_config_selectorILNS1_17partition_subalgoE5E10large_dataNS0_10empty_typeEbEEZZNS1_14partition_implILS5_5ELb0ES3_mN6thrust23THRUST_200600_302600_NS6detail15normal_iteratorINSB_10device_ptrIS6_EEEEPS7_NSB_18transform_iteratorI5mod_3IS6_ESG_NSB_11use_defaultESL_EENS0_5tupleIJSG_S7_EEENSN_IJSH_SH_EEES7_PlJS7_EEE10hipError_tPvRmT3_T4_T5_T6_T7_T9_mT8_P12ihipStream_tbDpT10_ENKUlT_T0_E_clISt17integral_constantIbLb0EES19_IbLb1EEEEDaS15_S16_EUlS15_E_NS1_11comp_targetILNS1_3genE2ELNS1_11target_archE906ELNS1_3gpuE6ELNS1_3repE0EEENS1_30default_config_static_selectorELNS0_4arch9wavefront6targetE0EEEvT1_
	.p2align	8
	.type	_ZN7rocprim17ROCPRIM_400000_NS6detail17trampoline_kernelINS0_14default_configENS1_25partition_config_selectorILNS1_17partition_subalgoE5E10large_dataNS0_10empty_typeEbEEZZNS1_14partition_implILS5_5ELb0ES3_mN6thrust23THRUST_200600_302600_NS6detail15normal_iteratorINSB_10device_ptrIS6_EEEEPS7_NSB_18transform_iteratorI5mod_3IS6_ESG_NSB_11use_defaultESL_EENS0_5tupleIJSG_S7_EEENSN_IJSH_SH_EEES7_PlJS7_EEE10hipError_tPvRmT3_T4_T5_T6_T7_T9_mT8_P12ihipStream_tbDpT10_ENKUlT_T0_E_clISt17integral_constantIbLb0EES19_IbLb1EEEEDaS15_S16_EUlS15_E_NS1_11comp_targetILNS1_3genE2ELNS1_11target_archE906ELNS1_3gpuE6ELNS1_3repE0EEENS1_30default_config_static_selectorELNS0_4arch9wavefront6targetE0EEEvT1_,@function
_ZN7rocprim17ROCPRIM_400000_NS6detail17trampoline_kernelINS0_14default_configENS1_25partition_config_selectorILNS1_17partition_subalgoE5E10large_dataNS0_10empty_typeEbEEZZNS1_14partition_implILS5_5ELb0ES3_mN6thrust23THRUST_200600_302600_NS6detail15normal_iteratorINSB_10device_ptrIS6_EEEEPS7_NSB_18transform_iteratorI5mod_3IS6_ESG_NSB_11use_defaultESL_EENS0_5tupleIJSG_S7_EEENSN_IJSH_SH_EEES7_PlJS7_EEE10hipError_tPvRmT3_T4_T5_T6_T7_T9_mT8_P12ihipStream_tbDpT10_ENKUlT_T0_E_clISt17integral_constantIbLb0EES19_IbLb1EEEEDaS15_S16_EUlS15_E_NS1_11comp_targetILNS1_3genE2ELNS1_11target_archE906ELNS1_3gpuE6ELNS1_3repE0EEENS1_30default_config_static_selectorELNS0_4arch9wavefront6targetE0EEEvT1_: ; @_ZN7rocprim17ROCPRIM_400000_NS6detail17trampoline_kernelINS0_14default_configENS1_25partition_config_selectorILNS1_17partition_subalgoE5E10large_dataNS0_10empty_typeEbEEZZNS1_14partition_implILS5_5ELb0ES3_mN6thrust23THRUST_200600_302600_NS6detail15normal_iteratorINSB_10device_ptrIS6_EEEEPS7_NSB_18transform_iteratorI5mod_3IS6_ESG_NSB_11use_defaultESL_EENS0_5tupleIJSG_S7_EEENSN_IJSH_SH_EEES7_PlJS7_EEE10hipError_tPvRmT3_T4_T5_T6_T7_T9_mT8_P12ihipStream_tbDpT10_ENKUlT_T0_E_clISt17integral_constantIbLb0EES19_IbLb1EEEEDaS15_S16_EUlS15_E_NS1_11comp_targetILNS1_3genE2ELNS1_11target_archE906ELNS1_3gpuE6ELNS1_3repE0EEENS1_30default_config_static_selectorELNS0_4arch9wavefront6targetE0EEEvT1_
; %bb.0:
	.section	.rodata,"a",@progbits
	.p2align	6, 0x0
	.amdhsa_kernel _ZN7rocprim17ROCPRIM_400000_NS6detail17trampoline_kernelINS0_14default_configENS1_25partition_config_selectorILNS1_17partition_subalgoE5E10large_dataNS0_10empty_typeEbEEZZNS1_14partition_implILS5_5ELb0ES3_mN6thrust23THRUST_200600_302600_NS6detail15normal_iteratorINSB_10device_ptrIS6_EEEEPS7_NSB_18transform_iteratorI5mod_3IS6_ESG_NSB_11use_defaultESL_EENS0_5tupleIJSG_S7_EEENSN_IJSH_SH_EEES7_PlJS7_EEE10hipError_tPvRmT3_T4_T5_T6_T7_T9_mT8_P12ihipStream_tbDpT10_ENKUlT_T0_E_clISt17integral_constantIbLb0EES19_IbLb1EEEEDaS15_S16_EUlS15_E_NS1_11comp_targetILNS1_3genE2ELNS1_11target_archE906ELNS1_3gpuE6ELNS1_3repE0EEENS1_30default_config_static_selectorELNS0_4arch9wavefront6targetE0EEEvT1_
		.amdhsa_group_segment_fixed_size 0
		.amdhsa_private_segment_fixed_size 0
		.amdhsa_kernarg_size 136
		.amdhsa_user_sgpr_count 15
		.amdhsa_user_sgpr_dispatch_ptr 0
		.amdhsa_user_sgpr_queue_ptr 0
		.amdhsa_user_sgpr_kernarg_segment_ptr 1
		.amdhsa_user_sgpr_dispatch_id 0
		.amdhsa_user_sgpr_private_segment_size 0
		.amdhsa_wavefront_size32 1
		.amdhsa_uses_dynamic_stack 0
		.amdhsa_enable_private_segment 0
		.amdhsa_system_sgpr_workgroup_id_x 1
		.amdhsa_system_sgpr_workgroup_id_y 0
		.amdhsa_system_sgpr_workgroup_id_z 0
		.amdhsa_system_sgpr_workgroup_info 0
		.amdhsa_system_vgpr_workitem_id 0
		.amdhsa_next_free_vgpr 1
		.amdhsa_next_free_sgpr 1
		.amdhsa_reserve_vcc 0
		.amdhsa_float_round_mode_32 0
		.amdhsa_float_round_mode_16_64 0
		.amdhsa_float_denorm_mode_32 3
		.amdhsa_float_denorm_mode_16_64 3
		.amdhsa_dx10_clamp 1
		.amdhsa_ieee_mode 1
		.amdhsa_fp16_overflow 0
		.amdhsa_workgroup_processor_mode 1
		.amdhsa_memory_ordered 1
		.amdhsa_forward_progress 0
		.amdhsa_shared_vgpr_count 0
		.amdhsa_exception_fp_ieee_invalid_op 0
		.amdhsa_exception_fp_denorm_src 0
		.amdhsa_exception_fp_ieee_div_zero 0
		.amdhsa_exception_fp_ieee_overflow 0
		.amdhsa_exception_fp_ieee_underflow 0
		.amdhsa_exception_fp_ieee_inexact 0
		.amdhsa_exception_int_div_zero 0
	.end_amdhsa_kernel
	.section	.text._ZN7rocprim17ROCPRIM_400000_NS6detail17trampoline_kernelINS0_14default_configENS1_25partition_config_selectorILNS1_17partition_subalgoE5E10large_dataNS0_10empty_typeEbEEZZNS1_14partition_implILS5_5ELb0ES3_mN6thrust23THRUST_200600_302600_NS6detail15normal_iteratorINSB_10device_ptrIS6_EEEEPS7_NSB_18transform_iteratorI5mod_3IS6_ESG_NSB_11use_defaultESL_EENS0_5tupleIJSG_S7_EEENSN_IJSH_SH_EEES7_PlJS7_EEE10hipError_tPvRmT3_T4_T5_T6_T7_T9_mT8_P12ihipStream_tbDpT10_ENKUlT_T0_E_clISt17integral_constantIbLb0EES19_IbLb1EEEEDaS15_S16_EUlS15_E_NS1_11comp_targetILNS1_3genE2ELNS1_11target_archE906ELNS1_3gpuE6ELNS1_3repE0EEENS1_30default_config_static_selectorELNS0_4arch9wavefront6targetE0EEEvT1_,"axG",@progbits,_ZN7rocprim17ROCPRIM_400000_NS6detail17trampoline_kernelINS0_14default_configENS1_25partition_config_selectorILNS1_17partition_subalgoE5E10large_dataNS0_10empty_typeEbEEZZNS1_14partition_implILS5_5ELb0ES3_mN6thrust23THRUST_200600_302600_NS6detail15normal_iteratorINSB_10device_ptrIS6_EEEEPS7_NSB_18transform_iteratorI5mod_3IS6_ESG_NSB_11use_defaultESL_EENS0_5tupleIJSG_S7_EEENSN_IJSH_SH_EEES7_PlJS7_EEE10hipError_tPvRmT3_T4_T5_T6_T7_T9_mT8_P12ihipStream_tbDpT10_ENKUlT_T0_E_clISt17integral_constantIbLb0EES19_IbLb1EEEEDaS15_S16_EUlS15_E_NS1_11comp_targetILNS1_3genE2ELNS1_11target_archE906ELNS1_3gpuE6ELNS1_3repE0EEENS1_30default_config_static_selectorELNS0_4arch9wavefront6targetE0EEEvT1_,comdat
.Lfunc_end715:
	.size	_ZN7rocprim17ROCPRIM_400000_NS6detail17trampoline_kernelINS0_14default_configENS1_25partition_config_selectorILNS1_17partition_subalgoE5E10large_dataNS0_10empty_typeEbEEZZNS1_14partition_implILS5_5ELb0ES3_mN6thrust23THRUST_200600_302600_NS6detail15normal_iteratorINSB_10device_ptrIS6_EEEEPS7_NSB_18transform_iteratorI5mod_3IS6_ESG_NSB_11use_defaultESL_EENS0_5tupleIJSG_S7_EEENSN_IJSH_SH_EEES7_PlJS7_EEE10hipError_tPvRmT3_T4_T5_T6_T7_T9_mT8_P12ihipStream_tbDpT10_ENKUlT_T0_E_clISt17integral_constantIbLb0EES19_IbLb1EEEEDaS15_S16_EUlS15_E_NS1_11comp_targetILNS1_3genE2ELNS1_11target_archE906ELNS1_3gpuE6ELNS1_3repE0EEENS1_30default_config_static_selectorELNS0_4arch9wavefront6targetE0EEEvT1_, .Lfunc_end715-_ZN7rocprim17ROCPRIM_400000_NS6detail17trampoline_kernelINS0_14default_configENS1_25partition_config_selectorILNS1_17partition_subalgoE5E10large_dataNS0_10empty_typeEbEEZZNS1_14partition_implILS5_5ELb0ES3_mN6thrust23THRUST_200600_302600_NS6detail15normal_iteratorINSB_10device_ptrIS6_EEEEPS7_NSB_18transform_iteratorI5mod_3IS6_ESG_NSB_11use_defaultESL_EENS0_5tupleIJSG_S7_EEENSN_IJSH_SH_EEES7_PlJS7_EEE10hipError_tPvRmT3_T4_T5_T6_T7_T9_mT8_P12ihipStream_tbDpT10_ENKUlT_T0_E_clISt17integral_constantIbLb0EES19_IbLb1EEEEDaS15_S16_EUlS15_E_NS1_11comp_targetILNS1_3genE2ELNS1_11target_archE906ELNS1_3gpuE6ELNS1_3repE0EEENS1_30default_config_static_selectorELNS0_4arch9wavefront6targetE0EEEvT1_
                                        ; -- End function
	.section	.AMDGPU.csdata,"",@progbits
; Kernel info:
; codeLenInByte = 0
; NumSgprs: 0
; NumVgprs: 0
; ScratchSize: 0
; MemoryBound: 0
; FloatMode: 240
; IeeeMode: 1
; LDSByteSize: 0 bytes/workgroup (compile time only)
; SGPRBlocks: 0
; VGPRBlocks: 0
; NumSGPRsForWavesPerEU: 1
; NumVGPRsForWavesPerEU: 1
; Occupancy: 16
; WaveLimiterHint : 0
; COMPUTE_PGM_RSRC2:SCRATCH_EN: 0
; COMPUTE_PGM_RSRC2:USER_SGPR: 15
; COMPUTE_PGM_RSRC2:TRAP_HANDLER: 0
; COMPUTE_PGM_RSRC2:TGID_X_EN: 1
; COMPUTE_PGM_RSRC2:TGID_Y_EN: 0
; COMPUTE_PGM_RSRC2:TGID_Z_EN: 0
; COMPUTE_PGM_RSRC2:TIDIG_COMP_CNT: 0
	.section	.text._ZN7rocprim17ROCPRIM_400000_NS6detail17trampoline_kernelINS0_14default_configENS1_25partition_config_selectorILNS1_17partition_subalgoE5E10large_dataNS0_10empty_typeEbEEZZNS1_14partition_implILS5_5ELb0ES3_mN6thrust23THRUST_200600_302600_NS6detail15normal_iteratorINSB_10device_ptrIS6_EEEEPS7_NSB_18transform_iteratorI5mod_3IS6_ESG_NSB_11use_defaultESL_EENS0_5tupleIJSG_S7_EEENSN_IJSH_SH_EEES7_PlJS7_EEE10hipError_tPvRmT3_T4_T5_T6_T7_T9_mT8_P12ihipStream_tbDpT10_ENKUlT_T0_E_clISt17integral_constantIbLb0EES19_IbLb1EEEEDaS15_S16_EUlS15_E_NS1_11comp_targetILNS1_3genE10ELNS1_11target_archE1200ELNS1_3gpuE4ELNS1_3repE0EEENS1_30default_config_static_selectorELNS0_4arch9wavefront6targetE0EEEvT1_,"axG",@progbits,_ZN7rocprim17ROCPRIM_400000_NS6detail17trampoline_kernelINS0_14default_configENS1_25partition_config_selectorILNS1_17partition_subalgoE5E10large_dataNS0_10empty_typeEbEEZZNS1_14partition_implILS5_5ELb0ES3_mN6thrust23THRUST_200600_302600_NS6detail15normal_iteratorINSB_10device_ptrIS6_EEEEPS7_NSB_18transform_iteratorI5mod_3IS6_ESG_NSB_11use_defaultESL_EENS0_5tupleIJSG_S7_EEENSN_IJSH_SH_EEES7_PlJS7_EEE10hipError_tPvRmT3_T4_T5_T6_T7_T9_mT8_P12ihipStream_tbDpT10_ENKUlT_T0_E_clISt17integral_constantIbLb0EES19_IbLb1EEEEDaS15_S16_EUlS15_E_NS1_11comp_targetILNS1_3genE10ELNS1_11target_archE1200ELNS1_3gpuE4ELNS1_3repE0EEENS1_30default_config_static_selectorELNS0_4arch9wavefront6targetE0EEEvT1_,comdat
	.protected	_ZN7rocprim17ROCPRIM_400000_NS6detail17trampoline_kernelINS0_14default_configENS1_25partition_config_selectorILNS1_17partition_subalgoE5E10large_dataNS0_10empty_typeEbEEZZNS1_14partition_implILS5_5ELb0ES3_mN6thrust23THRUST_200600_302600_NS6detail15normal_iteratorINSB_10device_ptrIS6_EEEEPS7_NSB_18transform_iteratorI5mod_3IS6_ESG_NSB_11use_defaultESL_EENS0_5tupleIJSG_S7_EEENSN_IJSH_SH_EEES7_PlJS7_EEE10hipError_tPvRmT3_T4_T5_T6_T7_T9_mT8_P12ihipStream_tbDpT10_ENKUlT_T0_E_clISt17integral_constantIbLb0EES19_IbLb1EEEEDaS15_S16_EUlS15_E_NS1_11comp_targetILNS1_3genE10ELNS1_11target_archE1200ELNS1_3gpuE4ELNS1_3repE0EEENS1_30default_config_static_selectorELNS0_4arch9wavefront6targetE0EEEvT1_ ; -- Begin function _ZN7rocprim17ROCPRIM_400000_NS6detail17trampoline_kernelINS0_14default_configENS1_25partition_config_selectorILNS1_17partition_subalgoE5E10large_dataNS0_10empty_typeEbEEZZNS1_14partition_implILS5_5ELb0ES3_mN6thrust23THRUST_200600_302600_NS6detail15normal_iteratorINSB_10device_ptrIS6_EEEEPS7_NSB_18transform_iteratorI5mod_3IS6_ESG_NSB_11use_defaultESL_EENS0_5tupleIJSG_S7_EEENSN_IJSH_SH_EEES7_PlJS7_EEE10hipError_tPvRmT3_T4_T5_T6_T7_T9_mT8_P12ihipStream_tbDpT10_ENKUlT_T0_E_clISt17integral_constantIbLb0EES19_IbLb1EEEEDaS15_S16_EUlS15_E_NS1_11comp_targetILNS1_3genE10ELNS1_11target_archE1200ELNS1_3gpuE4ELNS1_3repE0EEENS1_30default_config_static_selectorELNS0_4arch9wavefront6targetE0EEEvT1_
	.globl	_ZN7rocprim17ROCPRIM_400000_NS6detail17trampoline_kernelINS0_14default_configENS1_25partition_config_selectorILNS1_17partition_subalgoE5E10large_dataNS0_10empty_typeEbEEZZNS1_14partition_implILS5_5ELb0ES3_mN6thrust23THRUST_200600_302600_NS6detail15normal_iteratorINSB_10device_ptrIS6_EEEEPS7_NSB_18transform_iteratorI5mod_3IS6_ESG_NSB_11use_defaultESL_EENS0_5tupleIJSG_S7_EEENSN_IJSH_SH_EEES7_PlJS7_EEE10hipError_tPvRmT3_T4_T5_T6_T7_T9_mT8_P12ihipStream_tbDpT10_ENKUlT_T0_E_clISt17integral_constantIbLb0EES19_IbLb1EEEEDaS15_S16_EUlS15_E_NS1_11comp_targetILNS1_3genE10ELNS1_11target_archE1200ELNS1_3gpuE4ELNS1_3repE0EEENS1_30default_config_static_selectorELNS0_4arch9wavefront6targetE0EEEvT1_
	.p2align	8
	.type	_ZN7rocprim17ROCPRIM_400000_NS6detail17trampoline_kernelINS0_14default_configENS1_25partition_config_selectorILNS1_17partition_subalgoE5E10large_dataNS0_10empty_typeEbEEZZNS1_14partition_implILS5_5ELb0ES3_mN6thrust23THRUST_200600_302600_NS6detail15normal_iteratorINSB_10device_ptrIS6_EEEEPS7_NSB_18transform_iteratorI5mod_3IS6_ESG_NSB_11use_defaultESL_EENS0_5tupleIJSG_S7_EEENSN_IJSH_SH_EEES7_PlJS7_EEE10hipError_tPvRmT3_T4_T5_T6_T7_T9_mT8_P12ihipStream_tbDpT10_ENKUlT_T0_E_clISt17integral_constantIbLb0EES19_IbLb1EEEEDaS15_S16_EUlS15_E_NS1_11comp_targetILNS1_3genE10ELNS1_11target_archE1200ELNS1_3gpuE4ELNS1_3repE0EEENS1_30default_config_static_selectorELNS0_4arch9wavefront6targetE0EEEvT1_,@function
_ZN7rocprim17ROCPRIM_400000_NS6detail17trampoline_kernelINS0_14default_configENS1_25partition_config_selectorILNS1_17partition_subalgoE5E10large_dataNS0_10empty_typeEbEEZZNS1_14partition_implILS5_5ELb0ES3_mN6thrust23THRUST_200600_302600_NS6detail15normal_iteratorINSB_10device_ptrIS6_EEEEPS7_NSB_18transform_iteratorI5mod_3IS6_ESG_NSB_11use_defaultESL_EENS0_5tupleIJSG_S7_EEENSN_IJSH_SH_EEES7_PlJS7_EEE10hipError_tPvRmT3_T4_T5_T6_T7_T9_mT8_P12ihipStream_tbDpT10_ENKUlT_T0_E_clISt17integral_constantIbLb0EES19_IbLb1EEEEDaS15_S16_EUlS15_E_NS1_11comp_targetILNS1_3genE10ELNS1_11target_archE1200ELNS1_3gpuE4ELNS1_3repE0EEENS1_30default_config_static_selectorELNS0_4arch9wavefront6targetE0EEEvT1_: ; @_ZN7rocprim17ROCPRIM_400000_NS6detail17trampoline_kernelINS0_14default_configENS1_25partition_config_selectorILNS1_17partition_subalgoE5E10large_dataNS0_10empty_typeEbEEZZNS1_14partition_implILS5_5ELb0ES3_mN6thrust23THRUST_200600_302600_NS6detail15normal_iteratorINSB_10device_ptrIS6_EEEEPS7_NSB_18transform_iteratorI5mod_3IS6_ESG_NSB_11use_defaultESL_EENS0_5tupleIJSG_S7_EEENSN_IJSH_SH_EEES7_PlJS7_EEE10hipError_tPvRmT3_T4_T5_T6_T7_T9_mT8_P12ihipStream_tbDpT10_ENKUlT_T0_E_clISt17integral_constantIbLb0EES19_IbLb1EEEEDaS15_S16_EUlS15_E_NS1_11comp_targetILNS1_3genE10ELNS1_11target_archE1200ELNS1_3gpuE4ELNS1_3repE0EEENS1_30default_config_static_selectorELNS0_4arch9wavefront6targetE0EEEvT1_
; %bb.0:
	.section	.rodata,"a",@progbits
	.p2align	6, 0x0
	.amdhsa_kernel _ZN7rocprim17ROCPRIM_400000_NS6detail17trampoline_kernelINS0_14default_configENS1_25partition_config_selectorILNS1_17partition_subalgoE5E10large_dataNS0_10empty_typeEbEEZZNS1_14partition_implILS5_5ELb0ES3_mN6thrust23THRUST_200600_302600_NS6detail15normal_iteratorINSB_10device_ptrIS6_EEEEPS7_NSB_18transform_iteratorI5mod_3IS6_ESG_NSB_11use_defaultESL_EENS0_5tupleIJSG_S7_EEENSN_IJSH_SH_EEES7_PlJS7_EEE10hipError_tPvRmT3_T4_T5_T6_T7_T9_mT8_P12ihipStream_tbDpT10_ENKUlT_T0_E_clISt17integral_constantIbLb0EES19_IbLb1EEEEDaS15_S16_EUlS15_E_NS1_11comp_targetILNS1_3genE10ELNS1_11target_archE1200ELNS1_3gpuE4ELNS1_3repE0EEENS1_30default_config_static_selectorELNS0_4arch9wavefront6targetE0EEEvT1_
		.amdhsa_group_segment_fixed_size 0
		.amdhsa_private_segment_fixed_size 0
		.amdhsa_kernarg_size 136
		.amdhsa_user_sgpr_count 15
		.amdhsa_user_sgpr_dispatch_ptr 0
		.amdhsa_user_sgpr_queue_ptr 0
		.amdhsa_user_sgpr_kernarg_segment_ptr 1
		.amdhsa_user_sgpr_dispatch_id 0
		.amdhsa_user_sgpr_private_segment_size 0
		.amdhsa_wavefront_size32 1
		.amdhsa_uses_dynamic_stack 0
		.amdhsa_enable_private_segment 0
		.amdhsa_system_sgpr_workgroup_id_x 1
		.amdhsa_system_sgpr_workgroup_id_y 0
		.amdhsa_system_sgpr_workgroup_id_z 0
		.amdhsa_system_sgpr_workgroup_info 0
		.amdhsa_system_vgpr_workitem_id 0
		.amdhsa_next_free_vgpr 1
		.amdhsa_next_free_sgpr 1
		.amdhsa_reserve_vcc 0
		.amdhsa_float_round_mode_32 0
		.amdhsa_float_round_mode_16_64 0
		.amdhsa_float_denorm_mode_32 3
		.amdhsa_float_denorm_mode_16_64 3
		.amdhsa_dx10_clamp 1
		.amdhsa_ieee_mode 1
		.amdhsa_fp16_overflow 0
		.amdhsa_workgroup_processor_mode 1
		.amdhsa_memory_ordered 1
		.amdhsa_forward_progress 0
		.amdhsa_shared_vgpr_count 0
		.amdhsa_exception_fp_ieee_invalid_op 0
		.amdhsa_exception_fp_denorm_src 0
		.amdhsa_exception_fp_ieee_div_zero 0
		.amdhsa_exception_fp_ieee_overflow 0
		.amdhsa_exception_fp_ieee_underflow 0
		.amdhsa_exception_fp_ieee_inexact 0
		.amdhsa_exception_int_div_zero 0
	.end_amdhsa_kernel
	.section	.text._ZN7rocprim17ROCPRIM_400000_NS6detail17trampoline_kernelINS0_14default_configENS1_25partition_config_selectorILNS1_17partition_subalgoE5E10large_dataNS0_10empty_typeEbEEZZNS1_14partition_implILS5_5ELb0ES3_mN6thrust23THRUST_200600_302600_NS6detail15normal_iteratorINSB_10device_ptrIS6_EEEEPS7_NSB_18transform_iteratorI5mod_3IS6_ESG_NSB_11use_defaultESL_EENS0_5tupleIJSG_S7_EEENSN_IJSH_SH_EEES7_PlJS7_EEE10hipError_tPvRmT3_T4_T5_T6_T7_T9_mT8_P12ihipStream_tbDpT10_ENKUlT_T0_E_clISt17integral_constantIbLb0EES19_IbLb1EEEEDaS15_S16_EUlS15_E_NS1_11comp_targetILNS1_3genE10ELNS1_11target_archE1200ELNS1_3gpuE4ELNS1_3repE0EEENS1_30default_config_static_selectorELNS0_4arch9wavefront6targetE0EEEvT1_,"axG",@progbits,_ZN7rocprim17ROCPRIM_400000_NS6detail17trampoline_kernelINS0_14default_configENS1_25partition_config_selectorILNS1_17partition_subalgoE5E10large_dataNS0_10empty_typeEbEEZZNS1_14partition_implILS5_5ELb0ES3_mN6thrust23THRUST_200600_302600_NS6detail15normal_iteratorINSB_10device_ptrIS6_EEEEPS7_NSB_18transform_iteratorI5mod_3IS6_ESG_NSB_11use_defaultESL_EENS0_5tupleIJSG_S7_EEENSN_IJSH_SH_EEES7_PlJS7_EEE10hipError_tPvRmT3_T4_T5_T6_T7_T9_mT8_P12ihipStream_tbDpT10_ENKUlT_T0_E_clISt17integral_constantIbLb0EES19_IbLb1EEEEDaS15_S16_EUlS15_E_NS1_11comp_targetILNS1_3genE10ELNS1_11target_archE1200ELNS1_3gpuE4ELNS1_3repE0EEENS1_30default_config_static_selectorELNS0_4arch9wavefront6targetE0EEEvT1_,comdat
.Lfunc_end716:
	.size	_ZN7rocprim17ROCPRIM_400000_NS6detail17trampoline_kernelINS0_14default_configENS1_25partition_config_selectorILNS1_17partition_subalgoE5E10large_dataNS0_10empty_typeEbEEZZNS1_14partition_implILS5_5ELb0ES3_mN6thrust23THRUST_200600_302600_NS6detail15normal_iteratorINSB_10device_ptrIS6_EEEEPS7_NSB_18transform_iteratorI5mod_3IS6_ESG_NSB_11use_defaultESL_EENS0_5tupleIJSG_S7_EEENSN_IJSH_SH_EEES7_PlJS7_EEE10hipError_tPvRmT3_T4_T5_T6_T7_T9_mT8_P12ihipStream_tbDpT10_ENKUlT_T0_E_clISt17integral_constantIbLb0EES19_IbLb1EEEEDaS15_S16_EUlS15_E_NS1_11comp_targetILNS1_3genE10ELNS1_11target_archE1200ELNS1_3gpuE4ELNS1_3repE0EEENS1_30default_config_static_selectorELNS0_4arch9wavefront6targetE0EEEvT1_, .Lfunc_end716-_ZN7rocprim17ROCPRIM_400000_NS6detail17trampoline_kernelINS0_14default_configENS1_25partition_config_selectorILNS1_17partition_subalgoE5E10large_dataNS0_10empty_typeEbEEZZNS1_14partition_implILS5_5ELb0ES3_mN6thrust23THRUST_200600_302600_NS6detail15normal_iteratorINSB_10device_ptrIS6_EEEEPS7_NSB_18transform_iteratorI5mod_3IS6_ESG_NSB_11use_defaultESL_EENS0_5tupleIJSG_S7_EEENSN_IJSH_SH_EEES7_PlJS7_EEE10hipError_tPvRmT3_T4_T5_T6_T7_T9_mT8_P12ihipStream_tbDpT10_ENKUlT_T0_E_clISt17integral_constantIbLb0EES19_IbLb1EEEEDaS15_S16_EUlS15_E_NS1_11comp_targetILNS1_3genE10ELNS1_11target_archE1200ELNS1_3gpuE4ELNS1_3repE0EEENS1_30default_config_static_selectorELNS0_4arch9wavefront6targetE0EEEvT1_
                                        ; -- End function
	.section	.AMDGPU.csdata,"",@progbits
; Kernel info:
; codeLenInByte = 0
; NumSgprs: 0
; NumVgprs: 0
; ScratchSize: 0
; MemoryBound: 0
; FloatMode: 240
; IeeeMode: 1
; LDSByteSize: 0 bytes/workgroup (compile time only)
; SGPRBlocks: 0
; VGPRBlocks: 0
; NumSGPRsForWavesPerEU: 1
; NumVGPRsForWavesPerEU: 1
; Occupancy: 16
; WaveLimiterHint : 0
; COMPUTE_PGM_RSRC2:SCRATCH_EN: 0
; COMPUTE_PGM_RSRC2:USER_SGPR: 15
; COMPUTE_PGM_RSRC2:TRAP_HANDLER: 0
; COMPUTE_PGM_RSRC2:TGID_X_EN: 1
; COMPUTE_PGM_RSRC2:TGID_Y_EN: 0
; COMPUTE_PGM_RSRC2:TGID_Z_EN: 0
; COMPUTE_PGM_RSRC2:TIDIG_COMP_CNT: 0
	.section	.text._ZN7rocprim17ROCPRIM_400000_NS6detail17trampoline_kernelINS0_14default_configENS1_25partition_config_selectorILNS1_17partition_subalgoE5E10large_dataNS0_10empty_typeEbEEZZNS1_14partition_implILS5_5ELb0ES3_mN6thrust23THRUST_200600_302600_NS6detail15normal_iteratorINSB_10device_ptrIS6_EEEEPS7_NSB_18transform_iteratorI5mod_3IS6_ESG_NSB_11use_defaultESL_EENS0_5tupleIJSG_S7_EEENSN_IJSH_SH_EEES7_PlJS7_EEE10hipError_tPvRmT3_T4_T5_T6_T7_T9_mT8_P12ihipStream_tbDpT10_ENKUlT_T0_E_clISt17integral_constantIbLb0EES19_IbLb1EEEEDaS15_S16_EUlS15_E_NS1_11comp_targetILNS1_3genE9ELNS1_11target_archE1100ELNS1_3gpuE3ELNS1_3repE0EEENS1_30default_config_static_selectorELNS0_4arch9wavefront6targetE0EEEvT1_,"axG",@progbits,_ZN7rocprim17ROCPRIM_400000_NS6detail17trampoline_kernelINS0_14default_configENS1_25partition_config_selectorILNS1_17partition_subalgoE5E10large_dataNS0_10empty_typeEbEEZZNS1_14partition_implILS5_5ELb0ES3_mN6thrust23THRUST_200600_302600_NS6detail15normal_iteratorINSB_10device_ptrIS6_EEEEPS7_NSB_18transform_iteratorI5mod_3IS6_ESG_NSB_11use_defaultESL_EENS0_5tupleIJSG_S7_EEENSN_IJSH_SH_EEES7_PlJS7_EEE10hipError_tPvRmT3_T4_T5_T6_T7_T9_mT8_P12ihipStream_tbDpT10_ENKUlT_T0_E_clISt17integral_constantIbLb0EES19_IbLb1EEEEDaS15_S16_EUlS15_E_NS1_11comp_targetILNS1_3genE9ELNS1_11target_archE1100ELNS1_3gpuE3ELNS1_3repE0EEENS1_30default_config_static_selectorELNS0_4arch9wavefront6targetE0EEEvT1_,comdat
	.protected	_ZN7rocprim17ROCPRIM_400000_NS6detail17trampoline_kernelINS0_14default_configENS1_25partition_config_selectorILNS1_17partition_subalgoE5E10large_dataNS0_10empty_typeEbEEZZNS1_14partition_implILS5_5ELb0ES3_mN6thrust23THRUST_200600_302600_NS6detail15normal_iteratorINSB_10device_ptrIS6_EEEEPS7_NSB_18transform_iteratorI5mod_3IS6_ESG_NSB_11use_defaultESL_EENS0_5tupleIJSG_S7_EEENSN_IJSH_SH_EEES7_PlJS7_EEE10hipError_tPvRmT3_T4_T5_T6_T7_T9_mT8_P12ihipStream_tbDpT10_ENKUlT_T0_E_clISt17integral_constantIbLb0EES19_IbLb1EEEEDaS15_S16_EUlS15_E_NS1_11comp_targetILNS1_3genE9ELNS1_11target_archE1100ELNS1_3gpuE3ELNS1_3repE0EEENS1_30default_config_static_selectorELNS0_4arch9wavefront6targetE0EEEvT1_ ; -- Begin function _ZN7rocprim17ROCPRIM_400000_NS6detail17trampoline_kernelINS0_14default_configENS1_25partition_config_selectorILNS1_17partition_subalgoE5E10large_dataNS0_10empty_typeEbEEZZNS1_14partition_implILS5_5ELb0ES3_mN6thrust23THRUST_200600_302600_NS6detail15normal_iteratorINSB_10device_ptrIS6_EEEEPS7_NSB_18transform_iteratorI5mod_3IS6_ESG_NSB_11use_defaultESL_EENS0_5tupleIJSG_S7_EEENSN_IJSH_SH_EEES7_PlJS7_EEE10hipError_tPvRmT3_T4_T5_T6_T7_T9_mT8_P12ihipStream_tbDpT10_ENKUlT_T0_E_clISt17integral_constantIbLb0EES19_IbLb1EEEEDaS15_S16_EUlS15_E_NS1_11comp_targetILNS1_3genE9ELNS1_11target_archE1100ELNS1_3gpuE3ELNS1_3repE0EEENS1_30default_config_static_selectorELNS0_4arch9wavefront6targetE0EEEvT1_
	.globl	_ZN7rocprim17ROCPRIM_400000_NS6detail17trampoline_kernelINS0_14default_configENS1_25partition_config_selectorILNS1_17partition_subalgoE5E10large_dataNS0_10empty_typeEbEEZZNS1_14partition_implILS5_5ELb0ES3_mN6thrust23THRUST_200600_302600_NS6detail15normal_iteratorINSB_10device_ptrIS6_EEEEPS7_NSB_18transform_iteratorI5mod_3IS6_ESG_NSB_11use_defaultESL_EENS0_5tupleIJSG_S7_EEENSN_IJSH_SH_EEES7_PlJS7_EEE10hipError_tPvRmT3_T4_T5_T6_T7_T9_mT8_P12ihipStream_tbDpT10_ENKUlT_T0_E_clISt17integral_constantIbLb0EES19_IbLb1EEEEDaS15_S16_EUlS15_E_NS1_11comp_targetILNS1_3genE9ELNS1_11target_archE1100ELNS1_3gpuE3ELNS1_3repE0EEENS1_30default_config_static_selectorELNS0_4arch9wavefront6targetE0EEEvT1_
	.p2align	8
	.type	_ZN7rocprim17ROCPRIM_400000_NS6detail17trampoline_kernelINS0_14default_configENS1_25partition_config_selectorILNS1_17partition_subalgoE5E10large_dataNS0_10empty_typeEbEEZZNS1_14partition_implILS5_5ELb0ES3_mN6thrust23THRUST_200600_302600_NS6detail15normal_iteratorINSB_10device_ptrIS6_EEEEPS7_NSB_18transform_iteratorI5mod_3IS6_ESG_NSB_11use_defaultESL_EENS0_5tupleIJSG_S7_EEENSN_IJSH_SH_EEES7_PlJS7_EEE10hipError_tPvRmT3_T4_T5_T6_T7_T9_mT8_P12ihipStream_tbDpT10_ENKUlT_T0_E_clISt17integral_constantIbLb0EES19_IbLb1EEEEDaS15_S16_EUlS15_E_NS1_11comp_targetILNS1_3genE9ELNS1_11target_archE1100ELNS1_3gpuE3ELNS1_3repE0EEENS1_30default_config_static_selectorELNS0_4arch9wavefront6targetE0EEEvT1_,@function
_ZN7rocprim17ROCPRIM_400000_NS6detail17trampoline_kernelINS0_14default_configENS1_25partition_config_selectorILNS1_17partition_subalgoE5E10large_dataNS0_10empty_typeEbEEZZNS1_14partition_implILS5_5ELb0ES3_mN6thrust23THRUST_200600_302600_NS6detail15normal_iteratorINSB_10device_ptrIS6_EEEEPS7_NSB_18transform_iteratorI5mod_3IS6_ESG_NSB_11use_defaultESL_EENS0_5tupleIJSG_S7_EEENSN_IJSH_SH_EEES7_PlJS7_EEE10hipError_tPvRmT3_T4_T5_T6_T7_T9_mT8_P12ihipStream_tbDpT10_ENKUlT_T0_E_clISt17integral_constantIbLb0EES19_IbLb1EEEEDaS15_S16_EUlS15_E_NS1_11comp_targetILNS1_3genE9ELNS1_11target_archE1100ELNS1_3gpuE3ELNS1_3repE0EEENS1_30default_config_static_selectorELNS0_4arch9wavefront6targetE0EEEvT1_: ; @_ZN7rocprim17ROCPRIM_400000_NS6detail17trampoline_kernelINS0_14default_configENS1_25partition_config_selectorILNS1_17partition_subalgoE5E10large_dataNS0_10empty_typeEbEEZZNS1_14partition_implILS5_5ELb0ES3_mN6thrust23THRUST_200600_302600_NS6detail15normal_iteratorINSB_10device_ptrIS6_EEEEPS7_NSB_18transform_iteratorI5mod_3IS6_ESG_NSB_11use_defaultESL_EENS0_5tupleIJSG_S7_EEENSN_IJSH_SH_EEES7_PlJS7_EEE10hipError_tPvRmT3_T4_T5_T6_T7_T9_mT8_P12ihipStream_tbDpT10_ENKUlT_T0_E_clISt17integral_constantIbLb0EES19_IbLb1EEEEDaS15_S16_EUlS15_E_NS1_11comp_targetILNS1_3genE9ELNS1_11target_archE1100ELNS1_3gpuE3ELNS1_3repE0EEENS1_30default_config_static_selectorELNS0_4arch9wavefront6targetE0EEEvT1_
; %bb.0:
	s_mov_b32 s2, s15
	s_clause 0x6
	s_load_b128 s[8:11], s[0:1], 0x0
	s_load_b64 s[20:21], s[0:1], 0x10
	s_load_b64 s[16:17], s[0:1], 0x20
	;; [unrolled: 1-line block ×4, first 2 shown]
	s_load_b128 s[4:7], s[0:1], 0x48
	s_load_b64 s[14:15], s[0:1], 0x68
	s_mov_b32 s3, 0
	s_delay_alu instid0(SALU_CYCLE_1) | instskip(SKIP_4) | instid1(VALU_DEP_1)
	s_lshl_b64 s[22:23], s[2:3], 18
	v_cmp_eq_u32_e64 s2, 0, v0
	s_waitcnt lgkmcnt(0)
	s_add_u32 s8, s8, s22
	s_addc_u32 s9, s9, s23
	s_and_saveexec_b32 s3, s2
	s_cbranch_execz .LBB717_4
; %bb.1:
	s_mov_b32 s23, exec_lo
	s_mov_b32 s22, exec_lo
	v_mbcnt_lo_u32_b32 v1, s23, 0
                                        ; implicit-def: $vgpr2
	s_delay_alu instid0(VALU_DEP_1)
	v_cmpx_eq_u32_e32 0, v1
	s_cbranch_execz .LBB717_3
; %bb.2:
	s_load_b64 s[24:25], s[0:1], 0x78
	s_bcnt1_i32_b32 s23, s23
	s_delay_alu instid0(SALU_CYCLE_1)
	v_dual_mov_b32 v2, 0 :: v_dual_mov_b32 v3, s23
	s_waitcnt lgkmcnt(0)
	global_atomic_add_u32 v2, v2, v3, s[24:25] glc
.LBB717_3:
	s_or_b32 exec_lo, exec_lo, s22
	s_waitcnt vmcnt(0)
	v_readfirstlane_b32 s22, v2
	s_delay_alu instid0(VALU_DEP_1)
	v_dual_mov_b32 v2, 0 :: v_dual_add_nc_u32 v1, s22, v1
	global_store_b32 v2, v1, s[8:9]
.LBB717_4:
	s_or_b32 exec_lo, exec_lo, s3
	v_mov_b32_e32 v1, 0
	s_waitcnt_vscnt null, 0x0
	s_barrier
	buffer_gl0_inv
	s_load_b32 s3, s[0:1], 0x70
	global_load_b32 v2, v1, s[8:9]
	s_waitcnt vmcnt(0) lgkmcnt(0)
	s_barrier
	buffer_gl0_inv
	global_load_b64 v[9:10], v1, s[6:7]
	s_lshl_b64 s[0:1], s[20:21], 9
	s_delay_alu instid0(SALU_CYCLE_1) | instskip(SKIP_4) | instid1(SALU_CYCLE_1)
	s_add_u32 s22, s10, s0
	s_addc_u32 s23, s11, s1
	s_add_i32 s10, s3, -1
	s_lshl_b32 s3, s3, 8
	s_lshl_b32 s6, s10, 8
	s_add_i32 s24, s20, s6
	s_add_u32 s6, s20, s3
	s_addc_u32 s7, s21, 0
	s_delay_alu instid0(SALU_CYCLE_1) | instskip(SKIP_3) | instid1(VALU_DEP_1)
	v_cmp_ge_u64_e64 s6, s[6:7], s[18:19]
	s_mov_b32 s19, -1
	s_mov_b32 s7, 0
	v_readfirstlane_b32 s11, v2
	s_cmp_eq_u32 s11, s10
	s_cselect_b32 s3, -1, 0
	s_delay_alu instid0(SALU_CYCLE_1) | instskip(NEXT) | instid1(SALU_CYCLE_1)
	s_and_b32 s6, s6, s3
	s_xor_b32 s10, s6, -1
	s_lshl_b32 s6, s11, 8
	s_and_b32 vcc_lo, exec_lo, s10
	s_cbranch_vccz .LBB717_6
; %bb.5:
	v_lshlrev_b32_e32 v3, 9, v0
	s_lshl_b64 s[20:21], s[6:7], 9
	s_delay_alu instid0(SALU_CYCLE_1) | instskip(SKIP_1) | instid1(VALU_DEP_1)
	s_add_u32 s19, s22, s20
	s_addc_u32 s20, s23, s21
	v_add_co_u32 v1, s19, s19, v3
	s_delay_alu instid0(VALU_DEP_1) | instskip(SKIP_2) | instid1(VALU_DEP_1)
	v_add_co_ci_u32_e64 v2, null, s20, 0, s19
	flat_load_u8 v4, v[1:2]
	v_add_co_u32 v1, s19, s8, v3
	v_add_co_ci_u32_e64 v2, null, s9, 0, s19
	s_mov_b32 s19, 0
	s_waitcnt vmcnt(0) lgkmcnt(0)
	global_store_b8 v3, v4, s[8:9]
	s_waitcnt_vscnt null, 0x0
	s_barrier
	s_branch .LBB717_7
.LBB717_6:
                                        ; implicit-def: $vgpr1_vgpr2
.LBB717_7:
	v_dual_mov_b32 v3, s6 :: v_dual_mov_b32 v4, s7
	s_and_not1_b32 vcc_lo, exec_lo, s19
	s_sub_i32 s18, s18, s24
	s_cbranch_vccnz .LBB717_13
; %bb.8:
	s_mov_b32 s7, exec_lo
	v_cmpx_le_u32_e64 s18, v0
	s_xor_b32 s19, exec_lo, s7
; %bb.9:
	v_mov_b32_e32 v1, 0
	s_mov_b32 s7, 0
; %bb.10:
	s_or_saveexec_b32 s19, s19
	v_dual_mov_b32 v3, s6 :: v_dual_mov_b32 v4, s7
	v_mov_b32_e32 v5, s7
	s_xor_b32 exec_lo, exec_lo, s19
	s_cbranch_execz .LBB717_12
; %bb.11:
	s_mov_b32 s7, 0
	v_lshlrev_b32_e32 v1, 9, v0
	s_lshl_b64 s[20:21], s[6:7], 9
	v_dual_mov_b32 v3, s6 :: v_dual_mov_b32 v4, s7
	s_add_u32 s20, s22, s20
	s_addc_u32 s21, s23, s21
	v_add_co_u32 v1, s20, s20, v1
	s_delay_alu instid0(VALU_DEP_1)
	v_add_co_ci_u32_e64 v2, null, s21, 0, s20
	flat_load_u8 v5, v[1:2]
	v_mov_b32_e32 v1, 0
.LBB717_12:
	s_or_b32 exec_lo, exec_lo, s19
	s_delay_alu instid0(VALU_DEP_1) | instskip(NEXT) | instid1(VALU_DEP_1)
	v_lshlrev_b64 v[1:2], 9, v[0:1]
	v_add_co_u32 v1, vcc_lo, s8, v1
	s_delay_alu instid0(VALU_DEP_2)
	v_add_co_ci_u32_e32 v2, vcc_lo, s9, v2, vcc_lo
	s_waitcnt vmcnt(0) lgkmcnt(0)
	global_store_b8 v[1:2], v5, off
	s_waitcnt_vscnt null, 0x0
	s_barrier
.LBB717_13:
	s_waitcnt vmcnt(0)
	buffer_gl0_inv
	global_load_u8 v19, v[1:2], off
	v_lshlrev_b64 v[1:2], 9, v[3:4]
	s_add_u32 s0, s16, s0
	s_addc_u32 s1, s17, s1
	s_waitcnt vmcnt(0)
	s_barrier
	buffer_gl0_inv
	v_add_co_u32 v3, vcc_lo, s0, v1
	v_add_co_ci_u32_e32 v4, vcc_lo, s1, v2, vcc_lo
	s_and_b32 vcc_lo, exec_lo, s10
	s_cbranch_vccz .LBB717_15
; %bb.14:
	v_lshlrev_b32_e32 v1, 9, v0
	s_delay_alu instid0(VALU_DEP_1) | instskip(SKIP_4) | instid1(VALU_DEP_1)
	v_add_co_u32 v1, vcc_lo, v3, v1
	v_add_co_ci_u32_e32 v2, vcc_lo, 0, v4, vcc_lo
	global_load_i8 v1, v[1:2], off
	s_waitcnt vmcnt(0)
	v_mul_lo_u32 v1, 0xaaaaaaab, v1
	v_cmp_lt_u32_e32 vcc_lo, 0x55555555, v1
	v_add_co_u32 v1, s0, s8, v0
	s_delay_alu instid0(VALU_DEP_1)
	v_add_co_ci_u32_e64 v2, null, s9, 0, s0
	v_cndmask_b32_e64 v5, 0, 1, vcc_lo
	global_store_b8 v0, v5, s[8:9]
	s_waitcnt_vscnt null, 0x0
	s_barrier
	s_cbranch_execz .LBB717_16
	s_branch .LBB717_19
.LBB717_15:
                                        ; implicit-def: $vgpr1_vgpr2
.LBB717_16:
	v_mov_b32_e32 v5, 0
	s_mov_b32 s0, exec_lo
	v_cmpx_gt_u32_e64 s18, v0
	s_cbranch_execz .LBB717_18
; %bb.17:
	v_lshlrev_b32_e32 v1, 9, v0
	s_delay_alu instid0(VALU_DEP_1) | instskip(SKIP_4) | instid1(VALU_DEP_1)
	v_add_co_u32 v1, vcc_lo, v3, v1
	v_add_co_ci_u32_e32 v2, vcc_lo, 0, v4, vcc_lo
	global_load_i8 v1, v[1:2], off
	s_waitcnt vmcnt(0)
	v_mul_lo_u32 v1, 0xaaaaaaab, v1
	v_cmp_lt_u32_e32 vcc_lo, 0x55555555, v1
	v_cndmask_b32_e64 v5, 0, 1, vcc_lo
.LBB717_18:
	s_or_b32 exec_lo, exec_lo, s0
	v_add_co_u32 v1, s0, s8, v0
	s_delay_alu instid0(VALU_DEP_1)
	v_add_co_ci_u32_e64 v2, null, s9, 0, s0
	global_store_b8 v[1:2], v5, off
	s_waitcnt_vscnt null, 0x0
	s_barrier
.LBB717_19:
	buffer_gl0_inv
	global_load_u8 v1, v[1:2], off
	v_mov_b32_e32 v12, 0
	v_mbcnt_lo_u32_b32 v20, -1, 0
	s_cmp_lg_u32 s11, 0
	s_waitcnt vmcnt(0)
	s_barrier
	buffer_gl0_inv
	v_and_b32_e32 v11, 1, v1
	v_and_b32_e32 v21, 0xff, v1
	s_cbranch_scc0 .LBB717_85
; %bb.20:
	v_dual_mov_b32 v2, v12 :: v_dual_and_b32 v7, 0xff, v1
	s_delay_alu instid0(VALU_DEP_3) | instskip(SKIP_2) | instid1(VALU_DEP_4)
	v_mov_b32_e32 v3, v11
	v_dual_mov_b32 v4, v12 :: v_dual_and_b32 v5, 15, v20
	v_mov_b32_dpp v6, v12 row_shr:1 row_mask:0xf bank_mask:0xf
	v_mov_b32_dpp v1, v7 row_shr:1 row_mask:0xf bank_mask:0xf
	s_mov_b32 s0, exec_lo
	s_delay_alu instid0(VALU_DEP_3)
	v_cmpx_ne_u32_e32 0, v5
; %bb.21:
	s_delay_alu instid0(VALU_DEP_2) | instskip(NEXT) | instid1(VALU_DEP_1)
	v_add_co_u32 v7, s1, v1, v11
	v_add_co_ci_u32_e64 v2, null, 0, 0, s1
	s_delay_alu instid0(VALU_DEP_2) | instskip(NEXT) | instid1(VALU_DEP_2)
	v_add_co_u32 v1, vcc_lo, 0, v7
	v_add_co_ci_u32_e32 v2, vcc_lo, v6, v2, vcc_lo
	s_delay_alu instid0(VALU_DEP_1)
	v_dual_mov_b32 v4, v2 :: v_dual_mov_b32 v3, v1
; %bb.22:
	s_or_b32 exec_lo, exec_lo, s0
	v_mov_b32_dpp v1, v7 row_shr:2 row_mask:0xf bank_mask:0xf
	v_mov_b32_dpp v6, v2 row_shr:2 row_mask:0xf bank_mask:0xf
	s_mov_b32 s0, exec_lo
	v_cmpx_lt_u32_e32 1, v5
; %bb.23:
	s_delay_alu instid0(VALU_DEP_3) | instskip(SKIP_1) | instid1(VALU_DEP_2)
	v_add_co_u32 v7, vcc_lo, v3, v1
	v_add_co_ci_u32_e32 v2, vcc_lo, 0, v4, vcc_lo
	v_add_co_u32 v1, vcc_lo, 0, v7
	s_delay_alu instid0(VALU_DEP_2) | instskip(NEXT) | instid1(VALU_DEP_1)
	v_add_co_ci_u32_e32 v2, vcc_lo, v6, v2, vcc_lo
	v_dual_mov_b32 v4, v2 :: v_dual_mov_b32 v3, v1
; %bb.24:
	s_or_b32 exec_lo, exec_lo, s0
	v_mov_b32_dpp v1, v7 row_shr:4 row_mask:0xf bank_mask:0xf
	v_mov_b32_dpp v6, v2 row_shr:4 row_mask:0xf bank_mask:0xf
	s_mov_b32 s0, exec_lo
	v_cmpx_lt_u32_e32 3, v5
; %bb.25:
	s_delay_alu instid0(VALU_DEP_3) | instskip(SKIP_1) | instid1(VALU_DEP_2)
	v_add_co_u32 v7, vcc_lo, v3, v1
	v_add_co_ci_u32_e32 v2, vcc_lo, 0, v4, vcc_lo
	v_add_co_u32 v1, vcc_lo, 0, v7
	s_delay_alu instid0(VALU_DEP_2) | instskip(NEXT) | instid1(VALU_DEP_1)
	v_add_co_ci_u32_e32 v2, vcc_lo, v6, v2, vcc_lo
	;; [unrolled: 14-line block ×3, first 2 shown]
	v_mov_b32_e32 v2, v4
; %bb.28:
	s_or_b32 exec_lo, exec_lo, s0
	ds_swizzle_b32 v1, v7 offset:swizzle(BROADCAST,32,15)
	ds_swizzle_b32 v5, v2 offset:swizzle(BROADCAST,32,15)
	v_and_b32_e32 v6, 16, v20
	s_mov_b32 s0, exec_lo
	s_delay_alu instid0(VALU_DEP_1)
	v_cmpx_ne_u32_e32 0, v6
	s_cbranch_execz .LBB717_30
; %bb.29:
	s_waitcnt lgkmcnt(1)
	v_add_co_u32 v7, vcc_lo, v3, v1
	v_add_co_ci_u32_e32 v2, vcc_lo, 0, v4, vcc_lo
	s_delay_alu instid0(VALU_DEP_2) | instskip(SKIP_1) | instid1(VALU_DEP_2)
	v_add_co_u32 v1, vcc_lo, 0, v7
	s_waitcnt lgkmcnt(0)
	v_add_co_ci_u32_e32 v2, vcc_lo, v5, v2, vcc_lo
	s_delay_alu instid0(VALU_DEP_1)
	v_dual_mov_b32 v4, v2 :: v_dual_mov_b32 v3, v1
.LBB717_30:
	s_or_b32 exec_lo, exec_lo, s0
	s_waitcnt lgkmcnt(0)
	v_or_b32_e32 v5, 31, v0
	v_lshrrev_b32_e32 v1, 5, v0
	s_mov_b32 s0, exec_lo
	s_delay_alu instid0(VALU_DEP_2)
	v_cmpx_eq_u32_e64 v5, v0
	s_cbranch_execz .LBB717_32
; %bb.31:
	s_delay_alu instid0(VALU_DEP_2)
	v_lshlrev_b32_e32 v5, 3, v1
	global_store_b64 v5, v[3:4], s[8:9]
.LBB717_32:
	s_or_b32 exec_lo, exec_lo, s0
	s_delay_alu instid0(SALU_CYCLE_1)
	s_mov_b32 s0, exec_lo
	s_waitcnt_vscnt null, 0x0
	s_barrier
	buffer_gl0_inv
	v_cmpx_gt_u32_e32 8, v0
	s_cbranch_execz .LBB717_40
; %bb.33:
	v_lshlrev_b32_e32 v5, 3, v0
	s_mov_b32 s1, exec_lo
	global_load_b64 v[3:4], v5, s[8:9]
	s_waitcnt vmcnt(0)
	v_dual_mov_b32 v13, v3 :: v_dual_and_b32 v8, 7, v20
	v_mov_b32_dpp v14, v3 row_shr:1 row_mask:0xf bank_mask:0xf
	v_mov_b32_dpp v6, v4 row_shr:1 row_mask:0xf bank_mask:0xf
	s_delay_alu instid0(VALU_DEP_3)
	v_cmpx_ne_u32_e32 0, v8
; %bb.34:
	s_delay_alu instid0(VALU_DEP_3) | instskip(SKIP_1) | instid1(VALU_DEP_2)
	v_add_co_u32 v13, vcc_lo, v3, v14
	v_add_co_ci_u32_e32 v4, vcc_lo, 0, v4, vcc_lo
	v_add_co_u32 v3, vcc_lo, 0, v13
	s_delay_alu instid0(VALU_DEP_2)
	v_add_co_ci_u32_e32 v4, vcc_lo, v6, v4, vcc_lo
; %bb.35:
	s_or_b32 exec_lo, exec_lo, s1
	v_add_co_u32 v5, s1, s8, v5
	s_delay_alu instid0(VALU_DEP_1)
	v_add_co_ci_u32_e64 v6, null, s9, 0, s1
	v_mov_b32_dpp v15, v13 row_shr:2 row_mask:0xf bank_mask:0xf
	v_mov_b32_dpp v14, v4 row_shr:2 row_mask:0xf bank_mask:0xf
	s_mov_b32 s1, exec_lo
	v_cmpx_lt_u32_e32 1, v8
; %bb.36:
	s_delay_alu instid0(VALU_DEP_3) | instskip(SKIP_1) | instid1(VALU_DEP_2)
	v_add_co_u32 v13, vcc_lo, v3, v15
	v_add_co_ci_u32_e32 v4, vcc_lo, 0, v4, vcc_lo
	v_add_co_u32 v3, vcc_lo, 0, v13
	s_delay_alu instid0(VALU_DEP_2)
	v_add_co_ci_u32_e32 v4, vcc_lo, v14, v4, vcc_lo
; %bb.37:
	s_or_b32 exec_lo, exec_lo, s1
	v_mov_b32_dpp v14, v13 row_shr:4 row_mask:0xf bank_mask:0xf
	s_delay_alu instid0(VALU_DEP_2)
	v_mov_b32_dpp v13, v4 row_shr:4 row_mask:0xf bank_mask:0xf
	s_mov_b32 s1, exec_lo
	v_cmpx_lt_u32_e32 3, v8
; %bb.38:
	s_delay_alu instid0(VALU_DEP_3) | instskip(SKIP_1) | instid1(VALU_DEP_2)
	v_add_co_u32 v3, vcc_lo, v3, v14
	v_add_co_ci_u32_e32 v4, vcc_lo, 0, v4, vcc_lo
	v_add_co_u32 v3, vcc_lo, v3, 0
	s_delay_alu instid0(VALU_DEP_2)
	v_add_co_ci_u32_e32 v4, vcc_lo, v4, v13, vcc_lo
; %bb.39:
	s_or_b32 exec_lo, exec_lo, s1
	global_store_b64 v[5:6], v[3:4], off
.LBB717_40:
	s_or_b32 exec_lo, exec_lo, s0
	v_cmp_gt_u32_e32 vcc_lo, 32, v0
	s_mov_b32 s1, exec_lo
	s_waitcnt_vscnt null, 0x0
	s_barrier
	buffer_gl0_inv
                                        ; implicit-def: $vgpr13_vgpr14
	v_cmpx_lt_u32_e32 31, v0
	s_cbranch_execz .LBB717_42
; %bb.41:
	v_dual_mov_b32 v4, 0 :: v_dual_add_nc_u32 v3, -1, v1
	s_delay_alu instid0(VALU_DEP_1) | instskip(NEXT) | instid1(VALU_DEP_1)
	v_lshlrev_b64 v[3:4], 3, v[3:4]
	v_add_co_u32 v3, s0, s8, v3
	s_delay_alu instid0(VALU_DEP_1) | instskip(SKIP_3) | instid1(VALU_DEP_1)
	v_add_co_ci_u32_e64 v4, s0, s9, v4, s0
	global_load_b64 v[13:14], v[3:4], off
	s_waitcnt vmcnt(0)
	v_add_co_u32 v7, s0, v7, v13
	v_add_co_ci_u32_e64 v2, s0, v2, v14, s0
.LBB717_42:
	s_or_b32 exec_lo, exec_lo, s1
	v_add_nc_u32_e32 v1, -1, v20
	s_delay_alu instid0(VALU_DEP_1) | instskip(NEXT) | instid1(VALU_DEP_1)
	v_cmp_gt_i32_e64 s0, 0, v1
	v_cndmask_b32_e64 v1, v1, v20, s0
	v_cmp_eq_u32_e64 s0, 0, v20
	s_delay_alu instid0(VALU_DEP_2)
	v_lshlrev_b32_e32 v1, 2, v1
	ds_bpermute_b32 v22, v1, v7
	ds_bpermute_b32 v23, v1, v2
	s_and_saveexec_b32 s1, vcc_lo
	s_cbranch_execz .LBB717_80
; %bb.43:
	v_mov_b32_e32 v4, 0
	global_load_b64 v[1:2], v4, s[8:9] offset:56
	s_and_saveexec_b32 s6, s0
	s_cbranch_execz .LBB717_45
; %bb.44:
	s_add_i32 s16, s11, 32
	s_mov_b32 s17, 0
	s_delay_alu instid0(SALU_CYCLE_1) | instskip(NEXT) | instid1(SALU_CYCLE_1)
	s_lshl_b64 s[16:17], s[16:17], 4
	s_add_u32 s16, s14, s16
	s_addc_u32 s17, s15, s17
	v_mov_b32_e32 v5, s16
	v_dual_mov_b32 v3, 1 :: v_dual_mov_b32 v6, s17
	s_waitcnt vmcnt(0)
	;;#ASMSTART
	global_store_dwordx4 v[5:6], v[1:4] off	
s_waitcnt vmcnt(0)
	;;#ASMEND
.LBB717_45:
	s_or_b32 exec_lo, exec_lo, s6
	v_xad_u32 v15, v20, -1, s11
	s_mov_b32 s7, 0
	s_mov_b32 s6, exec_lo
	s_delay_alu instid0(VALU_DEP_1) | instskip(NEXT) | instid1(VALU_DEP_1)
	v_add_nc_u32_e32 v3, 32, v15
	v_lshlrev_b64 v[3:4], 4, v[3:4]
	s_delay_alu instid0(VALU_DEP_1) | instskip(NEXT) | instid1(VALU_DEP_2)
	v_add_co_u32 v3, vcc_lo, s14, v3
	v_add_co_ci_u32_e32 v4, vcc_lo, s15, v4, vcc_lo
	;;#ASMSTART
	global_load_dwordx4 v[5:8], v[3:4] off glc	
s_waitcnt vmcnt(0)
	;;#ASMEND
	v_and_b32_e32 v8, 0xff, v6
	v_and_b32_e32 v16, 0xff00, v6
	v_or3_b32 v5, v5, 0, 0
	v_and_b32_e32 v17, 0xff000000, v6
	v_and_b32_e32 v6, 0xff0000, v6
	s_delay_alu instid0(VALU_DEP_4) | instskip(SKIP_2) | instid1(VALU_DEP_3)
	v_or3_b32 v8, 0, v8, v16
	v_and_b32_e32 v16, 0xff, v7
	v_or3_b32 v5, v5, 0, 0
	v_or3_b32 v6, v8, v6, v17
	s_delay_alu instid0(VALU_DEP_3)
	v_cmpx_eq_u16_e32 0, v16
	s_cbranch_execz .LBB717_48
.LBB717_46:                             ; =>This Inner Loop Header: Depth=1
	;;#ASMSTART
	global_load_dwordx4 v[5:8], v[3:4] off glc	
s_waitcnt vmcnt(0)
	;;#ASMEND
	v_and_b32_e32 v8, 0xff, v7
	s_delay_alu instid0(VALU_DEP_1) | instskip(SKIP_1) | instid1(SALU_CYCLE_1)
	v_cmp_ne_u16_e32 vcc_lo, 0, v8
	s_or_b32 s7, vcc_lo, s7
	s_and_not1_b32 exec_lo, exec_lo, s7
	s_cbranch_execnz .LBB717_46
; %bb.47:
	s_or_b32 exec_lo, exec_lo, s7
.LBB717_48:
	s_delay_alu instid0(SALU_CYCLE_1)
	s_or_b32 exec_lo, exec_lo, s6
	v_cmp_ne_u32_e32 vcc_lo, 31, v20
	v_and_b32_e32 v4, 0xff, v7
	v_lshlrev_b32_e64 v25, v20, -1
	s_mov_b32 s6, exec_lo
	v_add_co_ci_u32_e32 v3, vcc_lo, 0, v20, vcc_lo
	s_delay_alu instid0(VALU_DEP_3) | instskip(SKIP_1) | instid1(VALU_DEP_3)
	v_cmp_eq_u16_e32 vcc_lo, 2, v4
	v_mov_b32_e32 v4, v5
	v_lshlrev_b32_e32 v24, 2, v3
	v_and_or_b32 v3, vcc_lo, v25, 0x80000000
	ds_bpermute_b32 v16, v24, v5
	ds_bpermute_b32 v8, v24, v6
	v_ctz_i32_b32_e32 v3, v3
	s_delay_alu instid0(VALU_DEP_1)
	v_cmpx_lt_u32_e64 v20, v3
	s_cbranch_execz .LBB717_50
; %bb.49:
	s_waitcnt lgkmcnt(1)
	v_add_co_u32 v4, vcc_lo, v5, v16
	v_add_co_ci_u32_e32 v6, vcc_lo, 0, v6, vcc_lo
	s_delay_alu instid0(VALU_DEP_2) | instskip(SKIP_1) | instid1(VALU_DEP_2)
	v_add_co_u32 v5, vcc_lo, 0, v4
	s_waitcnt lgkmcnt(0)
	v_add_co_ci_u32_e32 v6, vcc_lo, v8, v6, vcc_lo
.LBB717_50:
	s_or_b32 exec_lo, exec_lo, s6
	v_cmp_gt_u32_e32 vcc_lo, 30, v20
	v_add_nc_u32_e32 v27, 2, v20
	s_mov_b32 s6, exec_lo
	s_waitcnt lgkmcnt(0)
	v_cndmask_b32_e64 v8, 0, 1, vcc_lo
	s_delay_alu instid0(VALU_DEP_1) | instskip(NEXT) | instid1(VALU_DEP_1)
	v_lshlrev_b32_e32 v8, 1, v8
	v_add_lshl_u32 v26, v8, v20, 2
	ds_bpermute_b32 v16, v26, v4
	ds_bpermute_b32 v8, v26, v6
	v_cmpx_le_u32_e64 v27, v3
	s_cbranch_execz .LBB717_52
; %bb.51:
	s_waitcnt lgkmcnt(1)
	v_add_co_u32 v4, vcc_lo, v5, v16
	v_add_co_ci_u32_e32 v6, vcc_lo, 0, v6, vcc_lo
	s_delay_alu instid0(VALU_DEP_2) | instskip(SKIP_1) | instid1(VALU_DEP_2)
	v_add_co_u32 v5, vcc_lo, 0, v4
	s_waitcnt lgkmcnt(0)
	v_add_co_ci_u32_e32 v6, vcc_lo, v8, v6, vcc_lo
.LBB717_52:
	s_or_b32 exec_lo, exec_lo, s6
	v_cmp_gt_u32_e32 vcc_lo, 28, v20
	v_add_nc_u32_e32 v29, 4, v20
	s_mov_b32 s6, exec_lo
	s_waitcnt lgkmcnt(0)
	v_cndmask_b32_e64 v8, 0, 1, vcc_lo
	s_delay_alu instid0(VALU_DEP_1) | instskip(NEXT) | instid1(VALU_DEP_1)
	v_lshlrev_b32_e32 v8, 2, v8
	v_add_lshl_u32 v28, v8, v20, 2
	ds_bpermute_b32 v16, v28, v4
	ds_bpermute_b32 v8, v28, v6
	v_cmpx_le_u32_e64 v29, v3
	;; [unrolled: 22-line block ×4, first 2 shown]
	s_cbranch_execz .LBB717_58
; %bb.57:
	s_waitcnt lgkmcnt(1)
	v_add_co_u32 v3, vcc_lo, v5, v8
	v_add_co_ci_u32_e32 v6, vcc_lo, 0, v6, vcc_lo
	s_delay_alu instid0(VALU_DEP_2) | instskip(SKIP_1) | instid1(VALU_DEP_2)
	v_add_co_u32 v5, vcc_lo, v3, 0
	s_waitcnt lgkmcnt(0)
	v_add_co_ci_u32_e32 v6, vcc_lo, v6, v4, vcc_lo
.LBB717_58:
	s_or_b32 exec_lo, exec_lo, s6
	v_mov_b32_e32 v16, 0
	s_branch .LBB717_60
.LBB717_59:                             ;   in Loop: Header=BB717_60 Depth=1
	s_or_b32 exec_lo, exec_lo, s6
	v_add_co_u32 v5, vcc_lo, v5, v3
	v_subrev_nc_u32_e32 v15, 32, v15
	v_add_co_ci_u32_e32 v6, vcc_lo, v6, v4, vcc_lo
.LBB717_60:                             ; =>This Loop Header: Depth=1
                                        ;     Child Loop BB717_63 Depth 2
	v_and_b32_e32 v3, 0xff, v7
	s_delay_alu instid0(VALU_DEP_1) | instskip(SKIP_2) | instid1(VALU_DEP_1)
	v_cmp_ne_u16_e32 vcc_lo, 2, v3
	v_cndmask_b32_e64 v3, 0, 1, vcc_lo
	;;#ASMSTART
	;;#ASMEND
	v_cmp_ne_u32_e32 vcc_lo, 0, v3
	s_waitcnt lgkmcnt(0)
	v_dual_mov_b32 v3, v5 :: v_dual_mov_b32 v4, v6
	s_cmp_lg_u32 vcc_lo, exec_lo
	s_cbranch_scc1 .LBB717_75
; %bb.61:                               ;   in Loop: Header=BB717_60 Depth=1
	v_lshlrev_b64 v[5:6], 4, v[15:16]
	s_mov_b32 s6, exec_lo
	s_delay_alu instid0(VALU_DEP_1) | instskip(NEXT) | instid1(VALU_DEP_2)
	v_add_co_u32 v17, vcc_lo, s14, v5
	v_add_co_ci_u32_e32 v18, vcc_lo, s15, v6, vcc_lo
	;;#ASMSTART
	global_load_dwordx4 v[5:8], v[17:18] off glc	
s_waitcnt vmcnt(0)
	;;#ASMEND
	v_and_b32_e32 v8, 0xff, v6
	v_and_b32_e32 v34, 0xff00, v6
	v_or3_b32 v5, v5, 0, 0
	v_and_b32_e32 v35, 0xff000000, v6
	v_and_b32_e32 v6, 0xff0000, v6
	s_delay_alu instid0(VALU_DEP_4) | instskip(SKIP_2) | instid1(VALU_DEP_3)
	v_or3_b32 v8, 0, v8, v34
	v_and_b32_e32 v34, 0xff, v7
	v_or3_b32 v5, v5, 0, 0
	v_or3_b32 v6, v8, v6, v35
	s_delay_alu instid0(VALU_DEP_3)
	v_cmpx_eq_u16_e32 0, v34
	s_cbranch_execz .LBB717_65
; %bb.62:                               ;   in Loop: Header=BB717_60 Depth=1
	s_mov_b32 s7, 0
.LBB717_63:                             ;   Parent Loop BB717_60 Depth=1
                                        ; =>  This Inner Loop Header: Depth=2
	;;#ASMSTART
	global_load_dwordx4 v[5:8], v[17:18] off glc	
s_waitcnt vmcnt(0)
	;;#ASMEND
	v_and_b32_e32 v8, 0xff, v7
	s_delay_alu instid0(VALU_DEP_1) | instskip(SKIP_1) | instid1(SALU_CYCLE_1)
	v_cmp_ne_u16_e32 vcc_lo, 0, v8
	s_or_b32 s7, vcc_lo, s7
	s_and_not1_b32 exec_lo, exec_lo, s7
	s_cbranch_execnz .LBB717_63
; %bb.64:                               ;   in Loop: Header=BB717_60 Depth=1
	s_or_b32 exec_lo, exec_lo, s7
.LBB717_65:                             ;   in Loop: Header=BB717_60 Depth=1
	s_delay_alu instid0(SALU_CYCLE_1)
	s_or_b32 exec_lo, exec_lo, s6
	v_dual_mov_b32 v17, v5 :: v_dual_and_b32 v8, 0xff, v7
	ds_bpermute_b32 v34, v24, v5
	ds_bpermute_b32 v18, v24, v6
	s_mov_b32 s6, exec_lo
	v_cmp_eq_u16_e32 vcc_lo, 2, v8
	v_and_or_b32 v8, vcc_lo, v25, 0x80000000
	s_delay_alu instid0(VALU_DEP_1) | instskip(NEXT) | instid1(VALU_DEP_1)
	v_ctz_i32_b32_e32 v8, v8
	v_cmpx_lt_u32_e64 v20, v8
	s_cbranch_execz .LBB717_67
; %bb.66:                               ;   in Loop: Header=BB717_60 Depth=1
	s_waitcnt lgkmcnt(1)
	v_add_co_u32 v17, vcc_lo, v5, v34
	v_add_co_ci_u32_e32 v6, vcc_lo, 0, v6, vcc_lo
	s_delay_alu instid0(VALU_DEP_2) | instskip(SKIP_1) | instid1(VALU_DEP_2)
	v_add_co_u32 v5, vcc_lo, 0, v17
	s_waitcnt lgkmcnt(0)
	v_add_co_ci_u32_e32 v6, vcc_lo, v18, v6, vcc_lo
.LBB717_67:                             ;   in Loop: Header=BB717_60 Depth=1
	s_or_b32 exec_lo, exec_lo, s6
	s_waitcnt lgkmcnt(1)
	ds_bpermute_b32 v34, v26, v17
	s_waitcnt lgkmcnt(1)
	ds_bpermute_b32 v18, v26, v6
	s_mov_b32 s6, exec_lo
	v_cmpx_le_u32_e64 v27, v8
	s_cbranch_execz .LBB717_69
; %bb.68:                               ;   in Loop: Header=BB717_60 Depth=1
	s_waitcnt lgkmcnt(1)
	v_add_co_u32 v17, vcc_lo, v5, v34
	v_add_co_ci_u32_e32 v6, vcc_lo, 0, v6, vcc_lo
	s_delay_alu instid0(VALU_DEP_2) | instskip(SKIP_1) | instid1(VALU_DEP_2)
	v_add_co_u32 v5, vcc_lo, 0, v17
	s_waitcnt lgkmcnt(0)
	v_add_co_ci_u32_e32 v6, vcc_lo, v18, v6, vcc_lo
.LBB717_69:                             ;   in Loop: Header=BB717_60 Depth=1
	s_or_b32 exec_lo, exec_lo, s6
	s_waitcnt lgkmcnt(1)
	ds_bpermute_b32 v34, v28, v17
	s_waitcnt lgkmcnt(1)
	ds_bpermute_b32 v18, v28, v6
	s_mov_b32 s6, exec_lo
	v_cmpx_le_u32_e64 v29, v8
	s_cbranch_execz .LBB717_71
; %bb.70:                               ;   in Loop: Header=BB717_60 Depth=1
	s_waitcnt lgkmcnt(1)
	v_add_co_u32 v17, vcc_lo, v5, v34
	v_add_co_ci_u32_e32 v6, vcc_lo, 0, v6, vcc_lo
	s_delay_alu instid0(VALU_DEP_2) | instskip(SKIP_1) | instid1(VALU_DEP_2)
	v_add_co_u32 v5, vcc_lo, 0, v17
	s_waitcnt lgkmcnt(0)
	v_add_co_ci_u32_e32 v6, vcc_lo, v18, v6, vcc_lo
.LBB717_71:                             ;   in Loop: Header=BB717_60 Depth=1
	s_or_b32 exec_lo, exec_lo, s6
	s_waitcnt lgkmcnt(1)
	ds_bpermute_b32 v34, v30, v17
	s_waitcnt lgkmcnt(1)
	ds_bpermute_b32 v18, v30, v6
	s_mov_b32 s6, exec_lo
	v_cmpx_le_u32_e64 v31, v8
	s_cbranch_execz .LBB717_73
; %bb.72:                               ;   in Loop: Header=BB717_60 Depth=1
	s_waitcnt lgkmcnt(1)
	v_add_co_u32 v17, vcc_lo, v5, v34
	v_add_co_ci_u32_e32 v6, vcc_lo, 0, v6, vcc_lo
	s_delay_alu instid0(VALU_DEP_2) | instskip(SKIP_1) | instid1(VALU_DEP_2)
	v_add_co_u32 v5, vcc_lo, 0, v17
	s_waitcnt lgkmcnt(0)
	v_add_co_ci_u32_e32 v6, vcc_lo, v18, v6, vcc_lo
.LBB717_73:                             ;   in Loop: Header=BB717_60 Depth=1
	s_or_b32 exec_lo, exec_lo, s6
	s_waitcnt lgkmcnt(0)
	ds_bpermute_b32 v18, v32, v17
	ds_bpermute_b32 v17, v32, v6
	s_mov_b32 s6, exec_lo
	v_cmpx_le_u32_e64 v33, v8
	s_cbranch_execz .LBB717_59
; %bb.74:                               ;   in Loop: Header=BB717_60 Depth=1
	s_waitcnt lgkmcnt(1)
	v_add_co_u32 v5, vcc_lo, v5, v18
	v_add_co_ci_u32_e32 v6, vcc_lo, 0, v6, vcc_lo
	s_delay_alu instid0(VALU_DEP_2) | instskip(SKIP_1) | instid1(VALU_DEP_2)
	v_add_co_u32 v5, vcc_lo, v5, 0
	s_waitcnt lgkmcnt(0)
	v_add_co_ci_u32_e32 v6, vcc_lo, v6, v17, vcc_lo
	s_branch .LBB717_59
.LBB717_75:                             ;   in Loop: Header=BB717_60 Depth=1
                                        ; implicit-def: $vgpr5_vgpr6
	s_cbranch_execz .LBB717_60
; %bb.76:
	s_and_saveexec_b32 s6, s0
	s_cbranch_execz .LBB717_78
; %bb.77:
	s_add_i32 s16, s11, 32
	s_mov_b32 s17, 0
	s_waitcnt vmcnt(0)
	v_add_co_u32 v5, vcc_lo, v3, v1
	s_lshl_b64 s[16:17], s[16:17], 4
	v_dual_mov_b32 v7, 2 :: v_dual_mov_b32 v8, 0
	s_add_u32 s16, s14, s16
	s_addc_u32 s17, s15, s17
	v_add_co_ci_u32_e32 v6, vcc_lo, v4, v2, vcc_lo
	v_dual_mov_b32 v15, s16 :: v_dual_mov_b32 v16, s17
	;;#ASMSTART
	global_store_dwordx4 v[15:16], v[5:8] off	
s_waitcnt vmcnt(0)
	;;#ASMEND
	ds_store_b128 v8, v[1:4]
.LBB717_78:
	s_or_b32 exec_lo, exec_lo, s6
	s_delay_alu instid0(SALU_CYCLE_1)
	s_and_b32 exec_lo, exec_lo, s2
	s_cbranch_execz .LBB717_80
; %bb.79:
	s_waitcnt vmcnt(0)
	v_mov_b32_e32 v1, 0
	global_store_b64 v1, v[3:4], s[8:9] offset:56
.LBB717_80:
	s_or_b32 exec_lo, exec_lo, s1
	s_waitcnt vmcnt(0)
	v_mov_b32_e32 v1, 0
	s_waitcnt lgkmcnt(0)
	s_waitcnt_vscnt null, 0x0
	s_barrier
	buffer_gl0_inv
	v_cndmask_b32_e64 v8, v23, v14, s0
	global_load_b64 v[6:7], v1, s[8:9] offset:56
	s_waitcnt vmcnt(0)
	s_barrier
	buffer_gl0_inv
	ds_load_b128 v[2:5], v1
	v_cndmask_b32_e64 v1, v22, v13, s0
	v_cndmask_b32_e64 v8, v8, 0, s2
	s_delay_alu instid0(VALU_DEP_2) | instskip(NEXT) | instid1(VALU_DEP_1)
	v_cndmask_b32_e64 v1, v1, 0, s2
	v_add_co_u32 v6, vcc_lo, v6, v1
	s_delay_alu instid0(VALU_DEP_3)
	v_add_co_ci_u32_e32 v7, vcc_lo, v7, v8, vcc_lo
.LBB717_81:
	s_waitcnt lgkmcnt(0)
	v_cmp_gt_u64_e32 vcc_lo, 0x101, v[2:3]
	s_mov_b32 s0, -1
	s_cbranch_vccnz .LBB717_111
.LBB717_82:
	s_and_not1_b32 vcc_lo, exec_lo, s0
	s_cbranch_vccz .LBB717_115
.LBB717_83:
	s_and_b32 s0, s2, s3
	s_delay_alu instid0(SALU_CYCLE_1)
	s_and_saveexec_b32 s1, s0
	s_cbranch_execnz .LBB717_121
.LBB717_84:
	s_nop 0
	s_sendmsg sendmsg(MSG_DEALLOC_VGPRS)
	s_endpgm
.LBB717_85:
                                        ; implicit-def: $vgpr4_vgpr5
                                        ; implicit-def: $vgpr6_vgpr7
	s_cbranch_execz .LBB717_81
; %bb.86:
	s_waitcnt lgkmcnt(0)
	v_dual_mov_b32 v4, 0 :: v_dual_and_b32 v5, 15, v20
	v_mov_b32_dpp v3, v21 row_shr:1 row_mask:0xf bank_mask:0xf
	v_dual_mov_b32 v1, v11 :: v_dual_mov_b32 v2, v12
	s_delay_alu instid0(VALU_DEP_3)
	v_mov_b32_dpp v6, v4 row_shr:1 row_mask:0xf bank_mask:0xf
	s_mov_b32 s0, exec_lo
	v_cmpx_ne_u32_e32 0, v5
; %bb.87:
	v_add_co_u32 v21, s1, v3, v11
	s_delay_alu instid0(VALU_DEP_1) | instskip(NEXT) | instid1(VALU_DEP_2)
	v_add_co_ci_u32_e64 v1, null, 0, 0, s1
	v_add_co_u32 v3, vcc_lo, 0, v21
	s_delay_alu instid0(VALU_DEP_2) | instskip(NEXT) | instid1(VALU_DEP_1)
	v_add_co_ci_u32_e32 v4, vcc_lo, v6, v1, vcc_lo
	v_dual_mov_b32 v1, v3 :: v_dual_mov_b32 v2, v4
; %bb.88:
	s_or_b32 exec_lo, exec_lo, s0
	v_mov_b32_dpp v3, v21 row_shr:2 row_mask:0xf bank_mask:0xf
	v_mov_b32_dpp v6, v4 row_shr:2 row_mask:0xf bank_mask:0xf
	s_mov_b32 s0, exec_lo
	v_cmpx_lt_u32_e32 1, v5
; %bb.89:
	s_delay_alu instid0(VALU_DEP_3) | instskip(SKIP_1) | instid1(VALU_DEP_2)
	v_add_co_u32 v21, vcc_lo, v1, v3
	v_add_co_ci_u32_e32 v1, vcc_lo, 0, v2, vcc_lo
	v_add_co_u32 v3, vcc_lo, 0, v21
	s_delay_alu instid0(VALU_DEP_2) | instskip(NEXT) | instid1(VALU_DEP_1)
	v_add_co_ci_u32_e32 v4, vcc_lo, v6, v1, vcc_lo
	v_dual_mov_b32 v1, v3 :: v_dual_mov_b32 v2, v4
; %bb.90:
	s_or_b32 exec_lo, exec_lo, s0
	v_mov_b32_dpp v3, v21 row_shr:4 row_mask:0xf bank_mask:0xf
	v_mov_b32_dpp v6, v4 row_shr:4 row_mask:0xf bank_mask:0xf
	s_mov_b32 s0, exec_lo
	v_cmpx_lt_u32_e32 3, v5
; %bb.91:
	s_delay_alu instid0(VALU_DEP_3) | instskip(SKIP_1) | instid1(VALU_DEP_2)
	v_add_co_u32 v21, vcc_lo, v1, v3
	v_add_co_ci_u32_e32 v1, vcc_lo, 0, v2, vcc_lo
	;; [unrolled: 14-line block ×3, first 2 shown]
	v_add_co_u32 v1, vcc_lo, 0, v21
	s_delay_alu instid0(VALU_DEP_2) | instskip(NEXT) | instid1(VALU_DEP_1)
	v_add_co_ci_u32_e32 v2, vcc_lo, v3, v2, vcc_lo
	v_mov_b32_e32 v4, v2
; %bb.94:
	s_or_b32 exec_lo, exec_lo, s0
	ds_swizzle_b32 v3, v21 offset:swizzle(BROADCAST,32,15)
	ds_swizzle_b32 v5, v4 offset:swizzle(BROADCAST,32,15)
	v_and_b32_e32 v6, 16, v20
	s_mov_b32 s0, exec_lo
	s_delay_alu instid0(VALU_DEP_1)
	v_cmpx_ne_u32_e32 0, v6
	s_cbranch_execz .LBB717_96
; %bb.95:
	s_waitcnt lgkmcnt(1)
	v_add_co_u32 v21, vcc_lo, v1, v3
	v_add_co_ci_u32_e32 v1, vcc_lo, 0, v2, vcc_lo
	s_delay_alu instid0(VALU_DEP_2) | instskip(SKIP_1) | instid1(VALU_DEP_2)
	v_add_co_u32 v3, vcc_lo, 0, v21
	s_waitcnt lgkmcnt(0)
	v_add_co_ci_u32_e32 v4, vcc_lo, v5, v1, vcc_lo
	s_delay_alu instid0(VALU_DEP_1)
	v_dual_mov_b32 v1, v3 :: v_dual_mov_b32 v2, v4
.LBB717_96:
	s_or_b32 exec_lo, exec_lo, s0
	s_waitcnt lgkmcnt(0)
	v_or_b32_e32 v5, 31, v0
	v_lshrrev_b32_e32 v3, 5, v0
	s_mov_b32 s0, exec_lo
	s_delay_alu instid0(VALU_DEP_2)
	v_cmpx_eq_u32_e64 v5, v0
	s_cbranch_execz .LBB717_98
; %bb.97:
	s_delay_alu instid0(VALU_DEP_2)
	v_lshlrev_b32_e32 v5, 3, v3
	global_store_b64 v5, v[1:2], s[8:9]
.LBB717_98:
	s_or_b32 exec_lo, exec_lo, s0
	s_delay_alu instid0(SALU_CYCLE_1)
	s_mov_b32 s0, exec_lo
	s_waitcnt_vscnt null, 0x0
	s_barrier
	buffer_gl0_inv
	v_cmpx_gt_u32_e32 8, v0
	s_cbranch_execz .LBB717_106
; %bb.99:
	v_lshlrev_b32_e32 v5, 3, v0
	v_and_b32_e32 v7, 7, v20
	s_mov_b32 s1, exec_lo
	global_load_b64 v[1:2], v5, s[8:9]
	s_waitcnt vmcnt(0)
	v_mov_b32_e32 v8, v1
	v_mov_b32_dpp v12, v1 row_shr:1 row_mask:0xf bank_mask:0xf
	v_mov_b32_dpp v6, v2 row_shr:1 row_mask:0xf bank_mask:0xf
	v_cmpx_ne_u32_e32 0, v7
; %bb.100:
	s_delay_alu instid0(VALU_DEP_3) | instskip(SKIP_1) | instid1(VALU_DEP_2)
	v_add_co_u32 v8, vcc_lo, v1, v12
	v_add_co_ci_u32_e32 v2, vcc_lo, 0, v2, vcc_lo
	v_add_co_u32 v1, vcc_lo, 0, v8
	s_delay_alu instid0(VALU_DEP_2)
	v_add_co_ci_u32_e32 v2, vcc_lo, v6, v2, vcc_lo
; %bb.101:
	s_or_b32 exec_lo, exec_lo, s1
	v_add_co_u32 v5, s1, s8, v5
	s_delay_alu instid0(VALU_DEP_1)
	v_add_co_ci_u32_e64 v6, null, s9, 0, s1
	v_mov_b32_dpp v13, v8 row_shr:2 row_mask:0xf bank_mask:0xf
	v_mov_b32_dpp v12, v2 row_shr:2 row_mask:0xf bank_mask:0xf
	s_mov_b32 s1, exec_lo
	v_cmpx_lt_u32_e32 1, v7
; %bb.102:
	s_delay_alu instid0(VALU_DEP_3) | instskip(SKIP_1) | instid1(VALU_DEP_2)
	v_add_co_u32 v8, vcc_lo, v1, v13
	v_add_co_ci_u32_e32 v2, vcc_lo, 0, v2, vcc_lo
	v_add_co_u32 v1, vcc_lo, 0, v8
	s_delay_alu instid0(VALU_DEP_2)
	v_add_co_ci_u32_e32 v2, vcc_lo, v12, v2, vcc_lo
; %bb.103:
	s_or_b32 exec_lo, exec_lo, s1
	v_mov_b32_dpp v12, v8 row_shr:4 row_mask:0xf bank_mask:0xf
	s_delay_alu instid0(VALU_DEP_2)
	v_mov_b32_dpp v8, v2 row_shr:4 row_mask:0xf bank_mask:0xf
	s_mov_b32 s1, exec_lo
	v_cmpx_lt_u32_e32 3, v7
; %bb.104:
	s_delay_alu instid0(VALU_DEP_3) | instskip(SKIP_1) | instid1(VALU_DEP_2)
	v_add_co_u32 v1, vcc_lo, v1, v12
	v_add_co_ci_u32_e32 v2, vcc_lo, 0, v2, vcc_lo
	v_add_co_u32 v1, vcc_lo, v1, 0
	s_delay_alu instid0(VALU_DEP_2)
	v_add_co_ci_u32_e32 v2, vcc_lo, v2, v8, vcc_lo
; %bb.105:
	s_or_b32 exec_lo, exec_lo, s1
	global_store_b64 v[5:6], v[1:2], off
.LBB717_106:
	s_or_b32 exec_lo, exec_lo, s0
	v_mov_b32_e32 v6, 0
	v_mov_b32_e32 v7, 0
	s_mov_b32 s0, exec_lo
	s_waitcnt_vscnt null, 0x0
	s_barrier
	buffer_gl0_inv
	v_cmpx_lt_u32_e32 31, v0
	s_cbranch_execz .LBB717_108
; %bb.107:
	v_dual_mov_b32 v2, 0 :: v_dual_add_nc_u32 v1, -1, v3
	s_delay_alu instid0(VALU_DEP_1) | instskip(NEXT) | instid1(VALU_DEP_1)
	v_lshlrev_b64 v[1:2], 3, v[1:2]
	v_add_co_u32 v1, vcc_lo, s8, v1
	s_delay_alu instid0(VALU_DEP_2)
	v_add_co_ci_u32_e32 v2, vcc_lo, s9, v2, vcc_lo
	global_load_b64 v[6:7], v[1:2], off
.LBB717_108:
	s_or_b32 exec_lo, exec_lo, s0
	v_add_nc_u32_e32 v1, -1, v20
	s_delay_alu instid0(VALU_DEP_1) | instskip(SKIP_1) | instid1(VALU_DEP_1)
	v_cmp_gt_i32_e32 vcc_lo, 0, v1
	v_cndmask_b32_e32 v1, v1, v20, vcc_lo
	v_dual_mov_b32 v5, 0 :: v_dual_lshlrev_b32 v8, 2, v1
	global_load_b64 v[2:3], v5, s[8:9] offset:56
	s_waitcnt vmcnt(1)
	v_add_co_u32 v1, vcc_lo, v21, v6
	v_add_co_ci_u32_e32 v4, vcc_lo, v4, v7, vcc_lo
	ds_bpermute_b32 v1, v8, v1
	ds_bpermute_b32 v8, v8, v4
	s_and_saveexec_b32 s0, s2
	s_cbranch_execz .LBB717_110
; %bb.109:
	s_add_u32 s6, s14, 0x200
	s_addc_u32 s7, s15, 0
	s_delay_alu instid0(SALU_CYCLE_1)
	v_dual_mov_b32 v4, 2 :: v_dual_mov_b32 v13, s7
	v_mov_b32_e32 v12, s6
	s_waitcnt vmcnt(0)
	;;#ASMSTART
	global_store_dwordx4 v[12:13], v[2:5] off	
s_waitcnt vmcnt(0)
	;;#ASMEND
.LBB717_110:
	s_or_b32 exec_lo, exec_lo, s0
	v_cmp_eq_u32_e32 vcc_lo, 0, v20
	s_waitcnt vmcnt(0) lgkmcnt(0)
	s_barrier
	buffer_gl0_inv
	v_dual_mov_b32 v4, 0 :: v_dual_cndmask_b32 v7, v8, v7
	v_dual_mov_b32 v5, 0 :: v_dual_cndmask_b32 v6, v1, v6
	v_cmp_gt_u64_e32 vcc_lo, 0x101, v[2:3]
	s_mov_b32 s0, -1
	s_cbranch_vccz .LBB717_82
.LBB717_111:
	v_add_co_u32 v12, vcc_lo, v4, v2
	v_add_co_ci_u32_e32 v13, vcc_lo, v5, v3, vcc_lo
	s_delay_alu instid0(VALU_DEP_1) | instskip(SKIP_1) | instid1(SALU_CYCLE_1)
	v_cmp_gt_u64_e32 vcc_lo, v[12:13], v[6:7]
	s_or_b32 s1, s10, vcc_lo
	s_and_saveexec_b32 s0, s1
	s_cbranch_execz .LBB717_114
; %bb.112:
	v_cmp_eq_u32_e32 vcc_lo, 1, v11
	s_and_b32 exec_lo, exec_lo, vcc_lo
	s_cbranch_execz .LBB717_114
; %bb.113:
	v_lshlrev_b64 v[12:13], 9, v[9:10]
	v_lshlrev_b64 v[7:8], 9, v[6:7]
	s_delay_alu instid0(VALU_DEP_2) | instskip(NEXT) | instid1(VALU_DEP_3)
	v_add_co_u32 v1, vcc_lo, s12, v12
	v_add_co_ci_u32_e32 v12, vcc_lo, s13, v13, vcc_lo
	s_delay_alu instid0(VALU_DEP_2) | instskip(NEXT) | instid1(VALU_DEP_2)
	v_add_co_u32 v7, vcc_lo, v1, v7
	v_add_co_ci_u32_e32 v8, vcc_lo, v12, v8, vcc_lo
	global_store_b8 v[7:8], v19, off
.LBB717_114:
	s_or_b32 exec_lo, exec_lo, s0
	s_cbranch_execnz .LBB717_83
.LBB717_115:
	s_mov_b32 s0, exec_lo
	v_cmpx_eq_u32_e32 1, v11
	s_cbranch_execz .LBB717_117
; %bb.116:
	v_sub_nc_u32_e32 v6, v6, v4
	v_mov_b32_e32 v7, 0
	s_delay_alu instid0(VALU_DEP_1) | instskip(NEXT) | instid1(VALU_DEP_1)
	v_lshlrev_b64 v[6:7], 9, v[6:7]
	v_add_co_u32 v6, vcc_lo, s8, v6
	s_delay_alu instid0(VALU_DEP_2)
	v_add_co_ci_u32_e32 v7, vcc_lo, s9, v7, vcc_lo
	global_store_b8 v[6:7], v19, off
.LBB717_117:
	s_or_b32 exec_lo, exec_lo, s0
	v_mov_b32_e32 v1, 0
	s_mov_b32 s1, exec_lo
	s_waitcnt_vscnt null, 0x0
	s_barrier
	buffer_gl0_inv
	v_cmpx_gt_u64_e64 v[2:3], v[0:1]
	s_cbranch_execz .LBB717_120
; %bb.118:
	v_lshlrev_b64 v[6:7], 9, v[4:5]
	v_lshlrev_b64 v[11:12], 9, v[9:10]
	s_mov_b32 s6, 0
	s_delay_alu instid0(VALU_DEP_2) | instskip(NEXT) | instid1(VALU_DEP_3)
	v_add_co_u32 v8, vcc_lo, s12, v6
	v_add_co_ci_u32_e32 v13, vcc_lo, s13, v7, vcc_lo
	v_dual_mov_b32 v7, v1 :: v_dual_mov_b32 v6, v0
	s_delay_alu instid0(VALU_DEP_3) | instskip(NEXT) | instid1(VALU_DEP_3)
	v_add_co_u32 v8, vcc_lo, v8, v11
	v_add_co_ci_u32_e32 v11, vcc_lo, v13, v12, vcc_lo
	v_or_b32_e32 v0, 0x100, v0
	.p2align	6
.LBB717_119:                            ; =>This Inner Loop Header: Depth=1
	s_delay_alu instid0(VALU_DEP_4) | instskip(NEXT) | instid1(VALU_DEP_1)
	v_lshlrev_b64 v[12:13], 9, v[6:7]
	v_add_co_u32 v6, vcc_lo, s8, v12
	s_delay_alu instid0(VALU_DEP_2) | instskip(NEXT) | instid1(VALU_DEP_4)
	v_add_co_ci_u32_e32 v7, vcc_lo, s9, v13, vcc_lo
	v_cmp_le_u64_e32 vcc_lo, v[2:3], v[0:1]
	v_add_co_u32 v12, s0, v8, v12
	global_load_u8 v14, v[6:7], off
	v_dual_mov_b32 v7, v1 :: v_dual_mov_b32 v6, v0
	v_add_co_ci_u32_e64 v13, s0, v11, v13, s0
	v_add_nc_u32_e32 v0, 0x100, v0
	s_or_b32 s6, vcc_lo, s6
	s_waitcnt vmcnt(0)
	global_store_b8 v[12:13], v14, off
	s_and_not1_b32 exec_lo, exec_lo, s6
	s_cbranch_execnz .LBB717_119
.LBB717_120:
	s_or_b32 exec_lo, exec_lo, s1
	s_and_b32 s0, s2, s3
	s_delay_alu instid0(SALU_CYCLE_1)
	s_and_saveexec_b32 s1, s0
	s_cbranch_execz .LBB717_84
.LBB717_121:
	v_add_co_u32 v0, vcc_lo, v4, v2
	v_add_co_ci_u32_e32 v1, vcc_lo, v5, v3, vcc_lo
	v_mov_b32_e32 v2, 0
	s_delay_alu instid0(VALU_DEP_3) | instskip(NEXT) | instid1(VALU_DEP_3)
	v_add_co_u32 v0, vcc_lo, v0, v9
	v_add_co_ci_u32_e32 v1, vcc_lo, v1, v10, vcc_lo
	global_store_b64 v2, v[0:1], s[4:5]
	s_nop 0
	s_sendmsg sendmsg(MSG_DEALLOC_VGPRS)
	s_endpgm
	.section	.rodata,"a",@progbits
	.p2align	6, 0x0
	.amdhsa_kernel _ZN7rocprim17ROCPRIM_400000_NS6detail17trampoline_kernelINS0_14default_configENS1_25partition_config_selectorILNS1_17partition_subalgoE5E10large_dataNS0_10empty_typeEbEEZZNS1_14partition_implILS5_5ELb0ES3_mN6thrust23THRUST_200600_302600_NS6detail15normal_iteratorINSB_10device_ptrIS6_EEEEPS7_NSB_18transform_iteratorI5mod_3IS6_ESG_NSB_11use_defaultESL_EENS0_5tupleIJSG_S7_EEENSN_IJSH_SH_EEES7_PlJS7_EEE10hipError_tPvRmT3_T4_T5_T6_T7_T9_mT8_P12ihipStream_tbDpT10_ENKUlT_T0_E_clISt17integral_constantIbLb0EES19_IbLb1EEEEDaS15_S16_EUlS15_E_NS1_11comp_targetILNS1_3genE9ELNS1_11target_archE1100ELNS1_3gpuE3ELNS1_3repE0EEENS1_30default_config_static_selectorELNS0_4arch9wavefront6targetE0EEEvT1_
		.amdhsa_group_segment_fixed_size 16
		.amdhsa_private_segment_fixed_size 0
		.amdhsa_kernarg_size 136
		.amdhsa_user_sgpr_count 15
		.amdhsa_user_sgpr_dispatch_ptr 0
		.amdhsa_user_sgpr_queue_ptr 0
		.amdhsa_user_sgpr_kernarg_segment_ptr 1
		.amdhsa_user_sgpr_dispatch_id 0
		.amdhsa_user_sgpr_private_segment_size 0
		.amdhsa_wavefront_size32 1
		.amdhsa_uses_dynamic_stack 0
		.amdhsa_enable_private_segment 0
		.amdhsa_system_sgpr_workgroup_id_x 1
		.amdhsa_system_sgpr_workgroup_id_y 0
		.amdhsa_system_sgpr_workgroup_id_z 0
		.amdhsa_system_sgpr_workgroup_info 0
		.amdhsa_system_vgpr_workitem_id 0
		.amdhsa_next_free_vgpr 36
		.amdhsa_next_free_sgpr 26
		.amdhsa_reserve_vcc 1
		.amdhsa_float_round_mode_32 0
		.amdhsa_float_round_mode_16_64 0
		.amdhsa_float_denorm_mode_32 3
		.amdhsa_float_denorm_mode_16_64 3
		.amdhsa_dx10_clamp 1
		.amdhsa_ieee_mode 1
		.amdhsa_fp16_overflow 0
		.amdhsa_workgroup_processor_mode 1
		.amdhsa_memory_ordered 1
		.amdhsa_forward_progress 0
		.amdhsa_shared_vgpr_count 0
		.amdhsa_exception_fp_ieee_invalid_op 0
		.amdhsa_exception_fp_denorm_src 0
		.amdhsa_exception_fp_ieee_div_zero 0
		.amdhsa_exception_fp_ieee_overflow 0
		.amdhsa_exception_fp_ieee_underflow 0
		.amdhsa_exception_fp_ieee_inexact 0
		.amdhsa_exception_int_div_zero 0
	.end_amdhsa_kernel
	.section	.text._ZN7rocprim17ROCPRIM_400000_NS6detail17trampoline_kernelINS0_14default_configENS1_25partition_config_selectorILNS1_17partition_subalgoE5E10large_dataNS0_10empty_typeEbEEZZNS1_14partition_implILS5_5ELb0ES3_mN6thrust23THRUST_200600_302600_NS6detail15normal_iteratorINSB_10device_ptrIS6_EEEEPS7_NSB_18transform_iteratorI5mod_3IS6_ESG_NSB_11use_defaultESL_EENS0_5tupleIJSG_S7_EEENSN_IJSH_SH_EEES7_PlJS7_EEE10hipError_tPvRmT3_T4_T5_T6_T7_T9_mT8_P12ihipStream_tbDpT10_ENKUlT_T0_E_clISt17integral_constantIbLb0EES19_IbLb1EEEEDaS15_S16_EUlS15_E_NS1_11comp_targetILNS1_3genE9ELNS1_11target_archE1100ELNS1_3gpuE3ELNS1_3repE0EEENS1_30default_config_static_selectorELNS0_4arch9wavefront6targetE0EEEvT1_,"axG",@progbits,_ZN7rocprim17ROCPRIM_400000_NS6detail17trampoline_kernelINS0_14default_configENS1_25partition_config_selectorILNS1_17partition_subalgoE5E10large_dataNS0_10empty_typeEbEEZZNS1_14partition_implILS5_5ELb0ES3_mN6thrust23THRUST_200600_302600_NS6detail15normal_iteratorINSB_10device_ptrIS6_EEEEPS7_NSB_18transform_iteratorI5mod_3IS6_ESG_NSB_11use_defaultESL_EENS0_5tupleIJSG_S7_EEENSN_IJSH_SH_EEES7_PlJS7_EEE10hipError_tPvRmT3_T4_T5_T6_T7_T9_mT8_P12ihipStream_tbDpT10_ENKUlT_T0_E_clISt17integral_constantIbLb0EES19_IbLb1EEEEDaS15_S16_EUlS15_E_NS1_11comp_targetILNS1_3genE9ELNS1_11target_archE1100ELNS1_3gpuE3ELNS1_3repE0EEENS1_30default_config_static_selectorELNS0_4arch9wavefront6targetE0EEEvT1_,comdat
.Lfunc_end717:
	.size	_ZN7rocprim17ROCPRIM_400000_NS6detail17trampoline_kernelINS0_14default_configENS1_25partition_config_selectorILNS1_17partition_subalgoE5E10large_dataNS0_10empty_typeEbEEZZNS1_14partition_implILS5_5ELb0ES3_mN6thrust23THRUST_200600_302600_NS6detail15normal_iteratorINSB_10device_ptrIS6_EEEEPS7_NSB_18transform_iteratorI5mod_3IS6_ESG_NSB_11use_defaultESL_EENS0_5tupleIJSG_S7_EEENSN_IJSH_SH_EEES7_PlJS7_EEE10hipError_tPvRmT3_T4_T5_T6_T7_T9_mT8_P12ihipStream_tbDpT10_ENKUlT_T0_E_clISt17integral_constantIbLb0EES19_IbLb1EEEEDaS15_S16_EUlS15_E_NS1_11comp_targetILNS1_3genE9ELNS1_11target_archE1100ELNS1_3gpuE3ELNS1_3repE0EEENS1_30default_config_static_selectorELNS0_4arch9wavefront6targetE0EEEvT1_, .Lfunc_end717-_ZN7rocprim17ROCPRIM_400000_NS6detail17trampoline_kernelINS0_14default_configENS1_25partition_config_selectorILNS1_17partition_subalgoE5E10large_dataNS0_10empty_typeEbEEZZNS1_14partition_implILS5_5ELb0ES3_mN6thrust23THRUST_200600_302600_NS6detail15normal_iteratorINSB_10device_ptrIS6_EEEEPS7_NSB_18transform_iteratorI5mod_3IS6_ESG_NSB_11use_defaultESL_EENS0_5tupleIJSG_S7_EEENSN_IJSH_SH_EEES7_PlJS7_EEE10hipError_tPvRmT3_T4_T5_T6_T7_T9_mT8_P12ihipStream_tbDpT10_ENKUlT_T0_E_clISt17integral_constantIbLb0EES19_IbLb1EEEEDaS15_S16_EUlS15_E_NS1_11comp_targetILNS1_3genE9ELNS1_11target_archE1100ELNS1_3gpuE3ELNS1_3repE0EEENS1_30default_config_static_selectorELNS0_4arch9wavefront6targetE0EEEvT1_
                                        ; -- End function
	.section	.AMDGPU.csdata,"",@progbits
; Kernel info:
; codeLenInByte = 5300
; NumSgprs: 28
; NumVgprs: 36
; ScratchSize: 0
; MemoryBound: 0
; FloatMode: 240
; IeeeMode: 1
; LDSByteSize: 16 bytes/workgroup (compile time only)
; SGPRBlocks: 3
; VGPRBlocks: 4
; NumSGPRsForWavesPerEU: 28
; NumVGPRsForWavesPerEU: 36
; Occupancy: 16
; WaveLimiterHint : 1
; COMPUTE_PGM_RSRC2:SCRATCH_EN: 0
; COMPUTE_PGM_RSRC2:USER_SGPR: 15
; COMPUTE_PGM_RSRC2:TRAP_HANDLER: 0
; COMPUTE_PGM_RSRC2:TGID_X_EN: 1
; COMPUTE_PGM_RSRC2:TGID_Y_EN: 0
; COMPUTE_PGM_RSRC2:TGID_Z_EN: 0
; COMPUTE_PGM_RSRC2:TIDIG_COMP_CNT: 0
	.section	.text._ZN7rocprim17ROCPRIM_400000_NS6detail17trampoline_kernelINS0_14default_configENS1_25partition_config_selectorILNS1_17partition_subalgoE5E10large_dataNS0_10empty_typeEbEEZZNS1_14partition_implILS5_5ELb0ES3_mN6thrust23THRUST_200600_302600_NS6detail15normal_iteratorINSB_10device_ptrIS6_EEEEPS7_NSB_18transform_iteratorI5mod_3IS6_ESG_NSB_11use_defaultESL_EENS0_5tupleIJSG_S7_EEENSN_IJSH_SH_EEES7_PlJS7_EEE10hipError_tPvRmT3_T4_T5_T6_T7_T9_mT8_P12ihipStream_tbDpT10_ENKUlT_T0_E_clISt17integral_constantIbLb0EES19_IbLb1EEEEDaS15_S16_EUlS15_E_NS1_11comp_targetILNS1_3genE8ELNS1_11target_archE1030ELNS1_3gpuE2ELNS1_3repE0EEENS1_30default_config_static_selectorELNS0_4arch9wavefront6targetE0EEEvT1_,"axG",@progbits,_ZN7rocprim17ROCPRIM_400000_NS6detail17trampoline_kernelINS0_14default_configENS1_25partition_config_selectorILNS1_17partition_subalgoE5E10large_dataNS0_10empty_typeEbEEZZNS1_14partition_implILS5_5ELb0ES3_mN6thrust23THRUST_200600_302600_NS6detail15normal_iteratorINSB_10device_ptrIS6_EEEEPS7_NSB_18transform_iteratorI5mod_3IS6_ESG_NSB_11use_defaultESL_EENS0_5tupleIJSG_S7_EEENSN_IJSH_SH_EEES7_PlJS7_EEE10hipError_tPvRmT3_T4_T5_T6_T7_T9_mT8_P12ihipStream_tbDpT10_ENKUlT_T0_E_clISt17integral_constantIbLb0EES19_IbLb1EEEEDaS15_S16_EUlS15_E_NS1_11comp_targetILNS1_3genE8ELNS1_11target_archE1030ELNS1_3gpuE2ELNS1_3repE0EEENS1_30default_config_static_selectorELNS0_4arch9wavefront6targetE0EEEvT1_,comdat
	.protected	_ZN7rocprim17ROCPRIM_400000_NS6detail17trampoline_kernelINS0_14default_configENS1_25partition_config_selectorILNS1_17partition_subalgoE5E10large_dataNS0_10empty_typeEbEEZZNS1_14partition_implILS5_5ELb0ES3_mN6thrust23THRUST_200600_302600_NS6detail15normal_iteratorINSB_10device_ptrIS6_EEEEPS7_NSB_18transform_iteratorI5mod_3IS6_ESG_NSB_11use_defaultESL_EENS0_5tupleIJSG_S7_EEENSN_IJSH_SH_EEES7_PlJS7_EEE10hipError_tPvRmT3_T4_T5_T6_T7_T9_mT8_P12ihipStream_tbDpT10_ENKUlT_T0_E_clISt17integral_constantIbLb0EES19_IbLb1EEEEDaS15_S16_EUlS15_E_NS1_11comp_targetILNS1_3genE8ELNS1_11target_archE1030ELNS1_3gpuE2ELNS1_3repE0EEENS1_30default_config_static_selectorELNS0_4arch9wavefront6targetE0EEEvT1_ ; -- Begin function _ZN7rocprim17ROCPRIM_400000_NS6detail17trampoline_kernelINS0_14default_configENS1_25partition_config_selectorILNS1_17partition_subalgoE5E10large_dataNS0_10empty_typeEbEEZZNS1_14partition_implILS5_5ELb0ES3_mN6thrust23THRUST_200600_302600_NS6detail15normal_iteratorINSB_10device_ptrIS6_EEEEPS7_NSB_18transform_iteratorI5mod_3IS6_ESG_NSB_11use_defaultESL_EENS0_5tupleIJSG_S7_EEENSN_IJSH_SH_EEES7_PlJS7_EEE10hipError_tPvRmT3_T4_T5_T6_T7_T9_mT8_P12ihipStream_tbDpT10_ENKUlT_T0_E_clISt17integral_constantIbLb0EES19_IbLb1EEEEDaS15_S16_EUlS15_E_NS1_11comp_targetILNS1_3genE8ELNS1_11target_archE1030ELNS1_3gpuE2ELNS1_3repE0EEENS1_30default_config_static_selectorELNS0_4arch9wavefront6targetE0EEEvT1_
	.globl	_ZN7rocprim17ROCPRIM_400000_NS6detail17trampoline_kernelINS0_14default_configENS1_25partition_config_selectorILNS1_17partition_subalgoE5E10large_dataNS0_10empty_typeEbEEZZNS1_14partition_implILS5_5ELb0ES3_mN6thrust23THRUST_200600_302600_NS6detail15normal_iteratorINSB_10device_ptrIS6_EEEEPS7_NSB_18transform_iteratorI5mod_3IS6_ESG_NSB_11use_defaultESL_EENS0_5tupleIJSG_S7_EEENSN_IJSH_SH_EEES7_PlJS7_EEE10hipError_tPvRmT3_T4_T5_T6_T7_T9_mT8_P12ihipStream_tbDpT10_ENKUlT_T0_E_clISt17integral_constantIbLb0EES19_IbLb1EEEEDaS15_S16_EUlS15_E_NS1_11comp_targetILNS1_3genE8ELNS1_11target_archE1030ELNS1_3gpuE2ELNS1_3repE0EEENS1_30default_config_static_selectorELNS0_4arch9wavefront6targetE0EEEvT1_
	.p2align	8
	.type	_ZN7rocprim17ROCPRIM_400000_NS6detail17trampoline_kernelINS0_14default_configENS1_25partition_config_selectorILNS1_17partition_subalgoE5E10large_dataNS0_10empty_typeEbEEZZNS1_14partition_implILS5_5ELb0ES3_mN6thrust23THRUST_200600_302600_NS6detail15normal_iteratorINSB_10device_ptrIS6_EEEEPS7_NSB_18transform_iteratorI5mod_3IS6_ESG_NSB_11use_defaultESL_EENS0_5tupleIJSG_S7_EEENSN_IJSH_SH_EEES7_PlJS7_EEE10hipError_tPvRmT3_T4_T5_T6_T7_T9_mT8_P12ihipStream_tbDpT10_ENKUlT_T0_E_clISt17integral_constantIbLb0EES19_IbLb1EEEEDaS15_S16_EUlS15_E_NS1_11comp_targetILNS1_3genE8ELNS1_11target_archE1030ELNS1_3gpuE2ELNS1_3repE0EEENS1_30default_config_static_selectorELNS0_4arch9wavefront6targetE0EEEvT1_,@function
_ZN7rocprim17ROCPRIM_400000_NS6detail17trampoline_kernelINS0_14default_configENS1_25partition_config_selectorILNS1_17partition_subalgoE5E10large_dataNS0_10empty_typeEbEEZZNS1_14partition_implILS5_5ELb0ES3_mN6thrust23THRUST_200600_302600_NS6detail15normal_iteratorINSB_10device_ptrIS6_EEEEPS7_NSB_18transform_iteratorI5mod_3IS6_ESG_NSB_11use_defaultESL_EENS0_5tupleIJSG_S7_EEENSN_IJSH_SH_EEES7_PlJS7_EEE10hipError_tPvRmT3_T4_T5_T6_T7_T9_mT8_P12ihipStream_tbDpT10_ENKUlT_T0_E_clISt17integral_constantIbLb0EES19_IbLb1EEEEDaS15_S16_EUlS15_E_NS1_11comp_targetILNS1_3genE8ELNS1_11target_archE1030ELNS1_3gpuE2ELNS1_3repE0EEENS1_30default_config_static_selectorELNS0_4arch9wavefront6targetE0EEEvT1_: ; @_ZN7rocprim17ROCPRIM_400000_NS6detail17trampoline_kernelINS0_14default_configENS1_25partition_config_selectorILNS1_17partition_subalgoE5E10large_dataNS0_10empty_typeEbEEZZNS1_14partition_implILS5_5ELb0ES3_mN6thrust23THRUST_200600_302600_NS6detail15normal_iteratorINSB_10device_ptrIS6_EEEEPS7_NSB_18transform_iteratorI5mod_3IS6_ESG_NSB_11use_defaultESL_EENS0_5tupleIJSG_S7_EEENSN_IJSH_SH_EEES7_PlJS7_EEE10hipError_tPvRmT3_T4_T5_T6_T7_T9_mT8_P12ihipStream_tbDpT10_ENKUlT_T0_E_clISt17integral_constantIbLb0EES19_IbLb1EEEEDaS15_S16_EUlS15_E_NS1_11comp_targetILNS1_3genE8ELNS1_11target_archE1030ELNS1_3gpuE2ELNS1_3repE0EEENS1_30default_config_static_selectorELNS0_4arch9wavefront6targetE0EEEvT1_
; %bb.0:
	.section	.rodata,"a",@progbits
	.p2align	6, 0x0
	.amdhsa_kernel _ZN7rocprim17ROCPRIM_400000_NS6detail17trampoline_kernelINS0_14default_configENS1_25partition_config_selectorILNS1_17partition_subalgoE5E10large_dataNS0_10empty_typeEbEEZZNS1_14partition_implILS5_5ELb0ES3_mN6thrust23THRUST_200600_302600_NS6detail15normal_iteratorINSB_10device_ptrIS6_EEEEPS7_NSB_18transform_iteratorI5mod_3IS6_ESG_NSB_11use_defaultESL_EENS0_5tupleIJSG_S7_EEENSN_IJSH_SH_EEES7_PlJS7_EEE10hipError_tPvRmT3_T4_T5_T6_T7_T9_mT8_P12ihipStream_tbDpT10_ENKUlT_T0_E_clISt17integral_constantIbLb0EES19_IbLb1EEEEDaS15_S16_EUlS15_E_NS1_11comp_targetILNS1_3genE8ELNS1_11target_archE1030ELNS1_3gpuE2ELNS1_3repE0EEENS1_30default_config_static_selectorELNS0_4arch9wavefront6targetE0EEEvT1_
		.amdhsa_group_segment_fixed_size 0
		.amdhsa_private_segment_fixed_size 0
		.amdhsa_kernarg_size 136
		.amdhsa_user_sgpr_count 15
		.amdhsa_user_sgpr_dispatch_ptr 0
		.amdhsa_user_sgpr_queue_ptr 0
		.amdhsa_user_sgpr_kernarg_segment_ptr 1
		.amdhsa_user_sgpr_dispatch_id 0
		.amdhsa_user_sgpr_private_segment_size 0
		.amdhsa_wavefront_size32 1
		.amdhsa_uses_dynamic_stack 0
		.amdhsa_enable_private_segment 0
		.amdhsa_system_sgpr_workgroup_id_x 1
		.amdhsa_system_sgpr_workgroup_id_y 0
		.amdhsa_system_sgpr_workgroup_id_z 0
		.amdhsa_system_sgpr_workgroup_info 0
		.amdhsa_system_vgpr_workitem_id 0
		.amdhsa_next_free_vgpr 1
		.amdhsa_next_free_sgpr 1
		.amdhsa_reserve_vcc 0
		.amdhsa_float_round_mode_32 0
		.amdhsa_float_round_mode_16_64 0
		.amdhsa_float_denorm_mode_32 3
		.amdhsa_float_denorm_mode_16_64 3
		.amdhsa_dx10_clamp 1
		.amdhsa_ieee_mode 1
		.amdhsa_fp16_overflow 0
		.amdhsa_workgroup_processor_mode 1
		.amdhsa_memory_ordered 1
		.amdhsa_forward_progress 0
		.amdhsa_shared_vgpr_count 0
		.amdhsa_exception_fp_ieee_invalid_op 0
		.amdhsa_exception_fp_denorm_src 0
		.amdhsa_exception_fp_ieee_div_zero 0
		.amdhsa_exception_fp_ieee_overflow 0
		.amdhsa_exception_fp_ieee_underflow 0
		.amdhsa_exception_fp_ieee_inexact 0
		.amdhsa_exception_int_div_zero 0
	.end_amdhsa_kernel
	.section	.text._ZN7rocprim17ROCPRIM_400000_NS6detail17trampoline_kernelINS0_14default_configENS1_25partition_config_selectorILNS1_17partition_subalgoE5E10large_dataNS0_10empty_typeEbEEZZNS1_14partition_implILS5_5ELb0ES3_mN6thrust23THRUST_200600_302600_NS6detail15normal_iteratorINSB_10device_ptrIS6_EEEEPS7_NSB_18transform_iteratorI5mod_3IS6_ESG_NSB_11use_defaultESL_EENS0_5tupleIJSG_S7_EEENSN_IJSH_SH_EEES7_PlJS7_EEE10hipError_tPvRmT3_T4_T5_T6_T7_T9_mT8_P12ihipStream_tbDpT10_ENKUlT_T0_E_clISt17integral_constantIbLb0EES19_IbLb1EEEEDaS15_S16_EUlS15_E_NS1_11comp_targetILNS1_3genE8ELNS1_11target_archE1030ELNS1_3gpuE2ELNS1_3repE0EEENS1_30default_config_static_selectorELNS0_4arch9wavefront6targetE0EEEvT1_,"axG",@progbits,_ZN7rocprim17ROCPRIM_400000_NS6detail17trampoline_kernelINS0_14default_configENS1_25partition_config_selectorILNS1_17partition_subalgoE5E10large_dataNS0_10empty_typeEbEEZZNS1_14partition_implILS5_5ELb0ES3_mN6thrust23THRUST_200600_302600_NS6detail15normal_iteratorINSB_10device_ptrIS6_EEEEPS7_NSB_18transform_iteratorI5mod_3IS6_ESG_NSB_11use_defaultESL_EENS0_5tupleIJSG_S7_EEENSN_IJSH_SH_EEES7_PlJS7_EEE10hipError_tPvRmT3_T4_T5_T6_T7_T9_mT8_P12ihipStream_tbDpT10_ENKUlT_T0_E_clISt17integral_constantIbLb0EES19_IbLb1EEEEDaS15_S16_EUlS15_E_NS1_11comp_targetILNS1_3genE8ELNS1_11target_archE1030ELNS1_3gpuE2ELNS1_3repE0EEENS1_30default_config_static_selectorELNS0_4arch9wavefront6targetE0EEEvT1_,comdat
.Lfunc_end718:
	.size	_ZN7rocprim17ROCPRIM_400000_NS6detail17trampoline_kernelINS0_14default_configENS1_25partition_config_selectorILNS1_17partition_subalgoE5E10large_dataNS0_10empty_typeEbEEZZNS1_14partition_implILS5_5ELb0ES3_mN6thrust23THRUST_200600_302600_NS6detail15normal_iteratorINSB_10device_ptrIS6_EEEEPS7_NSB_18transform_iteratorI5mod_3IS6_ESG_NSB_11use_defaultESL_EENS0_5tupleIJSG_S7_EEENSN_IJSH_SH_EEES7_PlJS7_EEE10hipError_tPvRmT3_T4_T5_T6_T7_T9_mT8_P12ihipStream_tbDpT10_ENKUlT_T0_E_clISt17integral_constantIbLb0EES19_IbLb1EEEEDaS15_S16_EUlS15_E_NS1_11comp_targetILNS1_3genE8ELNS1_11target_archE1030ELNS1_3gpuE2ELNS1_3repE0EEENS1_30default_config_static_selectorELNS0_4arch9wavefront6targetE0EEEvT1_, .Lfunc_end718-_ZN7rocprim17ROCPRIM_400000_NS6detail17trampoline_kernelINS0_14default_configENS1_25partition_config_selectorILNS1_17partition_subalgoE5E10large_dataNS0_10empty_typeEbEEZZNS1_14partition_implILS5_5ELb0ES3_mN6thrust23THRUST_200600_302600_NS6detail15normal_iteratorINSB_10device_ptrIS6_EEEEPS7_NSB_18transform_iteratorI5mod_3IS6_ESG_NSB_11use_defaultESL_EENS0_5tupleIJSG_S7_EEENSN_IJSH_SH_EEES7_PlJS7_EEE10hipError_tPvRmT3_T4_T5_T6_T7_T9_mT8_P12ihipStream_tbDpT10_ENKUlT_T0_E_clISt17integral_constantIbLb0EES19_IbLb1EEEEDaS15_S16_EUlS15_E_NS1_11comp_targetILNS1_3genE8ELNS1_11target_archE1030ELNS1_3gpuE2ELNS1_3repE0EEENS1_30default_config_static_selectorELNS0_4arch9wavefront6targetE0EEEvT1_
                                        ; -- End function
	.section	.AMDGPU.csdata,"",@progbits
; Kernel info:
; codeLenInByte = 0
; NumSgprs: 0
; NumVgprs: 0
; ScratchSize: 0
; MemoryBound: 0
; FloatMode: 240
; IeeeMode: 1
; LDSByteSize: 0 bytes/workgroup (compile time only)
; SGPRBlocks: 0
; VGPRBlocks: 0
; NumSGPRsForWavesPerEU: 1
; NumVGPRsForWavesPerEU: 1
; Occupancy: 16
; WaveLimiterHint : 0
; COMPUTE_PGM_RSRC2:SCRATCH_EN: 0
; COMPUTE_PGM_RSRC2:USER_SGPR: 15
; COMPUTE_PGM_RSRC2:TRAP_HANDLER: 0
; COMPUTE_PGM_RSRC2:TGID_X_EN: 1
; COMPUTE_PGM_RSRC2:TGID_Y_EN: 0
; COMPUTE_PGM_RSRC2:TGID_Z_EN: 0
; COMPUTE_PGM_RSRC2:TIDIG_COMP_CNT: 0
	.section	.text._ZN6thrust23THRUST_200600_302600_NS11hip_rocprim14__parallel_for6kernelILj256ENS1_10__tabulate7functorINS0_6detail15normal_iteratorINS0_10device_ptrIyEEEENS0_6system6detail7generic6detail22compute_sequence_valueIyvEElEElLj1EEEvT0_T1_SJ_,"axG",@progbits,_ZN6thrust23THRUST_200600_302600_NS11hip_rocprim14__parallel_for6kernelILj256ENS1_10__tabulate7functorINS0_6detail15normal_iteratorINS0_10device_ptrIyEEEENS0_6system6detail7generic6detail22compute_sequence_valueIyvEElEElLj1EEEvT0_T1_SJ_,comdat
	.protected	_ZN6thrust23THRUST_200600_302600_NS11hip_rocprim14__parallel_for6kernelILj256ENS1_10__tabulate7functorINS0_6detail15normal_iteratorINS0_10device_ptrIyEEEENS0_6system6detail7generic6detail22compute_sequence_valueIyvEElEElLj1EEEvT0_T1_SJ_ ; -- Begin function _ZN6thrust23THRUST_200600_302600_NS11hip_rocprim14__parallel_for6kernelILj256ENS1_10__tabulate7functorINS0_6detail15normal_iteratorINS0_10device_ptrIyEEEENS0_6system6detail7generic6detail22compute_sequence_valueIyvEElEElLj1EEEvT0_T1_SJ_
	.globl	_ZN6thrust23THRUST_200600_302600_NS11hip_rocprim14__parallel_for6kernelILj256ENS1_10__tabulate7functorINS0_6detail15normal_iteratorINS0_10device_ptrIyEEEENS0_6system6detail7generic6detail22compute_sequence_valueIyvEElEElLj1EEEvT0_T1_SJ_
	.p2align	8
	.type	_ZN6thrust23THRUST_200600_302600_NS11hip_rocprim14__parallel_for6kernelILj256ENS1_10__tabulate7functorINS0_6detail15normal_iteratorINS0_10device_ptrIyEEEENS0_6system6detail7generic6detail22compute_sequence_valueIyvEElEElLj1EEEvT0_T1_SJ_,@function
_ZN6thrust23THRUST_200600_302600_NS11hip_rocprim14__parallel_for6kernelILj256ENS1_10__tabulate7functorINS0_6detail15normal_iteratorINS0_10device_ptrIyEEEENS0_6system6detail7generic6detail22compute_sequence_valueIyvEElEElLj1EEEvT0_T1_SJ_: ; @_ZN6thrust23THRUST_200600_302600_NS11hip_rocprim14__parallel_for6kernelILj256ENS1_10__tabulate7functorINS0_6detail15normal_iteratorINS0_10device_ptrIyEEEENS0_6system6detail7generic6detail22compute_sequence_valueIyvEElEElLj1EEEvT0_T1_SJ_
; %bb.0:
	s_load_b128 s[4:7], s[0:1], 0x18
	s_lshl_b32 s2, s15, 8
	s_waitcnt lgkmcnt(0)
	s_add_u32 s2, s2, s6
	s_addc_u32 s3, 0, s7
	s_sub_u32 s4, s4, s2
	s_subb_u32 s5, s5, s3
	s_delay_alu instid0(SALU_CYCLE_1) | instskip(NEXT) | instid1(VALU_DEP_1)
	v_cmp_gt_i64_e64 s5, 0x100, s[4:5]
	s_and_b32 s5, s5, exec_lo
	s_cselect_b32 s4, s4, 0x100
	s_delay_alu instid0(SALU_CYCLE_1) | instskip(SKIP_2) | instid1(SALU_CYCLE_1)
	v_cmp_gt_u32_e32 vcc_lo, s4, v0
	s_cmpk_eq_i32 s4, 0x100
	s_cselect_b32 s4, -1, 0
	s_or_b32 s4, s4, vcc_lo
	s_delay_alu instid0(SALU_CYCLE_1)
	s_and_saveexec_b32 s5, s4
	s_cbranch_execz .LBB719_2
; %bb.1:
	s_clause 0x1
	s_load_b128 s[4:7], s[0:1], 0x0
	s_load_b64 s[0:1], s[0:1], 0x10
	v_add_co_u32 v0, s2, s2, v0
	s_delay_alu instid0(VALU_DEP_1) | instskip(SKIP_1) | instid1(VALU_DEP_2)
	v_add_co_ci_u32_e64 v1, null, s3, 0, s2
	s_waitcnt lgkmcnt(0)
	v_mad_u64_u32 v[2:3], null, s0, v0, s[6:7]
	s_delay_alu instid0(VALU_DEP_2) | instskip(SKIP_2) | instid1(VALU_DEP_1)
	v_mul_lo_u32 v4, s0, v1
	v_mul_lo_u32 v5, s1, v0
	v_lshlrev_b64 v[0:1], 3, v[0:1]
	v_add_co_u32 v0, vcc_lo, s4, v0
	s_delay_alu instid0(VALU_DEP_3) | instskip(NEXT) | instid1(VALU_DEP_3)
	v_add3_u32 v3, v5, v3, v4
	v_add_co_ci_u32_e32 v1, vcc_lo, s5, v1, vcc_lo
	flat_store_b64 v[0:1], v[2:3]
.LBB719_2:
	s_endpgm
	.section	.rodata,"a",@progbits
	.p2align	6, 0x0
	.amdhsa_kernel _ZN6thrust23THRUST_200600_302600_NS11hip_rocprim14__parallel_for6kernelILj256ENS1_10__tabulate7functorINS0_6detail15normal_iteratorINS0_10device_ptrIyEEEENS0_6system6detail7generic6detail22compute_sequence_valueIyvEElEElLj1EEEvT0_T1_SJ_
		.amdhsa_group_segment_fixed_size 0
		.amdhsa_private_segment_fixed_size 0
		.amdhsa_kernarg_size 40
		.amdhsa_user_sgpr_count 15
		.amdhsa_user_sgpr_dispatch_ptr 0
		.amdhsa_user_sgpr_queue_ptr 0
		.amdhsa_user_sgpr_kernarg_segment_ptr 1
		.amdhsa_user_sgpr_dispatch_id 0
		.amdhsa_user_sgpr_private_segment_size 0
		.amdhsa_wavefront_size32 1
		.amdhsa_uses_dynamic_stack 0
		.amdhsa_enable_private_segment 0
		.amdhsa_system_sgpr_workgroup_id_x 1
		.amdhsa_system_sgpr_workgroup_id_y 0
		.amdhsa_system_sgpr_workgroup_id_z 0
		.amdhsa_system_sgpr_workgroup_info 0
		.amdhsa_system_vgpr_workitem_id 0
		.amdhsa_next_free_vgpr 6
		.amdhsa_next_free_sgpr 16
		.amdhsa_reserve_vcc 1
		.amdhsa_float_round_mode_32 0
		.amdhsa_float_round_mode_16_64 0
		.amdhsa_float_denorm_mode_32 3
		.amdhsa_float_denorm_mode_16_64 3
		.amdhsa_dx10_clamp 1
		.amdhsa_ieee_mode 1
		.amdhsa_fp16_overflow 0
		.amdhsa_workgroup_processor_mode 1
		.amdhsa_memory_ordered 1
		.amdhsa_forward_progress 0
		.amdhsa_shared_vgpr_count 0
		.amdhsa_exception_fp_ieee_invalid_op 0
		.amdhsa_exception_fp_denorm_src 0
		.amdhsa_exception_fp_ieee_div_zero 0
		.amdhsa_exception_fp_ieee_overflow 0
		.amdhsa_exception_fp_ieee_underflow 0
		.amdhsa_exception_fp_ieee_inexact 0
		.amdhsa_exception_int_div_zero 0
	.end_amdhsa_kernel
	.section	.text._ZN6thrust23THRUST_200600_302600_NS11hip_rocprim14__parallel_for6kernelILj256ENS1_10__tabulate7functorINS0_6detail15normal_iteratorINS0_10device_ptrIyEEEENS0_6system6detail7generic6detail22compute_sequence_valueIyvEElEElLj1EEEvT0_T1_SJ_,"axG",@progbits,_ZN6thrust23THRUST_200600_302600_NS11hip_rocprim14__parallel_for6kernelILj256ENS1_10__tabulate7functorINS0_6detail15normal_iteratorINS0_10device_ptrIyEEEENS0_6system6detail7generic6detail22compute_sequence_valueIyvEElEElLj1EEEvT0_T1_SJ_,comdat
.Lfunc_end719:
	.size	_ZN6thrust23THRUST_200600_302600_NS11hip_rocprim14__parallel_for6kernelILj256ENS1_10__tabulate7functorINS0_6detail15normal_iteratorINS0_10device_ptrIyEEEENS0_6system6detail7generic6detail22compute_sequence_valueIyvEElEElLj1EEEvT0_T1_SJ_, .Lfunc_end719-_ZN6thrust23THRUST_200600_302600_NS11hip_rocprim14__parallel_for6kernelILj256ENS1_10__tabulate7functorINS0_6detail15normal_iteratorINS0_10device_ptrIyEEEENS0_6system6detail7generic6detail22compute_sequence_valueIyvEElEElLj1EEEvT0_T1_SJ_
                                        ; -- End function
	.section	.AMDGPU.csdata,"",@progbits
; Kernel info:
; codeLenInByte = 208
; NumSgprs: 18
; NumVgprs: 6
; ScratchSize: 0
; MemoryBound: 0
; FloatMode: 240
; IeeeMode: 1
; LDSByteSize: 0 bytes/workgroup (compile time only)
; SGPRBlocks: 2
; VGPRBlocks: 0
; NumSGPRsForWavesPerEU: 18
; NumVGPRsForWavesPerEU: 6
; Occupancy: 16
; WaveLimiterHint : 0
; COMPUTE_PGM_RSRC2:SCRATCH_EN: 0
; COMPUTE_PGM_RSRC2:USER_SGPR: 15
; COMPUTE_PGM_RSRC2:TRAP_HANDLER: 0
; COMPUTE_PGM_RSRC2:TGID_X_EN: 1
; COMPUTE_PGM_RSRC2:TGID_Y_EN: 0
; COMPUTE_PGM_RSRC2:TGID_Z_EN: 0
; COMPUTE_PGM_RSRC2:TIDIG_COMP_CNT: 0
	.section	.text._ZN6thrust23THRUST_200600_302600_NS11hip_rocprim14__parallel_for6kernelILj256ENS1_10__tabulate7functorINS0_6detail15normal_iteratorINS0_10device_ptrIjEEEENS0_6system6detail7generic6detail22compute_sequence_valueIjvEElEElLj1EEEvT0_T1_SJ_,"axG",@progbits,_ZN6thrust23THRUST_200600_302600_NS11hip_rocprim14__parallel_for6kernelILj256ENS1_10__tabulate7functorINS0_6detail15normal_iteratorINS0_10device_ptrIjEEEENS0_6system6detail7generic6detail22compute_sequence_valueIjvEElEElLj1EEEvT0_T1_SJ_,comdat
	.protected	_ZN6thrust23THRUST_200600_302600_NS11hip_rocprim14__parallel_for6kernelILj256ENS1_10__tabulate7functorINS0_6detail15normal_iteratorINS0_10device_ptrIjEEEENS0_6system6detail7generic6detail22compute_sequence_valueIjvEElEElLj1EEEvT0_T1_SJ_ ; -- Begin function _ZN6thrust23THRUST_200600_302600_NS11hip_rocprim14__parallel_for6kernelILj256ENS1_10__tabulate7functorINS0_6detail15normal_iteratorINS0_10device_ptrIjEEEENS0_6system6detail7generic6detail22compute_sequence_valueIjvEElEElLj1EEEvT0_T1_SJ_
	.globl	_ZN6thrust23THRUST_200600_302600_NS11hip_rocprim14__parallel_for6kernelILj256ENS1_10__tabulate7functorINS0_6detail15normal_iteratorINS0_10device_ptrIjEEEENS0_6system6detail7generic6detail22compute_sequence_valueIjvEElEElLj1EEEvT0_T1_SJ_
	.p2align	8
	.type	_ZN6thrust23THRUST_200600_302600_NS11hip_rocprim14__parallel_for6kernelILj256ENS1_10__tabulate7functorINS0_6detail15normal_iteratorINS0_10device_ptrIjEEEENS0_6system6detail7generic6detail22compute_sequence_valueIjvEElEElLj1EEEvT0_T1_SJ_,@function
_ZN6thrust23THRUST_200600_302600_NS11hip_rocprim14__parallel_for6kernelILj256ENS1_10__tabulate7functorINS0_6detail15normal_iteratorINS0_10device_ptrIjEEEENS0_6system6detail7generic6detail22compute_sequence_valueIjvEElEElLj1EEEvT0_T1_SJ_: ; @_ZN6thrust23THRUST_200600_302600_NS11hip_rocprim14__parallel_for6kernelILj256ENS1_10__tabulate7functorINS0_6detail15normal_iteratorINS0_10device_ptrIjEEEENS0_6system6detail7generic6detail22compute_sequence_valueIjvEElEElLj1EEEvT0_T1_SJ_
; %bb.0:
	s_load_b128 s[4:7], s[0:1], 0x10
	s_lshl_b32 s2, s15, 8
	s_waitcnt lgkmcnt(0)
	s_add_u32 s2, s2, s6
	s_addc_u32 s3, 0, s7
	s_sub_u32 s4, s4, s2
	s_subb_u32 s5, s5, s3
	s_delay_alu instid0(SALU_CYCLE_1) | instskip(NEXT) | instid1(VALU_DEP_1)
	v_cmp_gt_i64_e64 s5, 0x100, s[4:5]
	s_and_b32 s5, s5, exec_lo
	s_cselect_b32 s4, s4, 0x100
	s_delay_alu instid0(SALU_CYCLE_1) | instskip(SKIP_2) | instid1(SALU_CYCLE_1)
	v_cmp_gt_u32_e32 vcc_lo, s4, v0
	s_cmpk_eq_i32 s4, 0x100
	s_cselect_b32 s4, -1, 0
	s_or_b32 s4, s4, vcc_lo
	s_delay_alu instid0(SALU_CYCLE_1)
	s_and_saveexec_b32 s5, s4
	s_cbranch_execz .LBB720_2
; %bb.1:
	s_load_b128 s[4:7], s[0:1], 0x0
	v_add_co_u32 v0, s0, s2, v0
	s_delay_alu instid0(VALU_DEP_1) | instskip(NEXT) | instid1(VALU_DEP_1)
	v_add_co_ci_u32_e64 v1, null, s3, 0, s0
	v_lshlrev_b64 v[1:2], 2, v[0:1]
	s_waitcnt lgkmcnt(0)
	v_mad_u64_u32 v[3:4], null, s7, v0, s[6:7]
	s_delay_alu instid0(VALU_DEP_2) | instskip(NEXT) | instid1(VALU_DEP_3)
	v_add_co_u32 v0, vcc_lo, s4, v1
	v_add_co_ci_u32_e32 v1, vcc_lo, s5, v2, vcc_lo
	flat_store_b32 v[0:1], v3
.LBB720_2:
	s_endpgm
	.section	.rodata,"a",@progbits
	.p2align	6, 0x0
	.amdhsa_kernel _ZN6thrust23THRUST_200600_302600_NS11hip_rocprim14__parallel_for6kernelILj256ENS1_10__tabulate7functorINS0_6detail15normal_iteratorINS0_10device_ptrIjEEEENS0_6system6detail7generic6detail22compute_sequence_valueIjvEElEElLj1EEEvT0_T1_SJ_
		.amdhsa_group_segment_fixed_size 0
		.amdhsa_private_segment_fixed_size 0
		.amdhsa_kernarg_size 32
		.amdhsa_user_sgpr_count 15
		.amdhsa_user_sgpr_dispatch_ptr 0
		.amdhsa_user_sgpr_queue_ptr 0
		.amdhsa_user_sgpr_kernarg_segment_ptr 1
		.amdhsa_user_sgpr_dispatch_id 0
		.amdhsa_user_sgpr_private_segment_size 0
		.amdhsa_wavefront_size32 1
		.amdhsa_uses_dynamic_stack 0
		.amdhsa_enable_private_segment 0
		.amdhsa_system_sgpr_workgroup_id_x 1
		.amdhsa_system_sgpr_workgroup_id_y 0
		.amdhsa_system_sgpr_workgroup_id_z 0
		.amdhsa_system_sgpr_workgroup_info 0
		.amdhsa_system_vgpr_workitem_id 0
		.amdhsa_next_free_vgpr 5
		.amdhsa_next_free_sgpr 16
		.amdhsa_reserve_vcc 1
		.amdhsa_float_round_mode_32 0
		.amdhsa_float_round_mode_16_64 0
		.amdhsa_float_denorm_mode_32 3
		.amdhsa_float_denorm_mode_16_64 3
		.amdhsa_dx10_clamp 1
		.amdhsa_ieee_mode 1
		.amdhsa_fp16_overflow 0
		.amdhsa_workgroup_processor_mode 1
		.amdhsa_memory_ordered 1
		.amdhsa_forward_progress 0
		.amdhsa_shared_vgpr_count 0
		.amdhsa_exception_fp_ieee_invalid_op 0
		.amdhsa_exception_fp_denorm_src 0
		.amdhsa_exception_fp_ieee_div_zero 0
		.amdhsa_exception_fp_ieee_overflow 0
		.amdhsa_exception_fp_ieee_underflow 0
		.amdhsa_exception_fp_ieee_inexact 0
		.amdhsa_exception_int_div_zero 0
	.end_amdhsa_kernel
	.section	.text._ZN6thrust23THRUST_200600_302600_NS11hip_rocprim14__parallel_for6kernelILj256ENS1_10__tabulate7functorINS0_6detail15normal_iteratorINS0_10device_ptrIjEEEENS0_6system6detail7generic6detail22compute_sequence_valueIjvEElEElLj1EEEvT0_T1_SJ_,"axG",@progbits,_ZN6thrust23THRUST_200600_302600_NS11hip_rocprim14__parallel_for6kernelILj256ENS1_10__tabulate7functorINS0_6detail15normal_iteratorINS0_10device_ptrIjEEEENS0_6system6detail7generic6detail22compute_sequence_valueIjvEElEElLj1EEEvT0_T1_SJ_,comdat
.Lfunc_end720:
	.size	_ZN6thrust23THRUST_200600_302600_NS11hip_rocprim14__parallel_for6kernelILj256ENS1_10__tabulate7functorINS0_6detail15normal_iteratorINS0_10device_ptrIjEEEENS0_6system6detail7generic6detail22compute_sequence_valueIjvEElEElLj1EEEvT0_T1_SJ_, .Lfunc_end720-_ZN6thrust23THRUST_200600_302600_NS11hip_rocprim14__parallel_for6kernelILj256ENS1_10__tabulate7functorINS0_6detail15normal_iteratorINS0_10device_ptrIjEEEENS0_6system6detail7generic6detail22compute_sequence_valueIjvEElEElLj1EEEvT0_T1_SJ_
                                        ; -- End function
	.section	.AMDGPU.csdata,"",@progbits
; Kernel info:
; codeLenInByte = 168
; NumSgprs: 18
; NumVgprs: 5
; ScratchSize: 0
; MemoryBound: 0
; FloatMode: 240
; IeeeMode: 1
; LDSByteSize: 0 bytes/workgroup (compile time only)
; SGPRBlocks: 2
; VGPRBlocks: 0
; NumSGPRsForWavesPerEU: 18
; NumVGPRsForWavesPerEU: 5
; Occupancy: 16
; WaveLimiterHint : 0
; COMPUTE_PGM_RSRC2:SCRATCH_EN: 0
; COMPUTE_PGM_RSRC2:USER_SGPR: 15
; COMPUTE_PGM_RSRC2:TRAP_HANDLER: 0
; COMPUTE_PGM_RSRC2:TGID_X_EN: 1
; COMPUTE_PGM_RSRC2:TGID_Y_EN: 0
; COMPUTE_PGM_RSRC2:TGID_Z_EN: 0
; COMPUTE_PGM_RSRC2:TIDIG_COMP_CNT: 0
	.section	.text._ZN6thrust23THRUST_200600_302600_NS11hip_rocprim14__parallel_for6kernelILj256ENS1_10__tabulate7functorINS0_6detail15normal_iteratorINS0_10device_ptrItEEEENS0_6system6detail7generic6detail22compute_sequence_valueItvEElEElLj1EEEvT0_T1_SJ_,"axG",@progbits,_ZN6thrust23THRUST_200600_302600_NS11hip_rocprim14__parallel_for6kernelILj256ENS1_10__tabulate7functorINS0_6detail15normal_iteratorINS0_10device_ptrItEEEENS0_6system6detail7generic6detail22compute_sequence_valueItvEElEElLj1EEEvT0_T1_SJ_,comdat
	.protected	_ZN6thrust23THRUST_200600_302600_NS11hip_rocprim14__parallel_for6kernelILj256ENS1_10__tabulate7functorINS0_6detail15normal_iteratorINS0_10device_ptrItEEEENS0_6system6detail7generic6detail22compute_sequence_valueItvEElEElLj1EEEvT0_T1_SJ_ ; -- Begin function _ZN6thrust23THRUST_200600_302600_NS11hip_rocprim14__parallel_for6kernelILj256ENS1_10__tabulate7functorINS0_6detail15normal_iteratorINS0_10device_ptrItEEEENS0_6system6detail7generic6detail22compute_sequence_valueItvEElEElLj1EEEvT0_T1_SJ_
	.globl	_ZN6thrust23THRUST_200600_302600_NS11hip_rocprim14__parallel_for6kernelILj256ENS1_10__tabulate7functorINS0_6detail15normal_iteratorINS0_10device_ptrItEEEENS0_6system6detail7generic6detail22compute_sequence_valueItvEElEElLj1EEEvT0_T1_SJ_
	.p2align	8
	.type	_ZN6thrust23THRUST_200600_302600_NS11hip_rocprim14__parallel_for6kernelILj256ENS1_10__tabulate7functorINS0_6detail15normal_iteratorINS0_10device_ptrItEEEENS0_6system6detail7generic6detail22compute_sequence_valueItvEElEElLj1EEEvT0_T1_SJ_,@function
_ZN6thrust23THRUST_200600_302600_NS11hip_rocprim14__parallel_for6kernelILj256ENS1_10__tabulate7functorINS0_6detail15normal_iteratorINS0_10device_ptrItEEEENS0_6system6detail7generic6detail22compute_sequence_valueItvEElEElLj1EEEvT0_T1_SJ_: ; @_ZN6thrust23THRUST_200600_302600_NS11hip_rocprim14__parallel_for6kernelILj256ENS1_10__tabulate7functorINS0_6detail15normal_iteratorINS0_10device_ptrItEEEENS0_6system6detail7generic6detail22compute_sequence_valueItvEElEElLj1EEEvT0_T1_SJ_
; %bb.0:
	s_load_b128 s[4:7], s[0:1], 0x10
	s_lshl_b32 s2, s15, 8
	s_waitcnt lgkmcnt(0)
	s_add_u32 s2, s2, s6
	s_addc_u32 s3, 0, s7
	s_sub_u32 s4, s4, s2
	s_subb_u32 s5, s5, s3
	s_delay_alu instid0(SALU_CYCLE_1) | instskip(NEXT) | instid1(VALU_DEP_1)
	v_cmp_gt_i64_e64 s5, 0x100, s[4:5]
	s_and_b32 s5, s5, exec_lo
	s_cselect_b32 s4, s4, 0x100
	s_delay_alu instid0(SALU_CYCLE_1) | instskip(SKIP_2) | instid1(SALU_CYCLE_1)
	v_cmp_gt_u32_e32 vcc_lo, s4, v0
	s_cmpk_eq_i32 s4, 0x100
	s_cselect_b32 s4, -1, 0
	s_or_b32 s4, s4, vcc_lo
	s_delay_alu instid0(SALU_CYCLE_1)
	s_and_saveexec_b32 s5, s4
	s_cbranch_execz .LBB721_2
; %bb.1:
	s_clause 0x1
	s_load_b32 s4, s[0:1], 0x8
	s_load_b64 s[0:1], s[0:1], 0x0
	v_add_co_u32 v0, s2, s2, v0
	s_delay_alu instid0(VALU_DEP_1) | instskip(NEXT) | instid1(VALU_DEP_1)
	v_add_co_ci_u32_e64 v1, null, s3, 0, s2
	v_lshlrev_b64 v[1:2], 1, v[0:1]
	s_waitcnt lgkmcnt(0)
	s_lshr_b32 s2, s4, 16
	s_delay_alu instid0(SALU_CYCLE_1) | instskip(NEXT) | instid1(VALU_DEP_2)
	v_mad_u16 v3, s2, v0, s4
	v_add_co_u32 v0, vcc_lo, s0, v1
	s_delay_alu instid0(VALU_DEP_3)
	v_add_co_ci_u32_e32 v1, vcc_lo, s1, v2, vcc_lo
	flat_store_b16 v[0:1], v3
.LBB721_2:
	s_endpgm
	.section	.rodata,"a",@progbits
	.p2align	6, 0x0
	.amdhsa_kernel _ZN6thrust23THRUST_200600_302600_NS11hip_rocprim14__parallel_for6kernelILj256ENS1_10__tabulate7functorINS0_6detail15normal_iteratorINS0_10device_ptrItEEEENS0_6system6detail7generic6detail22compute_sequence_valueItvEElEElLj1EEEvT0_T1_SJ_
		.amdhsa_group_segment_fixed_size 0
		.amdhsa_private_segment_fixed_size 0
		.amdhsa_kernarg_size 32
		.amdhsa_user_sgpr_count 15
		.amdhsa_user_sgpr_dispatch_ptr 0
		.amdhsa_user_sgpr_queue_ptr 0
		.amdhsa_user_sgpr_kernarg_segment_ptr 1
		.amdhsa_user_sgpr_dispatch_id 0
		.amdhsa_user_sgpr_private_segment_size 0
		.amdhsa_wavefront_size32 1
		.amdhsa_uses_dynamic_stack 0
		.amdhsa_enable_private_segment 0
		.amdhsa_system_sgpr_workgroup_id_x 1
		.amdhsa_system_sgpr_workgroup_id_y 0
		.amdhsa_system_sgpr_workgroup_id_z 0
		.amdhsa_system_sgpr_workgroup_info 0
		.amdhsa_system_vgpr_workitem_id 0
		.amdhsa_next_free_vgpr 4
		.amdhsa_next_free_sgpr 16
		.amdhsa_reserve_vcc 1
		.amdhsa_float_round_mode_32 0
		.amdhsa_float_round_mode_16_64 0
		.amdhsa_float_denorm_mode_32 3
		.amdhsa_float_denorm_mode_16_64 3
		.amdhsa_dx10_clamp 1
		.amdhsa_ieee_mode 1
		.amdhsa_fp16_overflow 0
		.amdhsa_workgroup_processor_mode 1
		.amdhsa_memory_ordered 1
		.amdhsa_forward_progress 0
		.amdhsa_shared_vgpr_count 0
		.amdhsa_exception_fp_ieee_invalid_op 0
		.amdhsa_exception_fp_denorm_src 0
		.amdhsa_exception_fp_ieee_div_zero 0
		.amdhsa_exception_fp_ieee_overflow 0
		.amdhsa_exception_fp_ieee_underflow 0
		.amdhsa_exception_fp_ieee_inexact 0
		.amdhsa_exception_int_div_zero 0
	.end_amdhsa_kernel
	.section	.text._ZN6thrust23THRUST_200600_302600_NS11hip_rocprim14__parallel_for6kernelILj256ENS1_10__tabulate7functorINS0_6detail15normal_iteratorINS0_10device_ptrItEEEENS0_6system6detail7generic6detail22compute_sequence_valueItvEElEElLj1EEEvT0_T1_SJ_,"axG",@progbits,_ZN6thrust23THRUST_200600_302600_NS11hip_rocprim14__parallel_for6kernelILj256ENS1_10__tabulate7functorINS0_6detail15normal_iteratorINS0_10device_ptrItEEEENS0_6system6detail7generic6detail22compute_sequence_valueItvEElEElLj1EEEvT0_T1_SJ_,comdat
.Lfunc_end721:
	.size	_ZN6thrust23THRUST_200600_302600_NS11hip_rocprim14__parallel_for6kernelILj256ENS1_10__tabulate7functorINS0_6detail15normal_iteratorINS0_10device_ptrItEEEENS0_6system6detail7generic6detail22compute_sequence_valueItvEElEElLj1EEEvT0_T1_SJ_, .Lfunc_end721-_ZN6thrust23THRUST_200600_302600_NS11hip_rocprim14__parallel_for6kernelILj256ENS1_10__tabulate7functorINS0_6detail15normal_iteratorINS0_10device_ptrItEEEENS0_6system6detail7generic6detail22compute_sequence_valueItvEElEElLj1EEEvT0_T1_SJ_
                                        ; -- End function
	.section	.AMDGPU.csdata,"",@progbits
; Kernel info:
; codeLenInByte = 188
; NumSgprs: 18
; NumVgprs: 4
; ScratchSize: 0
; MemoryBound: 0
; FloatMode: 240
; IeeeMode: 1
; LDSByteSize: 0 bytes/workgroup (compile time only)
; SGPRBlocks: 2
; VGPRBlocks: 0
; NumSGPRsForWavesPerEU: 18
; NumVGPRsForWavesPerEU: 4
; Occupancy: 16
; WaveLimiterHint : 0
; COMPUTE_PGM_RSRC2:SCRATCH_EN: 0
; COMPUTE_PGM_RSRC2:USER_SGPR: 15
; COMPUTE_PGM_RSRC2:TRAP_HANDLER: 0
; COMPUTE_PGM_RSRC2:TGID_X_EN: 1
; COMPUTE_PGM_RSRC2:TGID_Y_EN: 0
; COMPUTE_PGM_RSRC2:TGID_Z_EN: 0
; COMPUTE_PGM_RSRC2:TIDIG_COMP_CNT: 0
	.section	.text._ZN6thrust23THRUST_200600_302600_NS11hip_rocprim14__parallel_for6kernelILj256ENS1_10__tabulate7functorINS0_6detail15normal_iteratorINS0_10device_ptrIxEEEENS0_6system6detail7generic6detail22compute_sequence_valueIxvEElEElLj1EEEvT0_T1_SJ_,"axG",@progbits,_ZN6thrust23THRUST_200600_302600_NS11hip_rocprim14__parallel_for6kernelILj256ENS1_10__tabulate7functorINS0_6detail15normal_iteratorINS0_10device_ptrIxEEEENS0_6system6detail7generic6detail22compute_sequence_valueIxvEElEElLj1EEEvT0_T1_SJ_,comdat
	.protected	_ZN6thrust23THRUST_200600_302600_NS11hip_rocprim14__parallel_for6kernelILj256ENS1_10__tabulate7functorINS0_6detail15normal_iteratorINS0_10device_ptrIxEEEENS0_6system6detail7generic6detail22compute_sequence_valueIxvEElEElLj1EEEvT0_T1_SJ_ ; -- Begin function _ZN6thrust23THRUST_200600_302600_NS11hip_rocprim14__parallel_for6kernelILj256ENS1_10__tabulate7functorINS0_6detail15normal_iteratorINS0_10device_ptrIxEEEENS0_6system6detail7generic6detail22compute_sequence_valueIxvEElEElLj1EEEvT0_T1_SJ_
	.globl	_ZN6thrust23THRUST_200600_302600_NS11hip_rocprim14__parallel_for6kernelILj256ENS1_10__tabulate7functorINS0_6detail15normal_iteratorINS0_10device_ptrIxEEEENS0_6system6detail7generic6detail22compute_sequence_valueIxvEElEElLj1EEEvT0_T1_SJ_
	.p2align	8
	.type	_ZN6thrust23THRUST_200600_302600_NS11hip_rocprim14__parallel_for6kernelILj256ENS1_10__tabulate7functorINS0_6detail15normal_iteratorINS0_10device_ptrIxEEEENS0_6system6detail7generic6detail22compute_sequence_valueIxvEElEElLj1EEEvT0_T1_SJ_,@function
_ZN6thrust23THRUST_200600_302600_NS11hip_rocprim14__parallel_for6kernelILj256ENS1_10__tabulate7functorINS0_6detail15normal_iteratorINS0_10device_ptrIxEEEENS0_6system6detail7generic6detail22compute_sequence_valueIxvEElEElLj1EEEvT0_T1_SJ_: ; @_ZN6thrust23THRUST_200600_302600_NS11hip_rocprim14__parallel_for6kernelILj256ENS1_10__tabulate7functorINS0_6detail15normal_iteratorINS0_10device_ptrIxEEEENS0_6system6detail7generic6detail22compute_sequence_valueIxvEElEElLj1EEEvT0_T1_SJ_
; %bb.0:
	s_load_b128 s[4:7], s[0:1], 0x18
	s_lshl_b32 s2, s15, 8
	s_waitcnt lgkmcnt(0)
	s_add_u32 s2, s2, s6
	s_addc_u32 s3, 0, s7
	s_sub_u32 s4, s4, s2
	s_subb_u32 s5, s5, s3
	s_delay_alu instid0(SALU_CYCLE_1) | instskip(NEXT) | instid1(VALU_DEP_1)
	v_cmp_gt_i64_e64 s5, 0x100, s[4:5]
	s_and_b32 s5, s5, exec_lo
	s_cselect_b32 s4, s4, 0x100
	s_delay_alu instid0(SALU_CYCLE_1) | instskip(SKIP_2) | instid1(SALU_CYCLE_1)
	v_cmp_gt_u32_e32 vcc_lo, s4, v0
	s_cmpk_eq_i32 s4, 0x100
	s_cselect_b32 s4, -1, 0
	s_or_b32 s4, s4, vcc_lo
	s_delay_alu instid0(SALU_CYCLE_1)
	s_and_saveexec_b32 s5, s4
	s_cbranch_execz .LBB722_2
; %bb.1:
	s_clause 0x1
	s_load_b128 s[4:7], s[0:1], 0x0
	s_load_b64 s[0:1], s[0:1], 0x10
	v_add_co_u32 v0, s2, s2, v0
	s_delay_alu instid0(VALU_DEP_1) | instskip(SKIP_1) | instid1(VALU_DEP_2)
	v_add_co_ci_u32_e64 v1, null, s3, 0, s2
	s_waitcnt lgkmcnt(0)
	v_mad_u64_u32 v[2:3], null, s0, v0, s[6:7]
	s_delay_alu instid0(VALU_DEP_2) | instskip(SKIP_2) | instid1(VALU_DEP_1)
	v_mul_lo_u32 v4, s0, v1
	v_mul_lo_u32 v5, s1, v0
	v_lshlrev_b64 v[0:1], 3, v[0:1]
	v_add_co_u32 v0, vcc_lo, s4, v0
	s_delay_alu instid0(VALU_DEP_3) | instskip(NEXT) | instid1(VALU_DEP_3)
	v_add3_u32 v3, v5, v3, v4
	v_add_co_ci_u32_e32 v1, vcc_lo, s5, v1, vcc_lo
	flat_store_b64 v[0:1], v[2:3]
.LBB722_2:
	s_endpgm
	.section	.rodata,"a",@progbits
	.p2align	6, 0x0
	.amdhsa_kernel _ZN6thrust23THRUST_200600_302600_NS11hip_rocprim14__parallel_for6kernelILj256ENS1_10__tabulate7functorINS0_6detail15normal_iteratorINS0_10device_ptrIxEEEENS0_6system6detail7generic6detail22compute_sequence_valueIxvEElEElLj1EEEvT0_T1_SJ_
		.amdhsa_group_segment_fixed_size 0
		.amdhsa_private_segment_fixed_size 0
		.amdhsa_kernarg_size 40
		.amdhsa_user_sgpr_count 15
		.amdhsa_user_sgpr_dispatch_ptr 0
		.amdhsa_user_sgpr_queue_ptr 0
		.amdhsa_user_sgpr_kernarg_segment_ptr 1
		.amdhsa_user_sgpr_dispatch_id 0
		.amdhsa_user_sgpr_private_segment_size 0
		.amdhsa_wavefront_size32 1
		.amdhsa_uses_dynamic_stack 0
		.amdhsa_enable_private_segment 0
		.amdhsa_system_sgpr_workgroup_id_x 1
		.amdhsa_system_sgpr_workgroup_id_y 0
		.amdhsa_system_sgpr_workgroup_id_z 0
		.amdhsa_system_sgpr_workgroup_info 0
		.amdhsa_system_vgpr_workitem_id 0
		.amdhsa_next_free_vgpr 6
		.amdhsa_next_free_sgpr 16
		.amdhsa_reserve_vcc 1
		.amdhsa_float_round_mode_32 0
		.amdhsa_float_round_mode_16_64 0
		.amdhsa_float_denorm_mode_32 3
		.amdhsa_float_denorm_mode_16_64 3
		.amdhsa_dx10_clamp 1
		.amdhsa_ieee_mode 1
		.amdhsa_fp16_overflow 0
		.amdhsa_workgroup_processor_mode 1
		.amdhsa_memory_ordered 1
		.amdhsa_forward_progress 0
		.amdhsa_shared_vgpr_count 0
		.amdhsa_exception_fp_ieee_invalid_op 0
		.amdhsa_exception_fp_denorm_src 0
		.amdhsa_exception_fp_ieee_div_zero 0
		.amdhsa_exception_fp_ieee_overflow 0
		.amdhsa_exception_fp_ieee_underflow 0
		.amdhsa_exception_fp_ieee_inexact 0
		.amdhsa_exception_int_div_zero 0
	.end_amdhsa_kernel
	.section	.text._ZN6thrust23THRUST_200600_302600_NS11hip_rocprim14__parallel_for6kernelILj256ENS1_10__tabulate7functorINS0_6detail15normal_iteratorINS0_10device_ptrIxEEEENS0_6system6detail7generic6detail22compute_sequence_valueIxvEElEElLj1EEEvT0_T1_SJ_,"axG",@progbits,_ZN6thrust23THRUST_200600_302600_NS11hip_rocprim14__parallel_for6kernelILj256ENS1_10__tabulate7functorINS0_6detail15normal_iteratorINS0_10device_ptrIxEEEENS0_6system6detail7generic6detail22compute_sequence_valueIxvEElEElLj1EEEvT0_T1_SJ_,comdat
.Lfunc_end722:
	.size	_ZN6thrust23THRUST_200600_302600_NS11hip_rocprim14__parallel_for6kernelILj256ENS1_10__tabulate7functorINS0_6detail15normal_iteratorINS0_10device_ptrIxEEEENS0_6system6detail7generic6detail22compute_sequence_valueIxvEElEElLj1EEEvT0_T1_SJ_, .Lfunc_end722-_ZN6thrust23THRUST_200600_302600_NS11hip_rocprim14__parallel_for6kernelILj256ENS1_10__tabulate7functorINS0_6detail15normal_iteratorINS0_10device_ptrIxEEEENS0_6system6detail7generic6detail22compute_sequence_valueIxvEElEElLj1EEEvT0_T1_SJ_
                                        ; -- End function
	.section	.AMDGPU.csdata,"",@progbits
; Kernel info:
; codeLenInByte = 208
; NumSgprs: 18
; NumVgprs: 6
; ScratchSize: 0
; MemoryBound: 0
; FloatMode: 240
; IeeeMode: 1
; LDSByteSize: 0 bytes/workgroup (compile time only)
; SGPRBlocks: 2
; VGPRBlocks: 0
; NumSGPRsForWavesPerEU: 18
; NumVGPRsForWavesPerEU: 6
; Occupancy: 16
; WaveLimiterHint : 0
; COMPUTE_PGM_RSRC2:SCRATCH_EN: 0
; COMPUTE_PGM_RSRC2:USER_SGPR: 15
; COMPUTE_PGM_RSRC2:TRAP_HANDLER: 0
; COMPUTE_PGM_RSRC2:TGID_X_EN: 1
; COMPUTE_PGM_RSRC2:TGID_Y_EN: 0
; COMPUTE_PGM_RSRC2:TGID_Z_EN: 0
; COMPUTE_PGM_RSRC2:TIDIG_COMP_CNT: 0
	.section	.text._ZN6thrust23THRUST_200600_302600_NS11hip_rocprim14__parallel_for6kernelILj256ENS1_10__tabulate7functorINS0_6detail15normal_iteratorINS0_10device_ptrIiEEEENS0_6system6detail7generic6detail22compute_sequence_valueIivEElEElLj1EEEvT0_T1_SJ_,"axG",@progbits,_ZN6thrust23THRUST_200600_302600_NS11hip_rocprim14__parallel_for6kernelILj256ENS1_10__tabulate7functorINS0_6detail15normal_iteratorINS0_10device_ptrIiEEEENS0_6system6detail7generic6detail22compute_sequence_valueIivEElEElLj1EEEvT0_T1_SJ_,comdat
	.protected	_ZN6thrust23THRUST_200600_302600_NS11hip_rocprim14__parallel_for6kernelILj256ENS1_10__tabulate7functorINS0_6detail15normal_iteratorINS0_10device_ptrIiEEEENS0_6system6detail7generic6detail22compute_sequence_valueIivEElEElLj1EEEvT0_T1_SJ_ ; -- Begin function _ZN6thrust23THRUST_200600_302600_NS11hip_rocprim14__parallel_for6kernelILj256ENS1_10__tabulate7functorINS0_6detail15normal_iteratorINS0_10device_ptrIiEEEENS0_6system6detail7generic6detail22compute_sequence_valueIivEElEElLj1EEEvT0_T1_SJ_
	.globl	_ZN6thrust23THRUST_200600_302600_NS11hip_rocprim14__parallel_for6kernelILj256ENS1_10__tabulate7functorINS0_6detail15normal_iteratorINS0_10device_ptrIiEEEENS0_6system6detail7generic6detail22compute_sequence_valueIivEElEElLj1EEEvT0_T1_SJ_
	.p2align	8
	.type	_ZN6thrust23THRUST_200600_302600_NS11hip_rocprim14__parallel_for6kernelILj256ENS1_10__tabulate7functorINS0_6detail15normal_iteratorINS0_10device_ptrIiEEEENS0_6system6detail7generic6detail22compute_sequence_valueIivEElEElLj1EEEvT0_T1_SJ_,@function
_ZN6thrust23THRUST_200600_302600_NS11hip_rocprim14__parallel_for6kernelILj256ENS1_10__tabulate7functorINS0_6detail15normal_iteratorINS0_10device_ptrIiEEEENS0_6system6detail7generic6detail22compute_sequence_valueIivEElEElLj1EEEvT0_T1_SJ_: ; @_ZN6thrust23THRUST_200600_302600_NS11hip_rocprim14__parallel_for6kernelILj256ENS1_10__tabulate7functorINS0_6detail15normal_iteratorINS0_10device_ptrIiEEEENS0_6system6detail7generic6detail22compute_sequence_valueIivEElEElLj1EEEvT0_T1_SJ_
; %bb.0:
	s_load_b128 s[4:7], s[0:1], 0x10
	s_lshl_b32 s2, s15, 8
	s_waitcnt lgkmcnt(0)
	s_add_u32 s2, s2, s6
	s_addc_u32 s3, 0, s7
	s_sub_u32 s4, s4, s2
	s_subb_u32 s5, s5, s3
	s_delay_alu instid0(SALU_CYCLE_1) | instskip(NEXT) | instid1(VALU_DEP_1)
	v_cmp_gt_i64_e64 s5, 0x100, s[4:5]
	s_and_b32 s5, s5, exec_lo
	s_cselect_b32 s4, s4, 0x100
	s_delay_alu instid0(SALU_CYCLE_1) | instskip(SKIP_2) | instid1(SALU_CYCLE_1)
	v_cmp_gt_u32_e32 vcc_lo, s4, v0
	s_cmpk_eq_i32 s4, 0x100
	s_cselect_b32 s4, -1, 0
	s_or_b32 s4, s4, vcc_lo
	s_delay_alu instid0(SALU_CYCLE_1)
	s_and_saveexec_b32 s5, s4
	s_cbranch_execz .LBB723_2
; %bb.1:
	s_load_b128 s[4:7], s[0:1], 0x0
	v_add_co_u32 v0, s0, s2, v0
	s_delay_alu instid0(VALU_DEP_1) | instskip(NEXT) | instid1(VALU_DEP_1)
	v_add_co_ci_u32_e64 v1, null, s3, 0, s0
	v_lshlrev_b64 v[1:2], 2, v[0:1]
	s_waitcnt lgkmcnt(0)
	v_mad_u64_u32 v[3:4], null, s7, v0, s[6:7]
	s_delay_alu instid0(VALU_DEP_2) | instskip(NEXT) | instid1(VALU_DEP_3)
	v_add_co_u32 v0, vcc_lo, s4, v1
	v_add_co_ci_u32_e32 v1, vcc_lo, s5, v2, vcc_lo
	flat_store_b32 v[0:1], v3
.LBB723_2:
	s_endpgm
	.section	.rodata,"a",@progbits
	.p2align	6, 0x0
	.amdhsa_kernel _ZN6thrust23THRUST_200600_302600_NS11hip_rocprim14__parallel_for6kernelILj256ENS1_10__tabulate7functorINS0_6detail15normal_iteratorINS0_10device_ptrIiEEEENS0_6system6detail7generic6detail22compute_sequence_valueIivEElEElLj1EEEvT0_T1_SJ_
		.amdhsa_group_segment_fixed_size 0
		.amdhsa_private_segment_fixed_size 0
		.amdhsa_kernarg_size 32
		.amdhsa_user_sgpr_count 15
		.amdhsa_user_sgpr_dispatch_ptr 0
		.amdhsa_user_sgpr_queue_ptr 0
		.amdhsa_user_sgpr_kernarg_segment_ptr 1
		.amdhsa_user_sgpr_dispatch_id 0
		.amdhsa_user_sgpr_private_segment_size 0
		.amdhsa_wavefront_size32 1
		.amdhsa_uses_dynamic_stack 0
		.amdhsa_enable_private_segment 0
		.amdhsa_system_sgpr_workgroup_id_x 1
		.amdhsa_system_sgpr_workgroup_id_y 0
		.amdhsa_system_sgpr_workgroup_id_z 0
		.amdhsa_system_sgpr_workgroup_info 0
		.amdhsa_system_vgpr_workitem_id 0
		.amdhsa_next_free_vgpr 5
		.amdhsa_next_free_sgpr 16
		.amdhsa_reserve_vcc 1
		.amdhsa_float_round_mode_32 0
		.amdhsa_float_round_mode_16_64 0
		.amdhsa_float_denorm_mode_32 3
		.amdhsa_float_denorm_mode_16_64 3
		.amdhsa_dx10_clamp 1
		.amdhsa_ieee_mode 1
		.amdhsa_fp16_overflow 0
		.amdhsa_workgroup_processor_mode 1
		.amdhsa_memory_ordered 1
		.amdhsa_forward_progress 0
		.amdhsa_shared_vgpr_count 0
		.amdhsa_exception_fp_ieee_invalid_op 0
		.amdhsa_exception_fp_denorm_src 0
		.amdhsa_exception_fp_ieee_div_zero 0
		.amdhsa_exception_fp_ieee_overflow 0
		.amdhsa_exception_fp_ieee_underflow 0
		.amdhsa_exception_fp_ieee_inexact 0
		.amdhsa_exception_int_div_zero 0
	.end_amdhsa_kernel
	.section	.text._ZN6thrust23THRUST_200600_302600_NS11hip_rocprim14__parallel_for6kernelILj256ENS1_10__tabulate7functorINS0_6detail15normal_iteratorINS0_10device_ptrIiEEEENS0_6system6detail7generic6detail22compute_sequence_valueIivEElEElLj1EEEvT0_T1_SJ_,"axG",@progbits,_ZN6thrust23THRUST_200600_302600_NS11hip_rocprim14__parallel_for6kernelILj256ENS1_10__tabulate7functorINS0_6detail15normal_iteratorINS0_10device_ptrIiEEEENS0_6system6detail7generic6detail22compute_sequence_valueIivEElEElLj1EEEvT0_T1_SJ_,comdat
.Lfunc_end723:
	.size	_ZN6thrust23THRUST_200600_302600_NS11hip_rocprim14__parallel_for6kernelILj256ENS1_10__tabulate7functorINS0_6detail15normal_iteratorINS0_10device_ptrIiEEEENS0_6system6detail7generic6detail22compute_sequence_valueIivEElEElLj1EEEvT0_T1_SJ_, .Lfunc_end723-_ZN6thrust23THRUST_200600_302600_NS11hip_rocprim14__parallel_for6kernelILj256ENS1_10__tabulate7functorINS0_6detail15normal_iteratorINS0_10device_ptrIiEEEENS0_6system6detail7generic6detail22compute_sequence_valueIivEElEElLj1EEEvT0_T1_SJ_
                                        ; -- End function
	.section	.AMDGPU.csdata,"",@progbits
; Kernel info:
; codeLenInByte = 168
; NumSgprs: 18
; NumVgprs: 5
; ScratchSize: 0
; MemoryBound: 0
; FloatMode: 240
; IeeeMode: 1
; LDSByteSize: 0 bytes/workgroup (compile time only)
; SGPRBlocks: 2
; VGPRBlocks: 0
; NumSGPRsForWavesPerEU: 18
; NumVGPRsForWavesPerEU: 5
; Occupancy: 16
; WaveLimiterHint : 0
; COMPUTE_PGM_RSRC2:SCRATCH_EN: 0
; COMPUTE_PGM_RSRC2:USER_SGPR: 15
; COMPUTE_PGM_RSRC2:TRAP_HANDLER: 0
; COMPUTE_PGM_RSRC2:TGID_X_EN: 1
; COMPUTE_PGM_RSRC2:TGID_Y_EN: 0
; COMPUTE_PGM_RSRC2:TGID_Z_EN: 0
; COMPUTE_PGM_RSRC2:TIDIG_COMP_CNT: 0
	.section	.text._ZN6thrust23THRUST_200600_302600_NS11hip_rocprim14__parallel_for6kernelILj256ENS1_10__tabulate7functorINS0_6detail15normal_iteratorINS0_10device_ptrIsEEEENS0_6system6detail7generic6detail22compute_sequence_valueIsvEElEElLj1EEEvT0_T1_SJ_,"axG",@progbits,_ZN6thrust23THRUST_200600_302600_NS11hip_rocprim14__parallel_for6kernelILj256ENS1_10__tabulate7functorINS0_6detail15normal_iteratorINS0_10device_ptrIsEEEENS0_6system6detail7generic6detail22compute_sequence_valueIsvEElEElLj1EEEvT0_T1_SJ_,comdat
	.protected	_ZN6thrust23THRUST_200600_302600_NS11hip_rocprim14__parallel_for6kernelILj256ENS1_10__tabulate7functorINS0_6detail15normal_iteratorINS0_10device_ptrIsEEEENS0_6system6detail7generic6detail22compute_sequence_valueIsvEElEElLj1EEEvT0_T1_SJ_ ; -- Begin function _ZN6thrust23THRUST_200600_302600_NS11hip_rocprim14__parallel_for6kernelILj256ENS1_10__tabulate7functorINS0_6detail15normal_iteratorINS0_10device_ptrIsEEEENS0_6system6detail7generic6detail22compute_sequence_valueIsvEElEElLj1EEEvT0_T1_SJ_
	.globl	_ZN6thrust23THRUST_200600_302600_NS11hip_rocprim14__parallel_for6kernelILj256ENS1_10__tabulate7functorINS0_6detail15normal_iteratorINS0_10device_ptrIsEEEENS0_6system6detail7generic6detail22compute_sequence_valueIsvEElEElLj1EEEvT0_T1_SJ_
	.p2align	8
	.type	_ZN6thrust23THRUST_200600_302600_NS11hip_rocprim14__parallel_for6kernelILj256ENS1_10__tabulate7functorINS0_6detail15normal_iteratorINS0_10device_ptrIsEEEENS0_6system6detail7generic6detail22compute_sequence_valueIsvEElEElLj1EEEvT0_T1_SJ_,@function
_ZN6thrust23THRUST_200600_302600_NS11hip_rocprim14__parallel_for6kernelILj256ENS1_10__tabulate7functorINS0_6detail15normal_iteratorINS0_10device_ptrIsEEEENS0_6system6detail7generic6detail22compute_sequence_valueIsvEElEElLj1EEEvT0_T1_SJ_: ; @_ZN6thrust23THRUST_200600_302600_NS11hip_rocprim14__parallel_for6kernelILj256ENS1_10__tabulate7functorINS0_6detail15normal_iteratorINS0_10device_ptrIsEEEENS0_6system6detail7generic6detail22compute_sequence_valueIsvEElEElLj1EEEvT0_T1_SJ_
; %bb.0:
	s_load_b128 s[4:7], s[0:1], 0x10
	s_lshl_b32 s2, s15, 8
	s_waitcnt lgkmcnt(0)
	s_add_u32 s2, s2, s6
	s_addc_u32 s3, 0, s7
	s_sub_u32 s4, s4, s2
	s_subb_u32 s5, s5, s3
	s_delay_alu instid0(SALU_CYCLE_1) | instskip(NEXT) | instid1(VALU_DEP_1)
	v_cmp_gt_i64_e64 s5, 0x100, s[4:5]
	s_and_b32 s5, s5, exec_lo
	s_cselect_b32 s4, s4, 0x100
	s_delay_alu instid0(SALU_CYCLE_1) | instskip(SKIP_2) | instid1(SALU_CYCLE_1)
	v_cmp_gt_u32_e32 vcc_lo, s4, v0
	s_cmpk_eq_i32 s4, 0x100
	s_cselect_b32 s4, -1, 0
	s_or_b32 s4, s4, vcc_lo
	s_delay_alu instid0(SALU_CYCLE_1)
	s_and_saveexec_b32 s5, s4
	s_cbranch_execz .LBB724_2
; %bb.1:
	s_clause 0x1
	s_load_b32 s4, s[0:1], 0x8
	s_load_b64 s[0:1], s[0:1], 0x0
	v_add_co_u32 v0, s2, s2, v0
	s_delay_alu instid0(VALU_DEP_1) | instskip(NEXT) | instid1(VALU_DEP_1)
	v_add_co_ci_u32_e64 v1, null, s3, 0, s2
	v_lshlrev_b64 v[1:2], 1, v[0:1]
	s_waitcnt lgkmcnt(0)
	s_lshr_b32 s2, s4, 16
	s_delay_alu instid0(SALU_CYCLE_1) | instskip(NEXT) | instid1(VALU_DEP_2)
	v_mad_u16 v3, s2, v0, s4
	v_add_co_u32 v0, vcc_lo, s0, v1
	s_delay_alu instid0(VALU_DEP_3)
	v_add_co_ci_u32_e32 v1, vcc_lo, s1, v2, vcc_lo
	flat_store_b16 v[0:1], v3
.LBB724_2:
	s_endpgm
	.section	.rodata,"a",@progbits
	.p2align	6, 0x0
	.amdhsa_kernel _ZN6thrust23THRUST_200600_302600_NS11hip_rocprim14__parallel_for6kernelILj256ENS1_10__tabulate7functorINS0_6detail15normal_iteratorINS0_10device_ptrIsEEEENS0_6system6detail7generic6detail22compute_sequence_valueIsvEElEElLj1EEEvT0_T1_SJ_
		.amdhsa_group_segment_fixed_size 0
		.amdhsa_private_segment_fixed_size 0
		.amdhsa_kernarg_size 32
		.amdhsa_user_sgpr_count 15
		.amdhsa_user_sgpr_dispatch_ptr 0
		.amdhsa_user_sgpr_queue_ptr 0
		.amdhsa_user_sgpr_kernarg_segment_ptr 1
		.amdhsa_user_sgpr_dispatch_id 0
		.amdhsa_user_sgpr_private_segment_size 0
		.amdhsa_wavefront_size32 1
		.amdhsa_uses_dynamic_stack 0
		.amdhsa_enable_private_segment 0
		.amdhsa_system_sgpr_workgroup_id_x 1
		.amdhsa_system_sgpr_workgroup_id_y 0
		.amdhsa_system_sgpr_workgroup_id_z 0
		.amdhsa_system_sgpr_workgroup_info 0
		.amdhsa_system_vgpr_workitem_id 0
		.amdhsa_next_free_vgpr 4
		.amdhsa_next_free_sgpr 16
		.amdhsa_reserve_vcc 1
		.amdhsa_float_round_mode_32 0
		.amdhsa_float_round_mode_16_64 0
		.amdhsa_float_denorm_mode_32 3
		.amdhsa_float_denorm_mode_16_64 3
		.amdhsa_dx10_clamp 1
		.amdhsa_ieee_mode 1
		.amdhsa_fp16_overflow 0
		.amdhsa_workgroup_processor_mode 1
		.amdhsa_memory_ordered 1
		.amdhsa_forward_progress 0
		.amdhsa_shared_vgpr_count 0
		.amdhsa_exception_fp_ieee_invalid_op 0
		.amdhsa_exception_fp_denorm_src 0
		.amdhsa_exception_fp_ieee_div_zero 0
		.amdhsa_exception_fp_ieee_overflow 0
		.amdhsa_exception_fp_ieee_underflow 0
		.amdhsa_exception_fp_ieee_inexact 0
		.amdhsa_exception_int_div_zero 0
	.end_amdhsa_kernel
	.section	.text._ZN6thrust23THRUST_200600_302600_NS11hip_rocprim14__parallel_for6kernelILj256ENS1_10__tabulate7functorINS0_6detail15normal_iteratorINS0_10device_ptrIsEEEENS0_6system6detail7generic6detail22compute_sequence_valueIsvEElEElLj1EEEvT0_T1_SJ_,"axG",@progbits,_ZN6thrust23THRUST_200600_302600_NS11hip_rocprim14__parallel_for6kernelILj256ENS1_10__tabulate7functorINS0_6detail15normal_iteratorINS0_10device_ptrIsEEEENS0_6system6detail7generic6detail22compute_sequence_valueIsvEElEElLj1EEEvT0_T1_SJ_,comdat
.Lfunc_end724:
	.size	_ZN6thrust23THRUST_200600_302600_NS11hip_rocprim14__parallel_for6kernelILj256ENS1_10__tabulate7functorINS0_6detail15normal_iteratorINS0_10device_ptrIsEEEENS0_6system6detail7generic6detail22compute_sequence_valueIsvEElEElLj1EEEvT0_T1_SJ_, .Lfunc_end724-_ZN6thrust23THRUST_200600_302600_NS11hip_rocprim14__parallel_for6kernelILj256ENS1_10__tabulate7functorINS0_6detail15normal_iteratorINS0_10device_ptrIsEEEENS0_6system6detail7generic6detail22compute_sequence_valueIsvEElEElLj1EEEvT0_T1_SJ_
                                        ; -- End function
	.section	.AMDGPU.csdata,"",@progbits
; Kernel info:
; codeLenInByte = 188
; NumSgprs: 18
; NumVgprs: 4
; ScratchSize: 0
; MemoryBound: 0
; FloatMode: 240
; IeeeMode: 1
; LDSByteSize: 0 bytes/workgroup (compile time only)
; SGPRBlocks: 2
; VGPRBlocks: 0
; NumSGPRsForWavesPerEU: 18
; NumVGPRsForWavesPerEU: 4
; Occupancy: 16
; WaveLimiterHint : 0
; COMPUTE_PGM_RSRC2:SCRATCH_EN: 0
; COMPUTE_PGM_RSRC2:USER_SGPR: 15
; COMPUTE_PGM_RSRC2:TRAP_HANDLER: 0
; COMPUTE_PGM_RSRC2:TGID_X_EN: 1
; COMPUTE_PGM_RSRC2:TGID_Y_EN: 0
; COMPUTE_PGM_RSRC2:TGID_Z_EN: 0
; COMPUTE_PGM_RSRC2:TIDIG_COMP_CNT: 0
	.section	.text._ZN6thrust23THRUST_200600_302600_NS11hip_rocprim14__parallel_for6kernelILj256ENS1_11__transform17unary_transform_fINS0_17counting_iteratorI10large_dataNS0_11use_defaultES8_S8_EENS0_6detail15normal_iteratorINS0_10device_ptrIS7_EEEENS4_14no_stencil_tagENS0_8identityIS7_EENS4_21always_true_predicateEEElLj1EEEvT0_T1_SL_,"axG",@progbits,_ZN6thrust23THRUST_200600_302600_NS11hip_rocprim14__parallel_for6kernelILj256ENS1_11__transform17unary_transform_fINS0_17counting_iteratorI10large_dataNS0_11use_defaultES8_S8_EENS0_6detail15normal_iteratorINS0_10device_ptrIS7_EEEENS4_14no_stencil_tagENS0_8identityIS7_EENS4_21always_true_predicateEEElLj1EEEvT0_T1_SL_,comdat
	.protected	_ZN6thrust23THRUST_200600_302600_NS11hip_rocprim14__parallel_for6kernelILj256ENS1_11__transform17unary_transform_fINS0_17counting_iteratorI10large_dataNS0_11use_defaultES8_S8_EENS0_6detail15normal_iteratorINS0_10device_ptrIS7_EEEENS4_14no_stencil_tagENS0_8identityIS7_EENS4_21always_true_predicateEEElLj1EEEvT0_T1_SL_ ; -- Begin function _ZN6thrust23THRUST_200600_302600_NS11hip_rocprim14__parallel_for6kernelILj256ENS1_11__transform17unary_transform_fINS0_17counting_iteratorI10large_dataNS0_11use_defaultES8_S8_EENS0_6detail15normal_iteratorINS0_10device_ptrIS7_EEEENS4_14no_stencil_tagENS0_8identityIS7_EENS4_21always_true_predicateEEElLj1EEEvT0_T1_SL_
	.globl	_ZN6thrust23THRUST_200600_302600_NS11hip_rocprim14__parallel_for6kernelILj256ENS1_11__transform17unary_transform_fINS0_17counting_iteratorI10large_dataNS0_11use_defaultES8_S8_EENS0_6detail15normal_iteratorINS0_10device_ptrIS7_EEEENS4_14no_stencil_tagENS0_8identityIS7_EENS4_21always_true_predicateEEElLj1EEEvT0_T1_SL_
	.p2align	8
	.type	_ZN6thrust23THRUST_200600_302600_NS11hip_rocprim14__parallel_for6kernelILj256ENS1_11__transform17unary_transform_fINS0_17counting_iteratorI10large_dataNS0_11use_defaultES8_S8_EENS0_6detail15normal_iteratorINS0_10device_ptrIS7_EEEENS4_14no_stencil_tagENS0_8identityIS7_EENS4_21always_true_predicateEEElLj1EEEvT0_T1_SL_,@function
_ZN6thrust23THRUST_200600_302600_NS11hip_rocprim14__parallel_for6kernelILj256ENS1_11__transform17unary_transform_fINS0_17counting_iteratorI10large_dataNS0_11use_defaultES8_S8_EENS0_6detail15normal_iteratorINS0_10device_ptrIS7_EEEENS4_14no_stencil_tagENS0_8identityIS7_EENS4_21always_true_predicateEEElLj1EEEvT0_T1_SL_: ; @_ZN6thrust23THRUST_200600_302600_NS11hip_rocprim14__parallel_for6kernelILj256ENS1_11__transform17unary_transform_fINS0_17counting_iteratorI10large_dataNS0_11use_defaultES8_S8_EENS0_6detail15normal_iteratorINS0_10device_ptrIS7_EEEENS4_14no_stencil_tagENS0_8identityIS7_EENS4_21always_true_predicateEEElLj1EEEvT0_T1_SL_
; %bb.0:
	s_clause 0x2
	s_load_b128 s[8:11], s[0:1], 0x210
	s_load_b32 s2, s[0:1], 0x0
	s_load_b64 s[0:1], s[0:1], 0x200
	s_lshl_b32 s3, s15, 8
	s_waitcnt lgkmcnt(0)
	s_add_u32 s3, s3, s10
	s_addc_u32 s4, 0, s11
	s_sub_u32 s6, s8, s3
	s_subb_u32 s7, s9, s4
	s_delay_alu instid0(SALU_CYCLE_1) | instskip(NEXT) | instid1(VALU_DEP_1)
	v_cmp_gt_i64_e64 s5, 0x100, s[6:7]
	s_and_b32 s5, s5, exec_lo
	s_cselect_b32 s6, s6, 0x100
	s_mov_b32 s5, -1
	s_cmpk_lg_i32 s6, 0x100
	s_cbranch_scc1 .LBB725_3
; %bb.1:
	s_and_not1_b32 vcc_lo, exec_lo, s5
	s_cbranch_vccz .LBB725_6
.LBB725_2:
	s_endpgm
.LBB725_3:
	s_mov_b32 s5, exec_lo
	v_cmpx_gt_u32_e64 s6, v0
	s_cbranch_execz .LBB725_5
; %bb.4:
	v_add_co_u32 v1, s6, s3, v0
	s_delay_alu instid0(VALU_DEP_1) | instskip(NEXT) | instid1(VALU_DEP_1)
	v_add_co_ci_u32_e64 v2, null, s4, 0, s6
	v_lshlrev_b64 v[2:3], 9, v[1:2]
	v_add_nc_u16 v1, s2, v1
	s_delay_alu instid0(VALU_DEP_2) | instskip(NEXT) | instid1(VALU_DEP_3)
	v_add_co_u32 v2, vcc_lo, s0, v2
	v_add_co_ci_u32_e32 v3, vcc_lo, s1, v3, vcc_lo
	flat_store_b8 v[2:3], v1
.LBB725_5:
	s_or_b32 exec_lo, exec_lo, s5
	s_cbranch_execnz .LBB725_2
.LBB725_6:
	v_add_co_u32 v0, s3, s3, v0
	s_delay_alu instid0(VALU_DEP_1) | instskip(NEXT) | instid1(VALU_DEP_2)
	v_add_co_ci_u32_e64 v1, null, s4, 0, s3
	v_add_nc_u16 v3, s2, v0
	s_delay_alu instid0(VALU_DEP_2) | instskip(NEXT) | instid1(VALU_DEP_1)
	v_lshlrev_b64 v[1:2], 9, v[0:1]
	v_add_co_u32 v0, vcc_lo, s0, v1
	s_delay_alu instid0(VALU_DEP_2)
	v_add_co_ci_u32_e32 v1, vcc_lo, s1, v2, vcc_lo
	flat_store_b8 v[0:1], v3
	s_endpgm
	.section	.rodata,"a",@progbits
	.p2align	6, 0x0
	.amdhsa_kernel _ZN6thrust23THRUST_200600_302600_NS11hip_rocprim14__parallel_for6kernelILj256ENS1_11__transform17unary_transform_fINS0_17counting_iteratorI10large_dataNS0_11use_defaultES8_S8_EENS0_6detail15normal_iteratorINS0_10device_ptrIS7_EEEENS4_14no_stencil_tagENS0_8identityIS7_EENS4_21always_true_predicateEEElLj1EEEvT0_T1_SL_
		.amdhsa_group_segment_fixed_size 0
		.amdhsa_private_segment_fixed_size 0
		.amdhsa_kernarg_size 544
		.amdhsa_user_sgpr_count 15
		.amdhsa_user_sgpr_dispatch_ptr 0
		.amdhsa_user_sgpr_queue_ptr 0
		.amdhsa_user_sgpr_kernarg_segment_ptr 1
		.amdhsa_user_sgpr_dispatch_id 0
		.amdhsa_user_sgpr_private_segment_size 0
		.amdhsa_wavefront_size32 1
		.amdhsa_uses_dynamic_stack 0
		.amdhsa_enable_private_segment 0
		.amdhsa_system_sgpr_workgroup_id_x 1
		.amdhsa_system_sgpr_workgroup_id_y 0
		.amdhsa_system_sgpr_workgroup_id_z 0
		.amdhsa_system_sgpr_workgroup_info 0
		.amdhsa_system_vgpr_workitem_id 0
		.amdhsa_next_free_vgpr 4
		.amdhsa_next_free_sgpr 16
		.amdhsa_reserve_vcc 1
		.amdhsa_float_round_mode_32 0
		.amdhsa_float_round_mode_16_64 0
		.amdhsa_float_denorm_mode_32 3
		.amdhsa_float_denorm_mode_16_64 3
		.amdhsa_dx10_clamp 1
		.amdhsa_ieee_mode 1
		.amdhsa_fp16_overflow 0
		.amdhsa_workgroup_processor_mode 1
		.amdhsa_memory_ordered 1
		.amdhsa_forward_progress 0
		.amdhsa_shared_vgpr_count 0
		.amdhsa_exception_fp_ieee_invalid_op 0
		.amdhsa_exception_fp_denorm_src 0
		.amdhsa_exception_fp_ieee_div_zero 0
		.amdhsa_exception_fp_ieee_overflow 0
		.amdhsa_exception_fp_ieee_underflow 0
		.amdhsa_exception_fp_ieee_inexact 0
		.amdhsa_exception_int_div_zero 0
	.end_amdhsa_kernel
	.section	.text._ZN6thrust23THRUST_200600_302600_NS11hip_rocprim14__parallel_for6kernelILj256ENS1_11__transform17unary_transform_fINS0_17counting_iteratorI10large_dataNS0_11use_defaultES8_S8_EENS0_6detail15normal_iteratorINS0_10device_ptrIS7_EEEENS4_14no_stencil_tagENS0_8identityIS7_EENS4_21always_true_predicateEEElLj1EEEvT0_T1_SL_,"axG",@progbits,_ZN6thrust23THRUST_200600_302600_NS11hip_rocprim14__parallel_for6kernelILj256ENS1_11__transform17unary_transform_fINS0_17counting_iteratorI10large_dataNS0_11use_defaultES8_S8_EENS0_6detail15normal_iteratorINS0_10device_ptrIS7_EEEENS4_14no_stencil_tagENS0_8identityIS7_EENS4_21always_true_predicateEEElLj1EEEvT0_T1_SL_,comdat
.Lfunc_end725:
	.size	_ZN6thrust23THRUST_200600_302600_NS11hip_rocprim14__parallel_for6kernelILj256ENS1_11__transform17unary_transform_fINS0_17counting_iteratorI10large_dataNS0_11use_defaultES8_S8_EENS0_6detail15normal_iteratorINS0_10device_ptrIS7_EEEENS4_14no_stencil_tagENS0_8identityIS7_EENS4_21always_true_predicateEEElLj1EEEvT0_T1_SL_, .Lfunc_end725-_ZN6thrust23THRUST_200600_302600_NS11hip_rocprim14__parallel_for6kernelILj256ENS1_11__transform17unary_transform_fINS0_17counting_iteratorI10large_dataNS0_11use_defaultES8_S8_EENS0_6detail15normal_iteratorINS0_10device_ptrIS7_EEEENS4_14no_stencil_tagENS0_8identityIS7_EENS4_21always_true_predicateEEElLj1EEEvT0_T1_SL_
                                        ; -- End function
	.section	.AMDGPU.csdata,"",@progbits
; Kernel info:
; codeLenInByte = 256
; NumSgprs: 18
; NumVgprs: 4
; ScratchSize: 0
; MemoryBound: 0
; FloatMode: 240
; IeeeMode: 1
; LDSByteSize: 0 bytes/workgroup (compile time only)
; SGPRBlocks: 2
; VGPRBlocks: 0
; NumSGPRsForWavesPerEU: 18
; NumVGPRsForWavesPerEU: 4
; Occupancy: 16
; WaveLimiterHint : 1
; COMPUTE_PGM_RSRC2:SCRATCH_EN: 0
; COMPUTE_PGM_RSRC2:USER_SGPR: 15
; COMPUTE_PGM_RSRC2:TRAP_HANDLER: 0
; COMPUTE_PGM_RSRC2:TGID_X_EN: 1
; COMPUTE_PGM_RSRC2:TGID_Y_EN: 0
; COMPUTE_PGM_RSRC2:TGID_Z_EN: 0
; COMPUTE_PGM_RSRC2:TIDIG_COMP_CNT: 0
	.section	.text._ZN6thrust23THRUST_200600_302600_NS11hip_rocprim14__parallel_for6kernelILj256ENS1_11__transform17unary_transform_fINS0_17counting_iteratorIdNS0_11use_defaultES7_S7_EENS0_6detail15normal_iteratorINS0_10device_ptrIdEEEENS4_14no_stencil_tagENS0_8identityIdEENS4_21always_true_predicateEEElLj1EEEvT0_T1_SK_,"axG",@progbits,_ZN6thrust23THRUST_200600_302600_NS11hip_rocprim14__parallel_for6kernelILj256ENS1_11__transform17unary_transform_fINS0_17counting_iteratorIdNS0_11use_defaultES7_S7_EENS0_6detail15normal_iteratorINS0_10device_ptrIdEEEENS4_14no_stencil_tagENS0_8identityIdEENS4_21always_true_predicateEEElLj1EEEvT0_T1_SK_,comdat
	.protected	_ZN6thrust23THRUST_200600_302600_NS11hip_rocprim14__parallel_for6kernelILj256ENS1_11__transform17unary_transform_fINS0_17counting_iteratorIdNS0_11use_defaultES7_S7_EENS0_6detail15normal_iteratorINS0_10device_ptrIdEEEENS4_14no_stencil_tagENS0_8identityIdEENS4_21always_true_predicateEEElLj1EEEvT0_T1_SK_ ; -- Begin function _ZN6thrust23THRUST_200600_302600_NS11hip_rocprim14__parallel_for6kernelILj256ENS1_11__transform17unary_transform_fINS0_17counting_iteratorIdNS0_11use_defaultES7_S7_EENS0_6detail15normal_iteratorINS0_10device_ptrIdEEEENS4_14no_stencil_tagENS0_8identityIdEENS4_21always_true_predicateEEElLj1EEEvT0_T1_SK_
	.globl	_ZN6thrust23THRUST_200600_302600_NS11hip_rocprim14__parallel_for6kernelILj256ENS1_11__transform17unary_transform_fINS0_17counting_iteratorIdNS0_11use_defaultES7_S7_EENS0_6detail15normal_iteratorINS0_10device_ptrIdEEEENS4_14no_stencil_tagENS0_8identityIdEENS4_21always_true_predicateEEElLj1EEEvT0_T1_SK_
	.p2align	8
	.type	_ZN6thrust23THRUST_200600_302600_NS11hip_rocprim14__parallel_for6kernelILj256ENS1_11__transform17unary_transform_fINS0_17counting_iteratorIdNS0_11use_defaultES7_S7_EENS0_6detail15normal_iteratorINS0_10device_ptrIdEEEENS4_14no_stencil_tagENS0_8identityIdEENS4_21always_true_predicateEEElLj1EEEvT0_T1_SK_,@function
_ZN6thrust23THRUST_200600_302600_NS11hip_rocprim14__parallel_for6kernelILj256ENS1_11__transform17unary_transform_fINS0_17counting_iteratorIdNS0_11use_defaultES7_S7_EENS0_6detail15normal_iteratorINS0_10device_ptrIdEEEENS4_14no_stencil_tagENS0_8identityIdEENS4_21always_true_predicateEEElLj1EEEvT0_T1_SK_: ; @_ZN6thrust23THRUST_200600_302600_NS11hip_rocprim14__parallel_for6kernelILj256ENS1_11__transform17unary_transform_fINS0_17counting_iteratorIdNS0_11use_defaultES7_S7_EENS0_6detail15normal_iteratorINS0_10device_ptrIdEEEENS4_14no_stencil_tagENS0_8identityIdEENS4_21always_true_predicateEEElLj1EEEvT0_T1_SK_
; %bb.0:
	s_load_b128 s[4:7], s[0:1], 0x18
	s_lshl_b32 s2, s15, 8
	s_waitcnt lgkmcnt(0)
	s_add_u32 s2, s2, s6
	s_addc_u32 s3, 0, s7
	s_sub_u32 s4, s4, s2
	s_subb_u32 s5, s5, s3
	s_delay_alu instid0(SALU_CYCLE_1) | instskip(NEXT) | instid1(VALU_DEP_1)
	v_cmp_gt_i64_e64 s5, 0x100, s[4:5]
	s_and_b32 s5, s5, exec_lo
	s_cselect_b32 s4, s4, 0x100
	s_delay_alu instid0(SALU_CYCLE_1) | instskip(SKIP_2) | instid1(SALU_CYCLE_1)
	v_cmp_gt_u32_e32 vcc_lo, s4, v0
	s_cmpk_eq_i32 s4, 0x100
	s_cselect_b32 s4, -1, 0
	s_or_b32 s4, s4, vcc_lo
	s_delay_alu instid0(SALU_CYCLE_1)
	s_and_saveexec_b32 s5, s4
	s_cbranch_execz .LBB726_2
; %bb.1:
	v_add_co_u32 v0, s2, s2, v0
	s_delay_alu instid0(VALU_DEP_1) | instskip(SKIP_1) | instid1(VALU_DEP_2)
	v_add_co_ci_u32_e64 v1, null, s3, 0, s2
	s_load_b128 s[0:3], s[0:1], 0x0
	v_cvt_f64_u32_e32 v[4:5], v0
	s_delay_alu instid0(VALU_DEP_2) | instskip(SKIP_2) | instid1(VALU_DEP_1)
	v_cvt_f64_i32_e32 v[2:3], v1
	v_lshlrev_b64 v[0:1], 3, v[0:1]
	s_waitcnt lgkmcnt(0)
	v_add_co_u32 v0, vcc_lo, s2, v0
	s_delay_alu instid0(VALU_DEP_2) | instskip(NEXT) | instid1(VALU_DEP_4)
	v_add_co_ci_u32_e32 v1, vcc_lo, s3, v1, vcc_lo
	v_ldexp_f64 v[2:3], v[2:3], 32
	s_delay_alu instid0(VALU_DEP_1) | instskip(NEXT) | instid1(VALU_DEP_1)
	v_add_f64 v[2:3], v[2:3], v[4:5]
	v_add_f64 v[2:3], s[0:1], v[2:3]
	flat_store_b64 v[0:1], v[2:3]
.LBB726_2:
	s_endpgm
	.section	.rodata,"a",@progbits
	.p2align	6, 0x0
	.amdhsa_kernel _ZN6thrust23THRUST_200600_302600_NS11hip_rocprim14__parallel_for6kernelILj256ENS1_11__transform17unary_transform_fINS0_17counting_iteratorIdNS0_11use_defaultES7_S7_EENS0_6detail15normal_iteratorINS0_10device_ptrIdEEEENS4_14no_stencil_tagENS0_8identityIdEENS4_21always_true_predicateEEElLj1EEEvT0_T1_SK_
		.amdhsa_group_segment_fixed_size 0
		.amdhsa_private_segment_fixed_size 0
		.amdhsa_kernarg_size 40
		.amdhsa_user_sgpr_count 15
		.amdhsa_user_sgpr_dispatch_ptr 0
		.amdhsa_user_sgpr_queue_ptr 0
		.amdhsa_user_sgpr_kernarg_segment_ptr 1
		.amdhsa_user_sgpr_dispatch_id 0
		.amdhsa_user_sgpr_private_segment_size 0
		.amdhsa_wavefront_size32 1
		.amdhsa_uses_dynamic_stack 0
		.amdhsa_enable_private_segment 0
		.amdhsa_system_sgpr_workgroup_id_x 1
		.amdhsa_system_sgpr_workgroup_id_y 0
		.amdhsa_system_sgpr_workgroup_id_z 0
		.amdhsa_system_sgpr_workgroup_info 0
		.amdhsa_system_vgpr_workitem_id 0
		.amdhsa_next_free_vgpr 6
		.amdhsa_next_free_sgpr 16
		.amdhsa_reserve_vcc 1
		.amdhsa_float_round_mode_32 0
		.amdhsa_float_round_mode_16_64 0
		.amdhsa_float_denorm_mode_32 3
		.amdhsa_float_denorm_mode_16_64 3
		.amdhsa_dx10_clamp 1
		.amdhsa_ieee_mode 1
		.amdhsa_fp16_overflow 0
		.amdhsa_workgroup_processor_mode 1
		.amdhsa_memory_ordered 1
		.amdhsa_forward_progress 0
		.amdhsa_shared_vgpr_count 0
		.amdhsa_exception_fp_ieee_invalid_op 0
		.amdhsa_exception_fp_denorm_src 0
		.amdhsa_exception_fp_ieee_div_zero 0
		.amdhsa_exception_fp_ieee_overflow 0
		.amdhsa_exception_fp_ieee_underflow 0
		.amdhsa_exception_fp_ieee_inexact 0
		.amdhsa_exception_int_div_zero 0
	.end_amdhsa_kernel
	.section	.text._ZN6thrust23THRUST_200600_302600_NS11hip_rocprim14__parallel_for6kernelILj256ENS1_11__transform17unary_transform_fINS0_17counting_iteratorIdNS0_11use_defaultES7_S7_EENS0_6detail15normal_iteratorINS0_10device_ptrIdEEEENS4_14no_stencil_tagENS0_8identityIdEENS4_21always_true_predicateEEElLj1EEEvT0_T1_SK_,"axG",@progbits,_ZN6thrust23THRUST_200600_302600_NS11hip_rocprim14__parallel_for6kernelILj256ENS1_11__transform17unary_transform_fINS0_17counting_iteratorIdNS0_11use_defaultES7_S7_EENS0_6detail15normal_iteratorINS0_10device_ptrIdEEEENS4_14no_stencil_tagENS0_8identityIdEENS4_21always_true_predicateEEElLj1EEEvT0_T1_SK_,comdat
.Lfunc_end726:
	.size	_ZN6thrust23THRUST_200600_302600_NS11hip_rocprim14__parallel_for6kernelILj256ENS1_11__transform17unary_transform_fINS0_17counting_iteratorIdNS0_11use_defaultES7_S7_EENS0_6detail15normal_iteratorINS0_10device_ptrIdEEEENS4_14no_stencil_tagENS0_8identityIdEENS4_21always_true_predicateEEElLj1EEEvT0_T1_SK_, .Lfunc_end726-_ZN6thrust23THRUST_200600_302600_NS11hip_rocprim14__parallel_for6kernelILj256ENS1_11__transform17unary_transform_fINS0_17counting_iteratorIdNS0_11use_defaultES7_S7_EENS0_6detail15normal_iteratorINS0_10device_ptrIdEEEENS4_14no_stencil_tagENS0_8identityIdEENS4_21always_true_predicateEEElLj1EEEvT0_T1_SK_
                                        ; -- End function
	.section	.AMDGPU.csdata,"",@progbits
; Kernel info:
; codeLenInByte = 200
; NumSgprs: 18
; NumVgprs: 6
; ScratchSize: 0
; MemoryBound: 0
; FloatMode: 240
; IeeeMode: 1
; LDSByteSize: 0 bytes/workgroup (compile time only)
; SGPRBlocks: 2
; VGPRBlocks: 0
; NumSGPRsForWavesPerEU: 18
; NumVGPRsForWavesPerEU: 6
; Occupancy: 16
; WaveLimiterHint : 0
; COMPUTE_PGM_RSRC2:SCRATCH_EN: 0
; COMPUTE_PGM_RSRC2:USER_SGPR: 15
; COMPUTE_PGM_RSRC2:TRAP_HANDLER: 0
; COMPUTE_PGM_RSRC2:TGID_X_EN: 1
; COMPUTE_PGM_RSRC2:TGID_Y_EN: 0
; COMPUTE_PGM_RSRC2:TGID_Z_EN: 0
; COMPUTE_PGM_RSRC2:TIDIG_COMP_CNT: 0
	.section	.text._ZN6thrust23THRUST_200600_302600_NS11hip_rocprim14__parallel_for6kernelILj256ENS1_11__transform17unary_transform_fINS0_17counting_iteratorIfNS0_11use_defaultES7_S7_EENS0_6detail15normal_iteratorINS0_10device_ptrIfEEEENS4_14no_stencil_tagENS0_8identityIfEENS4_21always_true_predicateEEElLj1EEEvT0_T1_SK_,"axG",@progbits,_ZN6thrust23THRUST_200600_302600_NS11hip_rocprim14__parallel_for6kernelILj256ENS1_11__transform17unary_transform_fINS0_17counting_iteratorIfNS0_11use_defaultES7_S7_EENS0_6detail15normal_iteratorINS0_10device_ptrIfEEEENS4_14no_stencil_tagENS0_8identityIfEENS4_21always_true_predicateEEElLj1EEEvT0_T1_SK_,comdat
	.protected	_ZN6thrust23THRUST_200600_302600_NS11hip_rocprim14__parallel_for6kernelILj256ENS1_11__transform17unary_transform_fINS0_17counting_iteratorIfNS0_11use_defaultES7_S7_EENS0_6detail15normal_iteratorINS0_10device_ptrIfEEEENS4_14no_stencil_tagENS0_8identityIfEENS4_21always_true_predicateEEElLj1EEEvT0_T1_SK_ ; -- Begin function _ZN6thrust23THRUST_200600_302600_NS11hip_rocprim14__parallel_for6kernelILj256ENS1_11__transform17unary_transform_fINS0_17counting_iteratorIfNS0_11use_defaultES7_S7_EENS0_6detail15normal_iteratorINS0_10device_ptrIfEEEENS4_14no_stencil_tagENS0_8identityIfEENS4_21always_true_predicateEEElLj1EEEvT0_T1_SK_
	.globl	_ZN6thrust23THRUST_200600_302600_NS11hip_rocprim14__parallel_for6kernelILj256ENS1_11__transform17unary_transform_fINS0_17counting_iteratorIfNS0_11use_defaultES7_S7_EENS0_6detail15normal_iteratorINS0_10device_ptrIfEEEENS4_14no_stencil_tagENS0_8identityIfEENS4_21always_true_predicateEEElLj1EEEvT0_T1_SK_
	.p2align	8
	.type	_ZN6thrust23THRUST_200600_302600_NS11hip_rocprim14__parallel_for6kernelILj256ENS1_11__transform17unary_transform_fINS0_17counting_iteratorIfNS0_11use_defaultES7_S7_EENS0_6detail15normal_iteratorINS0_10device_ptrIfEEEENS4_14no_stencil_tagENS0_8identityIfEENS4_21always_true_predicateEEElLj1EEEvT0_T1_SK_,@function
_ZN6thrust23THRUST_200600_302600_NS11hip_rocprim14__parallel_for6kernelILj256ENS1_11__transform17unary_transform_fINS0_17counting_iteratorIfNS0_11use_defaultES7_S7_EENS0_6detail15normal_iteratorINS0_10device_ptrIfEEEENS4_14no_stencil_tagENS0_8identityIfEENS4_21always_true_predicateEEElLj1EEEvT0_T1_SK_: ; @_ZN6thrust23THRUST_200600_302600_NS11hip_rocprim14__parallel_for6kernelILj256ENS1_11__transform17unary_transform_fINS0_17counting_iteratorIfNS0_11use_defaultES7_S7_EENS0_6detail15normal_iteratorINS0_10device_ptrIfEEEENS4_14no_stencil_tagENS0_8identityIfEENS4_21always_true_predicateEEElLj1EEEvT0_T1_SK_
; %bb.0:
	s_clause 0x2
	s_load_b128 s[8:11], s[0:1], 0x18
	s_load_b32 s2, s[0:1], 0x0
	s_load_b64 s[0:1], s[0:1], 0x8
	s_lshl_b32 s3, s15, 8
	s_waitcnt lgkmcnt(0)
	s_add_u32 s3, s3, s10
	s_addc_u32 s4, 0, s11
	s_sub_u32 s6, s8, s3
	s_subb_u32 s7, s9, s4
	s_delay_alu instid0(SALU_CYCLE_1) | instskip(NEXT) | instid1(VALU_DEP_1)
	v_cmp_gt_i64_e64 s5, 0x100, s[6:7]
	s_and_b32 s5, s5, exec_lo
	s_cselect_b32 s6, s6, 0x100
	s_mov_b32 s5, -1
	s_cmpk_lg_i32 s6, 0x100
	s_cbranch_scc1 .LBB727_3
; %bb.1:
	s_and_not1_b32 vcc_lo, exec_lo, s5
	s_cbranch_vccz .LBB727_6
.LBB727_2:
	s_endpgm
.LBB727_3:
	s_mov_b32 s5, exec_lo
	v_cmpx_gt_u32_e64 s6, v0
	s_cbranch_execz .LBB727_5
; %bb.4:
	v_add_co_u32 v1, s6, s3, v0
	s_delay_alu instid0(VALU_DEP_1) | instskip(NEXT) | instid1(VALU_DEP_1)
	v_add_co_ci_u32_e64 v2, null, s4, 0, s6
	v_xor_b32_e32 v3, v1, v2
	v_cls_i32_e32 v4, v2
	s_delay_alu instid0(VALU_DEP_2) | instskip(NEXT) | instid1(VALU_DEP_2)
	v_ashrrev_i32_e32 v3, 31, v3
	v_add_nc_u32_e32 v4, -1, v4
	s_delay_alu instid0(VALU_DEP_2) | instskip(NEXT) | instid1(VALU_DEP_1)
	v_add_nc_u32_e32 v3, 32, v3
	v_min_u32_e32 v5, v4, v3
	s_delay_alu instid0(VALU_DEP_1) | instskip(SKIP_1) | instid1(VALU_DEP_2)
	v_lshlrev_b64 v[3:4], v5, v[1:2]
	v_lshlrev_b64 v[1:2], 2, v[1:2]
	v_min_u32_e32 v3, 1, v3
	s_delay_alu instid0(VALU_DEP_2) | instskip(NEXT) | instid1(VALU_DEP_3)
	v_add_co_u32 v1, vcc_lo, s0, v1
	v_add_co_ci_u32_e32 v2, vcc_lo, s1, v2, vcc_lo
	s_delay_alu instid0(VALU_DEP_3) | instskip(SKIP_1) | instid1(VALU_DEP_2)
	v_or_b32_e32 v3, v4, v3
	v_sub_nc_u32_e32 v4, 32, v5
	v_cvt_f32_i32_e32 v3, v3
	s_delay_alu instid0(VALU_DEP_1) | instskip(NEXT) | instid1(VALU_DEP_1)
	v_ldexp_f32 v3, v3, v4
	v_add_f32_e32 v3, s2, v3
	flat_store_b32 v[1:2], v3
.LBB727_5:
	s_or_b32 exec_lo, exec_lo, s5
	s_cbranch_execnz .LBB727_2
.LBB727_6:
	v_add_co_u32 v0, s3, s3, v0
	s_delay_alu instid0(VALU_DEP_1) | instskip(NEXT) | instid1(VALU_DEP_1)
	v_add_co_ci_u32_e64 v1, null, s4, 0, s3
	v_xor_b32_e32 v2, v0, v1
	v_cls_i32_e32 v3, v1
	s_delay_alu instid0(VALU_DEP_2) | instskip(NEXT) | instid1(VALU_DEP_2)
	v_ashrrev_i32_e32 v2, 31, v2
	v_add_nc_u32_e32 v3, -1, v3
	s_delay_alu instid0(VALU_DEP_2) | instskip(NEXT) | instid1(VALU_DEP_1)
	v_add_nc_u32_e32 v2, 32, v2
	v_min_u32_e32 v4, v3, v2
	s_delay_alu instid0(VALU_DEP_1) | instskip(SKIP_1) | instid1(VALU_DEP_2)
	v_lshlrev_b64 v[2:3], v4, v[0:1]
	v_lshlrev_b64 v[0:1], 2, v[0:1]
	v_min_u32_e32 v2, 1, v2
	s_delay_alu instid0(VALU_DEP_2) | instskip(NEXT) | instid1(VALU_DEP_3)
	v_add_co_u32 v0, vcc_lo, s0, v0
	v_add_co_ci_u32_e32 v1, vcc_lo, s1, v1, vcc_lo
	s_delay_alu instid0(VALU_DEP_3) | instskip(SKIP_1) | instid1(VALU_DEP_2)
	v_or_b32_e32 v2, v3, v2
	v_sub_nc_u32_e32 v3, 32, v4
	v_cvt_f32_i32_e32 v2, v2
	s_delay_alu instid0(VALU_DEP_1) | instskip(NEXT) | instid1(VALU_DEP_1)
	v_ldexp_f32 v2, v2, v3
	v_add_f32_e32 v2, s2, v2
	flat_store_b32 v[0:1], v2
	s_endpgm
	.section	.rodata,"a",@progbits
	.p2align	6, 0x0
	.amdhsa_kernel _ZN6thrust23THRUST_200600_302600_NS11hip_rocprim14__parallel_for6kernelILj256ENS1_11__transform17unary_transform_fINS0_17counting_iteratorIfNS0_11use_defaultES7_S7_EENS0_6detail15normal_iteratorINS0_10device_ptrIfEEEENS4_14no_stencil_tagENS0_8identityIfEENS4_21always_true_predicateEEElLj1EEEvT0_T1_SK_
		.amdhsa_group_segment_fixed_size 0
		.amdhsa_private_segment_fixed_size 0
		.amdhsa_kernarg_size 40
		.amdhsa_user_sgpr_count 15
		.amdhsa_user_sgpr_dispatch_ptr 0
		.amdhsa_user_sgpr_queue_ptr 0
		.amdhsa_user_sgpr_kernarg_segment_ptr 1
		.amdhsa_user_sgpr_dispatch_id 0
		.amdhsa_user_sgpr_private_segment_size 0
		.amdhsa_wavefront_size32 1
		.amdhsa_uses_dynamic_stack 0
		.amdhsa_enable_private_segment 0
		.amdhsa_system_sgpr_workgroup_id_x 1
		.amdhsa_system_sgpr_workgroup_id_y 0
		.amdhsa_system_sgpr_workgroup_id_z 0
		.amdhsa_system_sgpr_workgroup_info 0
		.amdhsa_system_vgpr_workitem_id 0
		.amdhsa_next_free_vgpr 6
		.amdhsa_next_free_sgpr 16
		.amdhsa_reserve_vcc 1
		.amdhsa_float_round_mode_32 0
		.amdhsa_float_round_mode_16_64 0
		.amdhsa_float_denorm_mode_32 3
		.amdhsa_float_denorm_mode_16_64 3
		.amdhsa_dx10_clamp 1
		.amdhsa_ieee_mode 1
		.amdhsa_fp16_overflow 0
		.amdhsa_workgroup_processor_mode 1
		.amdhsa_memory_ordered 1
		.amdhsa_forward_progress 0
		.amdhsa_shared_vgpr_count 0
		.amdhsa_exception_fp_ieee_invalid_op 0
		.amdhsa_exception_fp_denorm_src 0
		.amdhsa_exception_fp_ieee_div_zero 0
		.amdhsa_exception_fp_ieee_overflow 0
		.amdhsa_exception_fp_ieee_underflow 0
		.amdhsa_exception_fp_ieee_inexact 0
		.amdhsa_exception_int_div_zero 0
	.end_amdhsa_kernel
	.section	.text._ZN6thrust23THRUST_200600_302600_NS11hip_rocprim14__parallel_for6kernelILj256ENS1_11__transform17unary_transform_fINS0_17counting_iteratorIfNS0_11use_defaultES7_S7_EENS0_6detail15normal_iteratorINS0_10device_ptrIfEEEENS4_14no_stencil_tagENS0_8identityIfEENS4_21always_true_predicateEEElLj1EEEvT0_T1_SK_,"axG",@progbits,_ZN6thrust23THRUST_200600_302600_NS11hip_rocprim14__parallel_for6kernelILj256ENS1_11__transform17unary_transform_fINS0_17counting_iteratorIfNS0_11use_defaultES7_S7_EENS0_6detail15normal_iteratorINS0_10device_ptrIfEEEENS4_14no_stencil_tagENS0_8identityIfEENS4_21always_true_predicateEEElLj1EEEvT0_T1_SK_,comdat
.Lfunc_end727:
	.size	_ZN6thrust23THRUST_200600_302600_NS11hip_rocprim14__parallel_for6kernelILj256ENS1_11__transform17unary_transform_fINS0_17counting_iteratorIfNS0_11use_defaultES7_S7_EENS0_6detail15normal_iteratorINS0_10device_ptrIfEEEENS4_14no_stencil_tagENS0_8identityIfEENS4_21always_true_predicateEEElLj1EEEvT0_T1_SK_, .Lfunc_end727-_ZN6thrust23THRUST_200600_302600_NS11hip_rocprim14__parallel_for6kernelILj256ENS1_11__transform17unary_transform_fINS0_17counting_iteratorIfNS0_11use_defaultES7_S7_EENS0_6detail15normal_iteratorINS0_10device_ptrIfEEEENS4_14no_stencil_tagENS0_8identityIfEENS4_21always_true_predicateEEElLj1EEEvT0_T1_SK_
                                        ; -- End function
	.section	.AMDGPU.csdata,"",@progbits
; Kernel info:
; codeLenInByte = 396
; NumSgprs: 18
; NumVgprs: 6
; ScratchSize: 0
; MemoryBound: 0
; FloatMode: 240
; IeeeMode: 1
; LDSByteSize: 0 bytes/workgroup (compile time only)
; SGPRBlocks: 2
; VGPRBlocks: 0
; NumSGPRsForWavesPerEU: 18
; NumVGPRsForWavesPerEU: 6
; Occupancy: 16
; WaveLimiterHint : 0
; COMPUTE_PGM_RSRC2:SCRATCH_EN: 0
; COMPUTE_PGM_RSRC2:USER_SGPR: 15
; COMPUTE_PGM_RSRC2:TRAP_HANDLER: 0
; COMPUTE_PGM_RSRC2:TGID_X_EN: 1
; COMPUTE_PGM_RSRC2:TGID_Y_EN: 0
; COMPUTE_PGM_RSRC2:TGID_Z_EN: 0
; COMPUTE_PGM_RSRC2:TIDIG_COMP_CNT: 0
	.section	.text._ZN6thrust23THRUST_200600_302600_NS11hip_rocprim14__parallel_for6kernelILj256ENS1_11__transform17unary_transform_fINS0_17counting_iteratorIyNS0_11use_defaultES7_S7_EENS0_6detail15normal_iteratorINS0_10device_ptrIyEEEENS4_14no_stencil_tagENS0_8identityIyEENS4_21always_true_predicateEEExLj1EEEvT0_T1_SK_,"axG",@progbits,_ZN6thrust23THRUST_200600_302600_NS11hip_rocprim14__parallel_for6kernelILj256ENS1_11__transform17unary_transform_fINS0_17counting_iteratorIyNS0_11use_defaultES7_S7_EENS0_6detail15normal_iteratorINS0_10device_ptrIyEEEENS4_14no_stencil_tagENS0_8identityIyEENS4_21always_true_predicateEEExLj1EEEvT0_T1_SK_,comdat
	.protected	_ZN6thrust23THRUST_200600_302600_NS11hip_rocprim14__parallel_for6kernelILj256ENS1_11__transform17unary_transform_fINS0_17counting_iteratorIyNS0_11use_defaultES7_S7_EENS0_6detail15normal_iteratorINS0_10device_ptrIyEEEENS4_14no_stencil_tagENS0_8identityIyEENS4_21always_true_predicateEEExLj1EEEvT0_T1_SK_ ; -- Begin function _ZN6thrust23THRUST_200600_302600_NS11hip_rocprim14__parallel_for6kernelILj256ENS1_11__transform17unary_transform_fINS0_17counting_iteratorIyNS0_11use_defaultES7_S7_EENS0_6detail15normal_iteratorINS0_10device_ptrIyEEEENS4_14no_stencil_tagENS0_8identityIyEENS4_21always_true_predicateEEExLj1EEEvT0_T1_SK_
	.globl	_ZN6thrust23THRUST_200600_302600_NS11hip_rocprim14__parallel_for6kernelILj256ENS1_11__transform17unary_transform_fINS0_17counting_iteratorIyNS0_11use_defaultES7_S7_EENS0_6detail15normal_iteratorINS0_10device_ptrIyEEEENS4_14no_stencil_tagENS0_8identityIyEENS4_21always_true_predicateEEExLj1EEEvT0_T1_SK_
	.p2align	8
	.type	_ZN6thrust23THRUST_200600_302600_NS11hip_rocprim14__parallel_for6kernelILj256ENS1_11__transform17unary_transform_fINS0_17counting_iteratorIyNS0_11use_defaultES7_S7_EENS0_6detail15normal_iteratorINS0_10device_ptrIyEEEENS4_14no_stencil_tagENS0_8identityIyEENS4_21always_true_predicateEEExLj1EEEvT0_T1_SK_,@function
_ZN6thrust23THRUST_200600_302600_NS11hip_rocprim14__parallel_for6kernelILj256ENS1_11__transform17unary_transform_fINS0_17counting_iteratorIyNS0_11use_defaultES7_S7_EENS0_6detail15normal_iteratorINS0_10device_ptrIyEEEENS4_14no_stencil_tagENS0_8identityIyEENS4_21always_true_predicateEEExLj1EEEvT0_T1_SK_: ; @_ZN6thrust23THRUST_200600_302600_NS11hip_rocprim14__parallel_for6kernelILj256ENS1_11__transform17unary_transform_fINS0_17counting_iteratorIyNS0_11use_defaultES7_S7_EENS0_6detail15normal_iteratorINS0_10device_ptrIyEEEENS4_14no_stencil_tagENS0_8identityIyEENS4_21always_true_predicateEEExLj1EEEvT0_T1_SK_
; %bb.0:
	s_clause 0x1
	s_load_b128 s[8:11], s[0:1], 0x18
	s_load_b128 s[0:3], s[0:1], 0x0
	s_lshl_b32 s4, s15, 8
	s_waitcnt lgkmcnt(0)
	s_add_u32 s4, s4, s10
	s_addc_u32 s5, 0, s11
	s_sub_u32 s6, s8, s4
	s_subb_u32 s7, s9, s5
	s_delay_alu instid0(SALU_CYCLE_1) | instskip(NEXT) | instid1(VALU_DEP_1)
	v_cmp_gt_i64_e64 s7, 0x100, s[6:7]
	s_and_b32 s7, s7, exec_lo
	s_cselect_b32 s7, s6, 0x100
	s_mov_b32 s6, -1
	s_cmpk_lg_i32 s7, 0x100
	s_cbranch_scc1 .LBB728_3
; %bb.1:
	s_and_not1_b32 vcc_lo, exec_lo, s6
	s_cbranch_vccz .LBB728_6
.LBB728_2:
	s_endpgm
.LBB728_3:
	s_mov_b32 s6, exec_lo
	v_cmpx_gt_u32_e64 s7, v0
	s_cbranch_execz .LBB728_5
; %bb.4:
	v_add_co_u32 v1, s7, s4, v0
	s_delay_alu instid0(VALU_DEP_1) | instskip(NEXT) | instid1(VALU_DEP_1)
	v_add_co_ci_u32_e64 v2, null, s5, 0, s7
	v_lshlrev_b64 v[3:4], 3, v[1:2]
	s_delay_alu instid0(VALU_DEP_1) | instskip(NEXT) | instid1(VALU_DEP_2)
	v_add_co_u32 v3, vcc_lo, s2, v3
	v_add_co_ci_u32_e32 v4, vcc_lo, s3, v4, vcc_lo
	v_add_co_u32 v1, vcc_lo, s0, v1
	v_add_co_ci_u32_e32 v2, vcc_lo, s1, v2, vcc_lo
	flat_store_b64 v[3:4], v[1:2]
.LBB728_5:
	s_or_b32 exec_lo, exec_lo, s6
	s_cbranch_execnz .LBB728_2
.LBB728_6:
	v_add_co_u32 v0, s4, s4, v0
	s_delay_alu instid0(VALU_DEP_1) | instskip(NEXT) | instid1(VALU_DEP_1)
	v_add_co_ci_u32_e64 v1, null, s5, 0, s4
	v_lshlrev_b64 v[2:3], 3, v[0:1]
	v_add_co_u32 v0, vcc_lo, s0, v0
	v_add_co_ci_u32_e32 v1, vcc_lo, s1, v1, vcc_lo
	s_delay_alu instid0(VALU_DEP_3) | instskip(NEXT) | instid1(VALU_DEP_4)
	v_add_co_u32 v2, vcc_lo, s2, v2
	v_add_co_ci_u32_e32 v3, vcc_lo, s3, v3, vcc_lo
	flat_store_b64 v[2:3], v[0:1]
	s_endpgm
	.section	.rodata,"a",@progbits
	.p2align	6, 0x0
	.amdhsa_kernel _ZN6thrust23THRUST_200600_302600_NS11hip_rocprim14__parallel_for6kernelILj256ENS1_11__transform17unary_transform_fINS0_17counting_iteratorIyNS0_11use_defaultES7_S7_EENS0_6detail15normal_iteratorINS0_10device_ptrIyEEEENS4_14no_stencil_tagENS0_8identityIyEENS4_21always_true_predicateEEExLj1EEEvT0_T1_SK_
		.amdhsa_group_segment_fixed_size 0
		.amdhsa_private_segment_fixed_size 0
		.amdhsa_kernarg_size 40
		.amdhsa_user_sgpr_count 15
		.amdhsa_user_sgpr_dispatch_ptr 0
		.amdhsa_user_sgpr_queue_ptr 0
		.amdhsa_user_sgpr_kernarg_segment_ptr 1
		.amdhsa_user_sgpr_dispatch_id 0
		.amdhsa_user_sgpr_private_segment_size 0
		.amdhsa_wavefront_size32 1
		.amdhsa_uses_dynamic_stack 0
		.amdhsa_enable_private_segment 0
		.amdhsa_system_sgpr_workgroup_id_x 1
		.amdhsa_system_sgpr_workgroup_id_y 0
		.amdhsa_system_sgpr_workgroup_id_z 0
		.amdhsa_system_sgpr_workgroup_info 0
		.amdhsa_system_vgpr_workitem_id 0
		.amdhsa_next_free_vgpr 5
		.amdhsa_next_free_sgpr 16
		.amdhsa_reserve_vcc 1
		.amdhsa_float_round_mode_32 0
		.amdhsa_float_round_mode_16_64 0
		.amdhsa_float_denorm_mode_32 3
		.amdhsa_float_denorm_mode_16_64 3
		.amdhsa_dx10_clamp 1
		.amdhsa_ieee_mode 1
		.amdhsa_fp16_overflow 0
		.amdhsa_workgroup_processor_mode 1
		.amdhsa_memory_ordered 1
		.amdhsa_forward_progress 0
		.amdhsa_shared_vgpr_count 0
		.amdhsa_exception_fp_ieee_invalid_op 0
		.amdhsa_exception_fp_denorm_src 0
		.amdhsa_exception_fp_ieee_div_zero 0
		.amdhsa_exception_fp_ieee_overflow 0
		.amdhsa_exception_fp_ieee_underflow 0
		.amdhsa_exception_fp_ieee_inexact 0
		.amdhsa_exception_int_div_zero 0
	.end_amdhsa_kernel
	.section	.text._ZN6thrust23THRUST_200600_302600_NS11hip_rocprim14__parallel_for6kernelILj256ENS1_11__transform17unary_transform_fINS0_17counting_iteratorIyNS0_11use_defaultES7_S7_EENS0_6detail15normal_iteratorINS0_10device_ptrIyEEEENS4_14no_stencil_tagENS0_8identityIyEENS4_21always_true_predicateEEExLj1EEEvT0_T1_SK_,"axG",@progbits,_ZN6thrust23THRUST_200600_302600_NS11hip_rocprim14__parallel_for6kernelILj256ENS1_11__transform17unary_transform_fINS0_17counting_iteratorIyNS0_11use_defaultES7_S7_EENS0_6detail15normal_iteratorINS0_10device_ptrIyEEEENS4_14no_stencil_tagENS0_8identityIyEENS4_21always_true_predicateEEExLj1EEEvT0_T1_SK_,comdat
.Lfunc_end728:
	.size	_ZN6thrust23THRUST_200600_302600_NS11hip_rocprim14__parallel_for6kernelILj256ENS1_11__transform17unary_transform_fINS0_17counting_iteratorIyNS0_11use_defaultES7_S7_EENS0_6detail15normal_iteratorINS0_10device_ptrIyEEEENS4_14no_stencil_tagENS0_8identityIyEENS4_21always_true_predicateEEExLj1EEEvT0_T1_SK_, .Lfunc_end728-_ZN6thrust23THRUST_200600_302600_NS11hip_rocprim14__parallel_for6kernelILj256ENS1_11__transform17unary_transform_fINS0_17counting_iteratorIyNS0_11use_defaultES7_S7_EENS0_6detail15normal_iteratorINS0_10device_ptrIyEEEENS4_14no_stencil_tagENS0_8identityIyEENS4_21always_true_predicateEEExLj1EEEvT0_T1_SK_
                                        ; -- End function
	.section	.AMDGPU.csdata,"",@progbits
; Kernel info:
; codeLenInByte = 252
; NumSgprs: 18
; NumVgprs: 5
; ScratchSize: 0
; MemoryBound: 0
; FloatMode: 240
; IeeeMode: 1
; LDSByteSize: 0 bytes/workgroup (compile time only)
; SGPRBlocks: 2
; VGPRBlocks: 0
; NumSGPRsForWavesPerEU: 18
; NumVGPRsForWavesPerEU: 5
; Occupancy: 16
; WaveLimiterHint : 0
; COMPUTE_PGM_RSRC2:SCRATCH_EN: 0
; COMPUTE_PGM_RSRC2:USER_SGPR: 15
; COMPUTE_PGM_RSRC2:TRAP_HANDLER: 0
; COMPUTE_PGM_RSRC2:TGID_X_EN: 1
; COMPUTE_PGM_RSRC2:TGID_Y_EN: 0
; COMPUTE_PGM_RSRC2:TGID_Z_EN: 0
; COMPUTE_PGM_RSRC2:TIDIG_COMP_CNT: 0
	.section	.text._ZN6thrust23THRUST_200600_302600_NS11hip_rocprim14__parallel_for6kernelILj256ENS1_11__transform17unary_transform_fINS0_17counting_iteratorIjNS0_11use_defaultES7_S7_EENS0_6detail15normal_iteratorINS0_10device_ptrIjEEEENS4_14no_stencil_tagENS0_8identityIjEENS4_21always_true_predicateEEElLj1EEEvT0_T1_SK_,"axG",@progbits,_ZN6thrust23THRUST_200600_302600_NS11hip_rocprim14__parallel_for6kernelILj256ENS1_11__transform17unary_transform_fINS0_17counting_iteratorIjNS0_11use_defaultES7_S7_EENS0_6detail15normal_iteratorINS0_10device_ptrIjEEEENS4_14no_stencil_tagENS0_8identityIjEENS4_21always_true_predicateEEElLj1EEEvT0_T1_SK_,comdat
	.protected	_ZN6thrust23THRUST_200600_302600_NS11hip_rocprim14__parallel_for6kernelILj256ENS1_11__transform17unary_transform_fINS0_17counting_iteratorIjNS0_11use_defaultES7_S7_EENS0_6detail15normal_iteratorINS0_10device_ptrIjEEEENS4_14no_stencil_tagENS0_8identityIjEENS4_21always_true_predicateEEElLj1EEEvT0_T1_SK_ ; -- Begin function _ZN6thrust23THRUST_200600_302600_NS11hip_rocprim14__parallel_for6kernelILj256ENS1_11__transform17unary_transform_fINS0_17counting_iteratorIjNS0_11use_defaultES7_S7_EENS0_6detail15normal_iteratorINS0_10device_ptrIjEEEENS4_14no_stencil_tagENS0_8identityIjEENS4_21always_true_predicateEEElLj1EEEvT0_T1_SK_
	.globl	_ZN6thrust23THRUST_200600_302600_NS11hip_rocprim14__parallel_for6kernelILj256ENS1_11__transform17unary_transform_fINS0_17counting_iteratorIjNS0_11use_defaultES7_S7_EENS0_6detail15normal_iteratorINS0_10device_ptrIjEEEENS4_14no_stencil_tagENS0_8identityIjEENS4_21always_true_predicateEEElLj1EEEvT0_T1_SK_
	.p2align	8
	.type	_ZN6thrust23THRUST_200600_302600_NS11hip_rocprim14__parallel_for6kernelILj256ENS1_11__transform17unary_transform_fINS0_17counting_iteratorIjNS0_11use_defaultES7_S7_EENS0_6detail15normal_iteratorINS0_10device_ptrIjEEEENS4_14no_stencil_tagENS0_8identityIjEENS4_21always_true_predicateEEElLj1EEEvT0_T1_SK_,@function
_ZN6thrust23THRUST_200600_302600_NS11hip_rocprim14__parallel_for6kernelILj256ENS1_11__transform17unary_transform_fINS0_17counting_iteratorIjNS0_11use_defaultES7_S7_EENS0_6detail15normal_iteratorINS0_10device_ptrIjEEEENS4_14no_stencil_tagENS0_8identityIjEENS4_21always_true_predicateEEElLj1EEEvT0_T1_SK_: ; @_ZN6thrust23THRUST_200600_302600_NS11hip_rocprim14__parallel_for6kernelILj256ENS1_11__transform17unary_transform_fINS0_17counting_iteratorIjNS0_11use_defaultES7_S7_EENS0_6detail15normal_iteratorINS0_10device_ptrIjEEEENS4_14no_stencil_tagENS0_8identityIjEENS4_21always_true_predicateEEElLj1EEEvT0_T1_SK_
; %bb.0:
	s_clause 0x2
	s_load_b128 s[8:11], s[0:1], 0x18
	s_load_b32 s2, s[0:1], 0x0
	s_load_b64 s[0:1], s[0:1], 0x8
	s_lshl_b32 s3, s15, 8
	s_waitcnt lgkmcnt(0)
	s_add_u32 s3, s3, s10
	s_addc_u32 s4, 0, s11
	s_sub_u32 s6, s8, s3
	s_subb_u32 s7, s9, s4
	s_delay_alu instid0(SALU_CYCLE_1) | instskip(NEXT) | instid1(VALU_DEP_1)
	v_cmp_gt_i64_e64 s5, 0x100, s[6:7]
	s_and_b32 s5, s5, exec_lo
	s_cselect_b32 s6, s6, 0x100
	s_mov_b32 s5, -1
	s_cmpk_lg_i32 s6, 0x100
	s_cbranch_scc1 .LBB729_3
; %bb.1:
	s_and_not1_b32 vcc_lo, exec_lo, s5
	s_cbranch_vccz .LBB729_6
.LBB729_2:
	s_endpgm
.LBB729_3:
	s_mov_b32 s5, exec_lo
	v_cmpx_gt_u32_e64 s6, v0
	s_cbranch_execz .LBB729_5
; %bb.4:
	v_add_co_u32 v1, s6, s3, v0
	s_delay_alu instid0(VALU_DEP_1) | instskip(NEXT) | instid1(VALU_DEP_1)
	v_add_co_ci_u32_e64 v2, null, s4, 0, s6
	v_lshlrev_b64 v[2:3], 2, v[1:2]
	v_add_nc_u32_e32 v1, s2, v1
	s_delay_alu instid0(VALU_DEP_2) | instskip(NEXT) | instid1(VALU_DEP_3)
	v_add_co_u32 v2, vcc_lo, s0, v2
	v_add_co_ci_u32_e32 v3, vcc_lo, s1, v3, vcc_lo
	flat_store_b32 v[2:3], v1
.LBB729_5:
	s_or_b32 exec_lo, exec_lo, s5
	s_cbranch_execnz .LBB729_2
.LBB729_6:
	v_add_co_u32 v0, s3, s3, v0
	s_delay_alu instid0(VALU_DEP_1) | instskip(NEXT) | instid1(VALU_DEP_2)
	v_add_co_ci_u32_e64 v1, null, s4, 0, s3
	v_add_nc_u32_e32 v3, s2, v0
	s_delay_alu instid0(VALU_DEP_2) | instskip(NEXT) | instid1(VALU_DEP_1)
	v_lshlrev_b64 v[1:2], 2, v[0:1]
	v_add_co_u32 v0, vcc_lo, s0, v1
	s_delay_alu instid0(VALU_DEP_2)
	v_add_co_ci_u32_e32 v1, vcc_lo, s1, v2, vcc_lo
	flat_store_b32 v[0:1], v3
	s_endpgm
	.section	.rodata,"a",@progbits
	.p2align	6, 0x0
	.amdhsa_kernel _ZN6thrust23THRUST_200600_302600_NS11hip_rocprim14__parallel_for6kernelILj256ENS1_11__transform17unary_transform_fINS0_17counting_iteratorIjNS0_11use_defaultES7_S7_EENS0_6detail15normal_iteratorINS0_10device_ptrIjEEEENS4_14no_stencil_tagENS0_8identityIjEENS4_21always_true_predicateEEElLj1EEEvT0_T1_SK_
		.amdhsa_group_segment_fixed_size 0
		.amdhsa_private_segment_fixed_size 0
		.amdhsa_kernarg_size 40
		.amdhsa_user_sgpr_count 15
		.amdhsa_user_sgpr_dispatch_ptr 0
		.amdhsa_user_sgpr_queue_ptr 0
		.amdhsa_user_sgpr_kernarg_segment_ptr 1
		.amdhsa_user_sgpr_dispatch_id 0
		.amdhsa_user_sgpr_private_segment_size 0
		.amdhsa_wavefront_size32 1
		.amdhsa_uses_dynamic_stack 0
		.amdhsa_enable_private_segment 0
		.amdhsa_system_sgpr_workgroup_id_x 1
		.amdhsa_system_sgpr_workgroup_id_y 0
		.amdhsa_system_sgpr_workgroup_id_z 0
		.amdhsa_system_sgpr_workgroup_info 0
		.amdhsa_system_vgpr_workitem_id 0
		.amdhsa_next_free_vgpr 4
		.amdhsa_next_free_sgpr 16
		.amdhsa_reserve_vcc 1
		.amdhsa_float_round_mode_32 0
		.amdhsa_float_round_mode_16_64 0
		.amdhsa_float_denorm_mode_32 3
		.amdhsa_float_denorm_mode_16_64 3
		.amdhsa_dx10_clamp 1
		.amdhsa_ieee_mode 1
		.amdhsa_fp16_overflow 0
		.amdhsa_workgroup_processor_mode 1
		.amdhsa_memory_ordered 1
		.amdhsa_forward_progress 0
		.amdhsa_shared_vgpr_count 0
		.amdhsa_exception_fp_ieee_invalid_op 0
		.amdhsa_exception_fp_denorm_src 0
		.amdhsa_exception_fp_ieee_div_zero 0
		.amdhsa_exception_fp_ieee_overflow 0
		.amdhsa_exception_fp_ieee_underflow 0
		.amdhsa_exception_fp_ieee_inexact 0
		.amdhsa_exception_int_div_zero 0
	.end_amdhsa_kernel
	.section	.text._ZN6thrust23THRUST_200600_302600_NS11hip_rocprim14__parallel_for6kernelILj256ENS1_11__transform17unary_transform_fINS0_17counting_iteratorIjNS0_11use_defaultES7_S7_EENS0_6detail15normal_iteratorINS0_10device_ptrIjEEEENS4_14no_stencil_tagENS0_8identityIjEENS4_21always_true_predicateEEElLj1EEEvT0_T1_SK_,"axG",@progbits,_ZN6thrust23THRUST_200600_302600_NS11hip_rocprim14__parallel_for6kernelILj256ENS1_11__transform17unary_transform_fINS0_17counting_iteratorIjNS0_11use_defaultES7_S7_EENS0_6detail15normal_iteratorINS0_10device_ptrIjEEEENS4_14no_stencil_tagENS0_8identityIjEENS4_21always_true_predicateEEElLj1EEEvT0_T1_SK_,comdat
.Lfunc_end729:
	.size	_ZN6thrust23THRUST_200600_302600_NS11hip_rocprim14__parallel_for6kernelILj256ENS1_11__transform17unary_transform_fINS0_17counting_iteratorIjNS0_11use_defaultES7_S7_EENS0_6detail15normal_iteratorINS0_10device_ptrIjEEEENS4_14no_stencil_tagENS0_8identityIjEENS4_21always_true_predicateEEElLj1EEEvT0_T1_SK_, .Lfunc_end729-_ZN6thrust23THRUST_200600_302600_NS11hip_rocprim14__parallel_for6kernelILj256ENS1_11__transform17unary_transform_fINS0_17counting_iteratorIjNS0_11use_defaultES7_S7_EENS0_6detail15normal_iteratorINS0_10device_ptrIjEEEENS4_14no_stencil_tagENS0_8identityIjEENS4_21always_true_predicateEEElLj1EEEvT0_T1_SK_
                                        ; -- End function
	.section	.AMDGPU.csdata,"",@progbits
; Kernel info:
; codeLenInByte = 248
; NumSgprs: 18
; NumVgprs: 4
; ScratchSize: 0
; MemoryBound: 0
; FloatMode: 240
; IeeeMode: 1
; LDSByteSize: 0 bytes/workgroup (compile time only)
; SGPRBlocks: 2
; VGPRBlocks: 0
; NumSGPRsForWavesPerEU: 18
; NumVGPRsForWavesPerEU: 4
; Occupancy: 16
; WaveLimiterHint : 0
; COMPUTE_PGM_RSRC2:SCRATCH_EN: 0
; COMPUTE_PGM_RSRC2:USER_SGPR: 15
; COMPUTE_PGM_RSRC2:TRAP_HANDLER: 0
; COMPUTE_PGM_RSRC2:TGID_X_EN: 1
; COMPUTE_PGM_RSRC2:TGID_Y_EN: 0
; COMPUTE_PGM_RSRC2:TGID_Z_EN: 0
; COMPUTE_PGM_RSRC2:TIDIG_COMP_CNT: 0
	.section	.text._ZN6thrust23THRUST_200600_302600_NS11hip_rocprim14__parallel_for6kernelILj256ENS1_11__transform17unary_transform_fINS0_17counting_iteratorItNS0_11use_defaultES7_S7_EENS0_6detail15normal_iteratorINS0_10device_ptrItEEEENS4_14no_stencil_tagENS0_8identityItEENS4_21always_true_predicateEEEiLj1EEEvT0_T1_SK_,"axG",@progbits,_ZN6thrust23THRUST_200600_302600_NS11hip_rocprim14__parallel_for6kernelILj256ENS1_11__transform17unary_transform_fINS0_17counting_iteratorItNS0_11use_defaultES7_S7_EENS0_6detail15normal_iteratorINS0_10device_ptrItEEEENS4_14no_stencil_tagENS0_8identityItEENS4_21always_true_predicateEEEiLj1EEEvT0_T1_SK_,comdat
	.protected	_ZN6thrust23THRUST_200600_302600_NS11hip_rocprim14__parallel_for6kernelILj256ENS1_11__transform17unary_transform_fINS0_17counting_iteratorItNS0_11use_defaultES7_S7_EENS0_6detail15normal_iteratorINS0_10device_ptrItEEEENS4_14no_stencil_tagENS0_8identityItEENS4_21always_true_predicateEEEiLj1EEEvT0_T1_SK_ ; -- Begin function _ZN6thrust23THRUST_200600_302600_NS11hip_rocprim14__parallel_for6kernelILj256ENS1_11__transform17unary_transform_fINS0_17counting_iteratorItNS0_11use_defaultES7_S7_EENS0_6detail15normal_iteratorINS0_10device_ptrItEEEENS4_14no_stencil_tagENS0_8identityItEENS4_21always_true_predicateEEEiLj1EEEvT0_T1_SK_
	.globl	_ZN6thrust23THRUST_200600_302600_NS11hip_rocprim14__parallel_for6kernelILj256ENS1_11__transform17unary_transform_fINS0_17counting_iteratorItNS0_11use_defaultES7_S7_EENS0_6detail15normal_iteratorINS0_10device_ptrItEEEENS4_14no_stencil_tagENS0_8identityItEENS4_21always_true_predicateEEEiLj1EEEvT0_T1_SK_
	.p2align	8
	.type	_ZN6thrust23THRUST_200600_302600_NS11hip_rocprim14__parallel_for6kernelILj256ENS1_11__transform17unary_transform_fINS0_17counting_iteratorItNS0_11use_defaultES7_S7_EENS0_6detail15normal_iteratorINS0_10device_ptrItEEEENS4_14no_stencil_tagENS0_8identityItEENS4_21always_true_predicateEEEiLj1EEEvT0_T1_SK_,@function
_ZN6thrust23THRUST_200600_302600_NS11hip_rocprim14__parallel_for6kernelILj256ENS1_11__transform17unary_transform_fINS0_17counting_iteratorItNS0_11use_defaultES7_S7_EENS0_6detail15normal_iteratorINS0_10device_ptrItEEEENS4_14no_stencil_tagENS0_8identityItEENS4_21always_true_predicateEEEiLj1EEEvT0_T1_SK_: ; @_ZN6thrust23THRUST_200600_302600_NS11hip_rocprim14__parallel_for6kernelILj256ENS1_11__transform17unary_transform_fINS0_17counting_iteratorItNS0_11use_defaultES7_S7_EENS0_6detail15normal_iteratorINS0_10device_ptrItEEEENS4_14no_stencil_tagENS0_8identityItEENS4_21always_true_predicateEEEiLj1EEEvT0_T1_SK_
; %bb.0:
	s_clause 0x2
	s_load_b64 s[4:5], s[0:1], 0x18
	s_load_b32 s2, s[0:1], 0x0
	s_load_b64 s[0:1], s[0:1], 0x8
	s_lshl_b32 s3, s15, 8
	s_waitcnt lgkmcnt(0)
	s_add_i32 s3, s3, s5
	s_delay_alu instid0(SALU_CYCLE_1)
	s_sub_i32 s5, s4, s3
	s_mov_b32 s4, -1
	s_cmpk_lt_i32 s5, 0x100
	s_cbranch_scc1 .LBB730_3
; %bb.1:
	s_and_not1_b32 vcc_lo, exec_lo, s4
	s_cbranch_vccz .LBB730_6
.LBB730_2:
	s_endpgm
.LBB730_3:
	s_mov_b32 s4, exec_lo
	v_cmpx_gt_u32_e64 s5, v0
	s_cbranch_execz .LBB730_5
; %bb.4:
	v_dual_mov_b32 v2, 0 :: v_dual_add_nc_u32 v1, s3, v0
	s_delay_alu instid0(VALU_DEP_1) | instskip(SKIP_1) | instid1(VALU_DEP_2)
	v_lshlrev_b64 v[2:3], 1, v[1:2]
	v_add_nc_u16 v1, s2, v1
	v_add_co_u32 v2, vcc_lo, s0, v2
	s_delay_alu instid0(VALU_DEP_3)
	v_add_co_ci_u32_e32 v3, vcc_lo, s1, v3, vcc_lo
	flat_store_b16 v[2:3], v1
.LBB730_5:
	s_or_b32 exec_lo, exec_lo, s4
	s_cbranch_execnz .LBB730_2
.LBB730_6:
	v_dual_mov_b32 v1, 0 :: v_dual_add_nc_u32 v0, s3, v0
	s_delay_alu instid0(VALU_DEP_1) | instskip(NEXT) | instid1(VALU_DEP_2)
	v_add_nc_u16 v3, s2, v0
	v_lshlrev_b64 v[1:2], 1, v[0:1]
	s_delay_alu instid0(VALU_DEP_1) | instskip(NEXT) | instid1(VALU_DEP_2)
	v_add_co_u32 v0, vcc_lo, s0, v1
	v_add_co_ci_u32_e32 v1, vcc_lo, s1, v2, vcc_lo
	flat_store_b16 v[0:1], v3
	s_endpgm
	.section	.rodata,"a",@progbits
	.p2align	6, 0x0
	.amdhsa_kernel _ZN6thrust23THRUST_200600_302600_NS11hip_rocprim14__parallel_for6kernelILj256ENS1_11__transform17unary_transform_fINS0_17counting_iteratorItNS0_11use_defaultES7_S7_EENS0_6detail15normal_iteratorINS0_10device_ptrItEEEENS4_14no_stencil_tagENS0_8identityItEENS4_21always_true_predicateEEEiLj1EEEvT0_T1_SK_
		.amdhsa_group_segment_fixed_size 0
		.amdhsa_private_segment_fixed_size 0
		.amdhsa_kernarg_size 32
		.amdhsa_user_sgpr_count 15
		.amdhsa_user_sgpr_dispatch_ptr 0
		.amdhsa_user_sgpr_queue_ptr 0
		.amdhsa_user_sgpr_kernarg_segment_ptr 1
		.amdhsa_user_sgpr_dispatch_id 0
		.amdhsa_user_sgpr_private_segment_size 0
		.amdhsa_wavefront_size32 1
		.amdhsa_uses_dynamic_stack 0
		.amdhsa_enable_private_segment 0
		.amdhsa_system_sgpr_workgroup_id_x 1
		.amdhsa_system_sgpr_workgroup_id_y 0
		.amdhsa_system_sgpr_workgroup_id_z 0
		.amdhsa_system_sgpr_workgroup_info 0
		.amdhsa_system_vgpr_workitem_id 0
		.amdhsa_next_free_vgpr 4
		.amdhsa_next_free_sgpr 16
		.amdhsa_reserve_vcc 1
		.amdhsa_float_round_mode_32 0
		.amdhsa_float_round_mode_16_64 0
		.amdhsa_float_denorm_mode_32 3
		.amdhsa_float_denorm_mode_16_64 3
		.amdhsa_dx10_clamp 1
		.amdhsa_ieee_mode 1
		.amdhsa_fp16_overflow 0
		.amdhsa_workgroup_processor_mode 1
		.amdhsa_memory_ordered 1
		.amdhsa_forward_progress 0
		.amdhsa_shared_vgpr_count 0
		.amdhsa_exception_fp_ieee_invalid_op 0
		.amdhsa_exception_fp_denorm_src 0
		.amdhsa_exception_fp_ieee_div_zero 0
		.amdhsa_exception_fp_ieee_overflow 0
		.amdhsa_exception_fp_ieee_underflow 0
		.amdhsa_exception_fp_ieee_inexact 0
		.amdhsa_exception_int_div_zero 0
	.end_amdhsa_kernel
	.section	.text._ZN6thrust23THRUST_200600_302600_NS11hip_rocprim14__parallel_for6kernelILj256ENS1_11__transform17unary_transform_fINS0_17counting_iteratorItNS0_11use_defaultES7_S7_EENS0_6detail15normal_iteratorINS0_10device_ptrItEEEENS4_14no_stencil_tagENS0_8identityItEENS4_21always_true_predicateEEEiLj1EEEvT0_T1_SK_,"axG",@progbits,_ZN6thrust23THRUST_200600_302600_NS11hip_rocprim14__parallel_for6kernelILj256ENS1_11__transform17unary_transform_fINS0_17counting_iteratorItNS0_11use_defaultES7_S7_EENS0_6detail15normal_iteratorINS0_10device_ptrItEEEENS4_14no_stencil_tagENS0_8identityItEENS4_21always_true_predicateEEEiLj1EEEvT0_T1_SK_,comdat
.Lfunc_end730:
	.size	_ZN6thrust23THRUST_200600_302600_NS11hip_rocprim14__parallel_for6kernelILj256ENS1_11__transform17unary_transform_fINS0_17counting_iteratorItNS0_11use_defaultES7_S7_EENS0_6detail15normal_iteratorINS0_10device_ptrItEEEENS4_14no_stencil_tagENS0_8identityItEENS4_21always_true_predicateEEEiLj1EEEvT0_T1_SK_, .Lfunc_end730-_ZN6thrust23THRUST_200600_302600_NS11hip_rocprim14__parallel_for6kernelILj256ENS1_11__transform17unary_transform_fINS0_17counting_iteratorItNS0_11use_defaultES7_S7_EENS0_6detail15normal_iteratorINS0_10device_ptrItEEEENS4_14no_stencil_tagENS0_8identityItEENS4_21always_true_predicateEEEiLj1EEEvT0_T1_SK_
                                        ; -- End function
	.section	.AMDGPU.csdata,"",@progbits
; Kernel info:
; codeLenInByte = 204
; NumSgprs: 18
; NumVgprs: 4
; ScratchSize: 0
; MemoryBound: 0
; FloatMode: 240
; IeeeMode: 1
; LDSByteSize: 0 bytes/workgroup (compile time only)
; SGPRBlocks: 2
; VGPRBlocks: 0
; NumSGPRsForWavesPerEU: 18
; NumVGPRsForWavesPerEU: 4
; Occupancy: 16
; WaveLimiterHint : 0
; COMPUTE_PGM_RSRC2:SCRATCH_EN: 0
; COMPUTE_PGM_RSRC2:USER_SGPR: 15
; COMPUTE_PGM_RSRC2:TRAP_HANDLER: 0
; COMPUTE_PGM_RSRC2:TGID_X_EN: 1
; COMPUTE_PGM_RSRC2:TGID_Y_EN: 0
; COMPUTE_PGM_RSRC2:TGID_Z_EN: 0
; COMPUTE_PGM_RSRC2:TIDIG_COMP_CNT: 0
	.section	.text._ZN6thrust23THRUST_200600_302600_NS11hip_rocprim14__parallel_for6kernelILj256ENS1_11__transform17unary_transform_fINS0_17counting_iteratorIxNS0_11use_defaultES7_S7_EENS0_6detail15normal_iteratorINS0_10device_ptrIxEEEENS4_14no_stencil_tagENS0_8identityIxEENS4_21always_true_predicateEEExLj1EEEvT0_T1_SK_,"axG",@progbits,_ZN6thrust23THRUST_200600_302600_NS11hip_rocprim14__parallel_for6kernelILj256ENS1_11__transform17unary_transform_fINS0_17counting_iteratorIxNS0_11use_defaultES7_S7_EENS0_6detail15normal_iteratorINS0_10device_ptrIxEEEENS4_14no_stencil_tagENS0_8identityIxEENS4_21always_true_predicateEEExLj1EEEvT0_T1_SK_,comdat
	.protected	_ZN6thrust23THRUST_200600_302600_NS11hip_rocprim14__parallel_for6kernelILj256ENS1_11__transform17unary_transform_fINS0_17counting_iteratorIxNS0_11use_defaultES7_S7_EENS0_6detail15normal_iteratorINS0_10device_ptrIxEEEENS4_14no_stencil_tagENS0_8identityIxEENS4_21always_true_predicateEEExLj1EEEvT0_T1_SK_ ; -- Begin function _ZN6thrust23THRUST_200600_302600_NS11hip_rocprim14__parallel_for6kernelILj256ENS1_11__transform17unary_transform_fINS0_17counting_iteratorIxNS0_11use_defaultES7_S7_EENS0_6detail15normal_iteratorINS0_10device_ptrIxEEEENS4_14no_stencil_tagENS0_8identityIxEENS4_21always_true_predicateEEExLj1EEEvT0_T1_SK_
	.globl	_ZN6thrust23THRUST_200600_302600_NS11hip_rocprim14__parallel_for6kernelILj256ENS1_11__transform17unary_transform_fINS0_17counting_iteratorIxNS0_11use_defaultES7_S7_EENS0_6detail15normal_iteratorINS0_10device_ptrIxEEEENS4_14no_stencil_tagENS0_8identityIxEENS4_21always_true_predicateEEExLj1EEEvT0_T1_SK_
	.p2align	8
	.type	_ZN6thrust23THRUST_200600_302600_NS11hip_rocprim14__parallel_for6kernelILj256ENS1_11__transform17unary_transform_fINS0_17counting_iteratorIxNS0_11use_defaultES7_S7_EENS0_6detail15normal_iteratorINS0_10device_ptrIxEEEENS4_14no_stencil_tagENS0_8identityIxEENS4_21always_true_predicateEEExLj1EEEvT0_T1_SK_,@function
_ZN6thrust23THRUST_200600_302600_NS11hip_rocprim14__parallel_for6kernelILj256ENS1_11__transform17unary_transform_fINS0_17counting_iteratorIxNS0_11use_defaultES7_S7_EENS0_6detail15normal_iteratorINS0_10device_ptrIxEEEENS4_14no_stencil_tagENS0_8identityIxEENS4_21always_true_predicateEEExLj1EEEvT0_T1_SK_: ; @_ZN6thrust23THRUST_200600_302600_NS11hip_rocprim14__parallel_for6kernelILj256ENS1_11__transform17unary_transform_fINS0_17counting_iteratorIxNS0_11use_defaultES7_S7_EENS0_6detail15normal_iteratorINS0_10device_ptrIxEEEENS4_14no_stencil_tagENS0_8identityIxEENS4_21always_true_predicateEEExLj1EEEvT0_T1_SK_
; %bb.0:
	s_clause 0x1
	s_load_b128 s[8:11], s[0:1], 0x18
	s_load_b128 s[0:3], s[0:1], 0x0
	s_lshl_b32 s4, s15, 8
	s_waitcnt lgkmcnt(0)
	s_add_u32 s4, s4, s10
	s_addc_u32 s5, 0, s11
	s_sub_u32 s6, s8, s4
	s_subb_u32 s7, s9, s5
	s_delay_alu instid0(SALU_CYCLE_1) | instskip(NEXT) | instid1(VALU_DEP_1)
	v_cmp_gt_i64_e64 s7, 0x100, s[6:7]
	s_and_b32 s7, s7, exec_lo
	s_cselect_b32 s7, s6, 0x100
	s_mov_b32 s6, -1
	s_cmpk_lg_i32 s7, 0x100
	s_cbranch_scc1 .LBB731_3
; %bb.1:
	s_and_not1_b32 vcc_lo, exec_lo, s6
	s_cbranch_vccz .LBB731_6
.LBB731_2:
	s_endpgm
.LBB731_3:
	s_mov_b32 s6, exec_lo
	v_cmpx_gt_u32_e64 s7, v0
	s_cbranch_execz .LBB731_5
; %bb.4:
	v_add_co_u32 v1, s7, s4, v0
	s_delay_alu instid0(VALU_DEP_1) | instskip(NEXT) | instid1(VALU_DEP_1)
	v_add_co_ci_u32_e64 v2, null, s5, 0, s7
	v_lshlrev_b64 v[3:4], 3, v[1:2]
	s_delay_alu instid0(VALU_DEP_1) | instskip(NEXT) | instid1(VALU_DEP_2)
	v_add_co_u32 v3, vcc_lo, s2, v3
	v_add_co_ci_u32_e32 v4, vcc_lo, s3, v4, vcc_lo
	v_add_co_u32 v1, vcc_lo, s0, v1
	v_add_co_ci_u32_e32 v2, vcc_lo, s1, v2, vcc_lo
	flat_store_b64 v[3:4], v[1:2]
.LBB731_5:
	s_or_b32 exec_lo, exec_lo, s6
	s_cbranch_execnz .LBB731_2
.LBB731_6:
	v_add_co_u32 v0, s4, s4, v0
	s_delay_alu instid0(VALU_DEP_1) | instskip(NEXT) | instid1(VALU_DEP_1)
	v_add_co_ci_u32_e64 v1, null, s5, 0, s4
	v_lshlrev_b64 v[2:3], 3, v[0:1]
	v_add_co_u32 v0, vcc_lo, s0, v0
	v_add_co_ci_u32_e32 v1, vcc_lo, s1, v1, vcc_lo
	s_delay_alu instid0(VALU_DEP_3) | instskip(NEXT) | instid1(VALU_DEP_4)
	v_add_co_u32 v2, vcc_lo, s2, v2
	v_add_co_ci_u32_e32 v3, vcc_lo, s3, v3, vcc_lo
	flat_store_b64 v[2:3], v[0:1]
	s_endpgm
	.section	.rodata,"a",@progbits
	.p2align	6, 0x0
	.amdhsa_kernel _ZN6thrust23THRUST_200600_302600_NS11hip_rocprim14__parallel_for6kernelILj256ENS1_11__transform17unary_transform_fINS0_17counting_iteratorIxNS0_11use_defaultES7_S7_EENS0_6detail15normal_iteratorINS0_10device_ptrIxEEEENS4_14no_stencil_tagENS0_8identityIxEENS4_21always_true_predicateEEExLj1EEEvT0_T1_SK_
		.amdhsa_group_segment_fixed_size 0
		.amdhsa_private_segment_fixed_size 0
		.amdhsa_kernarg_size 40
		.amdhsa_user_sgpr_count 15
		.amdhsa_user_sgpr_dispatch_ptr 0
		.amdhsa_user_sgpr_queue_ptr 0
		.amdhsa_user_sgpr_kernarg_segment_ptr 1
		.amdhsa_user_sgpr_dispatch_id 0
		.amdhsa_user_sgpr_private_segment_size 0
		.amdhsa_wavefront_size32 1
		.amdhsa_uses_dynamic_stack 0
		.amdhsa_enable_private_segment 0
		.amdhsa_system_sgpr_workgroup_id_x 1
		.amdhsa_system_sgpr_workgroup_id_y 0
		.amdhsa_system_sgpr_workgroup_id_z 0
		.amdhsa_system_sgpr_workgroup_info 0
		.amdhsa_system_vgpr_workitem_id 0
		.amdhsa_next_free_vgpr 5
		.amdhsa_next_free_sgpr 16
		.amdhsa_reserve_vcc 1
		.amdhsa_float_round_mode_32 0
		.amdhsa_float_round_mode_16_64 0
		.amdhsa_float_denorm_mode_32 3
		.amdhsa_float_denorm_mode_16_64 3
		.amdhsa_dx10_clamp 1
		.amdhsa_ieee_mode 1
		.amdhsa_fp16_overflow 0
		.amdhsa_workgroup_processor_mode 1
		.amdhsa_memory_ordered 1
		.amdhsa_forward_progress 0
		.amdhsa_shared_vgpr_count 0
		.amdhsa_exception_fp_ieee_invalid_op 0
		.amdhsa_exception_fp_denorm_src 0
		.amdhsa_exception_fp_ieee_div_zero 0
		.amdhsa_exception_fp_ieee_overflow 0
		.amdhsa_exception_fp_ieee_underflow 0
		.amdhsa_exception_fp_ieee_inexact 0
		.amdhsa_exception_int_div_zero 0
	.end_amdhsa_kernel
	.section	.text._ZN6thrust23THRUST_200600_302600_NS11hip_rocprim14__parallel_for6kernelILj256ENS1_11__transform17unary_transform_fINS0_17counting_iteratorIxNS0_11use_defaultES7_S7_EENS0_6detail15normal_iteratorINS0_10device_ptrIxEEEENS4_14no_stencil_tagENS0_8identityIxEENS4_21always_true_predicateEEExLj1EEEvT0_T1_SK_,"axG",@progbits,_ZN6thrust23THRUST_200600_302600_NS11hip_rocprim14__parallel_for6kernelILj256ENS1_11__transform17unary_transform_fINS0_17counting_iteratorIxNS0_11use_defaultES7_S7_EENS0_6detail15normal_iteratorINS0_10device_ptrIxEEEENS4_14no_stencil_tagENS0_8identityIxEENS4_21always_true_predicateEEExLj1EEEvT0_T1_SK_,comdat
.Lfunc_end731:
	.size	_ZN6thrust23THRUST_200600_302600_NS11hip_rocprim14__parallel_for6kernelILj256ENS1_11__transform17unary_transform_fINS0_17counting_iteratorIxNS0_11use_defaultES7_S7_EENS0_6detail15normal_iteratorINS0_10device_ptrIxEEEENS4_14no_stencil_tagENS0_8identityIxEENS4_21always_true_predicateEEExLj1EEEvT0_T1_SK_, .Lfunc_end731-_ZN6thrust23THRUST_200600_302600_NS11hip_rocprim14__parallel_for6kernelILj256ENS1_11__transform17unary_transform_fINS0_17counting_iteratorIxNS0_11use_defaultES7_S7_EENS0_6detail15normal_iteratorINS0_10device_ptrIxEEEENS4_14no_stencil_tagENS0_8identityIxEENS4_21always_true_predicateEEExLj1EEEvT0_T1_SK_
                                        ; -- End function
	.section	.AMDGPU.csdata,"",@progbits
; Kernel info:
; codeLenInByte = 252
; NumSgprs: 18
; NumVgprs: 5
; ScratchSize: 0
; MemoryBound: 0
; FloatMode: 240
; IeeeMode: 1
; LDSByteSize: 0 bytes/workgroup (compile time only)
; SGPRBlocks: 2
; VGPRBlocks: 0
; NumSGPRsForWavesPerEU: 18
; NumVGPRsForWavesPerEU: 5
; Occupancy: 16
; WaveLimiterHint : 0
; COMPUTE_PGM_RSRC2:SCRATCH_EN: 0
; COMPUTE_PGM_RSRC2:USER_SGPR: 15
; COMPUTE_PGM_RSRC2:TRAP_HANDLER: 0
; COMPUTE_PGM_RSRC2:TGID_X_EN: 1
; COMPUTE_PGM_RSRC2:TGID_Y_EN: 0
; COMPUTE_PGM_RSRC2:TGID_Z_EN: 0
; COMPUTE_PGM_RSRC2:TIDIG_COMP_CNT: 0
	.section	.text._ZN6thrust23THRUST_200600_302600_NS11hip_rocprim14__parallel_for6kernelILj256ENS1_11__transform17unary_transform_fINS0_17counting_iteratorIiNS0_11use_defaultES7_S7_EENS0_6detail15normal_iteratorINS0_10device_ptrIiEEEENS4_14no_stencil_tagENS0_8identityIiEENS4_21always_true_predicateEEElLj1EEEvT0_T1_SK_,"axG",@progbits,_ZN6thrust23THRUST_200600_302600_NS11hip_rocprim14__parallel_for6kernelILj256ENS1_11__transform17unary_transform_fINS0_17counting_iteratorIiNS0_11use_defaultES7_S7_EENS0_6detail15normal_iteratorINS0_10device_ptrIiEEEENS4_14no_stencil_tagENS0_8identityIiEENS4_21always_true_predicateEEElLj1EEEvT0_T1_SK_,comdat
	.protected	_ZN6thrust23THRUST_200600_302600_NS11hip_rocprim14__parallel_for6kernelILj256ENS1_11__transform17unary_transform_fINS0_17counting_iteratorIiNS0_11use_defaultES7_S7_EENS0_6detail15normal_iteratorINS0_10device_ptrIiEEEENS4_14no_stencil_tagENS0_8identityIiEENS4_21always_true_predicateEEElLj1EEEvT0_T1_SK_ ; -- Begin function _ZN6thrust23THRUST_200600_302600_NS11hip_rocprim14__parallel_for6kernelILj256ENS1_11__transform17unary_transform_fINS0_17counting_iteratorIiNS0_11use_defaultES7_S7_EENS0_6detail15normal_iteratorINS0_10device_ptrIiEEEENS4_14no_stencil_tagENS0_8identityIiEENS4_21always_true_predicateEEElLj1EEEvT0_T1_SK_
	.globl	_ZN6thrust23THRUST_200600_302600_NS11hip_rocprim14__parallel_for6kernelILj256ENS1_11__transform17unary_transform_fINS0_17counting_iteratorIiNS0_11use_defaultES7_S7_EENS0_6detail15normal_iteratorINS0_10device_ptrIiEEEENS4_14no_stencil_tagENS0_8identityIiEENS4_21always_true_predicateEEElLj1EEEvT0_T1_SK_
	.p2align	8
	.type	_ZN6thrust23THRUST_200600_302600_NS11hip_rocprim14__parallel_for6kernelILj256ENS1_11__transform17unary_transform_fINS0_17counting_iteratorIiNS0_11use_defaultES7_S7_EENS0_6detail15normal_iteratorINS0_10device_ptrIiEEEENS4_14no_stencil_tagENS0_8identityIiEENS4_21always_true_predicateEEElLj1EEEvT0_T1_SK_,@function
_ZN6thrust23THRUST_200600_302600_NS11hip_rocprim14__parallel_for6kernelILj256ENS1_11__transform17unary_transform_fINS0_17counting_iteratorIiNS0_11use_defaultES7_S7_EENS0_6detail15normal_iteratorINS0_10device_ptrIiEEEENS4_14no_stencil_tagENS0_8identityIiEENS4_21always_true_predicateEEElLj1EEEvT0_T1_SK_: ; @_ZN6thrust23THRUST_200600_302600_NS11hip_rocprim14__parallel_for6kernelILj256ENS1_11__transform17unary_transform_fINS0_17counting_iteratorIiNS0_11use_defaultES7_S7_EENS0_6detail15normal_iteratorINS0_10device_ptrIiEEEENS4_14no_stencil_tagENS0_8identityIiEENS4_21always_true_predicateEEElLj1EEEvT0_T1_SK_
; %bb.0:
	s_clause 0x2
	s_load_b128 s[8:11], s[0:1], 0x18
	s_load_b32 s2, s[0:1], 0x0
	s_load_b64 s[0:1], s[0:1], 0x8
	s_lshl_b32 s3, s15, 8
	s_waitcnt lgkmcnt(0)
	s_add_u32 s3, s3, s10
	s_addc_u32 s4, 0, s11
	s_sub_u32 s6, s8, s3
	s_subb_u32 s7, s9, s4
	s_delay_alu instid0(SALU_CYCLE_1) | instskip(NEXT) | instid1(VALU_DEP_1)
	v_cmp_gt_i64_e64 s5, 0x100, s[6:7]
	s_and_b32 s5, s5, exec_lo
	s_cselect_b32 s6, s6, 0x100
	s_mov_b32 s5, -1
	s_cmpk_lg_i32 s6, 0x100
	s_cbranch_scc1 .LBB732_3
; %bb.1:
	s_and_not1_b32 vcc_lo, exec_lo, s5
	s_cbranch_vccz .LBB732_6
.LBB732_2:
	s_endpgm
.LBB732_3:
	s_mov_b32 s5, exec_lo
	v_cmpx_gt_u32_e64 s6, v0
	s_cbranch_execz .LBB732_5
; %bb.4:
	v_add_co_u32 v1, s6, s3, v0
	s_delay_alu instid0(VALU_DEP_1) | instskip(NEXT) | instid1(VALU_DEP_1)
	v_add_co_ci_u32_e64 v2, null, s4, 0, s6
	v_lshlrev_b64 v[2:3], 2, v[1:2]
	v_add_nc_u32_e32 v1, s2, v1
	s_delay_alu instid0(VALU_DEP_2) | instskip(NEXT) | instid1(VALU_DEP_3)
	v_add_co_u32 v2, vcc_lo, s0, v2
	v_add_co_ci_u32_e32 v3, vcc_lo, s1, v3, vcc_lo
	flat_store_b32 v[2:3], v1
.LBB732_5:
	s_or_b32 exec_lo, exec_lo, s5
	s_cbranch_execnz .LBB732_2
.LBB732_6:
	v_add_co_u32 v0, s3, s3, v0
	s_delay_alu instid0(VALU_DEP_1) | instskip(NEXT) | instid1(VALU_DEP_2)
	v_add_co_ci_u32_e64 v1, null, s4, 0, s3
	v_add_nc_u32_e32 v3, s2, v0
	s_delay_alu instid0(VALU_DEP_2) | instskip(NEXT) | instid1(VALU_DEP_1)
	v_lshlrev_b64 v[1:2], 2, v[0:1]
	v_add_co_u32 v0, vcc_lo, s0, v1
	s_delay_alu instid0(VALU_DEP_2)
	v_add_co_ci_u32_e32 v1, vcc_lo, s1, v2, vcc_lo
	flat_store_b32 v[0:1], v3
	s_endpgm
	.section	.rodata,"a",@progbits
	.p2align	6, 0x0
	.amdhsa_kernel _ZN6thrust23THRUST_200600_302600_NS11hip_rocprim14__parallel_for6kernelILj256ENS1_11__transform17unary_transform_fINS0_17counting_iteratorIiNS0_11use_defaultES7_S7_EENS0_6detail15normal_iteratorINS0_10device_ptrIiEEEENS4_14no_stencil_tagENS0_8identityIiEENS4_21always_true_predicateEEElLj1EEEvT0_T1_SK_
		.amdhsa_group_segment_fixed_size 0
		.amdhsa_private_segment_fixed_size 0
		.amdhsa_kernarg_size 40
		.amdhsa_user_sgpr_count 15
		.amdhsa_user_sgpr_dispatch_ptr 0
		.amdhsa_user_sgpr_queue_ptr 0
		.amdhsa_user_sgpr_kernarg_segment_ptr 1
		.amdhsa_user_sgpr_dispatch_id 0
		.amdhsa_user_sgpr_private_segment_size 0
		.amdhsa_wavefront_size32 1
		.amdhsa_uses_dynamic_stack 0
		.amdhsa_enable_private_segment 0
		.amdhsa_system_sgpr_workgroup_id_x 1
		.amdhsa_system_sgpr_workgroup_id_y 0
		.amdhsa_system_sgpr_workgroup_id_z 0
		.amdhsa_system_sgpr_workgroup_info 0
		.amdhsa_system_vgpr_workitem_id 0
		.amdhsa_next_free_vgpr 4
		.amdhsa_next_free_sgpr 16
		.amdhsa_reserve_vcc 1
		.amdhsa_float_round_mode_32 0
		.amdhsa_float_round_mode_16_64 0
		.amdhsa_float_denorm_mode_32 3
		.amdhsa_float_denorm_mode_16_64 3
		.amdhsa_dx10_clamp 1
		.amdhsa_ieee_mode 1
		.amdhsa_fp16_overflow 0
		.amdhsa_workgroup_processor_mode 1
		.amdhsa_memory_ordered 1
		.amdhsa_forward_progress 0
		.amdhsa_shared_vgpr_count 0
		.amdhsa_exception_fp_ieee_invalid_op 0
		.amdhsa_exception_fp_denorm_src 0
		.amdhsa_exception_fp_ieee_div_zero 0
		.amdhsa_exception_fp_ieee_overflow 0
		.amdhsa_exception_fp_ieee_underflow 0
		.amdhsa_exception_fp_ieee_inexact 0
		.amdhsa_exception_int_div_zero 0
	.end_amdhsa_kernel
	.section	.text._ZN6thrust23THRUST_200600_302600_NS11hip_rocprim14__parallel_for6kernelILj256ENS1_11__transform17unary_transform_fINS0_17counting_iteratorIiNS0_11use_defaultES7_S7_EENS0_6detail15normal_iteratorINS0_10device_ptrIiEEEENS4_14no_stencil_tagENS0_8identityIiEENS4_21always_true_predicateEEElLj1EEEvT0_T1_SK_,"axG",@progbits,_ZN6thrust23THRUST_200600_302600_NS11hip_rocprim14__parallel_for6kernelILj256ENS1_11__transform17unary_transform_fINS0_17counting_iteratorIiNS0_11use_defaultES7_S7_EENS0_6detail15normal_iteratorINS0_10device_ptrIiEEEENS4_14no_stencil_tagENS0_8identityIiEENS4_21always_true_predicateEEElLj1EEEvT0_T1_SK_,comdat
.Lfunc_end732:
	.size	_ZN6thrust23THRUST_200600_302600_NS11hip_rocprim14__parallel_for6kernelILj256ENS1_11__transform17unary_transform_fINS0_17counting_iteratorIiNS0_11use_defaultES7_S7_EENS0_6detail15normal_iteratorINS0_10device_ptrIiEEEENS4_14no_stencil_tagENS0_8identityIiEENS4_21always_true_predicateEEElLj1EEEvT0_T1_SK_, .Lfunc_end732-_ZN6thrust23THRUST_200600_302600_NS11hip_rocprim14__parallel_for6kernelILj256ENS1_11__transform17unary_transform_fINS0_17counting_iteratorIiNS0_11use_defaultES7_S7_EENS0_6detail15normal_iteratorINS0_10device_ptrIiEEEENS4_14no_stencil_tagENS0_8identityIiEENS4_21always_true_predicateEEElLj1EEEvT0_T1_SK_
                                        ; -- End function
	.section	.AMDGPU.csdata,"",@progbits
; Kernel info:
; codeLenInByte = 248
; NumSgprs: 18
; NumVgprs: 4
; ScratchSize: 0
; MemoryBound: 0
; FloatMode: 240
; IeeeMode: 1
; LDSByteSize: 0 bytes/workgroup (compile time only)
; SGPRBlocks: 2
; VGPRBlocks: 0
; NumSGPRsForWavesPerEU: 18
; NumVGPRsForWavesPerEU: 4
; Occupancy: 16
; WaveLimiterHint : 0
; COMPUTE_PGM_RSRC2:SCRATCH_EN: 0
; COMPUTE_PGM_RSRC2:USER_SGPR: 15
; COMPUTE_PGM_RSRC2:TRAP_HANDLER: 0
; COMPUTE_PGM_RSRC2:TGID_X_EN: 1
; COMPUTE_PGM_RSRC2:TGID_Y_EN: 0
; COMPUTE_PGM_RSRC2:TGID_Z_EN: 0
; COMPUTE_PGM_RSRC2:TIDIG_COMP_CNT: 0
	.section	.text._ZN6thrust23THRUST_200600_302600_NS11hip_rocprim14__parallel_for6kernelILj256ENS1_11__transform17unary_transform_fINS0_17counting_iteratorIsNS0_11use_defaultES7_S7_EENS0_6detail15normal_iteratorINS0_10device_ptrIsEEEENS4_14no_stencil_tagENS0_8identityIsEENS4_21always_true_predicateEEEiLj1EEEvT0_T1_SK_,"axG",@progbits,_ZN6thrust23THRUST_200600_302600_NS11hip_rocprim14__parallel_for6kernelILj256ENS1_11__transform17unary_transform_fINS0_17counting_iteratorIsNS0_11use_defaultES7_S7_EENS0_6detail15normal_iteratorINS0_10device_ptrIsEEEENS4_14no_stencil_tagENS0_8identityIsEENS4_21always_true_predicateEEEiLj1EEEvT0_T1_SK_,comdat
	.protected	_ZN6thrust23THRUST_200600_302600_NS11hip_rocprim14__parallel_for6kernelILj256ENS1_11__transform17unary_transform_fINS0_17counting_iteratorIsNS0_11use_defaultES7_S7_EENS0_6detail15normal_iteratorINS0_10device_ptrIsEEEENS4_14no_stencil_tagENS0_8identityIsEENS4_21always_true_predicateEEEiLj1EEEvT0_T1_SK_ ; -- Begin function _ZN6thrust23THRUST_200600_302600_NS11hip_rocprim14__parallel_for6kernelILj256ENS1_11__transform17unary_transform_fINS0_17counting_iteratorIsNS0_11use_defaultES7_S7_EENS0_6detail15normal_iteratorINS0_10device_ptrIsEEEENS4_14no_stencil_tagENS0_8identityIsEENS4_21always_true_predicateEEEiLj1EEEvT0_T1_SK_
	.globl	_ZN6thrust23THRUST_200600_302600_NS11hip_rocprim14__parallel_for6kernelILj256ENS1_11__transform17unary_transform_fINS0_17counting_iteratorIsNS0_11use_defaultES7_S7_EENS0_6detail15normal_iteratorINS0_10device_ptrIsEEEENS4_14no_stencil_tagENS0_8identityIsEENS4_21always_true_predicateEEEiLj1EEEvT0_T1_SK_
	.p2align	8
	.type	_ZN6thrust23THRUST_200600_302600_NS11hip_rocprim14__parallel_for6kernelILj256ENS1_11__transform17unary_transform_fINS0_17counting_iteratorIsNS0_11use_defaultES7_S7_EENS0_6detail15normal_iteratorINS0_10device_ptrIsEEEENS4_14no_stencil_tagENS0_8identityIsEENS4_21always_true_predicateEEEiLj1EEEvT0_T1_SK_,@function
_ZN6thrust23THRUST_200600_302600_NS11hip_rocprim14__parallel_for6kernelILj256ENS1_11__transform17unary_transform_fINS0_17counting_iteratorIsNS0_11use_defaultES7_S7_EENS0_6detail15normal_iteratorINS0_10device_ptrIsEEEENS4_14no_stencil_tagENS0_8identityIsEENS4_21always_true_predicateEEEiLj1EEEvT0_T1_SK_: ; @_ZN6thrust23THRUST_200600_302600_NS11hip_rocprim14__parallel_for6kernelILj256ENS1_11__transform17unary_transform_fINS0_17counting_iteratorIsNS0_11use_defaultES7_S7_EENS0_6detail15normal_iteratorINS0_10device_ptrIsEEEENS4_14no_stencil_tagENS0_8identityIsEENS4_21always_true_predicateEEEiLj1EEEvT0_T1_SK_
; %bb.0:
	s_clause 0x2
	s_load_b64 s[4:5], s[0:1], 0x18
	s_load_b32 s2, s[0:1], 0x0
	s_load_b64 s[0:1], s[0:1], 0x8
	s_lshl_b32 s3, s15, 8
	s_waitcnt lgkmcnt(0)
	s_add_i32 s3, s3, s5
	s_delay_alu instid0(SALU_CYCLE_1)
	s_sub_i32 s5, s4, s3
	s_mov_b32 s4, -1
	s_cmpk_lt_i32 s5, 0x100
	s_cbranch_scc1 .LBB733_3
; %bb.1:
	s_and_not1_b32 vcc_lo, exec_lo, s4
	s_cbranch_vccz .LBB733_6
.LBB733_2:
	s_endpgm
.LBB733_3:
	s_mov_b32 s4, exec_lo
	v_cmpx_gt_u32_e64 s5, v0
	s_cbranch_execz .LBB733_5
; %bb.4:
	v_dual_mov_b32 v2, 0 :: v_dual_add_nc_u32 v1, s3, v0
	s_delay_alu instid0(VALU_DEP_1) | instskip(SKIP_1) | instid1(VALU_DEP_2)
	v_lshlrev_b64 v[2:3], 1, v[1:2]
	v_add_nc_u16 v1, s2, v1
	v_add_co_u32 v2, vcc_lo, s0, v2
	s_delay_alu instid0(VALU_DEP_3)
	v_add_co_ci_u32_e32 v3, vcc_lo, s1, v3, vcc_lo
	flat_store_b16 v[2:3], v1
.LBB733_5:
	s_or_b32 exec_lo, exec_lo, s4
	s_cbranch_execnz .LBB733_2
.LBB733_6:
	v_dual_mov_b32 v1, 0 :: v_dual_add_nc_u32 v0, s3, v0
	s_delay_alu instid0(VALU_DEP_1) | instskip(NEXT) | instid1(VALU_DEP_2)
	v_add_nc_u16 v3, s2, v0
	v_lshlrev_b64 v[1:2], 1, v[0:1]
	s_delay_alu instid0(VALU_DEP_1) | instskip(NEXT) | instid1(VALU_DEP_2)
	v_add_co_u32 v0, vcc_lo, s0, v1
	v_add_co_ci_u32_e32 v1, vcc_lo, s1, v2, vcc_lo
	flat_store_b16 v[0:1], v3
	s_endpgm
	.section	.rodata,"a",@progbits
	.p2align	6, 0x0
	.amdhsa_kernel _ZN6thrust23THRUST_200600_302600_NS11hip_rocprim14__parallel_for6kernelILj256ENS1_11__transform17unary_transform_fINS0_17counting_iteratorIsNS0_11use_defaultES7_S7_EENS0_6detail15normal_iteratorINS0_10device_ptrIsEEEENS4_14no_stencil_tagENS0_8identityIsEENS4_21always_true_predicateEEEiLj1EEEvT0_T1_SK_
		.amdhsa_group_segment_fixed_size 0
		.amdhsa_private_segment_fixed_size 0
		.amdhsa_kernarg_size 32
		.amdhsa_user_sgpr_count 15
		.amdhsa_user_sgpr_dispatch_ptr 0
		.amdhsa_user_sgpr_queue_ptr 0
		.amdhsa_user_sgpr_kernarg_segment_ptr 1
		.amdhsa_user_sgpr_dispatch_id 0
		.amdhsa_user_sgpr_private_segment_size 0
		.amdhsa_wavefront_size32 1
		.amdhsa_uses_dynamic_stack 0
		.amdhsa_enable_private_segment 0
		.amdhsa_system_sgpr_workgroup_id_x 1
		.amdhsa_system_sgpr_workgroup_id_y 0
		.amdhsa_system_sgpr_workgroup_id_z 0
		.amdhsa_system_sgpr_workgroup_info 0
		.amdhsa_system_vgpr_workitem_id 0
		.amdhsa_next_free_vgpr 4
		.amdhsa_next_free_sgpr 16
		.amdhsa_reserve_vcc 1
		.amdhsa_float_round_mode_32 0
		.amdhsa_float_round_mode_16_64 0
		.amdhsa_float_denorm_mode_32 3
		.amdhsa_float_denorm_mode_16_64 3
		.amdhsa_dx10_clamp 1
		.amdhsa_ieee_mode 1
		.amdhsa_fp16_overflow 0
		.amdhsa_workgroup_processor_mode 1
		.amdhsa_memory_ordered 1
		.amdhsa_forward_progress 0
		.amdhsa_shared_vgpr_count 0
		.amdhsa_exception_fp_ieee_invalid_op 0
		.amdhsa_exception_fp_denorm_src 0
		.amdhsa_exception_fp_ieee_div_zero 0
		.amdhsa_exception_fp_ieee_overflow 0
		.amdhsa_exception_fp_ieee_underflow 0
		.amdhsa_exception_fp_ieee_inexact 0
		.amdhsa_exception_int_div_zero 0
	.end_amdhsa_kernel
	.section	.text._ZN6thrust23THRUST_200600_302600_NS11hip_rocprim14__parallel_for6kernelILj256ENS1_11__transform17unary_transform_fINS0_17counting_iteratorIsNS0_11use_defaultES7_S7_EENS0_6detail15normal_iteratorINS0_10device_ptrIsEEEENS4_14no_stencil_tagENS0_8identityIsEENS4_21always_true_predicateEEEiLj1EEEvT0_T1_SK_,"axG",@progbits,_ZN6thrust23THRUST_200600_302600_NS11hip_rocprim14__parallel_for6kernelILj256ENS1_11__transform17unary_transform_fINS0_17counting_iteratorIsNS0_11use_defaultES7_S7_EENS0_6detail15normal_iteratorINS0_10device_ptrIsEEEENS4_14no_stencil_tagENS0_8identityIsEENS4_21always_true_predicateEEEiLj1EEEvT0_T1_SK_,comdat
.Lfunc_end733:
	.size	_ZN6thrust23THRUST_200600_302600_NS11hip_rocprim14__parallel_for6kernelILj256ENS1_11__transform17unary_transform_fINS0_17counting_iteratorIsNS0_11use_defaultES7_S7_EENS0_6detail15normal_iteratorINS0_10device_ptrIsEEEENS4_14no_stencil_tagENS0_8identityIsEENS4_21always_true_predicateEEEiLj1EEEvT0_T1_SK_, .Lfunc_end733-_ZN6thrust23THRUST_200600_302600_NS11hip_rocprim14__parallel_for6kernelILj256ENS1_11__transform17unary_transform_fINS0_17counting_iteratorIsNS0_11use_defaultES7_S7_EENS0_6detail15normal_iteratorINS0_10device_ptrIsEEEENS4_14no_stencil_tagENS0_8identityIsEENS4_21always_true_predicateEEEiLj1EEEvT0_T1_SK_
                                        ; -- End function
	.section	.AMDGPU.csdata,"",@progbits
; Kernel info:
; codeLenInByte = 204
; NumSgprs: 18
; NumVgprs: 4
; ScratchSize: 0
; MemoryBound: 0
; FloatMode: 240
; IeeeMode: 1
; LDSByteSize: 0 bytes/workgroup (compile time only)
; SGPRBlocks: 2
; VGPRBlocks: 0
; NumSGPRsForWavesPerEU: 18
; NumVGPRsForWavesPerEU: 4
; Occupancy: 16
; WaveLimiterHint : 0
; COMPUTE_PGM_RSRC2:SCRATCH_EN: 0
; COMPUTE_PGM_RSRC2:USER_SGPR: 15
; COMPUTE_PGM_RSRC2:TRAP_HANDLER: 0
; COMPUTE_PGM_RSRC2:TGID_X_EN: 1
; COMPUTE_PGM_RSRC2:TGID_Y_EN: 0
; COMPUTE_PGM_RSRC2:TGID_Z_EN: 0
; COMPUTE_PGM_RSRC2:TIDIG_COMP_CNT: 0
	.section	.text._ZN6thrust23THRUST_200600_302600_NS11hip_rocprim14__parallel_for6kernelILj256ENS1_11__transform17unary_transform_fINS0_12zip_iteratorINS0_5tupleINS0_6detail15normal_iteratorINS0_10device_ptrI10large_dataEEEESD_NS0_9null_typeESE_SE_SE_SE_SE_SE_SE_EEEESG_NS4_14no_stencil_tagENS0_8identityINS7_ISB_SB_SE_SE_SE_SE_SE_SE_SE_SE_EEEENS4_21always_true_predicateEEElLj1EEEvT0_T1_SO_,"axG",@progbits,_ZN6thrust23THRUST_200600_302600_NS11hip_rocprim14__parallel_for6kernelILj256ENS1_11__transform17unary_transform_fINS0_12zip_iteratorINS0_5tupleINS0_6detail15normal_iteratorINS0_10device_ptrI10large_dataEEEESD_NS0_9null_typeESE_SE_SE_SE_SE_SE_SE_EEEESG_NS4_14no_stencil_tagENS0_8identityINS7_ISB_SB_SE_SE_SE_SE_SE_SE_SE_SE_EEEENS4_21always_true_predicateEEElLj1EEEvT0_T1_SO_,comdat
	.protected	_ZN6thrust23THRUST_200600_302600_NS11hip_rocprim14__parallel_for6kernelILj256ENS1_11__transform17unary_transform_fINS0_12zip_iteratorINS0_5tupleINS0_6detail15normal_iteratorINS0_10device_ptrI10large_dataEEEESD_NS0_9null_typeESE_SE_SE_SE_SE_SE_SE_EEEESG_NS4_14no_stencil_tagENS0_8identityINS7_ISB_SB_SE_SE_SE_SE_SE_SE_SE_SE_EEEENS4_21always_true_predicateEEElLj1EEEvT0_T1_SO_ ; -- Begin function _ZN6thrust23THRUST_200600_302600_NS11hip_rocprim14__parallel_for6kernelILj256ENS1_11__transform17unary_transform_fINS0_12zip_iteratorINS0_5tupleINS0_6detail15normal_iteratorINS0_10device_ptrI10large_dataEEEESD_NS0_9null_typeESE_SE_SE_SE_SE_SE_SE_EEEESG_NS4_14no_stencil_tagENS0_8identityINS7_ISB_SB_SE_SE_SE_SE_SE_SE_SE_SE_EEEENS4_21always_true_predicateEEElLj1EEEvT0_T1_SO_
	.globl	_ZN6thrust23THRUST_200600_302600_NS11hip_rocprim14__parallel_for6kernelILj256ENS1_11__transform17unary_transform_fINS0_12zip_iteratorINS0_5tupleINS0_6detail15normal_iteratorINS0_10device_ptrI10large_dataEEEESD_NS0_9null_typeESE_SE_SE_SE_SE_SE_SE_EEEESG_NS4_14no_stencil_tagENS0_8identityINS7_ISB_SB_SE_SE_SE_SE_SE_SE_SE_SE_EEEENS4_21always_true_predicateEEElLj1EEEvT0_T1_SO_
	.p2align	8
	.type	_ZN6thrust23THRUST_200600_302600_NS11hip_rocprim14__parallel_for6kernelILj256ENS1_11__transform17unary_transform_fINS0_12zip_iteratorINS0_5tupleINS0_6detail15normal_iteratorINS0_10device_ptrI10large_dataEEEESD_NS0_9null_typeESE_SE_SE_SE_SE_SE_SE_EEEESG_NS4_14no_stencil_tagENS0_8identityINS7_ISB_SB_SE_SE_SE_SE_SE_SE_SE_SE_EEEENS4_21always_true_predicateEEElLj1EEEvT0_T1_SO_,@function
_ZN6thrust23THRUST_200600_302600_NS11hip_rocprim14__parallel_for6kernelILj256ENS1_11__transform17unary_transform_fINS0_12zip_iteratorINS0_5tupleINS0_6detail15normal_iteratorINS0_10device_ptrI10large_dataEEEESD_NS0_9null_typeESE_SE_SE_SE_SE_SE_SE_EEEESG_NS4_14no_stencil_tagENS0_8identityINS7_ISB_SB_SE_SE_SE_SE_SE_SE_SE_SE_EEEENS4_21always_true_predicateEEElLj1EEEvT0_T1_SO_: ; @_ZN6thrust23THRUST_200600_302600_NS11hip_rocprim14__parallel_for6kernelILj256ENS1_11__transform17unary_transform_fINS0_12zip_iteratorINS0_5tupleINS0_6detail15normal_iteratorINS0_10device_ptrI10large_dataEEEESD_NS0_9null_typeESE_SE_SE_SE_SE_SE_SE_EEEESG_NS4_14no_stencil_tagENS0_8identityINS7_ISB_SB_SE_SE_SE_SE_SE_SE_SE_SE_EEEENS4_21always_true_predicateEEElLj1EEEvT0_T1_SO_
; %bb.0:
	s_clause 0x1
	s_load_b128 s[16:19], s[0:1], 0x28
	s_load_b256 s[0:7], s[0:1], 0x0
	s_lshl_b32 s8, s15, 8
	s_waitcnt lgkmcnt(0)
	s_add_u32 s8, s8, s18
	s_addc_u32 s9, 0, s19
	s_sub_u32 s10, s16, s8
	s_subb_u32 s11, s17, s9
	s_delay_alu instid0(SALU_CYCLE_1) | instskip(NEXT) | instid1(VALU_DEP_1)
	v_cmp_gt_i64_e64 s11, 0x100, s[10:11]
	s_and_b32 s11, s11, exec_lo
	s_cselect_b32 s11, s10, 0x100
	s_mov_b32 s10, -1
	s_cmpk_lg_i32 s11, 0x100
	s_cbranch_scc1 .LBB734_3
; %bb.1:
	s_and_not1_b32 vcc_lo, exec_lo, s10
	s_cbranch_vccz .LBB734_6
.LBB734_2:
	s_nop 0
	s_sendmsg sendmsg(MSG_DEALLOC_VGPRS)
	s_endpgm
.LBB734_3:
	s_mov_b32 s10, exec_lo
	v_cmpx_gt_u32_e64 s11, v0
	s_cbranch_execz .LBB734_5
; %bb.4:
	v_add_co_u32 v1, s11, s8, v0
	s_delay_alu instid0(VALU_DEP_1) | instskip(NEXT) | instid1(VALU_DEP_1)
	v_add_co_ci_u32_e64 v2, null, s9, 0, s11
	v_lshlrev_b64 v[1:2], 9, v[1:2]
	s_delay_alu instid0(VALU_DEP_1) | instskip(NEXT) | instid1(VALU_DEP_2)
	v_add_co_u32 v3, vcc_lo, s0, v1
	v_add_co_ci_u32_e32 v4, vcc_lo, s1, v2, vcc_lo
	v_add_co_u32 v5, vcc_lo, s2, v1
	v_add_co_ci_u32_e32 v6, vcc_lo, s3, v2, vcc_lo
	global_load_u8 v7, v[3:4], off
	global_load_u8 v5, v[5:6], off
	v_add_co_u32 v3, vcc_lo, s4, v1
	v_add_co_ci_u32_e32 v4, vcc_lo, s5, v2, vcc_lo
	v_add_co_u32 v1, vcc_lo, s6, v1
	v_add_co_ci_u32_e32 v2, vcc_lo, s7, v2, vcc_lo
	s_waitcnt vmcnt(1)
	global_store_b8 v[3:4], v7, off
	s_waitcnt vmcnt(0)
	global_store_b8 v[1:2], v5, off
.LBB734_5:
	s_or_b32 exec_lo, exec_lo, s10
	s_cbranch_execnz .LBB734_2
.LBB734_6:
	v_add_co_u32 v0, s8, s8, v0
	s_delay_alu instid0(VALU_DEP_1) | instskip(NEXT) | instid1(VALU_DEP_1)
	v_add_co_ci_u32_e64 v1, null, s9, 0, s8
	v_lshlrev_b64 v[0:1], 9, v[0:1]
	s_delay_alu instid0(VALU_DEP_1) | instskip(NEXT) | instid1(VALU_DEP_2)
	v_add_co_u32 v2, vcc_lo, s0, v0
	v_add_co_ci_u32_e32 v3, vcc_lo, s1, v1, vcc_lo
	v_add_co_u32 v4, vcc_lo, s2, v0
	v_add_co_ci_u32_e32 v5, vcc_lo, s3, v1, vcc_lo
	global_load_u8 v6, v[2:3], off
	global_load_u8 v4, v[4:5], off
	v_add_co_u32 v2, vcc_lo, s4, v0
	v_add_co_ci_u32_e32 v3, vcc_lo, s5, v1, vcc_lo
	v_add_co_u32 v0, vcc_lo, s6, v0
	v_add_co_ci_u32_e32 v1, vcc_lo, s7, v1, vcc_lo
	s_waitcnt vmcnt(1)
	global_store_b8 v[2:3], v6, off
	s_waitcnt vmcnt(0)
	global_store_b8 v[0:1], v4, off
	s_nop 0
	s_sendmsg sendmsg(MSG_DEALLOC_VGPRS)
	s_endpgm
	.section	.rodata,"a",@progbits
	.p2align	6, 0x0
	.amdhsa_kernel _ZN6thrust23THRUST_200600_302600_NS11hip_rocprim14__parallel_for6kernelILj256ENS1_11__transform17unary_transform_fINS0_12zip_iteratorINS0_5tupleINS0_6detail15normal_iteratorINS0_10device_ptrI10large_dataEEEESD_NS0_9null_typeESE_SE_SE_SE_SE_SE_SE_EEEESG_NS4_14no_stencil_tagENS0_8identityINS7_ISB_SB_SE_SE_SE_SE_SE_SE_SE_SE_EEEENS4_21always_true_predicateEEElLj1EEEvT0_T1_SO_
		.amdhsa_group_segment_fixed_size 0
		.amdhsa_private_segment_fixed_size 0
		.amdhsa_kernarg_size 56
		.amdhsa_user_sgpr_count 15
		.amdhsa_user_sgpr_dispatch_ptr 0
		.amdhsa_user_sgpr_queue_ptr 0
		.amdhsa_user_sgpr_kernarg_segment_ptr 1
		.amdhsa_user_sgpr_dispatch_id 0
		.amdhsa_user_sgpr_private_segment_size 0
		.amdhsa_wavefront_size32 1
		.amdhsa_uses_dynamic_stack 0
		.amdhsa_enable_private_segment 0
		.amdhsa_system_sgpr_workgroup_id_x 1
		.amdhsa_system_sgpr_workgroup_id_y 0
		.amdhsa_system_sgpr_workgroup_id_z 0
		.amdhsa_system_sgpr_workgroup_info 0
		.amdhsa_system_vgpr_workitem_id 0
		.amdhsa_next_free_vgpr 8
		.amdhsa_next_free_sgpr 20
		.amdhsa_reserve_vcc 1
		.amdhsa_float_round_mode_32 0
		.amdhsa_float_round_mode_16_64 0
		.amdhsa_float_denorm_mode_32 3
		.amdhsa_float_denorm_mode_16_64 3
		.amdhsa_dx10_clamp 1
		.amdhsa_ieee_mode 1
		.amdhsa_fp16_overflow 0
		.amdhsa_workgroup_processor_mode 1
		.amdhsa_memory_ordered 1
		.amdhsa_forward_progress 0
		.amdhsa_shared_vgpr_count 0
		.amdhsa_exception_fp_ieee_invalid_op 0
		.amdhsa_exception_fp_denorm_src 0
		.amdhsa_exception_fp_ieee_div_zero 0
		.amdhsa_exception_fp_ieee_overflow 0
		.amdhsa_exception_fp_ieee_underflow 0
		.amdhsa_exception_fp_ieee_inexact 0
		.amdhsa_exception_int_div_zero 0
	.end_amdhsa_kernel
	.section	.text._ZN6thrust23THRUST_200600_302600_NS11hip_rocprim14__parallel_for6kernelILj256ENS1_11__transform17unary_transform_fINS0_12zip_iteratorINS0_5tupleINS0_6detail15normal_iteratorINS0_10device_ptrI10large_dataEEEESD_NS0_9null_typeESE_SE_SE_SE_SE_SE_SE_EEEESG_NS4_14no_stencil_tagENS0_8identityINS7_ISB_SB_SE_SE_SE_SE_SE_SE_SE_SE_EEEENS4_21always_true_predicateEEElLj1EEEvT0_T1_SO_,"axG",@progbits,_ZN6thrust23THRUST_200600_302600_NS11hip_rocprim14__parallel_for6kernelILj256ENS1_11__transform17unary_transform_fINS0_12zip_iteratorINS0_5tupleINS0_6detail15normal_iteratorINS0_10device_ptrI10large_dataEEEESD_NS0_9null_typeESE_SE_SE_SE_SE_SE_SE_EEEESG_NS4_14no_stencil_tagENS0_8identityINS7_ISB_SB_SE_SE_SE_SE_SE_SE_SE_SE_EEEENS4_21always_true_predicateEEElLj1EEEvT0_T1_SO_,comdat
.Lfunc_end734:
	.size	_ZN6thrust23THRUST_200600_302600_NS11hip_rocprim14__parallel_for6kernelILj256ENS1_11__transform17unary_transform_fINS0_12zip_iteratorINS0_5tupleINS0_6detail15normal_iteratorINS0_10device_ptrI10large_dataEEEESD_NS0_9null_typeESE_SE_SE_SE_SE_SE_SE_EEEESG_NS4_14no_stencil_tagENS0_8identityINS7_ISB_SB_SE_SE_SE_SE_SE_SE_SE_SE_EEEENS4_21always_true_predicateEEElLj1EEEvT0_T1_SO_, .Lfunc_end734-_ZN6thrust23THRUST_200600_302600_NS11hip_rocprim14__parallel_for6kernelILj256ENS1_11__transform17unary_transform_fINS0_12zip_iteratorINS0_5tupleINS0_6detail15normal_iteratorINS0_10device_ptrI10large_dataEEEESD_NS0_9null_typeESE_SE_SE_SE_SE_SE_SE_EEEESG_NS4_14no_stencil_tagENS0_8identityINS7_ISB_SB_SE_SE_SE_SE_SE_SE_SE_SE_EEEENS4_21always_true_predicateEEElLj1EEEvT0_T1_SO_
                                        ; -- End function
	.section	.AMDGPU.csdata,"",@progbits
; Kernel info:
; codeLenInByte = 380
; NumSgprs: 22
; NumVgprs: 8
; ScratchSize: 0
; MemoryBound: 0
; FloatMode: 240
; IeeeMode: 1
; LDSByteSize: 0 bytes/workgroup (compile time only)
; SGPRBlocks: 2
; VGPRBlocks: 0
; NumSGPRsForWavesPerEU: 22
; NumVGPRsForWavesPerEU: 8
; Occupancy: 16
; WaveLimiterHint : 0
; COMPUTE_PGM_RSRC2:SCRATCH_EN: 0
; COMPUTE_PGM_RSRC2:USER_SGPR: 15
; COMPUTE_PGM_RSRC2:TRAP_HANDLER: 0
; COMPUTE_PGM_RSRC2:TGID_X_EN: 1
; COMPUTE_PGM_RSRC2:TGID_Y_EN: 0
; COMPUTE_PGM_RSRC2:TGID_Z_EN: 0
; COMPUTE_PGM_RSRC2:TIDIG_COMP_CNT: 0
	.section	.text._ZN7rocprim17ROCPRIM_400000_NS6detail17trampoline_kernelINS0_14default_configENS1_22reduce_config_selectorIN6thrust23THRUST_200600_302600_NS5tupleIblNS6_9null_typeES8_S8_S8_S8_S8_S8_S8_EEEEZNS1_11reduce_implILb1ES3_NS6_12zip_iteratorINS7_INS6_11hip_rocprim26transform_input_iterator_tIbNSD_35transform_pair_of_input_iterators_tIbNS6_6detail15normal_iteratorINS6_10device_ptrIK10large_dataEEEESM_NS6_8equal_toISJ_EEEENSG_9not_fun_tINSD_8identityEEEEENSD_19counting_iterator_tIlEES8_S8_S8_S8_S8_S8_S8_S8_EEEEPS9_S9_NSD_9__find_if7functorIS9_EEEE10hipError_tPvRmT1_T2_T3_mT4_P12ihipStream_tbEUlT_E0_NS1_11comp_targetILNS1_3genE0ELNS1_11target_archE4294967295ELNS1_3gpuE0ELNS1_3repE0EEENS1_30default_config_static_selectorELNS0_4arch9wavefront6targetE0EEEvS15_,"axG",@progbits,_ZN7rocprim17ROCPRIM_400000_NS6detail17trampoline_kernelINS0_14default_configENS1_22reduce_config_selectorIN6thrust23THRUST_200600_302600_NS5tupleIblNS6_9null_typeES8_S8_S8_S8_S8_S8_S8_EEEEZNS1_11reduce_implILb1ES3_NS6_12zip_iteratorINS7_INS6_11hip_rocprim26transform_input_iterator_tIbNSD_35transform_pair_of_input_iterators_tIbNS6_6detail15normal_iteratorINS6_10device_ptrIK10large_dataEEEESM_NS6_8equal_toISJ_EEEENSG_9not_fun_tINSD_8identityEEEEENSD_19counting_iterator_tIlEES8_S8_S8_S8_S8_S8_S8_S8_EEEEPS9_S9_NSD_9__find_if7functorIS9_EEEE10hipError_tPvRmT1_T2_T3_mT4_P12ihipStream_tbEUlT_E0_NS1_11comp_targetILNS1_3genE0ELNS1_11target_archE4294967295ELNS1_3gpuE0ELNS1_3repE0EEENS1_30default_config_static_selectorELNS0_4arch9wavefront6targetE0EEEvS15_,comdat
	.protected	_ZN7rocprim17ROCPRIM_400000_NS6detail17trampoline_kernelINS0_14default_configENS1_22reduce_config_selectorIN6thrust23THRUST_200600_302600_NS5tupleIblNS6_9null_typeES8_S8_S8_S8_S8_S8_S8_EEEEZNS1_11reduce_implILb1ES3_NS6_12zip_iteratorINS7_INS6_11hip_rocprim26transform_input_iterator_tIbNSD_35transform_pair_of_input_iterators_tIbNS6_6detail15normal_iteratorINS6_10device_ptrIK10large_dataEEEESM_NS6_8equal_toISJ_EEEENSG_9not_fun_tINSD_8identityEEEEENSD_19counting_iterator_tIlEES8_S8_S8_S8_S8_S8_S8_S8_EEEEPS9_S9_NSD_9__find_if7functorIS9_EEEE10hipError_tPvRmT1_T2_T3_mT4_P12ihipStream_tbEUlT_E0_NS1_11comp_targetILNS1_3genE0ELNS1_11target_archE4294967295ELNS1_3gpuE0ELNS1_3repE0EEENS1_30default_config_static_selectorELNS0_4arch9wavefront6targetE0EEEvS15_ ; -- Begin function _ZN7rocprim17ROCPRIM_400000_NS6detail17trampoline_kernelINS0_14default_configENS1_22reduce_config_selectorIN6thrust23THRUST_200600_302600_NS5tupleIblNS6_9null_typeES8_S8_S8_S8_S8_S8_S8_EEEEZNS1_11reduce_implILb1ES3_NS6_12zip_iteratorINS7_INS6_11hip_rocprim26transform_input_iterator_tIbNSD_35transform_pair_of_input_iterators_tIbNS6_6detail15normal_iteratorINS6_10device_ptrIK10large_dataEEEESM_NS6_8equal_toISJ_EEEENSG_9not_fun_tINSD_8identityEEEEENSD_19counting_iterator_tIlEES8_S8_S8_S8_S8_S8_S8_S8_EEEEPS9_S9_NSD_9__find_if7functorIS9_EEEE10hipError_tPvRmT1_T2_T3_mT4_P12ihipStream_tbEUlT_E0_NS1_11comp_targetILNS1_3genE0ELNS1_11target_archE4294967295ELNS1_3gpuE0ELNS1_3repE0EEENS1_30default_config_static_selectorELNS0_4arch9wavefront6targetE0EEEvS15_
	.globl	_ZN7rocprim17ROCPRIM_400000_NS6detail17trampoline_kernelINS0_14default_configENS1_22reduce_config_selectorIN6thrust23THRUST_200600_302600_NS5tupleIblNS6_9null_typeES8_S8_S8_S8_S8_S8_S8_EEEEZNS1_11reduce_implILb1ES3_NS6_12zip_iteratorINS7_INS6_11hip_rocprim26transform_input_iterator_tIbNSD_35transform_pair_of_input_iterators_tIbNS6_6detail15normal_iteratorINS6_10device_ptrIK10large_dataEEEESM_NS6_8equal_toISJ_EEEENSG_9not_fun_tINSD_8identityEEEEENSD_19counting_iterator_tIlEES8_S8_S8_S8_S8_S8_S8_S8_EEEEPS9_S9_NSD_9__find_if7functorIS9_EEEE10hipError_tPvRmT1_T2_T3_mT4_P12ihipStream_tbEUlT_E0_NS1_11comp_targetILNS1_3genE0ELNS1_11target_archE4294967295ELNS1_3gpuE0ELNS1_3repE0EEENS1_30default_config_static_selectorELNS0_4arch9wavefront6targetE0EEEvS15_
	.p2align	8
	.type	_ZN7rocprim17ROCPRIM_400000_NS6detail17trampoline_kernelINS0_14default_configENS1_22reduce_config_selectorIN6thrust23THRUST_200600_302600_NS5tupleIblNS6_9null_typeES8_S8_S8_S8_S8_S8_S8_EEEEZNS1_11reduce_implILb1ES3_NS6_12zip_iteratorINS7_INS6_11hip_rocprim26transform_input_iterator_tIbNSD_35transform_pair_of_input_iterators_tIbNS6_6detail15normal_iteratorINS6_10device_ptrIK10large_dataEEEESM_NS6_8equal_toISJ_EEEENSG_9not_fun_tINSD_8identityEEEEENSD_19counting_iterator_tIlEES8_S8_S8_S8_S8_S8_S8_S8_EEEEPS9_S9_NSD_9__find_if7functorIS9_EEEE10hipError_tPvRmT1_T2_T3_mT4_P12ihipStream_tbEUlT_E0_NS1_11comp_targetILNS1_3genE0ELNS1_11target_archE4294967295ELNS1_3gpuE0ELNS1_3repE0EEENS1_30default_config_static_selectorELNS0_4arch9wavefront6targetE0EEEvS15_,@function
_ZN7rocprim17ROCPRIM_400000_NS6detail17trampoline_kernelINS0_14default_configENS1_22reduce_config_selectorIN6thrust23THRUST_200600_302600_NS5tupleIblNS6_9null_typeES8_S8_S8_S8_S8_S8_S8_EEEEZNS1_11reduce_implILb1ES3_NS6_12zip_iteratorINS7_INS6_11hip_rocprim26transform_input_iterator_tIbNSD_35transform_pair_of_input_iterators_tIbNS6_6detail15normal_iteratorINS6_10device_ptrIK10large_dataEEEESM_NS6_8equal_toISJ_EEEENSG_9not_fun_tINSD_8identityEEEEENSD_19counting_iterator_tIlEES8_S8_S8_S8_S8_S8_S8_S8_EEEEPS9_S9_NSD_9__find_if7functorIS9_EEEE10hipError_tPvRmT1_T2_T3_mT4_P12ihipStream_tbEUlT_E0_NS1_11comp_targetILNS1_3genE0ELNS1_11target_archE4294967295ELNS1_3gpuE0ELNS1_3repE0EEENS1_30default_config_static_selectorELNS0_4arch9wavefront6targetE0EEEvS15_: ; @_ZN7rocprim17ROCPRIM_400000_NS6detail17trampoline_kernelINS0_14default_configENS1_22reduce_config_selectorIN6thrust23THRUST_200600_302600_NS5tupleIblNS6_9null_typeES8_S8_S8_S8_S8_S8_S8_EEEEZNS1_11reduce_implILb1ES3_NS6_12zip_iteratorINS7_INS6_11hip_rocprim26transform_input_iterator_tIbNSD_35transform_pair_of_input_iterators_tIbNS6_6detail15normal_iteratorINS6_10device_ptrIK10large_dataEEEESM_NS6_8equal_toISJ_EEEENSG_9not_fun_tINSD_8identityEEEEENSD_19counting_iterator_tIlEES8_S8_S8_S8_S8_S8_S8_S8_EEEEPS9_S9_NSD_9__find_if7functorIS9_EEEE10hipError_tPvRmT1_T2_T3_mT4_P12ihipStream_tbEUlT_E0_NS1_11comp_targetILNS1_3genE0ELNS1_11target_archE4294967295ELNS1_3gpuE0ELNS1_3repE0EEENS1_30default_config_static_selectorELNS0_4arch9wavefront6targetE0EEEvS15_
; %bb.0:
	.section	.rodata,"a",@progbits
	.p2align	6, 0x0
	.amdhsa_kernel _ZN7rocprim17ROCPRIM_400000_NS6detail17trampoline_kernelINS0_14default_configENS1_22reduce_config_selectorIN6thrust23THRUST_200600_302600_NS5tupleIblNS6_9null_typeES8_S8_S8_S8_S8_S8_S8_EEEEZNS1_11reduce_implILb1ES3_NS6_12zip_iteratorINS7_INS6_11hip_rocprim26transform_input_iterator_tIbNSD_35transform_pair_of_input_iterators_tIbNS6_6detail15normal_iteratorINS6_10device_ptrIK10large_dataEEEESM_NS6_8equal_toISJ_EEEENSG_9not_fun_tINSD_8identityEEEEENSD_19counting_iterator_tIlEES8_S8_S8_S8_S8_S8_S8_S8_EEEEPS9_S9_NSD_9__find_if7functorIS9_EEEE10hipError_tPvRmT1_T2_T3_mT4_P12ihipStream_tbEUlT_E0_NS1_11comp_targetILNS1_3genE0ELNS1_11target_archE4294967295ELNS1_3gpuE0ELNS1_3repE0EEENS1_30default_config_static_selectorELNS0_4arch9wavefront6targetE0EEEvS15_
		.amdhsa_group_segment_fixed_size 0
		.amdhsa_private_segment_fixed_size 0
		.amdhsa_kernarg_size 104
		.amdhsa_user_sgpr_count 15
		.amdhsa_user_sgpr_dispatch_ptr 0
		.amdhsa_user_sgpr_queue_ptr 0
		.amdhsa_user_sgpr_kernarg_segment_ptr 1
		.amdhsa_user_sgpr_dispatch_id 0
		.amdhsa_user_sgpr_private_segment_size 0
		.amdhsa_wavefront_size32 1
		.amdhsa_uses_dynamic_stack 0
		.amdhsa_enable_private_segment 0
		.amdhsa_system_sgpr_workgroup_id_x 1
		.amdhsa_system_sgpr_workgroup_id_y 0
		.amdhsa_system_sgpr_workgroup_id_z 0
		.amdhsa_system_sgpr_workgroup_info 0
		.amdhsa_system_vgpr_workitem_id 0
		.amdhsa_next_free_vgpr 1
		.amdhsa_next_free_sgpr 1
		.amdhsa_reserve_vcc 0
		.amdhsa_float_round_mode_32 0
		.amdhsa_float_round_mode_16_64 0
		.amdhsa_float_denorm_mode_32 3
		.amdhsa_float_denorm_mode_16_64 3
		.amdhsa_dx10_clamp 1
		.amdhsa_ieee_mode 1
		.amdhsa_fp16_overflow 0
		.amdhsa_workgroup_processor_mode 1
		.amdhsa_memory_ordered 1
		.amdhsa_forward_progress 0
		.amdhsa_shared_vgpr_count 0
		.amdhsa_exception_fp_ieee_invalid_op 0
		.amdhsa_exception_fp_denorm_src 0
		.amdhsa_exception_fp_ieee_div_zero 0
		.amdhsa_exception_fp_ieee_overflow 0
		.amdhsa_exception_fp_ieee_underflow 0
		.amdhsa_exception_fp_ieee_inexact 0
		.amdhsa_exception_int_div_zero 0
	.end_amdhsa_kernel
	.section	.text._ZN7rocprim17ROCPRIM_400000_NS6detail17trampoline_kernelINS0_14default_configENS1_22reduce_config_selectorIN6thrust23THRUST_200600_302600_NS5tupleIblNS6_9null_typeES8_S8_S8_S8_S8_S8_S8_EEEEZNS1_11reduce_implILb1ES3_NS6_12zip_iteratorINS7_INS6_11hip_rocprim26transform_input_iterator_tIbNSD_35transform_pair_of_input_iterators_tIbNS6_6detail15normal_iteratorINS6_10device_ptrIK10large_dataEEEESM_NS6_8equal_toISJ_EEEENSG_9not_fun_tINSD_8identityEEEEENSD_19counting_iterator_tIlEES8_S8_S8_S8_S8_S8_S8_S8_EEEEPS9_S9_NSD_9__find_if7functorIS9_EEEE10hipError_tPvRmT1_T2_T3_mT4_P12ihipStream_tbEUlT_E0_NS1_11comp_targetILNS1_3genE0ELNS1_11target_archE4294967295ELNS1_3gpuE0ELNS1_3repE0EEENS1_30default_config_static_selectorELNS0_4arch9wavefront6targetE0EEEvS15_,"axG",@progbits,_ZN7rocprim17ROCPRIM_400000_NS6detail17trampoline_kernelINS0_14default_configENS1_22reduce_config_selectorIN6thrust23THRUST_200600_302600_NS5tupleIblNS6_9null_typeES8_S8_S8_S8_S8_S8_S8_EEEEZNS1_11reduce_implILb1ES3_NS6_12zip_iteratorINS7_INS6_11hip_rocprim26transform_input_iterator_tIbNSD_35transform_pair_of_input_iterators_tIbNS6_6detail15normal_iteratorINS6_10device_ptrIK10large_dataEEEESM_NS6_8equal_toISJ_EEEENSG_9not_fun_tINSD_8identityEEEEENSD_19counting_iterator_tIlEES8_S8_S8_S8_S8_S8_S8_S8_EEEEPS9_S9_NSD_9__find_if7functorIS9_EEEE10hipError_tPvRmT1_T2_T3_mT4_P12ihipStream_tbEUlT_E0_NS1_11comp_targetILNS1_3genE0ELNS1_11target_archE4294967295ELNS1_3gpuE0ELNS1_3repE0EEENS1_30default_config_static_selectorELNS0_4arch9wavefront6targetE0EEEvS15_,comdat
.Lfunc_end735:
	.size	_ZN7rocprim17ROCPRIM_400000_NS6detail17trampoline_kernelINS0_14default_configENS1_22reduce_config_selectorIN6thrust23THRUST_200600_302600_NS5tupleIblNS6_9null_typeES8_S8_S8_S8_S8_S8_S8_EEEEZNS1_11reduce_implILb1ES3_NS6_12zip_iteratorINS7_INS6_11hip_rocprim26transform_input_iterator_tIbNSD_35transform_pair_of_input_iterators_tIbNS6_6detail15normal_iteratorINS6_10device_ptrIK10large_dataEEEESM_NS6_8equal_toISJ_EEEENSG_9not_fun_tINSD_8identityEEEEENSD_19counting_iterator_tIlEES8_S8_S8_S8_S8_S8_S8_S8_EEEEPS9_S9_NSD_9__find_if7functorIS9_EEEE10hipError_tPvRmT1_T2_T3_mT4_P12ihipStream_tbEUlT_E0_NS1_11comp_targetILNS1_3genE0ELNS1_11target_archE4294967295ELNS1_3gpuE0ELNS1_3repE0EEENS1_30default_config_static_selectorELNS0_4arch9wavefront6targetE0EEEvS15_, .Lfunc_end735-_ZN7rocprim17ROCPRIM_400000_NS6detail17trampoline_kernelINS0_14default_configENS1_22reduce_config_selectorIN6thrust23THRUST_200600_302600_NS5tupleIblNS6_9null_typeES8_S8_S8_S8_S8_S8_S8_EEEEZNS1_11reduce_implILb1ES3_NS6_12zip_iteratorINS7_INS6_11hip_rocprim26transform_input_iterator_tIbNSD_35transform_pair_of_input_iterators_tIbNS6_6detail15normal_iteratorINS6_10device_ptrIK10large_dataEEEESM_NS6_8equal_toISJ_EEEENSG_9not_fun_tINSD_8identityEEEEENSD_19counting_iterator_tIlEES8_S8_S8_S8_S8_S8_S8_S8_EEEEPS9_S9_NSD_9__find_if7functorIS9_EEEE10hipError_tPvRmT1_T2_T3_mT4_P12ihipStream_tbEUlT_E0_NS1_11comp_targetILNS1_3genE0ELNS1_11target_archE4294967295ELNS1_3gpuE0ELNS1_3repE0EEENS1_30default_config_static_selectorELNS0_4arch9wavefront6targetE0EEEvS15_
                                        ; -- End function
	.section	.AMDGPU.csdata,"",@progbits
; Kernel info:
; codeLenInByte = 0
; NumSgprs: 0
; NumVgprs: 0
; ScratchSize: 0
; MemoryBound: 0
; FloatMode: 240
; IeeeMode: 1
; LDSByteSize: 0 bytes/workgroup (compile time only)
; SGPRBlocks: 0
; VGPRBlocks: 0
; NumSGPRsForWavesPerEU: 1
; NumVGPRsForWavesPerEU: 1
; Occupancy: 16
; WaveLimiterHint : 0
; COMPUTE_PGM_RSRC2:SCRATCH_EN: 0
; COMPUTE_PGM_RSRC2:USER_SGPR: 15
; COMPUTE_PGM_RSRC2:TRAP_HANDLER: 0
; COMPUTE_PGM_RSRC2:TGID_X_EN: 1
; COMPUTE_PGM_RSRC2:TGID_Y_EN: 0
; COMPUTE_PGM_RSRC2:TGID_Z_EN: 0
; COMPUTE_PGM_RSRC2:TIDIG_COMP_CNT: 0
	.section	.text._ZN7rocprim17ROCPRIM_400000_NS6detail17trampoline_kernelINS0_14default_configENS1_22reduce_config_selectorIN6thrust23THRUST_200600_302600_NS5tupleIblNS6_9null_typeES8_S8_S8_S8_S8_S8_S8_EEEEZNS1_11reduce_implILb1ES3_NS6_12zip_iteratorINS7_INS6_11hip_rocprim26transform_input_iterator_tIbNSD_35transform_pair_of_input_iterators_tIbNS6_6detail15normal_iteratorINS6_10device_ptrIK10large_dataEEEESM_NS6_8equal_toISJ_EEEENSG_9not_fun_tINSD_8identityEEEEENSD_19counting_iterator_tIlEES8_S8_S8_S8_S8_S8_S8_S8_EEEEPS9_S9_NSD_9__find_if7functorIS9_EEEE10hipError_tPvRmT1_T2_T3_mT4_P12ihipStream_tbEUlT_E0_NS1_11comp_targetILNS1_3genE5ELNS1_11target_archE942ELNS1_3gpuE9ELNS1_3repE0EEENS1_30default_config_static_selectorELNS0_4arch9wavefront6targetE0EEEvS15_,"axG",@progbits,_ZN7rocprim17ROCPRIM_400000_NS6detail17trampoline_kernelINS0_14default_configENS1_22reduce_config_selectorIN6thrust23THRUST_200600_302600_NS5tupleIblNS6_9null_typeES8_S8_S8_S8_S8_S8_S8_EEEEZNS1_11reduce_implILb1ES3_NS6_12zip_iteratorINS7_INS6_11hip_rocprim26transform_input_iterator_tIbNSD_35transform_pair_of_input_iterators_tIbNS6_6detail15normal_iteratorINS6_10device_ptrIK10large_dataEEEESM_NS6_8equal_toISJ_EEEENSG_9not_fun_tINSD_8identityEEEEENSD_19counting_iterator_tIlEES8_S8_S8_S8_S8_S8_S8_S8_EEEEPS9_S9_NSD_9__find_if7functorIS9_EEEE10hipError_tPvRmT1_T2_T3_mT4_P12ihipStream_tbEUlT_E0_NS1_11comp_targetILNS1_3genE5ELNS1_11target_archE942ELNS1_3gpuE9ELNS1_3repE0EEENS1_30default_config_static_selectorELNS0_4arch9wavefront6targetE0EEEvS15_,comdat
	.protected	_ZN7rocprim17ROCPRIM_400000_NS6detail17trampoline_kernelINS0_14default_configENS1_22reduce_config_selectorIN6thrust23THRUST_200600_302600_NS5tupleIblNS6_9null_typeES8_S8_S8_S8_S8_S8_S8_EEEEZNS1_11reduce_implILb1ES3_NS6_12zip_iteratorINS7_INS6_11hip_rocprim26transform_input_iterator_tIbNSD_35transform_pair_of_input_iterators_tIbNS6_6detail15normal_iteratorINS6_10device_ptrIK10large_dataEEEESM_NS6_8equal_toISJ_EEEENSG_9not_fun_tINSD_8identityEEEEENSD_19counting_iterator_tIlEES8_S8_S8_S8_S8_S8_S8_S8_EEEEPS9_S9_NSD_9__find_if7functorIS9_EEEE10hipError_tPvRmT1_T2_T3_mT4_P12ihipStream_tbEUlT_E0_NS1_11comp_targetILNS1_3genE5ELNS1_11target_archE942ELNS1_3gpuE9ELNS1_3repE0EEENS1_30default_config_static_selectorELNS0_4arch9wavefront6targetE0EEEvS15_ ; -- Begin function _ZN7rocprim17ROCPRIM_400000_NS6detail17trampoline_kernelINS0_14default_configENS1_22reduce_config_selectorIN6thrust23THRUST_200600_302600_NS5tupleIblNS6_9null_typeES8_S8_S8_S8_S8_S8_S8_EEEEZNS1_11reduce_implILb1ES3_NS6_12zip_iteratorINS7_INS6_11hip_rocprim26transform_input_iterator_tIbNSD_35transform_pair_of_input_iterators_tIbNS6_6detail15normal_iteratorINS6_10device_ptrIK10large_dataEEEESM_NS6_8equal_toISJ_EEEENSG_9not_fun_tINSD_8identityEEEEENSD_19counting_iterator_tIlEES8_S8_S8_S8_S8_S8_S8_S8_EEEEPS9_S9_NSD_9__find_if7functorIS9_EEEE10hipError_tPvRmT1_T2_T3_mT4_P12ihipStream_tbEUlT_E0_NS1_11comp_targetILNS1_3genE5ELNS1_11target_archE942ELNS1_3gpuE9ELNS1_3repE0EEENS1_30default_config_static_selectorELNS0_4arch9wavefront6targetE0EEEvS15_
	.globl	_ZN7rocprim17ROCPRIM_400000_NS6detail17trampoline_kernelINS0_14default_configENS1_22reduce_config_selectorIN6thrust23THRUST_200600_302600_NS5tupleIblNS6_9null_typeES8_S8_S8_S8_S8_S8_S8_EEEEZNS1_11reduce_implILb1ES3_NS6_12zip_iteratorINS7_INS6_11hip_rocprim26transform_input_iterator_tIbNSD_35transform_pair_of_input_iterators_tIbNS6_6detail15normal_iteratorINS6_10device_ptrIK10large_dataEEEESM_NS6_8equal_toISJ_EEEENSG_9not_fun_tINSD_8identityEEEEENSD_19counting_iterator_tIlEES8_S8_S8_S8_S8_S8_S8_S8_EEEEPS9_S9_NSD_9__find_if7functorIS9_EEEE10hipError_tPvRmT1_T2_T3_mT4_P12ihipStream_tbEUlT_E0_NS1_11comp_targetILNS1_3genE5ELNS1_11target_archE942ELNS1_3gpuE9ELNS1_3repE0EEENS1_30default_config_static_selectorELNS0_4arch9wavefront6targetE0EEEvS15_
	.p2align	8
	.type	_ZN7rocprim17ROCPRIM_400000_NS6detail17trampoline_kernelINS0_14default_configENS1_22reduce_config_selectorIN6thrust23THRUST_200600_302600_NS5tupleIblNS6_9null_typeES8_S8_S8_S8_S8_S8_S8_EEEEZNS1_11reduce_implILb1ES3_NS6_12zip_iteratorINS7_INS6_11hip_rocprim26transform_input_iterator_tIbNSD_35transform_pair_of_input_iterators_tIbNS6_6detail15normal_iteratorINS6_10device_ptrIK10large_dataEEEESM_NS6_8equal_toISJ_EEEENSG_9not_fun_tINSD_8identityEEEEENSD_19counting_iterator_tIlEES8_S8_S8_S8_S8_S8_S8_S8_EEEEPS9_S9_NSD_9__find_if7functorIS9_EEEE10hipError_tPvRmT1_T2_T3_mT4_P12ihipStream_tbEUlT_E0_NS1_11comp_targetILNS1_3genE5ELNS1_11target_archE942ELNS1_3gpuE9ELNS1_3repE0EEENS1_30default_config_static_selectorELNS0_4arch9wavefront6targetE0EEEvS15_,@function
_ZN7rocprim17ROCPRIM_400000_NS6detail17trampoline_kernelINS0_14default_configENS1_22reduce_config_selectorIN6thrust23THRUST_200600_302600_NS5tupleIblNS6_9null_typeES8_S8_S8_S8_S8_S8_S8_EEEEZNS1_11reduce_implILb1ES3_NS6_12zip_iteratorINS7_INS6_11hip_rocprim26transform_input_iterator_tIbNSD_35transform_pair_of_input_iterators_tIbNS6_6detail15normal_iteratorINS6_10device_ptrIK10large_dataEEEESM_NS6_8equal_toISJ_EEEENSG_9not_fun_tINSD_8identityEEEEENSD_19counting_iterator_tIlEES8_S8_S8_S8_S8_S8_S8_S8_EEEEPS9_S9_NSD_9__find_if7functorIS9_EEEE10hipError_tPvRmT1_T2_T3_mT4_P12ihipStream_tbEUlT_E0_NS1_11comp_targetILNS1_3genE5ELNS1_11target_archE942ELNS1_3gpuE9ELNS1_3repE0EEENS1_30default_config_static_selectorELNS0_4arch9wavefront6targetE0EEEvS15_: ; @_ZN7rocprim17ROCPRIM_400000_NS6detail17trampoline_kernelINS0_14default_configENS1_22reduce_config_selectorIN6thrust23THRUST_200600_302600_NS5tupleIblNS6_9null_typeES8_S8_S8_S8_S8_S8_S8_EEEEZNS1_11reduce_implILb1ES3_NS6_12zip_iteratorINS7_INS6_11hip_rocprim26transform_input_iterator_tIbNSD_35transform_pair_of_input_iterators_tIbNS6_6detail15normal_iteratorINS6_10device_ptrIK10large_dataEEEESM_NS6_8equal_toISJ_EEEENSG_9not_fun_tINSD_8identityEEEEENSD_19counting_iterator_tIlEES8_S8_S8_S8_S8_S8_S8_S8_EEEEPS9_S9_NSD_9__find_if7functorIS9_EEEE10hipError_tPvRmT1_T2_T3_mT4_P12ihipStream_tbEUlT_E0_NS1_11comp_targetILNS1_3genE5ELNS1_11target_archE942ELNS1_3gpuE9ELNS1_3repE0EEENS1_30default_config_static_selectorELNS0_4arch9wavefront6targetE0EEEvS15_
; %bb.0:
	.section	.rodata,"a",@progbits
	.p2align	6, 0x0
	.amdhsa_kernel _ZN7rocprim17ROCPRIM_400000_NS6detail17trampoline_kernelINS0_14default_configENS1_22reduce_config_selectorIN6thrust23THRUST_200600_302600_NS5tupleIblNS6_9null_typeES8_S8_S8_S8_S8_S8_S8_EEEEZNS1_11reduce_implILb1ES3_NS6_12zip_iteratorINS7_INS6_11hip_rocprim26transform_input_iterator_tIbNSD_35transform_pair_of_input_iterators_tIbNS6_6detail15normal_iteratorINS6_10device_ptrIK10large_dataEEEESM_NS6_8equal_toISJ_EEEENSG_9not_fun_tINSD_8identityEEEEENSD_19counting_iterator_tIlEES8_S8_S8_S8_S8_S8_S8_S8_EEEEPS9_S9_NSD_9__find_if7functorIS9_EEEE10hipError_tPvRmT1_T2_T3_mT4_P12ihipStream_tbEUlT_E0_NS1_11comp_targetILNS1_3genE5ELNS1_11target_archE942ELNS1_3gpuE9ELNS1_3repE0EEENS1_30default_config_static_selectorELNS0_4arch9wavefront6targetE0EEEvS15_
		.amdhsa_group_segment_fixed_size 0
		.amdhsa_private_segment_fixed_size 0
		.amdhsa_kernarg_size 104
		.amdhsa_user_sgpr_count 15
		.amdhsa_user_sgpr_dispatch_ptr 0
		.amdhsa_user_sgpr_queue_ptr 0
		.amdhsa_user_sgpr_kernarg_segment_ptr 1
		.amdhsa_user_sgpr_dispatch_id 0
		.amdhsa_user_sgpr_private_segment_size 0
		.amdhsa_wavefront_size32 1
		.amdhsa_uses_dynamic_stack 0
		.amdhsa_enable_private_segment 0
		.amdhsa_system_sgpr_workgroup_id_x 1
		.amdhsa_system_sgpr_workgroup_id_y 0
		.amdhsa_system_sgpr_workgroup_id_z 0
		.amdhsa_system_sgpr_workgroup_info 0
		.amdhsa_system_vgpr_workitem_id 0
		.amdhsa_next_free_vgpr 1
		.amdhsa_next_free_sgpr 1
		.amdhsa_reserve_vcc 0
		.amdhsa_float_round_mode_32 0
		.amdhsa_float_round_mode_16_64 0
		.amdhsa_float_denorm_mode_32 3
		.amdhsa_float_denorm_mode_16_64 3
		.amdhsa_dx10_clamp 1
		.amdhsa_ieee_mode 1
		.amdhsa_fp16_overflow 0
		.amdhsa_workgroup_processor_mode 1
		.amdhsa_memory_ordered 1
		.amdhsa_forward_progress 0
		.amdhsa_shared_vgpr_count 0
		.amdhsa_exception_fp_ieee_invalid_op 0
		.amdhsa_exception_fp_denorm_src 0
		.amdhsa_exception_fp_ieee_div_zero 0
		.amdhsa_exception_fp_ieee_overflow 0
		.amdhsa_exception_fp_ieee_underflow 0
		.amdhsa_exception_fp_ieee_inexact 0
		.amdhsa_exception_int_div_zero 0
	.end_amdhsa_kernel
	.section	.text._ZN7rocprim17ROCPRIM_400000_NS6detail17trampoline_kernelINS0_14default_configENS1_22reduce_config_selectorIN6thrust23THRUST_200600_302600_NS5tupleIblNS6_9null_typeES8_S8_S8_S8_S8_S8_S8_EEEEZNS1_11reduce_implILb1ES3_NS6_12zip_iteratorINS7_INS6_11hip_rocprim26transform_input_iterator_tIbNSD_35transform_pair_of_input_iterators_tIbNS6_6detail15normal_iteratorINS6_10device_ptrIK10large_dataEEEESM_NS6_8equal_toISJ_EEEENSG_9not_fun_tINSD_8identityEEEEENSD_19counting_iterator_tIlEES8_S8_S8_S8_S8_S8_S8_S8_EEEEPS9_S9_NSD_9__find_if7functorIS9_EEEE10hipError_tPvRmT1_T2_T3_mT4_P12ihipStream_tbEUlT_E0_NS1_11comp_targetILNS1_3genE5ELNS1_11target_archE942ELNS1_3gpuE9ELNS1_3repE0EEENS1_30default_config_static_selectorELNS0_4arch9wavefront6targetE0EEEvS15_,"axG",@progbits,_ZN7rocprim17ROCPRIM_400000_NS6detail17trampoline_kernelINS0_14default_configENS1_22reduce_config_selectorIN6thrust23THRUST_200600_302600_NS5tupleIblNS6_9null_typeES8_S8_S8_S8_S8_S8_S8_EEEEZNS1_11reduce_implILb1ES3_NS6_12zip_iteratorINS7_INS6_11hip_rocprim26transform_input_iterator_tIbNSD_35transform_pair_of_input_iterators_tIbNS6_6detail15normal_iteratorINS6_10device_ptrIK10large_dataEEEESM_NS6_8equal_toISJ_EEEENSG_9not_fun_tINSD_8identityEEEEENSD_19counting_iterator_tIlEES8_S8_S8_S8_S8_S8_S8_S8_EEEEPS9_S9_NSD_9__find_if7functorIS9_EEEE10hipError_tPvRmT1_T2_T3_mT4_P12ihipStream_tbEUlT_E0_NS1_11comp_targetILNS1_3genE5ELNS1_11target_archE942ELNS1_3gpuE9ELNS1_3repE0EEENS1_30default_config_static_selectorELNS0_4arch9wavefront6targetE0EEEvS15_,comdat
.Lfunc_end736:
	.size	_ZN7rocprim17ROCPRIM_400000_NS6detail17trampoline_kernelINS0_14default_configENS1_22reduce_config_selectorIN6thrust23THRUST_200600_302600_NS5tupleIblNS6_9null_typeES8_S8_S8_S8_S8_S8_S8_EEEEZNS1_11reduce_implILb1ES3_NS6_12zip_iteratorINS7_INS6_11hip_rocprim26transform_input_iterator_tIbNSD_35transform_pair_of_input_iterators_tIbNS6_6detail15normal_iteratorINS6_10device_ptrIK10large_dataEEEESM_NS6_8equal_toISJ_EEEENSG_9not_fun_tINSD_8identityEEEEENSD_19counting_iterator_tIlEES8_S8_S8_S8_S8_S8_S8_S8_EEEEPS9_S9_NSD_9__find_if7functorIS9_EEEE10hipError_tPvRmT1_T2_T3_mT4_P12ihipStream_tbEUlT_E0_NS1_11comp_targetILNS1_3genE5ELNS1_11target_archE942ELNS1_3gpuE9ELNS1_3repE0EEENS1_30default_config_static_selectorELNS0_4arch9wavefront6targetE0EEEvS15_, .Lfunc_end736-_ZN7rocprim17ROCPRIM_400000_NS6detail17trampoline_kernelINS0_14default_configENS1_22reduce_config_selectorIN6thrust23THRUST_200600_302600_NS5tupleIblNS6_9null_typeES8_S8_S8_S8_S8_S8_S8_EEEEZNS1_11reduce_implILb1ES3_NS6_12zip_iteratorINS7_INS6_11hip_rocprim26transform_input_iterator_tIbNSD_35transform_pair_of_input_iterators_tIbNS6_6detail15normal_iteratorINS6_10device_ptrIK10large_dataEEEESM_NS6_8equal_toISJ_EEEENSG_9not_fun_tINSD_8identityEEEEENSD_19counting_iterator_tIlEES8_S8_S8_S8_S8_S8_S8_S8_EEEEPS9_S9_NSD_9__find_if7functorIS9_EEEE10hipError_tPvRmT1_T2_T3_mT4_P12ihipStream_tbEUlT_E0_NS1_11comp_targetILNS1_3genE5ELNS1_11target_archE942ELNS1_3gpuE9ELNS1_3repE0EEENS1_30default_config_static_selectorELNS0_4arch9wavefront6targetE0EEEvS15_
                                        ; -- End function
	.section	.AMDGPU.csdata,"",@progbits
; Kernel info:
; codeLenInByte = 0
; NumSgprs: 0
; NumVgprs: 0
; ScratchSize: 0
; MemoryBound: 0
; FloatMode: 240
; IeeeMode: 1
; LDSByteSize: 0 bytes/workgroup (compile time only)
; SGPRBlocks: 0
; VGPRBlocks: 0
; NumSGPRsForWavesPerEU: 1
; NumVGPRsForWavesPerEU: 1
; Occupancy: 16
; WaveLimiterHint : 0
; COMPUTE_PGM_RSRC2:SCRATCH_EN: 0
; COMPUTE_PGM_RSRC2:USER_SGPR: 15
; COMPUTE_PGM_RSRC2:TRAP_HANDLER: 0
; COMPUTE_PGM_RSRC2:TGID_X_EN: 1
; COMPUTE_PGM_RSRC2:TGID_Y_EN: 0
; COMPUTE_PGM_RSRC2:TGID_Z_EN: 0
; COMPUTE_PGM_RSRC2:TIDIG_COMP_CNT: 0
	.section	.text._ZN7rocprim17ROCPRIM_400000_NS6detail17trampoline_kernelINS0_14default_configENS1_22reduce_config_selectorIN6thrust23THRUST_200600_302600_NS5tupleIblNS6_9null_typeES8_S8_S8_S8_S8_S8_S8_EEEEZNS1_11reduce_implILb1ES3_NS6_12zip_iteratorINS7_INS6_11hip_rocprim26transform_input_iterator_tIbNSD_35transform_pair_of_input_iterators_tIbNS6_6detail15normal_iteratorINS6_10device_ptrIK10large_dataEEEESM_NS6_8equal_toISJ_EEEENSG_9not_fun_tINSD_8identityEEEEENSD_19counting_iterator_tIlEES8_S8_S8_S8_S8_S8_S8_S8_EEEEPS9_S9_NSD_9__find_if7functorIS9_EEEE10hipError_tPvRmT1_T2_T3_mT4_P12ihipStream_tbEUlT_E0_NS1_11comp_targetILNS1_3genE4ELNS1_11target_archE910ELNS1_3gpuE8ELNS1_3repE0EEENS1_30default_config_static_selectorELNS0_4arch9wavefront6targetE0EEEvS15_,"axG",@progbits,_ZN7rocprim17ROCPRIM_400000_NS6detail17trampoline_kernelINS0_14default_configENS1_22reduce_config_selectorIN6thrust23THRUST_200600_302600_NS5tupleIblNS6_9null_typeES8_S8_S8_S8_S8_S8_S8_EEEEZNS1_11reduce_implILb1ES3_NS6_12zip_iteratorINS7_INS6_11hip_rocprim26transform_input_iterator_tIbNSD_35transform_pair_of_input_iterators_tIbNS6_6detail15normal_iteratorINS6_10device_ptrIK10large_dataEEEESM_NS6_8equal_toISJ_EEEENSG_9not_fun_tINSD_8identityEEEEENSD_19counting_iterator_tIlEES8_S8_S8_S8_S8_S8_S8_S8_EEEEPS9_S9_NSD_9__find_if7functorIS9_EEEE10hipError_tPvRmT1_T2_T3_mT4_P12ihipStream_tbEUlT_E0_NS1_11comp_targetILNS1_3genE4ELNS1_11target_archE910ELNS1_3gpuE8ELNS1_3repE0EEENS1_30default_config_static_selectorELNS0_4arch9wavefront6targetE0EEEvS15_,comdat
	.protected	_ZN7rocprim17ROCPRIM_400000_NS6detail17trampoline_kernelINS0_14default_configENS1_22reduce_config_selectorIN6thrust23THRUST_200600_302600_NS5tupleIblNS6_9null_typeES8_S8_S8_S8_S8_S8_S8_EEEEZNS1_11reduce_implILb1ES3_NS6_12zip_iteratorINS7_INS6_11hip_rocprim26transform_input_iterator_tIbNSD_35transform_pair_of_input_iterators_tIbNS6_6detail15normal_iteratorINS6_10device_ptrIK10large_dataEEEESM_NS6_8equal_toISJ_EEEENSG_9not_fun_tINSD_8identityEEEEENSD_19counting_iterator_tIlEES8_S8_S8_S8_S8_S8_S8_S8_EEEEPS9_S9_NSD_9__find_if7functorIS9_EEEE10hipError_tPvRmT1_T2_T3_mT4_P12ihipStream_tbEUlT_E0_NS1_11comp_targetILNS1_3genE4ELNS1_11target_archE910ELNS1_3gpuE8ELNS1_3repE0EEENS1_30default_config_static_selectorELNS0_4arch9wavefront6targetE0EEEvS15_ ; -- Begin function _ZN7rocprim17ROCPRIM_400000_NS6detail17trampoline_kernelINS0_14default_configENS1_22reduce_config_selectorIN6thrust23THRUST_200600_302600_NS5tupleIblNS6_9null_typeES8_S8_S8_S8_S8_S8_S8_EEEEZNS1_11reduce_implILb1ES3_NS6_12zip_iteratorINS7_INS6_11hip_rocprim26transform_input_iterator_tIbNSD_35transform_pair_of_input_iterators_tIbNS6_6detail15normal_iteratorINS6_10device_ptrIK10large_dataEEEESM_NS6_8equal_toISJ_EEEENSG_9not_fun_tINSD_8identityEEEEENSD_19counting_iterator_tIlEES8_S8_S8_S8_S8_S8_S8_S8_EEEEPS9_S9_NSD_9__find_if7functorIS9_EEEE10hipError_tPvRmT1_T2_T3_mT4_P12ihipStream_tbEUlT_E0_NS1_11comp_targetILNS1_3genE4ELNS1_11target_archE910ELNS1_3gpuE8ELNS1_3repE0EEENS1_30default_config_static_selectorELNS0_4arch9wavefront6targetE0EEEvS15_
	.globl	_ZN7rocprim17ROCPRIM_400000_NS6detail17trampoline_kernelINS0_14default_configENS1_22reduce_config_selectorIN6thrust23THRUST_200600_302600_NS5tupleIblNS6_9null_typeES8_S8_S8_S8_S8_S8_S8_EEEEZNS1_11reduce_implILb1ES3_NS6_12zip_iteratorINS7_INS6_11hip_rocprim26transform_input_iterator_tIbNSD_35transform_pair_of_input_iterators_tIbNS6_6detail15normal_iteratorINS6_10device_ptrIK10large_dataEEEESM_NS6_8equal_toISJ_EEEENSG_9not_fun_tINSD_8identityEEEEENSD_19counting_iterator_tIlEES8_S8_S8_S8_S8_S8_S8_S8_EEEEPS9_S9_NSD_9__find_if7functorIS9_EEEE10hipError_tPvRmT1_T2_T3_mT4_P12ihipStream_tbEUlT_E0_NS1_11comp_targetILNS1_3genE4ELNS1_11target_archE910ELNS1_3gpuE8ELNS1_3repE0EEENS1_30default_config_static_selectorELNS0_4arch9wavefront6targetE0EEEvS15_
	.p2align	8
	.type	_ZN7rocprim17ROCPRIM_400000_NS6detail17trampoline_kernelINS0_14default_configENS1_22reduce_config_selectorIN6thrust23THRUST_200600_302600_NS5tupleIblNS6_9null_typeES8_S8_S8_S8_S8_S8_S8_EEEEZNS1_11reduce_implILb1ES3_NS6_12zip_iteratorINS7_INS6_11hip_rocprim26transform_input_iterator_tIbNSD_35transform_pair_of_input_iterators_tIbNS6_6detail15normal_iteratorINS6_10device_ptrIK10large_dataEEEESM_NS6_8equal_toISJ_EEEENSG_9not_fun_tINSD_8identityEEEEENSD_19counting_iterator_tIlEES8_S8_S8_S8_S8_S8_S8_S8_EEEEPS9_S9_NSD_9__find_if7functorIS9_EEEE10hipError_tPvRmT1_T2_T3_mT4_P12ihipStream_tbEUlT_E0_NS1_11comp_targetILNS1_3genE4ELNS1_11target_archE910ELNS1_3gpuE8ELNS1_3repE0EEENS1_30default_config_static_selectorELNS0_4arch9wavefront6targetE0EEEvS15_,@function
_ZN7rocprim17ROCPRIM_400000_NS6detail17trampoline_kernelINS0_14default_configENS1_22reduce_config_selectorIN6thrust23THRUST_200600_302600_NS5tupleIblNS6_9null_typeES8_S8_S8_S8_S8_S8_S8_EEEEZNS1_11reduce_implILb1ES3_NS6_12zip_iteratorINS7_INS6_11hip_rocprim26transform_input_iterator_tIbNSD_35transform_pair_of_input_iterators_tIbNS6_6detail15normal_iteratorINS6_10device_ptrIK10large_dataEEEESM_NS6_8equal_toISJ_EEEENSG_9not_fun_tINSD_8identityEEEEENSD_19counting_iterator_tIlEES8_S8_S8_S8_S8_S8_S8_S8_EEEEPS9_S9_NSD_9__find_if7functorIS9_EEEE10hipError_tPvRmT1_T2_T3_mT4_P12ihipStream_tbEUlT_E0_NS1_11comp_targetILNS1_3genE4ELNS1_11target_archE910ELNS1_3gpuE8ELNS1_3repE0EEENS1_30default_config_static_selectorELNS0_4arch9wavefront6targetE0EEEvS15_: ; @_ZN7rocprim17ROCPRIM_400000_NS6detail17trampoline_kernelINS0_14default_configENS1_22reduce_config_selectorIN6thrust23THRUST_200600_302600_NS5tupleIblNS6_9null_typeES8_S8_S8_S8_S8_S8_S8_EEEEZNS1_11reduce_implILb1ES3_NS6_12zip_iteratorINS7_INS6_11hip_rocprim26transform_input_iterator_tIbNSD_35transform_pair_of_input_iterators_tIbNS6_6detail15normal_iteratorINS6_10device_ptrIK10large_dataEEEESM_NS6_8equal_toISJ_EEEENSG_9not_fun_tINSD_8identityEEEEENSD_19counting_iterator_tIlEES8_S8_S8_S8_S8_S8_S8_S8_EEEEPS9_S9_NSD_9__find_if7functorIS9_EEEE10hipError_tPvRmT1_T2_T3_mT4_P12ihipStream_tbEUlT_E0_NS1_11comp_targetILNS1_3genE4ELNS1_11target_archE910ELNS1_3gpuE8ELNS1_3repE0EEENS1_30default_config_static_selectorELNS0_4arch9wavefront6targetE0EEEvS15_
; %bb.0:
	.section	.rodata,"a",@progbits
	.p2align	6, 0x0
	.amdhsa_kernel _ZN7rocprim17ROCPRIM_400000_NS6detail17trampoline_kernelINS0_14default_configENS1_22reduce_config_selectorIN6thrust23THRUST_200600_302600_NS5tupleIblNS6_9null_typeES8_S8_S8_S8_S8_S8_S8_EEEEZNS1_11reduce_implILb1ES3_NS6_12zip_iteratorINS7_INS6_11hip_rocprim26transform_input_iterator_tIbNSD_35transform_pair_of_input_iterators_tIbNS6_6detail15normal_iteratorINS6_10device_ptrIK10large_dataEEEESM_NS6_8equal_toISJ_EEEENSG_9not_fun_tINSD_8identityEEEEENSD_19counting_iterator_tIlEES8_S8_S8_S8_S8_S8_S8_S8_EEEEPS9_S9_NSD_9__find_if7functorIS9_EEEE10hipError_tPvRmT1_T2_T3_mT4_P12ihipStream_tbEUlT_E0_NS1_11comp_targetILNS1_3genE4ELNS1_11target_archE910ELNS1_3gpuE8ELNS1_3repE0EEENS1_30default_config_static_selectorELNS0_4arch9wavefront6targetE0EEEvS15_
		.amdhsa_group_segment_fixed_size 0
		.amdhsa_private_segment_fixed_size 0
		.amdhsa_kernarg_size 104
		.amdhsa_user_sgpr_count 15
		.amdhsa_user_sgpr_dispatch_ptr 0
		.amdhsa_user_sgpr_queue_ptr 0
		.amdhsa_user_sgpr_kernarg_segment_ptr 1
		.amdhsa_user_sgpr_dispatch_id 0
		.amdhsa_user_sgpr_private_segment_size 0
		.amdhsa_wavefront_size32 1
		.amdhsa_uses_dynamic_stack 0
		.amdhsa_enable_private_segment 0
		.amdhsa_system_sgpr_workgroup_id_x 1
		.amdhsa_system_sgpr_workgroup_id_y 0
		.amdhsa_system_sgpr_workgroup_id_z 0
		.amdhsa_system_sgpr_workgroup_info 0
		.amdhsa_system_vgpr_workitem_id 0
		.amdhsa_next_free_vgpr 1
		.amdhsa_next_free_sgpr 1
		.amdhsa_reserve_vcc 0
		.amdhsa_float_round_mode_32 0
		.amdhsa_float_round_mode_16_64 0
		.amdhsa_float_denorm_mode_32 3
		.amdhsa_float_denorm_mode_16_64 3
		.amdhsa_dx10_clamp 1
		.amdhsa_ieee_mode 1
		.amdhsa_fp16_overflow 0
		.amdhsa_workgroup_processor_mode 1
		.amdhsa_memory_ordered 1
		.amdhsa_forward_progress 0
		.amdhsa_shared_vgpr_count 0
		.amdhsa_exception_fp_ieee_invalid_op 0
		.amdhsa_exception_fp_denorm_src 0
		.amdhsa_exception_fp_ieee_div_zero 0
		.amdhsa_exception_fp_ieee_overflow 0
		.amdhsa_exception_fp_ieee_underflow 0
		.amdhsa_exception_fp_ieee_inexact 0
		.amdhsa_exception_int_div_zero 0
	.end_amdhsa_kernel
	.section	.text._ZN7rocprim17ROCPRIM_400000_NS6detail17trampoline_kernelINS0_14default_configENS1_22reduce_config_selectorIN6thrust23THRUST_200600_302600_NS5tupleIblNS6_9null_typeES8_S8_S8_S8_S8_S8_S8_EEEEZNS1_11reduce_implILb1ES3_NS6_12zip_iteratorINS7_INS6_11hip_rocprim26transform_input_iterator_tIbNSD_35transform_pair_of_input_iterators_tIbNS6_6detail15normal_iteratorINS6_10device_ptrIK10large_dataEEEESM_NS6_8equal_toISJ_EEEENSG_9not_fun_tINSD_8identityEEEEENSD_19counting_iterator_tIlEES8_S8_S8_S8_S8_S8_S8_S8_EEEEPS9_S9_NSD_9__find_if7functorIS9_EEEE10hipError_tPvRmT1_T2_T3_mT4_P12ihipStream_tbEUlT_E0_NS1_11comp_targetILNS1_3genE4ELNS1_11target_archE910ELNS1_3gpuE8ELNS1_3repE0EEENS1_30default_config_static_selectorELNS0_4arch9wavefront6targetE0EEEvS15_,"axG",@progbits,_ZN7rocprim17ROCPRIM_400000_NS6detail17trampoline_kernelINS0_14default_configENS1_22reduce_config_selectorIN6thrust23THRUST_200600_302600_NS5tupleIblNS6_9null_typeES8_S8_S8_S8_S8_S8_S8_EEEEZNS1_11reduce_implILb1ES3_NS6_12zip_iteratorINS7_INS6_11hip_rocprim26transform_input_iterator_tIbNSD_35transform_pair_of_input_iterators_tIbNS6_6detail15normal_iteratorINS6_10device_ptrIK10large_dataEEEESM_NS6_8equal_toISJ_EEEENSG_9not_fun_tINSD_8identityEEEEENSD_19counting_iterator_tIlEES8_S8_S8_S8_S8_S8_S8_S8_EEEEPS9_S9_NSD_9__find_if7functorIS9_EEEE10hipError_tPvRmT1_T2_T3_mT4_P12ihipStream_tbEUlT_E0_NS1_11comp_targetILNS1_3genE4ELNS1_11target_archE910ELNS1_3gpuE8ELNS1_3repE0EEENS1_30default_config_static_selectorELNS0_4arch9wavefront6targetE0EEEvS15_,comdat
.Lfunc_end737:
	.size	_ZN7rocprim17ROCPRIM_400000_NS6detail17trampoline_kernelINS0_14default_configENS1_22reduce_config_selectorIN6thrust23THRUST_200600_302600_NS5tupleIblNS6_9null_typeES8_S8_S8_S8_S8_S8_S8_EEEEZNS1_11reduce_implILb1ES3_NS6_12zip_iteratorINS7_INS6_11hip_rocprim26transform_input_iterator_tIbNSD_35transform_pair_of_input_iterators_tIbNS6_6detail15normal_iteratorINS6_10device_ptrIK10large_dataEEEESM_NS6_8equal_toISJ_EEEENSG_9not_fun_tINSD_8identityEEEEENSD_19counting_iterator_tIlEES8_S8_S8_S8_S8_S8_S8_S8_EEEEPS9_S9_NSD_9__find_if7functorIS9_EEEE10hipError_tPvRmT1_T2_T3_mT4_P12ihipStream_tbEUlT_E0_NS1_11comp_targetILNS1_3genE4ELNS1_11target_archE910ELNS1_3gpuE8ELNS1_3repE0EEENS1_30default_config_static_selectorELNS0_4arch9wavefront6targetE0EEEvS15_, .Lfunc_end737-_ZN7rocprim17ROCPRIM_400000_NS6detail17trampoline_kernelINS0_14default_configENS1_22reduce_config_selectorIN6thrust23THRUST_200600_302600_NS5tupleIblNS6_9null_typeES8_S8_S8_S8_S8_S8_S8_EEEEZNS1_11reduce_implILb1ES3_NS6_12zip_iteratorINS7_INS6_11hip_rocprim26transform_input_iterator_tIbNSD_35transform_pair_of_input_iterators_tIbNS6_6detail15normal_iteratorINS6_10device_ptrIK10large_dataEEEESM_NS6_8equal_toISJ_EEEENSG_9not_fun_tINSD_8identityEEEEENSD_19counting_iterator_tIlEES8_S8_S8_S8_S8_S8_S8_S8_EEEEPS9_S9_NSD_9__find_if7functorIS9_EEEE10hipError_tPvRmT1_T2_T3_mT4_P12ihipStream_tbEUlT_E0_NS1_11comp_targetILNS1_3genE4ELNS1_11target_archE910ELNS1_3gpuE8ELNS1_3repE0EEENS1_30default_config_static_selectorELNS0_4arch9wavefront6targetE0EEEvS15_
                                        ; -- End function
	.section	.AMDGPU.csdata,"",@progbits
; Kernel info:
; codeLenInByte = 0
; NumSgprs: 0
; NumVgprs: 0
; ScratchSize: 0
; MemoryBound: 0
; FloatMode: 240
; IeeeMode: 1
; LDSByteSize: 0 bytes/workgroup (compile time only)
; SGPRBlocks: 0
; VGPRBlocks: 0
; NumSGPRsForWavesPerEU: 1
; NumVGPRsForWavesPerEU: 1
; Occupancy: 16
; WaveLimiterHint : 0
; COMPUTE_PGM_RSRC2:SCRATCH_EN: 0
; COMPUTE_PGM_RSRC2:USER_SGPR: 15
; COMPUTE_PGM_RSRC2:TRAP_HANDLER: 0
; COMPUTE_PGM_RSRC2:TGID_X_EN: 1
; COMPUTE_PGM_RSRC2:TGID_Y_EN: 0
; COMPUTE_PGM_RSRC2:TGID_Z_EN: 0
; COMPUTE_PGM_RSRC2:TIDIG_COMP_CNT: 0
	.section	.text._ZN7rocprim17ROCPRIM_400000_NS6detail17trampoline_kernelINS0_14default_configENS1_22reduce_config_selectorIN6thrust23THRUST_200600_302600_NS5tupleIblNS6_9null_typeES8_S8_S8_S8_S8_S8_S8_EEEEZNS1_11reduce_implILb1ES3_NS6_12zip_iteratorINS7_INS6_11hip_rocprim26transform_input_iterator_tIbNSD_35transform_pair_of_input_iterators_tIbNS6_6detail15normal_iteratorINS6_10device_ptrIK10large_dataEEEESM_NS6_8equal_toISJ_EEEENSG_9not_fun_tINSD_8identityEEEEENSD_19counting_iterator_tIlEES8_S8_S8_S8_S8_S8_S8_S8_EEEEPS9_S9_NSD_9__find_if7functorIS9_EEEE10hipError_tPvRmT1_T2_T3_mT4_P12ihipStream_tbEUlT_E0_NS1_11comp_targetILNS1_3genE3ELNS1_11target_archE908ELNS1_3gpuE7ELNS1_3repE0EEENS1_30default_config_static_selectorELNS0_4arch9wavefront6targetE0EEEvS15_,"axG",@progbits,_ZN7rocprim17ROCPRIM_400000_NS6detail17trampoline_kernelINS0_14default_configENS1_22reduce_config_selectorIN6thrust23THRUST_200600_302600_NS5tupleIblNS6_9null_typeES8_S8_S8_S8_S8_S8_S8_EEEEZNS1_11reduce_implILb1ES3_NS6_12zip_iteratorINS7_INS6_11hip_rocprim26transform_input_iterator_tIbNSD_35transform_pair_of_input_iterators_tIbNS6_6detail15normal_iteratorINS6_10device_ptrIK10large_dataEEEESM_NS6_8equal_toISJ_EEEENSG_9not_fun_tINSD_8identityEEEEENSD_19counting_iterator_tIlEES8_S8_S8_S8_S8_S8_S8_S8_EEEEPS9_S9_NSD_9__find_if7functorIS9_EEEE10hipError_tPvRmT1_T2_T3_mT4_P12ihipStream_tbEUlT_E0_NS1_11comp_targetILNS1_3genE3ELNS1_11target_archE908ELNS1_3gpuE7ELNS1_3repE0EEENS1_30default_config_static_selectorELNS0_4arch9wavefront6targetE0EEEvS15_,comdat
	.protected	_ZN7rocprim17ROCPRIM_400000_NS6detail17trampoline_kernelINS0_14default_configENS1_22reduce_config_selectorIN6thrust23THRUST_200600_302600_NS5tupleIblNS6_9null_typeES8_S8_S8_S8_S8_S8_S8_EEEEZNS1_11reduce_implILb1ES3_NS6_12zip_iteratorINS7_INS6_11hip_rocprim26transform_input_iterator_tIbNSD_35transform_pair_of_input_iterators_tIbNS6_6detail15normal_iteratorINS6_10device_ptrIK10large_dataEEEESM_NS6_8equal_toISJ_EEEENSG_9not_fun_tINSD_8identityEEEEENSD_19counting_iterator_tIlEES8_S8_S8_S8_S8_S8_S8_S8_EEEEPS9_S9_NSD_9__find_if7functorIS9_EEEE10hipError_tPvRmT1_T2_T3_mT4_P12ihipStream_tbEUlT_E0_NS1_11comp_targetILNS1_3genE3ELNS1_11target_archE908ELNS1_3gpuE7ELNS1_3repE0EEENS1_30default_config_static_selectorELNS0_4arch9wavefront6targetE0EEEvS15_ ; -- Begin function _ZN7rocprim17ROCPRIM_400000_NS6detail17trampoline_kernelINS0_14default_configENS1_22reduce_config_selectorIN6thrust23THRUST_200600_302600_NS5tupleIblNS6_9null_typeES8_S8_S8_S8_S8_S8_S8_EEEEZNS1_11reduce_implILb1ES3_NS6_12zip_iteratorINS7_INS6_11hip_rocprim26transform_input_iterator_tIbNSD_35transform_pair_of_input_iterators_tIbNS6_6detail15normal_iteratorINS6_10device_ptrIK10large_dataEEEESM_NS6_8equal_toISJ_EEEENSG_9not_fun_tINSD_8identityEEEEENSD_19counting_iterator_tIlEES8_S8_S8_S8_S8_S8_S8_S8_EEEEPS9_S9_NSD_9__find_if7functorIS9_EEEE10hipError_tPvRmT1_T2_T3_mT4_P12ihipStream_tbEUlT_E0_NS1_11comp_targetILNS1_3genE3ELNS1_11target_archE908ELNS1_3gpuE7ELNS1_3repE0EEENS1_30default_config_static_selectorELNS0_4arch9wavefront6targetE0EEEvS15_
	.globl	_ZN7rocprim17ROCPRIM_400000_NS6detail17trampoline_kernelINS0_14default_configENS1_22reduce_config_selectorIN6thrust23THRUST_200600_302600_NS5tupleIblNS6_9null_typeES8_S8_S8_S8_S8_S8_S8_EEEEZNS1_11reduce_implILb1ES3_NS6_12zip_iteratorINS7_INS6_11hip_rocprim26transform_input_iterator_tIbNSD_35transform_pair_of_input_iterators_tIbNS6_6detail15normal_iteratorINS6_10device_ptrIK10large_dataEEEESM_NS6_8equal_toISJ_EEEENSG_9not_fun_tINSD_8identityEEEEENSD_19counting_iterator_tIlEES8_S8_S8_S8_S8_S8_S8_S8_EEEEPS9_S9_NSD_9__find_if7functorIS9_EEEE10hipError_tPvRmT1_T2_T3_mT4_P12ihipStream_tbEUlT_E0_NS1_11comp_targetILNS1_3genE3ELNS1_11target_archE908ELNS1_3gpuE7ELNS1_3repE0EEENS1_30default_config_static_selectorELNS0_4arch9wavefront6targetE0EEEvS15_
	.p2align	8
	.type	_ZN7rocprim17ROCPRIM_400000_NS6detail17trampoline_kernelINS0_14default_configENS1_22reduce_config_selectorIN6thrust23THRUST_200600_302600_NS5tupleIblNS6_9null_typeES8_S8_S8_S8_S8_S8_S8_EEEEZNS1_11reduce_implILb1ES3_NS6_12zip_iteratorINS7_INS6_11hip_rocprim26transform_input_iterator_tIbNSD_35transform_pair_of_input_iterators_tIbNS6_6detail15normal_iteratorINS6_10device_ptrIK10large_dataEEEESM_NS6_8equal_toISJ_EEEENSG_9not_fun_tINSD_8identityEEEEENSD_19counting_iterator_tIlEES8_S8_S8_S8_S8_S8_S8_S8_EEEEPS9_S9_NSD_9__find_if7functorIS9_EEEE10hipError_tPvRmT1_T2_T3_mT4_P12ihipStream_tbEUlT_E0_NS1_11comp_targetILNS1_3genE3ELNS1_11target_archE908ELNS1_3gpuE7ELNS1_3repE0EEENS1_30default_config_static_selectorELNS0_4arch9wavefront6targetE0EEEvS15_,@function
_ZN7rocprim17ROCPRIM_400000_NS6detail17trampoline_kernelINS0_14default_configENS1_22reduce_config_selectorIN6thrust23THRUST_200600_302600_NS5tupleIblNS6_9null_typeES8_S8_S8_S8_S8_S8_S8_EEEEZNS1_11reduce_implILb1ES3_NS6_12zip_iteratorINS7_INS6_11hip_rocprim26transform_input_iterator_tIbNSD_35transform_pair_of_input_iterators_tIbNS6_6detail15normal_iteratorINS6_10device_ptrIK10large_dataEEEESM_NS6_8equal_toISJ_EEEENSG_9not_fun_tINSD_8identityEEEEENSD_19counting_iterator_tIlEES8_S8_S8_S8_S8_S8_S8_S8_EEEEPS9_S9_NSD_9__find_if7functorIS9_EEEE10hipError_tPvRmT1_T2_T3_mT4_P12ihipStream_tbEUlT_E0_NS1_11comp_targetILNS1_3genE3ELNS1_11target_archE908ELNS1_3gpuE7ELNS1_3repE0EEENS1_30default_config_static_selectorELNS0_4arch9wavefront6targetE0EEEvS15_: ; @_ZN7rocprim17ROCPRIM_400000_NS6detail17trampoline_kernelINS0_14default_configENS1_22reduce_config_selectorIN6thrust23THRUST_200600_302600_NS5tupleIblNS6_9null_typeES8_S8_S8_S8_S8_S8_S8_EEEEZNS1_11reduce_implILb1ES3_NS6_12zip_iteratorINS7_INS6_11hip_rocprim26transform_input_iterator_tIbNSD_35transform_pair_of_input_iterators_tIbNS6_6detail15normal_iteratorINS6_10device_ptrIK10large_dataEEEESM_NS6_8equal_toISJ_EEEENSG_9not_fun_tINSD_8identityEEEEENSD_19counting_iterator_tIlEES8_S8_S8_S8_S8_S8_S8_S8_EEEEPS9_S9_NSD_9__find_if7functorIS9_EEEE10hipError_tPvRmT1_T2_T3_mT4_P12ihipStream_tbEUlT_E0_NS1_11comp_targetILNS1_3genE3ELNS1_11target_archE908ELNS1_3gpuE7ELNS1_3repE0EEENS1_30default_config_static_selectorELNS0_4arch9wavefront6targetE0EEEvS15_
; %bb.0:
	.section	.rodata,"a",@progbits
	.p2align	6, 0x0
	.amdhsa_kernel _ZN7rocprim17ROCPRIM_400000_NS6detail17trampoline_kernelINS0_14default_configENS1_22reduce_config_selectorIN6thrust23THRUST_200600_302600_NS5tupleIblNS6_9null_typeES8_S8_S8_S8_S8_S8_S8_EEEEZNS1_11reduce_implILb1ES3_NS6_12zip_iteratorINS7_INS6_11hip_rocprim26transform_input_iterator_tIbNSD_35transform_pair_of_input_iterators_tIbNS6_6detail15normal_iteratorINS6_10device_ptrIK10large_dataEEEESM_NS6_8equal_toISJ_EEEENSG_9not_fun_tINSD_8identityEEEEENSD_19counting_iterator_tIlEES8_S8_S8_S8_S8_S8_S8_S8_EEEEPS9_S9_NSD_9__find_if7functorIS9_EEEE10hipError_tPvRmT1_T2_T3_mT4_P12ihipStream_tbEUlT_E0_NS1_11comp_targetILNS1_3genE3ELNS1_11target_archE908ELNS1_3gpuE7ELNS1_3repE0EEENS1_30default_config_static_selectorELNS0_4arch9wavefront6targetE0EEEvS15_
		.amdhsa_group_segment_fixed_size 0
		.amdhsa_private_segment_fixed_size 0
		.amdhsa_kernarg_size 104
		.amdhsa_user_sgpr_count 15
		.amdhsa_user_sgpr_dispatch_ptr 0
		.amdhsa_user_sgpr_queue_ptr 0
		.amdhsa_user_sgpr_kernarg_segment_ptr 1
		.amdhsa_user_sgpr_dispatch_id 0
		.amdhsa_user_sgpr_private_segment_size 0
		.amdhsa_wavefront_size32 1
		.amdhsa_uses_dynamic_stack 0
		.amdhsa_enable_private_segment 0
		.amdhsa_system_sgpr_workgroup_id_x 1
		.amdhsa_system_sgpr_workgroup_id_y 0
		.amdhsa_system_sgpr_workgroup_id_z 0
		.amdhsa_system_sgpr_workgroup_info 0
		.amdhsa_system_vgpr_workitem_id 0
		.amdhsa_next_free_vgpr 1
		.amdhsa_next_free_sgpr 1
		.amdhsa_reserve_vcc 0
		.amdhsa_float_round_mode_32 0
		.amdhsa_float_round_mode_16_64 0
		.amdhsa_float_denorm_mode_32 3
		.amdhsa_float_denorm_mode_16_64 3
		.amdhsa_dx10_clamp 1
		.amdhsa_ieee_mode 1
		.amdhsa_fp16_overflow 0
		.amdhsa_workgroup_processor_mode 1
		.amdhsa_memory_ordered 1
		.amdhsa_forward_progress 0
		.amdhsa_shared_vgpr_count 0
		.amdhsa_exception_fp_ieee_invalid_op 0
		.amdhsa_exception_fp_denorm_src 0
		.amdhsa_exception_fp_ieee_div_zero 0
		.amdhsa_exception_fp_ieee_overflow 0
		.amdhsa_exception_fp_ieee_underflow 0
		.amdhsa_exception_fp_ieee_inexact 0
		.amdhsa_exception_int_div_zero 0
	.end_amdhsa_kernel
	.section	.text._ZN7rocprim17ROCPRIM_400000_NS6detail17trampoline_kernelINS0_14default_configENS1_22reduce_config_selectorIN6thrust23THRUST_200600_302600_NS5tupleIblNS6_9null_typeES8_S8_S8_S8_S8_S8_S8_EEEEZNS1_11reduce_implILb1ES3_NS6_12zip_iteratorINS7_INS6_11hip_rocprim26transform_input_iterator_tIbNSD_35transform_pair_of_input_iterators_tIbNS6_6detail15normal_iteratorINS6_10device_ptrIK10large_dataEEEESM_NS6_8equal_toISJ_EEEENSG_9not_fun_tINSD_8identityEEEEENSD_19counting_iterator_tIlEES8_S8_S8_S8_S8_S8_S8_S8_EEEEPS9_S9_NSD_9__find_if7functorIS9_EEEE10hipError_tPvRmT1_T2_T3_mT4_P12ihipStream_tbEUlT_E0_NS1_11comp_targetILNS1_3genE3ELNS1_11target_archE908ELNS1_3gpuE7ELNS1_3repE0EEENS1_30default_config_static_selectorELNS0_4arch9wavefront6targetE0EEEvS15_,"axG",@progbits,_ZN7rocprim17ROCPRIM_400000_NS6detail17trampoline_kernelINS0_14default_configENS1_22reduce_config_selectorIN6thrust23THRUST_200600_302600_NS5tupleIblNS6_9null_typeES8_S8_S8_S8_S8_S8_S8_EEEEZNS1_11reduce_implILb1ES3_NS6_12zip_iteratorINS7_INS6_11hip_rocprim26transform_input_iterator_tIbNSD_35transform_pair_of_input_iterators_tIbNS6_6detail15normal_iteratorINS6_10device_ptrIK10large_dataEEEESM_NS6_8equal_toISJ_EEEENSG_9not_fun_tINSD_8identityEEEEENSD_19counting_iterator_tIlEES8_S8_S8_S8_S8_S8_S8_S8_EEEEPS9_S9_NSD_9__find_if7functorIS9_EEEE10hipError_tPvRmT1_T2_T3_mT4_P12ihipStream_tbEUlT_E0_NS1_11comp_targetILNS1_3genE3ELNS1_11target_archE908ELNS1_3gpuE7ELNS1_3repE0EEENS1_30default_config_static_selectorELNS0_4arch9wavefront6targetE0EEEvS15_,comdat
.Lfunc_end738:
	.size	_ZN7rocprim17ROCPRIM_400000_NS6detail17trampoline_kernelINS0_14default_configENS1_22reduce_config_selectorIN6thrust23THRUST_200600_302600_NS5tupleIblNS6_9null_typeES8_S8_S8_S8_S8_S8_S8_EEEEZNS1_11reduce_implILb1ES3_NS6_12zip_iteratorINS7_INS6_11hip_rocprim26transform_input_iterator_tIbNSD_35transform_pair_of_input_iterators_tIbNS6_6detail15normal_iteratorINS6_10device_ptrIK10large_dataEEEESM_NS6_8equal_toISJ_EEEENSG_9not_fun_tINSD_8identityEEEEENSD_19counting_iterator_tIlEES8_S8_S8_S8_S8_S8_S8_S8_EEEEPS9_S9_NSD_9__find_if7functorIS9_EEEE10hipError_tPvRmT1_T2_T3_mT4_P12ihipStream_tbEUlT_E0_NS1_11comp_targetILNS1_3genE3ELNS1_11target_archE908ELNS1_3gpuE7ELNS1_3repE0EEENS1_30default_config_static_selectorELNS0_4arch9wavefront6targetE0EEEvS15_, .Lfunc_end738-_ZN7rocprim17ROCPRIM_400000_NS6detail17trampoline_kernelINS0_14default_configENS1_22reduce_config_selectorIN6thrust23THRUST_200600_302600_NS5tupleIblNS6_9null_typeES8_S8_S8_S8_S8_S8_S8_EEEEZNS1_11reduce_implILb1ES3_NS6_12zip_iteratorINS7_INS6_11hip_rocprim26transform_input_iterator_tIbNSD_35transform_pair_of_input_iterators_tIbNS6_6detail15normal_iteratorINS6_10device_ptrIK10large_dataEEEESM_NS6_8equal_toISJ_EEEENSG_9not_fun_tINSD_8identityEEEEENSD_19counting_iterator_tIlEES8_S8_S8_S8_S8_S8_S8_S8_EEEEPS9_S9_NSD_9__find_if7functorIS9_EEEE10hipError_tPvRmT1_T2_T3_mT4_P12ihipStream_tbEUlT_E0_NS1_11comp_targetILNS1_3genE3ELNS1_11target_archE908ELNS1_3gpuE7ELNS1_3repE0EEENS1_30default_config_static_selectorELNS0_4arch9wavefront6targetE0EEEvS15_
                                        ; -- End function
	.section	.AMDGPU.csdata,"",@progbits
; Kernel info:
; codeLenInByte = 0
; NumSgprs: 0
; NumVgprs: 0
; ScratchSize: 0
; MemoryBound: 0
; FloatMode: 240
; IeeeMode: 1
; LDSByteSize: 0 bytes/workgroup (compile time only)
; SGPRBlocks: 0
; VGPRBlocks: 0
; NumSGPRsForWavesPerEU: 1
; NumVGPRsForWavesPerEU: 1
; Occupancy: 16
; WaveLimiterHint : 0
; COMPUTE_PGM_RSRC2:SCRATCH_EN: 0
; COMPUTE_PGM_RSRC2:USER_SGPR: 15
; COMPUTE_PGM_RSRC2:TRAP_HANDLER: 0
; COMPUTE_PGM_RSRC2:TGID_X_EN: 1
; COMPUTE_PGM_RSRC2:TGID_Y_EN: 0
; COMPUTE_PGM_RSRC2:TGID_Z_EN: 0
; COMPUTE_PGM_RSRC2:TIDIG_COMP_CNT: 0
	.section	.text._ZN7rocprim17ROCPRIM_400000_NS6detail17trampoline_kernelINS0_14default_configENS1_22reduce_config_selectorIN6thrust23THRUST_200600_302600_NS5tupleIblNS6_9null_typeES8_S8_S8_S8_S8_S8_S8_EEEEZNS1_11reduce_implILb1ES3_NS6_12zip_iteratorINS7_INS6_11hip_rocprim26transform_input_iterator_tIbNSD_35transform_pair_of_input_iterators_tIbNS6_6detail15normal_iteratorINS6_10device_ptrIK10large_dataEEEESM_NS6_8equal_toISJ_EEEENSG_9not_fun_tINSD_8identityEEEEENSD_19counting_iterator_tIlEES8_S8_S8_S8_S8_S8_S8_S8_EEEEPS9_S9_NSD_9__find_if7functorIS9_EEEE10hipError_tPvRmT1_T2_T3_mT4_P12ihipStream_tbEUlT_E0_NS1_11comp_targetILNS1_3genE2ELNS1_11target_archE906ELNS1_3gpuE6ELNS1_3repE0EEENS1_30default_config_static_selectorELNS0_4arch9wavefront6targetE0EEEvS15_,"axG",@progbits,_ZN7rocprim17ROCPRIM_400000_NS6detail17trampoline_kernelINS0_14default_configENS1_22reduce_config_selectorIN6thrust23THRUST_200600_302600_NS5tupleIblNS6_9null_typeES8_S8_S8_S8_S8_S8_S8_EEEEZNS1_11reduce_implILb1ES3_NS6_12zip_iteratorINS7_INS6_11hip_rocprim26transform_input_iterator_tIbNSD_35transform_pair_of_input_iterators_tIbNS6_6detail15normal_iteratorINS6_10device_ptrIK10large_dataEEEESM_NS6_8equal_toISJ_EEEENSG_9not_fun_tINSD_8identityEEEEENSD_19counting_iterator_tIlEES8_S8_S8_S8_S8_S8_S8_S8_EEEEPS9_S9_NSD_9__find_if7functorIS9_EEEE10hipError_tPvRmT1_T2_T3_mT4_P12ihipStream_tbEUlT_E0_NS1_11comp_targetILNS1_3genE2ELNS1_11target_archE906ELNS1_3gpuE6ELNS1_3repE0EEENS1_30default_config_static_selectorELNS0_4arch9wavefront6targetE0EEEvS15_,comdat
	.protected	_ZN7rocprim17ROCPRIM_400000_NS6detail17trampoline_kernelINS0_14default_configENS1_22reduce_config_selectorIN6thrust23THRUST_200600_302600_NS5tupleIblNS6_9null_typeES8_S8_S8_S8_S8_S8_S8_EEEEZNS1_11reduce_implILb1ES3_NS6_12zip_iteratorINS7_INS6_11hip_rocprim26transform_input_iterator_tIbNSD_35transform_pair_of_input_iterators_tIbNS6_6detail15normal_iteratorINS6_10device_ptrIK10large_dataEEEESM_NS6_8equal_toISJ_EEEENSG_9not_fun_tINSD_8identityEEEEENSD_19counting_iterator_tIlEES8_S8_S8_S8_S8_S8_S8_S8_EEEEPS9_S9_NSD_9__find_if7functorIS9_EEEE10hipError_tPvRmT1_T2_T3_mT4_P12ihipStream_tbEUlT_E0_NS1_11comp_targetILNS1_3genE2ELNS1_11target_archE906ELNS1_3gpuE6ELNS1_3repE0EEENS1_30default_config_static_selectorELNS0_4arch9wavefront6targetE0EEEvS15_ ; -- Begin function _ZN7rocprim17ROCPRIM_400000_NS6detail17trampoline_kernelINS0_14default_configENS1_22reduce_config_selectorIN6thrust23THRUST_200600_302600_NS5tupleIblNS6_9null_typeES8_S8_S8_S8_S8_S8_S8_EEEEZNS1_11reduce_implILb1ES3_NS6_12zip_iteratorINS7_INS6_11hip_rocprim26transform_input_iterator_tIbNSD_35transform_pair_of_input_iterators_tIbNS6_6detail15normal_iteratorINS6_10device_ptrIK10large_dataEEEESM_NS6_8equal_toISJ_EEEENSG_9not_fun_tINSD_8identityEEEEENSD_19counting_iterator_tIlEES8_S8_S8_S8_S8_S8_S8_S8_EEEEPS9_S9_NSD_9__find_if7functorIS9_EEEE10hipError_tPvRmT1_T2_T3_mT4_P12ihipStream_tbEUlT_E0_NS1_11comp_targetILNS1_3genE2ELNS1_11target_archE906ELNS1_3gpuE6ELNS1_3repE0EEENS1_30default_config_static_selectorELNS0_4arch9wavefront6targetE0EEEvS15_
	.globl	_ZN7rocprim17ROCPRIM_400000_NS6detail17trampoline_kernelINS0_14default_configENS1_22reduce_config_selectorIN6thrust23THRUST_200600_302600_NS5tupleIblNS6_9null_typeES8_S8_S8_S8_S8_S8_S8_EEEEZNS1_11reduce_implILb1ES3_NS6_12zip_iteratorINS7_INS6_11hip_rocprim26transform_input_iterator_tIbNSD_35transform_pair_of_input_iterators_tIbNS6_6detail15normal_iteratorINS6_10device_ptrIK10large_dataEEEESM_NS6_8equal_toISJ_EEEENSG_9not_fun_tINSD_8identityEEEEENSD_19counting_iterator_tIlEES8_S8_S8_S8_S8_S8_S8_S8_EEEEPS9_S9_NSD_9__find_if7functorIS9_EEEE10hipError_tPvRmT1_T2_T3_mT4_P12ihipStream_tbEUlT_E0_NS1_11comp_targetILNS1_3genE2ELNS1_11target_archE906ELNS1_3gpuE6ELNS1_3repE0EEENS1_30default_config_static_selectorELNS0_4arch9wavefront6targetE0EEEvS15_
	.p2align	8
	.type	_ZN7rocprim17ROCPRIM_400000_NS6detail17trampoline_kernelINS0_14default_configENS1_22reduce_config_selectorIN6thrust23THRUST_200600_302600_NS5tupleIblNS6_9null_typeES8_S8_S8_S8_S8_S8_S8_EEEEZNS1_11reduce_implILb1ES3_NS6_12zip_iteratorINS7_INS6_11hip_rocprim26transform_input_iterator_tIbNSD_35transform_pair_of_input_iterators_tIbNS6_6detail15normal_iteratorINS6_10device_ptrIK10large_dataEEEESM_NS6_8equal_toISJ_EEEENSG_9not_fun_tINSD_8identityEEEEENSD_19counting_iterator_tIlEES8_S8_S8_S8_S8_S8_S8_S8_EEEEPS9_S9_NSD_9__find_if7functorIS9_EEEE10hipError_tPvRmT1_T2_T3_mT4_P12ihipStream_tbEUlT_E0_NS1_11comp_targetILNS1_3genE2ELNS1_11target_archE906ELNS1_3gpuE6ELNS1_3repE0EEENS1_30default_config_static_selectorELNS0_4arch9wavefront6targetE0EEEvS15_,@function
_ZN7rocprim17ROCPRIM_400000_NS6detail17trampoline_kernelINS0_14default_configENS1_22reduce_config_selectorIN6thrust23THRUST_200600_302600_NS5tupleIblNS6_9null_typeES8_S8_S8_S8_S8_S8_S8_EEEEZNS1_11reduce_implILb1ES3_NS6_12zip_iteratorINS7_INS6_11hip_rocprim26transform_input_iterator_tIbNSD_35transform_pair_of_input_iterators_tIbNS6_6detail15normal_iteratorINS6_10device_ptrIK10large_dataEEEESM_NS6_8equal_toISJ_EEEENSG_9not_fun_tINSD_8identityEEEEENSD_19counting_iterator_tIlEES8_S8_S8_S8_S8_S8_S8_S8_EEEEPS9_S9_NSD_9__find_if7functorIS9_EEEE10hipError_tPvRmT1_T2_T3_mT4_P12ihipStream_tbEUlT_E0_NS1_11comp_targetILNS1_3genE2ELNS1_11target_archE906ELNS1_3gpuE6ELNS1_3repE0EEENS1_30default_config_static_selectorELNS0_4arch9wavefront6targetE0EEEvS15_: ; @_ZN7rocprim17ROCPRIM_400000_NS6detail17trampoline_kernelINS0_14default_configENS1_22reduce_config_selectorIN6thrust23THRUST_200600_302600_NS5tupleIblNS6_9null_typeES8_S8_S8_S8_S8_S8_S8_EEEEZNS1_11reduce_implILb1ES3_NS6_12zip_iteratorINS7_INS6_11hip_rocprim26transform_input_iterator_tIbNSD_35transform_pair_of_input_iterators_tIbNS6_6detail15normal_iteratorINS6_10device_ptrIK10large_dataEEEESM_NS6_8equal_toISJ_EEEENSG_9not_fun_tINSD_8identityEEEEENSD_19counting_iterator_tIlEES8_S8_S8_S8_S8_S8_S8_S8_EEEEPS9_S9_NSD_9__find_if7functorIS9_EEEE10hipError_tPvRmT1_T2_T3_mT4_P12ihipStream_tbEUlT_E0_NS1_11comp_targetILNS1_3genE2ELNS1_11target_archE906ELNS1_3gpuE6ELNS1_3repE0EEENS1_30default_config_static_selectorELNS0_4arch9wavefront6targetE0EEEvS15_
; %bb.0:
	.section	.rodata,"a",@progbits
	.p2align	6, 0x0
	.amdhsa_kernel _ZN7rocprim17ROCPRIM_400000_NS6detail17trampoline_kernelINS0_14default_configENS1_22reduce_config_selectorIN6thrust23THRUST_200600_302600_NS5tupleIblNS6_9null_typeES8_S8_S8_S8_S8_S8_S8_EEEEZNS1_11reduce_implILb1ES3_NS6_12zip_iteratorINS7_INS6_11hip_rocprim26transform_input_iterator_tIbNSD_35transform_pair_of_input_iterators_tIbNS6_6detail15normal_iteratorINS6_10device_ptrIK10large_dataEEEESM_NS6_8equal_toISJ_EEEENSG_9not_fun_tINSD_8identityEEEEENSD_19counting_iterator_tIlEES8_S8_S8_S8_S8_S8_S8_S8_EEEEPS9_S9_NSD_9__find_if7functorIS9_EEEE10hipError_tPvRmT1_T2_T3_mT4_P12ihipStream_tbEUlT_E0_NS1_11comp_targetILNS1_3genE2ELNS1_11target_archE906ELNS1_3gpuE6ELNS1_3repE0EEENS1_30default_config_static_selectorELNS0_4arch9wavefront6targetE0EEEvS15_
		.amdhsa_group_segment_fixed_size 0
		.amdhsa_private_segment_fixed_size 0
		.amdhsa_kernarg_size 104
		.amdhsa_user_sgpr_count 15
		.amdhsa_user_sgpr_dispatch_ptr 0
		.amdhsa_user_sgpr_queue_ptr 0
		.amdhsa_user_sgpr_kernarg_segment_ptr 1
		.amdhsa_user_sgpr_dispatch_id 0
		.amdhsa_user_sgpr_private_segment_size 0
		.amdhsa_wavefront_size32 1
		.amdhsa_uses_dynamic_stack 0
		.amdhsa_enable_private_segment 0
		.amdhsa_system_sgpr_workgroup_id_x 1
		.amdhsa_system_sgpr_workgroup_id_y 0
		.amdhsa_system_sgpr_workgroup_id_z 0
		.amdhsa_system_sgpr_workgroup_info 0
		.amdhsa_system_vgpr_workitem_id 0
		.amdhsa_next_free_vgpr 1
		.amdhsa_next_free_sgpr 1
		.amdhsa_reserve_vcc 0
		.amdhsa_float_round_mode_32 0
		.amdhsa_float_round_mode_16_64 0
		.amdhsa_float_denorm_mode_32 3
		.amdhsa_float_denorm_mode_16_64 3
		.amdhsa_dx10_clamp 1
		.amdhsa_ieee_mode 1
		.amdhsa_fp16_overflow 0
		.amdhsa_workgroup_processor_mode 1
		.amdhsa_memory_ordered 1
		.amdhsa_forward_progress 0
		.amdhsa_shared_vgpr_count 0
		.amdhsa_exception_fp_ieee_invalid_op 0
		.amdhsa_exception_fp_denorm_src 0
		.amdhsa_exception_fp_ieee_div_zero 0
		.amdhsa_exception_fp_ieee_overflow 0
		.amdhsa_exception_fp_ieee_underflow 0
		.amdhsa_exception_fp_ieee_inexact 0
		.amdhsa_exception_int_div_zero 0
	.end_amdhsa_kernel
	.section	.text._ZN7rocprim17ROCPRIM_400000_NS6detail17trampoline_kernelINS0_14default_configENS1_22reduce_config_selectorIN6thrust23THRUST_200600_302600_NS5tupleIblNS6_9null_typeES8_S8_S8_S8_S8_S8_S8_EEEEZNS1_11reduce_implILb1ES3_NS6_12zip_iteratorINS7_INS6_11hip_rocprim26transform_input_iterator_tIbNSD_35transform_pair_of_input_iterators_tIbNS6_6detail15normal_iteratorINS6_10device_ptrIK10large_dataEEEESM_NS6_8equal_toISJ_EEEENSG_9not_fun_tINSD_8identityEEEEENSD_19counting_iterator_tIlEES8_S8_S8_S8_S8_S8_S8_S8_EEEEPS9_S9_NSD_9__find_if7functorIS9_EEEE10hipError_tPvRmT1_T2_T3_mT4_P12ihipStream_tbEUlT_E0_NS1_11comp_targetILNS1_3genE2ELNS1_11target_archE906ELNS1_3gpuE6ELNS1_3repE0EEENS1_30default_config_static_selectorELNS0_4arch9wavefront6targetE0EEEvS15_,"axG",@progbits,_ZN7rocprim17ROCPRIM_400000_NS6detail17trampoline_kernelINS0_14default_configENS1_22reduce_config_selectorIN6thrust23THRUST_200600_302600_NS5tupleIblNS6_9null_typeES8_S8_S8_S8_S8_S8_S8_EEEEZNS1_11reduce_implILb1ES3_NS6_12zip_iteratorINS7_INS6_11hip_rocprim26transform_input_iterator_tIbNSD_35transform_pair_of_input_iterators_tIbNS6_6detail15normal_iteratorINS6_10device_ptrIK10large_dataEEEESM_NS6_8equal_toISJ_EEEENSG_9not_fun_tINSD_8identityEEEEENSD_19counting_iterator_tIlEES8_S8_S8_S8_S8_S8_S8_S8_EEEEPS9_S9_NSD_9__find_if7functorIS9_EEEE10hipError_tPvRmT1_T2_T3_mT4_P12ihipStream_tbEUlT_E0_NS1_11comp_targetILNS1_3genE2ELNS1_11target_archE906ELNS1_3gpuE6ELNS1_3repE0EEENS1_30default_config_static_selectorELNS0_4arch9wavefront6targetE0EEEvS15_,comdat
.Lfunc_end739:
	.size	_ZN7rocprim17ROCPRIM_400000_NS6detail17trampoline_kernelINS0_14default_configENS1_22reduce_config_selectorIN6thrust23THRUST_200600_302600_NS5tupleIblNS6_9null_typeES8_S8_S8_S8_S8_S8_S8_EEEEZNS1_11reduce_implILb1ES3_NS6_12zip_iteratorINS7_INS6_11hip_rocprim26transform_input_iterator_tIbNSD_35transform_pair_of_input_iterators_tIbNS6_6detail15normal_iteratorINS6_10device_ptrIK10large_dataEEEESM_NS6_8equal_toISJ_EEEENSG_9not_fun_tINSD_8identityEEEEENSD_19counting_iterator_tIlEES8_S8_S8_S8_S8_S8_S8_S8_EEEEPS9_S9_NSD_9__find_if7functorIS9_EEEE10hipError_tPvRmT1_T2_T3_mT4_P12ihipStream_tbEUlT_E0_NS1_11comp_targetILNS1_3genE2ELNS1_11target_archE906ELNS1_3gpuE6ELNS1_3repE0EEENS1_30default_config_static_selectorELNS0_4arch9wavefront6targetE0EEEvS15_, .Lfunc_end739-_ZN7rocprim17ROCPRIM_400000_NS6detail17trampoline_kernelINS0_14default_configENS1_22reduce_config_selectorIN6thrust23THRUST_200600_302600_NS5tupleIblNS6_9null_typeES8_S8_S8_S8_S8_S8_S8_EEEEZNS1_11reduce_implILb1ES3_NS6_12zip_iteratorINS7_INS6_11hip_rocprim26transform_input_iterator_tIbNSD_35transform_pair_of_input_iterators_tIbNS6_6detail15normal_iteratorINS6_10device_ptrIK10large_dataEEEESM_NS6_8equal_toISJ_EEEENSG_9not_fun_tINSD_8identityEEEEENSD_19counting_iterator_tIlEES8_S8_S8_S8_S8_S8_S8_S8_EEEEPS9_S9_NSD_9__find_if7functorIS9_EEEE10hipError_tPvRmT1_T2_T3_mT4_P12ihipStream_tbEUlT_E0_NS1_11comp_targetILNS1_3genE2ELNS1_11target_archE906ELNS1_3gpuE6ELNS1_3repE0EEENS1_30default_config_static_selectorELNS0_4arch9wavefront6targetE0EEEvS15_
                                        ; -- End function
	.section	.AMDGPU.csdata,"",@progbits
; Kernel info:
; codeLenInByte = 0
; NumSgprs: 0
; NumVgprs: 0
; ScratchSize: 0
; MemoryBound: 0
; FloatMode: 240
; IeeeMode: 1
; LDSByteSize: 0 bytes/workgroup (compile time only)
; SGPRBlocks: 0
; VGPRBlocks: 0
; NumSGPRsForWavesPerEU: 1
; NumVGPRsForWavesPerEU: 1
; Occupancy: 16
; WaveLimiterHint : 0
; COMPUTE_PGM_RSRC2:SCRATCH_EN: 0
; COMPUTE_PGM_RSRC2:USER_SGPR: 15
; COMPUTE_PGM_RSRC2:TRAP_HANDLER: 0
; COMPUTE_PGM_RSRC2:TGID_X_EN: 1
; COMPUTE_PGM_RSRC2:TGID_Y_EN: 0
; COMPUTE_PGM_RSRC2:TGID_Z_EN: 0
; COMPUTE_PGM_RSRC2:TIDIG_COMP_CNT: 0
	.section	.text._ZN7rocprim17ROCPRIM_400000_NS6detail17trampoline_kernelINS0_14default_configENS1_22reduce_config_selectorIN6thrust23THRUST_200600_302600_NS5tupleIblNS6_9null_typeES8_S8_S8_S8_S8_S8_S8_EEEEZNS1_11reduce_implILb1ES3_NS6_12zip_iteratorINS7_INS6_11hip_rocprim26transform_input_iterator_tIbNSD_35transform_pair_of_input_iterators_tIbNS6_6detail15normal_iteratorINS6_10device_ptrIK10large_dataEEEESM_NS6_8equal_toISJ_EEEENSG_9not_fun_tINSD_8identityEEEEENSD_19counting_iterator_tIlEES8_S8_S8_S8_S8_S8_S8_S8_EEEEPS9_S9_NSD_9__find_if7functorIS9_EEEE10hipError_tPvRmT1_T2_T3_mT4_P12ihipStream_tbEUlT_E0_NS1_11comp_targetILNS1_3genE10ELNS1_11target_archE1201ELNS1_3gpuE5ELNS1_3repE0EEENS1_30default_config_static_selectorELNS0_4arch9wavefront6targetE0EEEvS15_,"axG",@progbits,_ZN7rocprim17ROCPRIM_400000_NS6detail17trampoline_kernelINS0_14default_configENS1_22reduce_config_selectorIN6thrust23THRUST_200600_302600_NS5tupleIblNS6_9null_typeES8_S8_S8_S8_S8_S8_S8_EEEEZNS1_11reduce_implILb1ES3_NS6_12zip_iteratorINS7_INS6_11hip_rocprim26transform_input_iterator_tIbNSD_35transform_pair_of_input_iterators_tIbNS6_6detail15normal_iteratorINS6_10device_ptrIK10large_dataEEEESM_NS6_8equal_toISJ_EEEENSG_9not_fun_tINSD_8identityEEEEENSD_19counting_iterator_tIlEES8_S8_S8_S8_S8_S8_S8_S8_EEEEPS9_S9_NSD_9__find_if7functorIS9_EEEE10hipError_tPvRmT1_T2_T3_mT4_P12ihipStream_tbEUlT_E0_NS1_11comp_targetILNS1_3genE10ELNS1_11target_archE1201ELNS1_3gpuE5ELNS1_3repE0EEENS1_30default_config_static_selectorELNS0_4arch9wavefront6targetE0EEEvS15_,comdat
	.protected	_ZN7rocprim17ROCPRIM_400000_NS6detail17trampoline_kernelINS0_14default_configENS1_22reduce_config_selectorIN6thrust23THRUST_200600_302600_NS5tupleIblNS6_9null_typeES8_S8_S8_S8_S8_S8_S8_EEEEZNS1_11reduce_implILb1ES3_NS6_12zip_iteratorINS7_INS6_11hip_rocprim26transform_input_iterator_tIbNSD_35transform_pair_of_input_iterators_tIbNS6_6detail15normal_iteratorINS6_10device_ptrIK10large_dataEEEESM_NS6_8equal_toISJ_EEEENSG_9not_fun_tINSD_8identityEEEEENSD_19counting_iterator_tIlEES8_S8_S8_S8_S8_S8_S8_S8_EEEEPS9_S9_NSD_9__find_if7functorIS9_EEEE10hipError_tPvRmT1_T2_T3_mT4_P12ihipStream_tbEUlT_E0_NS1_11comp_targetILNS1_3genE10ELNS1_11target_archE1201ELNS1_3gpuE5ELNS1_3repE0EEENS1_30default_config_static_selectorELNS0_4arch9wavefront6targetE0EEEvS15_ ; -- Begin function _ZN7rocprim17ROCPRIM_400000_NS6detail17trampoline_kernelINS0_14default_configENS1_22reduce_config_selectorIN6thrust23THRUST_200600_302600_NS5tupleIblNS6_9null_typeES8_S8_S8_S8_S8_S8_S8_EEEEZNS1_11reduce_implILb1ES3_NS6_12zip_iteratorINS7_INS6_11hip_rocprim26transform_input_iterator_tIbNSD_35transform_pair_of_input_iterators_tIbNS6_6detail15normal_iteratorINS6_10device_ptrIK10large_dataEEEESM_NS6_8equal_toISJ_EEEENSG_9not_fun_tINSD_8identityEEEEENSD_19counting_iterator_tIlEES8_S8_S8_S8_S8_S8_S8_S8_EEEEPS9_S9_NSD_9__find_if7functorIS9_EEEE10hipError_tPvRmT1_T2_T3_mT4_P12ihipStream_tbEUlT_E0_NS1_11comp_targetILNS1_3genE10ELNS1_11target_archE1201ELNS1_3gpuE5ELNS1_3repE0EEENS1_30default_config_static_selectorELNS0_4arch9wavefront6targetE0EEEvS15_
	.globl	_ZN7rocprim17ROCPRIM_400000_NS6detail17trampoline_kernelINS0_14default_configENS1_22reduce_config_selectorIN6thrust23THRUST_200600_302600_NS5tupleIblNS6_9null_typeES8_S8_S8_S8_S8_S8_S8_EEEEZNS1_11reduce_implILb1ES3_NS6_12zip_iteratorINS7_INS6_11hip_rocprim26transform_input_iterator_tIbNSD_35transform_pair_of_input_iterators_tIbNS6_6detail15normal_iteratorINS6_10device_ptrIK10large_dataEEEESM_NS6_8equal_toISJ_EEEENSG_9not_fun_tINSD_8identityEEEEENSD_19counting_iterator_tIlEES8_S8_S8_S8_S8_S8_S8_S8_EEEEPS9_S9_NSD_9__find_if7functorIS9_EEEE10hipError_tPvRmT1_T2_T3_mT4_P12ihipStream_tbEUlT_E0_NS1_11comp_targetILNS1_3genE10ELNS1_11target_archE1201ELNS1_3gpuE5ELNS1_3repE0EEENS1_30default_config_static_selectorELNS0_4arch9wavefront6targetE0EEEvS15_
	.p2align	8
	.type	_ZN7rocprim17ROCPRIM_400000_NS6detail17trampoline_kernelINS0_14default_configENS1_22reduce_config_selectorIN6thrust23THRUST_200600_302600_NS5tupleIblNS6_9null_typeES8_S8_S8_S8_S8_S8_S8_EEEEZNS1_11reduce_implILb1ES3_NS6_12zip_iteratorINS7_INS6_11hip_rocprim26transform_input_iterator_tIbNSD_35transform_pair_of_input_iterators_tIbNS6_6detail15normal_iteratorINS6_10device_ptrIK10large_dataEEEESM_NS6_8equal_toISJ_EEEENSG_9not_fun_tINSD_8identityEEEEENSD_19counting_iterator_tIlEES8_S8_S8_S8_S8_S8_S8_S8_EEEEPS9_S9_NSD_9__find_if7functorIS9_EEEE10hipError_tPvRmT1_T2_T3_mT4_P12ihipStream_tbEUlT_E0_NS1_11comp_targetILNS1_3genE10ELNS1_11target_archE1201ELNS1_3gpuE5ELNS1_3repE0EEENS1_30default_config_static_selectorELNS0_4arch9wavefront6targetE0EEEvS15_,@function
_ZN7rocprim17ROCPRIM_400000_NS6detail17trampoline_kernelINS0_14default_configENS1_22reduce_config_selectorIN6thrust23THRUST_200600_302600_NS5tupleIblNS6_9null_typeES8_S8_S8_S8_S8_S8_S8_EEEEZNS1_11reduce_implILb1ES3_NS6_12zip_iteratorINS7_INS6_11hip_rocprim26transform_input_iterator_tIbNSD_35transform_pair_of_input_iterators_tIbNS6_6detail15normal_iteratorINS6_10device_ptrIK10large_dataEEEESM_NS6_8equal_toISJ_EEEENSG_9not_fun_tINSD_8identityEEEEENSD_19counting_iterator_tIlEES8_S8_S8_S8_S8_S8_S8_S8_EEEEPS9_S9_NSD_9__find_if7functorIS9_EEEE10hipError_tPvRmT1_T2_T3_mT4_P12ihipStream_tbEUlT_E0_NS1_11comp_targetILNS1_3genE10ELNS1_11target_archE1201ELNS1_3gpuE5ELNS1_3repE0EEENS1_30default_config_static_selectorELNS0_4arch9wavefront6targetE0EEEvS15_: ; @_ZN7rocprim17ROCPRIM_400000_NS6detail17trampoline_kernelINS0_14default_configENS1_22reduce_config_selectorIN6thrust23THRUST_200600_302600_NS5tupleIblNS6_9null_typeES8_S8_S8_S8_S8_S8_S8_EEEEZNS1_11reduce_implILb1ES3_NS6_12zip_iteratorINS7_INS6_11hip_rocprim26transform_input_iterator_tIbNSD_35transform_pair_of_input_iterators_tIbNS6_6detail15normal_iteratorINS6_10device_ptrIK10large_dataEEEESM_NS6_8equal_toISJ_EEEENSG_9not_fun_tINSD_8identityEEEEENSD_19counting_iterator_tIlEES8_S8_S8_S8_S8_S8_S8_S8_EEEEPS9_S9_NSD_9__find_if7functorIS9_EEEE10hipError_tPvRmT1_T2_T3_mT4_P12ihipStream_tbEUlT_E0_NS1_11comp_targetILNS1_3genE10ELNS1_11target_archE1201ELNS1_3gpuE5ELNS1_3repE0EEENS1_30default_config_static_selectorELNS0_4arch9wavefront6targetE0EEEvS15_
; %bb.0:
	.section	.rodata,"a",@progbits
	.p2align	6, 0x0
	.amdhsa_kernel _ZN7rocprim17ROCPRIM_400000_NS6detail17trampoline_kernelINS0_14default_configENS1_22reduce_config_selectorIN6thrust23THRUST_200600_302600_NS5tupleIblNS6_9null_typeES8_S8_S8_S8_S8_S8_S8_EEEEZNS1_11reduce_implILb1ES3_NS6_12zip_iteratorINS7_INS6_11hip_rocprim26transform_input_iterator_tIbNSD_35transform_pair_of_input_iterators_tIbNS6_6detail15normal_iteratorINS6_10device_ptrIK10large_dataEEEESM_NS6_8equal_toISJ_EEEENSG_9not_fun_tINSD_8identityEEEEENSD_19counting_iterator_tIlEES8_S8_S8_S8_S8_S8_S8_S8_EEEEPS9_S9_NSD_9__find_if7functorIS9_EEEE10hipError_tPvRmT1_T2_T3_mT4_P12ihipStream_tbEUlT_E0_NS1_11comp_targetILNS1_3genE10ELNS1_11target_archE1201ELNS1_3gpuE5ELNS1_3repE0EEENS1_30default_config_static_selectorELNS0_4arch9wavefront6targetE0EEEvS15_
		.amdhsa_group_segment_fixed_size 0
		.amdhsa_private_segment_fixed_size 0
		.amdhsa_kernarg_size 104
		.amdhsa_user_sgpr_count 15
		.amdhsa_user_sgpr_dispatch_ptr 0
		.amdhsa_user_sgpr_queue_ptr 0
		.amdhsa_user_sgpr_kernarg_segment_ptr 1
		.amdhsa_user_sgpr_dispatch_id 0
		.amdhsa_user_sgpr_private_segment_size 0
		.amdhsa_wavefront_size32 1
		.amdhsa_uses_dynamic_stack 0
		.amdhsa_enable_private_segment 0
		.amdhsa_system_sgpr_workgroup_id_x 1
		.amdhsa_system_sgpr_workgroup_id_y 0
		.amdhsa_system_sgpr_workgroup_id_z 0
		.amdhsa_system_sgpr_workgroup_info 0
		.amdhsa_system_vgpr_workitem_id 0
		.amdhsa_next_free_vgpr 1
		.amdhsa_next_free_sgpr 1
		.amdhsa_reserve_vcc 0
		.amdhsa_float_round_mode_32 0
		.amdhsa_float_round_mode_16_64 0
		.amdhsa_float_denorm_mode_32 3
		.amdhsa_float_denorm_mode_16_64 3
		.amdhsa_dx10_clamp 1
		.amdhsa_ieee_mode 1
		.amdhsa_fp16_overflow 0
		.amdhsa_workgroup_processor_mode 1
		.amdhsa_memory_ordered 1
		.amdhsa_forward_progress 0
		.amdhsa_shared_vgpr_count 0
		.amdhsa_exception_fp_ieee_invalid_op 0
		.amdhsa_exception_fp_denorm_src 0
		.amdhsa_exception_fp_ieee_div_zero 0
		.amdhsa_exception_fp_ieee_overflow 0
		.amdhsa_exception_fp_ieee_underflow 0
		.amdhsa_exception_fp_ieee_inexact 0
		.amdhsa_exception_int_div_zero 0
	.end_amdhsa_kernel
	.section	.text._ZN7rocprim17ROCPRIM_400000_NS6detail17trampoline_kernelINS0_14default_configENS1_22reduce_config_selectorIN6thrust23THRUST_200600_302600_NS5tupleIblNS6_9null_typeES8_S8_S8_S8_S8_S8_S8_EEEEZNS1_11reduce_implILb1ES3_NS6_12zip_iteratorINS7_INS6_11hip_rocprim26transform_input_iterator_tIbNSD_35transform_pair_of_input_iterators_tIbNS6_6detail15normal_iteratorINS6_10device_ptrIK10large_dataEEEESM_NS6_8equal_toISJ_EEEENSG_9not_fun_tINSD_8identityEEEEENSD_19counting_iterator_tIlEES8_S8_S8_S8_S8_S8_S8_S8_EEEEPS9_S9_NSD_9__find_if7functorIS9_EEEE10hipError_tPvRmT1_T2_T3_mT4_P12ihipStream_tbEUlT_E0_NS1_11comp_targetILNS1_3genE10ELNS1_11target_archE1201ELNS1_3gpuE5ELNS1_3repE0EEENS1_30default_config_static_selectorELNS0_4arch9wavefront6targetE0EEEvS15_,"axG",@progbits,_ZN7rocprim17ROCPRIM_400000_NS6detail17trampoline_kernelINS0_14default_configENS1_22reduce_config_selectorIN6thrust23THRUST_200600_302600_NS5tupleIblNS6_9null_typeES8_S8_S8_S8_S8_S8_S8_EEEEZNS1_11reduce_implILb1ES3_NS6_12zip_iteratorINS7_INS6_11hip_rocprim26transform_input_iterator_tIbNSD_35transform_pair_of_input_iterators_tIbNS6_6detail15normal_iteratorINS6_10device_ptrIK10large_dataEEEESM_NS6_8equal_toISJ_EEEENSG_9not_fun_tINSD_8identityEEEEENSD_19counting_iterator_tIlEES8_S8_S8_S8_S8_S8_S8_S8_EEEEPS9_S9_NSD_9__find_if7functorIS9_EEEE10hipError_tPvRmT1_T2_T3_mT4_P12ihipStream_tbEUlT_E0_NS1_11comp_targetILNS1_3genE10ELNS1_11target_archE1201ELNS1_3gpuE5ELNS1_3repE0EEENS1_30default_config_static_selectorELNS0_4arch9wavefront6targetE0EEEvS15_,comdat
.Lfunc_end740:
	.size	_ZN7rocprim17ROCPRIM_400000_NS6detail17trampoline_kernelINS0_14default_configENS1_22reduce_config_selectorIN6thrust23THRUST_200600_302600_NS5tupleIblNS6_9null_typeES8_S8_S8_S8_S8_S8_S8_EEEEZNS1_11reduce_implILb1ES3_NS6_12zip_iteratorINS7_INS6_11hip_rocprim26transform_input_iterator_tIbNSD_35transform_pair_of_input_iterators_tIbNS6_6detail15normal_iteratorINS6_10device_ptrIK10large_dataEEEESM_NS6_8equal_toISJ_EEEENSG_9not_fun_tINSD_8identityEEEEENSD_19counting_iterator_tIlEES8_S8_S8_S8_S8_S8_S8_S8_EEEEPS9_S9_NSD_9__find_if7functorIS9_EEEE10hipError_tPvRmT1_T2_T3_mT4_P12ihipStream_tbEUlT_E0_NS1_11comp_targetILNS1_3genE10ELNS1_11target_archE1201ELNS1_3gpuE5ELNS1_3repE0EEENS1_30default_config_static_selectorELNS0_4arch9wavefront6targetE0EEEvS15_, .Lfunc_end740-_ZN7rocprim17ROCPRIM_400000_NS6detail17trampoline_kernelINS0_14default_configENS1_22reduce_config_selectorIN6thrust23THRUST_200600_302600_NS5tupleIblNS6_9null_typeES8_S8_S8_S8_S8_S8_S8_EEEEZNS1_11reduce_implILb1ES3_NS6_12zip_iteratorINS7_INS6_11hip_rocprim26transform_input_iterator_tIbNSD_35transform_pair_of_input_iterators_tIbNS6_6detail15normal_iteratorINS6_10device_ptrIK10large_dataEEEESM_NS6_8equal_toISJ_EEEENSG_9not_fun_tINSD_8identityEEEEENSD_19counting_iterator_tIlEES8_S8_S8_S8_S8_S8_S8_S8_EEEEPS9_S9_NSD_9__find_if7functorIS9_EEEE10hipError_tPvRmT1_T2_T3_mT4_P12ihipStream_tbEUlT_E0_NS1_11comp_targetILNS1_3genE10ELNS1_11target_archE1201ELNS1_3gpuE5ELNS1_3repE0EEENS1_30default_config_static_selectorELNS0_4arch9wavefront6targetE0EEEvS15_
                                        ; -- End function
	.section	.AMDGPU.csdata,"",@progbits
; Kernel info:
; codeLenInByte = 0
; NumSgprs: 0
; NumVgprs: 0
; ScratchSize: 0
; MemoryBound: 0
; FloatMode: 240
; IeeeMode: 1
; LDSByteSize: 0 bytes/workgroup (compile time only)
; SGPRBlocks: 0
; VGPRBlocks: 0
; NumSGPRsForWavesPerEU: 1
; NumVGPRsForWavesPerEU: 1
; Occupancy: 16
; WaveLimiterHint : 0
; COMPUTE_PGM_RSRC2:SCRATCH_EN: 0
; COMPUTE_PGM_RSRC2:USER_SGPR: 15
; COMPUTE_PGM_RSRC2:TRAP_HANDLER: 0
; COMPUTE_PGM_RSRC2:TGID_X_EN: 1
; COMPUTE_PGM_RSRC2:TGID_Y_EN: 0
; COMPUTE_PGM_RSRC2:TGID_Z_EN: 0
; COMPUTE_PGM_RSRC2:TIDIG_COMP_CNT: 0
	.section	.text._ZN7rocprim17ROCPRIM_400000_NS6detail17trampoline_kernelINS0_14default_configENS1_22reduce_config_selectorIN6thrust23THRUST_200600_302600_NS5tupleIblNS6_9null_typeES8_S8_S8_S8_S8_S8_S8_EEEEZNS1_11reduce_implILb1ES3_NS6_12zip_iteratorINS7_INS6_11hip_rocprim26transform_input_iterator_tIbNSD_35transform_pair_of_input_iterators_tIbNS6_6detail15normal_iteratorINS6_10device_ptrIK10large_dataEEEESM_NS6_8equal_toISJ_EEEENSG_9not_fun_tINSD_8identityEEEEENSD_19counting_iterator_tIlEES8_S8_S8_S8_S8_S8_S8_S8_EEEEPS9_S9_NSD_9__find_if7functorIS9_EEEE10hipError_tPvRmT1_T2_T3_mT4_P12ihipStream_tbEUlT_E0_NS1_11comp_targetILNS1_3genE10ELNS1_11target_archE1200ELNS1_3gpuE4ELNS1_3repE0EEENS1_30default_config_static_selectorELNS0_4arch9wavefront6targetE0EEEvS15_,"axG",@progbits,_ZN7rocprim17ROCPRIM_400000_NS6detail17trampoline_kernelINS0_14default_configENS1_22reduce_config_selectorIN6thrust23THRUST_200600_302600_NS5tupleIblNS6_9null_typeES8_S8_S8_S8_S8_S8_S8_EEEEZNS1_11reduce_implILb1ES3_NS6_12zip_iteratorINS7_INS6_11hip_rocprim26transform_input_iterator_tIbNSD_35transform_pair_of_input_iterators_tIbNS6_6detail15normal_iteratorINS6_10device_ptrIK10large_dataEEEESM_NS6_8equal_toISJ_EEEENSG_9not_fun_tINSD_8identityEEEEENSD_19counting_iterator_tIlEES8_S8_S8_S8_S8_S8_S8_S8_EEEEPS9_S9_NSD_9__find_if7functorIS9_EEEE10hipError_tPvRmT1_T2_T3_mT4_P12ihipStream_tbEUlT_E0_NS1_11comp_targetILNS1_3genE10ELNS1_11target_archE1200ELNS1_3gpuE4ELNS1_3repE0EEENS1_30default_config_static_selectorELNS0_4arch9wavefront6targetE0EEEvS15_,comdat
	.protected	_ZN7rocprim17ROCPRIM_400000_NS6detail17trampoline_kernelINS0_14default_configENS1_22reduce_config_selectorIN6thrust23THRUST_200600_302600_NS5tupleIblNS6_9null_typeES8_S8_S8_S8_S8_S8_S8_EEEEZNS1_11reduce_implILb1ES3_NS6_12zip_iteratorINS7_INS6_11hip_rocprim26transform_input_iterator_tIbNSD_35transform_pair_of_input_iterators_tIbNS6_6detail15normal_iteratorINS6_10device_ptrIK10large_dataEEEESM_NS6_8equal_toISJ_EEEENSG_9not_fun_tINSD_8identityEEEEENSD_19counting_iterator_tIlEES8_S8_S8_S8_S8_S8_S8_S8_EEEEPS9_S9_NSD_9__find_if7functorIS9_EEEE10hipError_tPvRmT1_T2_T3_mT4_P12ihipStream_tbEUlT_E0_NS1_11comp_targetILNS1_3genE10ELNS1_11target_archE1200ELNS1_3gpuE4ELNS1_3repE0EEENS1_30default_config_static_selectorELNS0_4arch9wavefront6targetE0EEEvS15_ ; -- Begin function _ZN7rocprim17ROCPRIM_400000_NS6detail17trampoline_kernelINS0_14default_configENS1_22reduce_config_selectorIN6thrust23THRUST_200600_302600_NS5tupleIblNS6_9null_typeES8_S8_S8_S8_S8_S8_S8_EEEEZNS1_11reduce_implILb1ES3_NS6_12zip_iteratorINS7_INS6_11hip_rocprim26transform_input_iterator_tIbNSD_35transform_pair_of_input_iterators_tIbNS6_6detail15normal_iteratorINS6_10device_ptrIK10large_dataEEEESM_NS6_8equal_toISJ_EEEENSG_9not_fun_tINSD_8identityEEEEENSD_19counting_iterator_tIlEES8_S8_S8_S8_S8_S8_S8_S8_EEEEPS9_S9_NSD_9__find_if7functorIS9_EEEE10hipError_tPvRmT1_T2_T3_mT4_P12ihipStream_tbEUlT_E0_NS1_11comp_targetILNS1_3genE10ELNS1_11target_archE1200ELNS1_3gpuE4ELNS1_3repE0EEENS1_30default_config_static_selectorELNS0_4arch9wavefront6targetE0EEEvS15_
	.globl	_ZN7rocprim17ROCPRIM_400000_NS6detail17trampoline_kernelINS0_14default_configENS1_22reduce_config_selectorIN6thrust23THRUST_200600_302600_NS5tupleIblNS6_9null_typeES8_S8_S8_S8_S8_S8_S8_EEEEZNS1_11reduce_implILb1ES3_NS6_12zip_iteratorINS7_INS6_11hip_rocprim26transform_input_iterator_tIbNSD_35transform_pair_of_input_iterators_tIbNS6_6detail15normal_iteratorINS6_10device_ptrIK10large_dataEEEESM_NS6_8equal_toISJ_EEEENSG_9not_fun_tINSD_8identityEEEEENSD_19counting_iterator_tIlEES8_S8_S8_S8_S8_S8_S8_S8_EEEEPS9_S9_NSD_9__find_if7functorIS9_EEEE10hipError_tPvRmT1_T2_T3_mT4_P12ihipStream_tbEUlT_E0_NS1_11comp_targetILNS1_3genE10ELNS1_11target_archE1200ELNS1_3gpuE4ELNS1_3repE0EEENS1_30default_config_static_selectorELNS0_4arch9wavefront6targetE0EEEvS15_
	.p2align	8
	.type	_ZN7rocprim17ROCPRIM_400000_NS6detail17trampoline_kernelINS0_14default_configENS1_22reduce_config_selectorIN6thrust23THRUST_200600_302600_NS5tupleIblNS6_9null_typeES8_S8_S8_S8_S8_S8_S8_EEEEZNS1_11reduce_implILb1ES3_NS6_12zip_iteratorINS7_INS6_11hip_rocprim26transform_input_iterator_tIbNSD_35transform_pair_of_input_iterators_tIbNS6_6detail15normal_iteratorINS6_10device_ptrIK10large_dataEEEESM_NS6_8equal_toISJ_EEEENSG_9not_fun_tINSD_8identityEEEEENSD_19counting_iterator_tIlEES8_S8_S8_S8_S8_S8_S8_S8_EEEEPS9_S9_NSD_9__find_if7functorIS9_EEEE10hipError_tPvRmT1_T2_T3_mT4_P12ihipStream_tbEUlT_E0_NS1_11comp_targetILNS1_3genE10ELNS1_11target_archE1200ELNS1_3gpuE4ELNS1_3repE0EEENS1_30default_config_static_selectorELNS0_4arch9wavefront6targetE0EEEvS15_,@function
_ZN7rocprim17ROCPRIM_400000_NS6detail17trampoline_kernelINS0_14default_configENS1_22reduce_config_selectorIN6thrust23THRUST_200600_302600_NS5tupleIblNS6_9null_typeES8_S8_S8_S8_S8_S8_S8_EEEEZNS1_11reduce_implILb1ES3_NS6_12zip_iteratorINS7_INS6_11hip_rocprim26transform_input_iterator_tIbNSD_35transform_pair_of_input_iterators_tIbNS6_6detail15normal_iteratorINS6_10device_ptrIK10large_dataEEEESM_NS6_8equal_toISJ_EEEENSG_9not_fun_tINSD_8identityEEEEENSD_19counting_iterator_tIlEES8_S8_S8_S8_S8_S8_S8_S8_EEEEPS9_S9_NSD_9__find_if7functorIS9_EEEE10hipError_tPvRmT1_T2_T3_mT4_P12ihipStream_tbEUlT_E0_NS1_11comp_targetILNS1_3genE10ELNS1_11target_archE1200ELNS1_3gpuE4ELNS1_3repE0EEENS1_30default_config_static_selectorELNS0_4arch9wavefront6targetE0EEEvS15_: ; @_ZN7rocprim17ROCPRIM_400000_NS6detail17trampoline_kernelINS0_14default_configENS1_22reduce_config_selectorIN6thrust23THRUST_200600_302600_NS5tupleIblNS6_9null_typeES8_S8_S8_S8_S8_S8_S8_EEEEZNS1_11reduce_implILb1ES3_NS6_12zip_iteratorINS7_INS6_11hip_rocprim26transform_input_iterator_tIbNSD_35transform_pair_of_input_iterators_tIbNS6_6detail15normal_iteratorINS6_10device_ptrIK10large_dataEEEESM_NS6_8equal_toISJ_EEEENSG_9not_fun_tINSD_8identityEEEEENSD_19counting_iterator_tIlEES8_S8_S8_S8_S8_S8_S8_S8_EEEEPS9_S9_NSD_9__find_if7functorIS9_EEEE10hipError_tPvRmT1_T2_T3_mT4_P12ihipStream_tbEUlT_E0_NS1_11comp_targetILNS1_3genE10ELNS1_11target_archE1200ELNS1_3gpuE4ELNS1_3repE0EEENS1_30default_config_static_selectorELNS0_4arch9wavefront6targetE0EEEvS15_
; %bb.0:
	.section	.rodata,"a",@progbits
	.p2align	6, 0x0
	.amdhsa_kernel _ZN7rocprim17ROCPRIM_400000_NS6detail17trampoline_kernelINS0_14default_configENS1_22reduce_config_selectorIN6thrust23THRUST_200600_302600_NS5tupleIblNS6_9null_typeES8_S8_S8_S8_S8_S8_S8_EEEEZNS1_11reduce_implILb1ES3_NS6_12zip_iteratorINS7_INS6_11hip_rocprim26transform_input_iterator_tIbNSD_35transform_pair_of_input_iterators_tIbNS6_6detail15normal_iteratorINS6_10device_ptrIK10large_dataEEEESM_NS6_8equal_toISJ_EEEENSG_9not_fun_tINSD_8identityEEEEENSD_19counting_iterator_tIlEES8_S8_S8_S8_S8_S8_S8_S8_EEEEPS9_S9_NSD_9__find_if7functorIS9_EEEE10hipError_tPvRmT1_T2_T3_mT4_P12ihipStream_tbEUlT_E0_NS1_11comp_targetILNS1_3genE10ELNS1_11target_archE1200ELNS1_3gpuE4ELNS1_3repE0EEENS1_30default_config_static_selectorELNS0_4arch9wavefront6targetE0EEEvS15_
		.amdhsa_group_segment_fixed_size 0
		.amdhsa_private_segment_fixed_size 0
		.amdhsa_kernarg_size 104
		.amdhsa_user_sgpr_count 15
		.amdhsa_user_sgpr_dispatch_ptr 0
		.amdhsa_user_sgpr_queue_ptr 0
		.amdhsa_user_sgpr_kernarg_segment_ptr 1
		.amdhsa_user_sgpr_dispatch_id 0
		.amdhsa_user_sgpr_private_segment_size 0
		.amdhsa_wavefront_size32 1
		.amdhsa_uses_dynamic_stack 0
		.amdhsa_enable_private_segment 0
		.amdhsa_system_sgpr_workgroup_id_x 1
		.amdhsa_system_sgpr_workgroup_id_y 0
		.amdhsa_system_sgpr_workgroup_id_z 0
		.amdhsa_system_sgpr_workgroup_info 0
		.amdhsa_system_vgpr_workitem_id 0
		.amdhsa_next_free_vgpr 1
		.amdhsa_next_free_sgpr 1
		.amdhsa_reserve_vcc 0
		.amdhsa_float_round_mode_32 0
		.amdhsa_float_round_mode_16_64 0
		.amdhsa_float_denorm_mode_32 3
		.amdhsa_float_denorm_mode_16_64 3
		.amdhsa_dx10_clamp 1
		.amdhsa_ieee_mode 1
		.amdhsa_fp16_overflow 0
		.amdhsa_workgroup_processor_mode 1
		.amdhsa_memory_ordered 1
		.amdhsa_forward_progress 0
		.amdhsa_shared_vgpr_count 0
		.amdhsa_exception_fp_ieee_invalid_op 0
		.amdhsa_exception_fp_denorm_src 0
		.amdhsa_exception_fp_ieee_div_zero 0
		.amdhsa_exception_fp_ieee_overflow 0
		.amdhsa_exception_fp_ieee_underflow 0
		.amdhsa_exception_fp_ieee_inexact 0
		.amdhsa_exception_int_div_zero 0
	.end_amdhsa_kernel
	.section	.text._ZN7rocprim17ROCPRIM_400000_NS6detail17trampoline_kernelINS0_14default_configENS1_22reduce_config_selectorIN6thrust23THRUST_200600_302600_NS5tupleIblNS6_9null_typeES8_S8_S8_S8_S8_S8_S8_EEEEZNS1_11reduce_implILb1ES3_NS6_12zip_iteratorINS7_INS6_11hip_rocprim26transform_input_iterator_tIbNSD_35transform_pair_of_input_iterators_tIbNS6_6detail15normal_iteratorINS6_10device_ptrIK10large_dataEEEESM_NS6_8equal_toISJ_EEEENSG_9not_fun_tINSD_8identityEEEEENSD_19counting_iterator_tIlEES8_S8_S8_S8_S8_S8_S8_S8_EEEEPS9_S9_NSD_9__find_if7functorIS9_EEEE10hipError_tPvRmT1_T2_T3_mT4_P12ihipStream_tbEUlT_E0_NS1_11comp_targetILNS1_3genE10ELNS1_11target_archE1200ELNS1_3gpuE4ELNS1_3repE0EEENS1_30default_config_static_selectorELNS0_4arch9wavefront6targetE0EEEvS15_,"axG",@progbits,_ZN7rocprim17ROCPRIM_400000_NS6detail17trampoline_kernelINS0_14default_configENS1_22reduce_config_selectorIN6thrust23THRUST_200600_302600_NS5tupleIblNS6_9null_typeES8_S8_S8_S8_S8_S8_S8_EEEEZNS1_11reduce_implILb1ES3_NS6_12zip_iteratorINS7_INS6_11hip_rocprim26transform_input_iterator_tIbNSD_35transform_pair_of_input_iterators_tIbNS6_6detail15normal_iteratorINS6_10device_ptrIK10large_dataEEEESM_NS6_8equal_toISJ_EEEENSG_9not_fun_tINSD_8identityEEEEENSD_19counting_iterator_tIlEES8_S8_S8_S8_S8_S8_S8_S8_EEEEPS9_S9_NSD_9__find_if7functorIS9_EEEE10hipError_tPvRmT1_T2_T3_mT4_P12ihipStream_tbEUlT_E0_NS1_11comp_targetILNS1_3genE10ELNS1_11target_archE1200ELNS1_3gpuE4ELNS1_3repE0EEENS1_30default_config_static_selectorELNS0_4arch9wavefront6targetE0EEEvS15_,comdat
.Lfunc_end741:
	.size	_ZN7rocprim17ROCPRIM_400000_NS6detail17trampoline_kernelINS0_14default_configENS1_22reduce_config_selectorIN6thrust23THRUST_200600_302600_NS5tupleIblNS6_9null_typeES8_S8_S8_S8_S8_S8_S8_EEEEZNS1_11reduce_implILb1ES3_NS6_12zip_iteratorINS7_INS6_11hip_rocprim26transform_input_iterator_tIbNSD_35transform_pair_of_input_iterators_tIbNS6_6detail15normal_iteratorINS6_10device_ptrIK10large_dataEEEESM_NS6_8equal_toISJ_EEEENSG_9not_fun_tINSD_8identityEEEEENSD_19counting_iterator_tIlEES8_S8_S8_S8_S8_S8_S8_S8_EEEEPS9_S9_NSD_9__find_if7functorIS9_EEEE10hipError_tPvRmT1_T2_T3_mT4_P12ihipStream_tbEUlT_E0_NS1_11comp_targetILNS1_3genE10ELNS1_11target_archE1200ELNS1_3gpuE4ELNS1_3repE0EEENS1_30default_config_static_selectorELNS0_4arch9wavefront6targetE0EEEvS15_, .Lfunc_end741-_ZN7rocprim17ROCPRIM_400000_NS6detail17trampoline_kernelINS0_14default_configENS1_22reduce_config_selectorIN6thrust23THRUST_200600_302600_NS5tupleIblNS6_9null_typeES8_S8_S8_S8_S8_S8_S8_EEEEZNS1_11reduce_implILb1ES3_NS6_12zip_iteratorINS7_INS6_11hip_rocprim26transform_input_iterator_tIbNSD_35transform_pair_of_input_iterators_tIbNS6_6detail15normal_iteratorINS6_10device_ptrIK10large_dataEEEESM_NS6_8equal_toISJ_EEEENSG_9not_fun_tINSD_8identityEEEEENSD_19counting_iterator_tIlEES8_S8_S8_S8_S8_S8_S8_S8_EEEEPS9_S9_NSD_9__find_if7functorIS9_EEEE10hipError_tPvRmT1_T2_T3_mT4_P12ihipStream_tbEUlT_E0_NS1_11comp_targetILNS1_3genE10ELNS1_11target_archE1200ELNS1_3gpuE4ELNS1_3repE0EEENS1_30default_config_static_selectorELNS0_4arch9wavefront6targetE0EEEvS15_
                                        ; -- End function
	.section	.AMDGPU.csdata,"",@progbits
; Kernel info:
; codeLenInByte = 0
; NumSgprs: 0
; NumVgprs: 0
; ScratchSize: 0
; MemoryBound: 0
; FloatMode: 240
; IeeeMode: 1
; LDSByteSize: 0 bytes/workgroup (compile time only)
; SGPRBlocks: 0
; VGPRBlocks: 0
; NumSGPRsForWavesPerEU: 1
; NumVGPRsForWavesPerEU: 1
; Occupancy: 16
; WaveLimiterHint : 0
; COMPUTE_PGM_RSRC2:SCRATCH_EN: 0
; COMPUTE_PGM_RSRC2:USER_SGPR: 15
; COMPUTE_PGM_RSRC2:TRAP_HANDLER: 0
; COMPUTE_PGM_RSRC2:TGID_X_EN: 1
; COMPUTE_PGM_RSRC2:TGID_Y_EN: 0
; COMPUTE_PGM_RSRC2:TGID_Z_EN: 0
; COMPUTE_PGM_RSRC2:TIDIG_COMP_CNT: 0
	.section	.text._ZN7rocprim17ROCPRIM_400000_NS6detail17trampoline_kernelINS0_14default_configENS1_22reduce_config_selectorIN6thrust23THRUST_200600_302600_NS5tupleIblNS6_9null_typeES8_S8_S8_S8_S8_S8_S8_EEEEZNS1_11reduce_implILb1ES3_NS6_12zip_iteratorINS7_INS6_11hip_rocprim26transform_input_iterator_tIbNSD_35transform_pair_of_input_iterators_tIbNS6_6detail15normal_iteratorINS6_10device_ptrIK10large_dataEEEESM_NS6_8equal_toISJ_EEEENSG_9not_fun_tINSD_8identityEEEEENSD_19counting_iterator_tIlEES8_S8_S8_S8_S8_S8_S8_S8_EEEEPS9_S9_NSD_9__find_if7functorIS9_EEEE10hipError_tPvRmT1_T2_T3_mT4_P12ihipStream_tbEUlT_E0_NS1_11comp_targetILNS1_3genE9ELNS1_11target_archE1100ELNS1_3gpuE3ELNS1_3repE0EEENS1_30default_config_static_selectorELNS0_4arch9wavefront6targetE0EEEvS15_,"axG",@progbits,_ZN7rocprim17ROCPRIM_400000_NS6detail17trampoline_kernelINS0_14default_configENS1_22reduce_config_selectorIN6thrust23THRUST_200600_302600_NS5tupleIblNS6_9null_typeES8_S8_S8_S8_S8_S8_S8_EEEEZNS1_11reduce_implILb1ES3_NS6_12zip_iteratorINS7_INS6_11hip_rocprim26transform_input_iterator_tIbNSD_35transform_pair_of_input_iterators_tIbNS6_6detail15normal_iteratorINS6_10device_ptrIK10large_dataEEEESM_NS6_8equal_toISJ_EEEENSG_9not_fun_tINSD_8identityEEEEENSD_19counting_iterator_tIlEES8_S8_S8_S8_S8_S8_S8_S8_EEEEPS9_S9_NSD_9__find_if7functorIS9_EEEE10hipError_tPvRmT1_T2_T3_mT4_P12ihipStream_tbEUlT_E0_NS1_11comp_targetILNS1_3genE9ELNS1_11target_archE1100ELNS1_3gpuE3ELNS1_3repE0EEENS1_30default_config_static_selectorELNS0_4arch9wavefront6targetE0EEEvS15_,comdat
	.protected	_ZN7rocprim17ROCPRIM_400000_NS6detail17trampoline_kernelINS0_14default_configENS1_22reduce_config_selectorIN6thrust23THRUST_200600_302600_NS5tupleIblNS6_9null_typeES8_S8_S8_S8_S8_S8_S8_EEEEZNS1_11reduce_implILb1ES3_NS6_12zip_iteratorINS7_INS6_11hip_rocprim26transform_input_iterator_tIbNSD_35transform_pair_of_input_iterators_tIbNS6_6detail15normal_iteratorINS6_10device_ptrIK10large_dataEEEESM_NS6_8equal_toISJ_EEEENSG_9not_fun_tINSD_8identityEEEEENSD_19counting_iterator_tIlEES8_S8_S8_S8_S8_S8_S8_S8_EEEEPS9_S9_NSD_9__find_if7functorIS9_EEEE10hipError_tPvRmT1_T2_T3_mT4_P12ihipStream_tbEUlT_E0_NS1_11comp_targetILNS1_3genE9ELNS1_11target_archE1100ELNS1_3gpuE3ELNS1_3repE0EEENS1_30default_config_static_selectorELNS0_4arch9wavefront6targetE0EEEvS15_ ; -- Begin function _ZN7rocprim17ROCPRIM_400000_NS6detail17trampoline_kernelINS0_14default_configENS1_22reduce_config_selectorIN6thrust23THRUST_200600_302600_NS5tupleIblNS6_9null_typeES8_S8_S8_S8_S8_S8_S8_EEEEZNS1_11reduce_implILb1ES3_NS6_12zip_iteratorINS7_INS6_11hip_rocprim26transform_input_iterator_tIbNSD_35transform_pair_of_input_iterators_tIbNS6_6detail15normal_iteratorINS6_10device_ptrIK10large_dataEEEESM_NS6_8equal_toISJ_EEEENSG_9not_fun_tINSD_8identityEEEEENSD_19counting_iterator_tIlEES8_S8_S8_S8_S8_S8_S8_S8_EEEEPS9_S9_NSD_9__find_if7functorIS9_EEEE10hipError_tPvRmT1_T2_T3_mT4_P12ihipStream_tbEUlT_E0_NS1_11comp_targetILNS1_3genE9ELNS1_11target_archE1100ELNS1_3gpuE3ELNS1_3repE0EEENS1_30default_config_static_selectorELNS0_4arch9wavefront6targetE0EEEvS15_
	.globl	_ZN7rocprim17ROCPRIM_400000_NS6detail17trampoline_kernelINS0_14default_configENS1_22reduce_config_selectorIN6thrust23THRUST_200600_302600_NS5tupleIblNS6_9null_typeES8_S8_S8_S8_S8_S8_S8_EEEEZNS1_11reduce_implILb1ES3_NS6_12zip_iteratorINS7_INS6_11hip_rocprim26transform_input_iterator_tIbNSD_35transform_pair_of_input_iterators_tIbNS6_6detail15normal_iteratorINS6_10device_ptrIK10large_dataEEEESM_NS6_8equal_toISJ_EEEENSG_9not_fun_tINSD_8identityEEEEENSD_19counting_iterator_tIlEES8_S8_S8_S8_S8_S8_S8_S8_EEEEPS9_S9_NSD_9__find_if7functorIS9_EEEE10hipError_tPvRmT1_T2_T3_mT4_P12ihipStream_tbEUlT_E0_NS1_11comp_targetILNS1_3genE9ELNS1_11target_archE1100ELNS1_3gpuE3ELNS1_3repE0EEENS1_30default_config_static_selectorELNS0_4arch9wavefront6targetE0EEEvS15_
	.p2align	8
	.type	_ZN7rocprim17ROCPRIM_400000_NS6detail17trampoline_kernelINS0_14default_configENS1_22reduce_config_selectorIN6thrust23THRUST_200600_302600_NS5tupleIblNS6_9null_typeES8_S8_S8_S8_S8_S8_S8_EEEEZNS1_11reduce_implILb1ES3_NS6_12zip_iteratorINS7_INS6_11hip_rocprim26transform_input_iterator_tIbNSD_35transform_pair_of_input_iterators_tIbNS6_6detail15normal_iteratorINS6_10device_ptrIK10large_dataEEEESM_NS6_8equal_toISJ_EEEENSG_9not_fun_tINSD_8identityEEEEENSD_19counting_iterator_tIlEES8_S8_S8_S8_S8_S8_S8_S8_EEEEPS9_S9_NSD_9__find_if7functorIS9_EEEE10hipError_tPvRmT1_T2_T3_mT4_P12ihipStream_tbEUlT_E0_NS1_11comp_targetILNS1_3genE9ELNS1_11target_archE1100ELNS1_3gpuE3ELNS1_3repE0EEENS1_30default_config_static_selectorELNS0_4arch9wavefront6targetE0EEEvS15_,@function
_ZN7rocprim17ROCPRIM_400000_NS6detail17trampoline_kernelINS0_14default_configENS1_22reduce_config_selectorIN6thrust23THRUST_200600_302600_NS5tupleIblNS6_9null_typeES8_S8_S8_S8_S8_S8_S8_EEEEZNS1_11reduce_implILb1ES3_NS6_12zip_iteratorINS7_INS6_11hip_rocprim26transform_input_iterator_tIbNSD_35transform_pair_of_input_iterators_tIbNS6_6detail15normal_iteratorINS6_10device_ptrIK10large_dataEEEESM_NS6_8equal_toISJ_EEEENSG_9not_fun_tINSD_8identityEEEEENSD_19counting_iterator_tIlEES8_S8_S8_S8_S8_S8_S8_S8_EEEEPS9_S9_NSD_9__find_if7functorIS9_EEEE10hipError_tPvRmT1_T2_T3_mT4_P12ihipStream_tbEUlT_E0_NS1_11comp_targetILNS1_3genE9ELNS1_11target_archE1100ELNS1_3gpuE3ELNS1_3repE0EEENS1_30default_config_static_selectorELNS0_4arch9wavefront6targetE0EEEvS15_: ; @_ZN7rocprim17ROCPRIM_400000_NS6detail17trampoline_kernelINS0_14default_configENS1_22reduce_config_selectorIN6thrust23THRUST_200600_302600_NS5tupleIblNS6_9null_typeES8_S8_S8_S8_S8_S8_S8_EEEEZNS1_11reduce_implILb1ES3_NS6_12zip_iteratorINS7_INS6_11hip_rocprim26transform_input_iterator_tIbNSD_35transform_pair_of_input_iterators_tIbNS6_6detail15normal_iteratorINS6_10device_ptrIK10large_dataEEEESM_NS6_8equal_toISJ_EEEENSG_9not_fun_tINSD_8identityEEEEENSD_19counting_iterator_tIlEES8_S8_S8_S8_S8_S8_S8_S8_EEEEPS9_S9_NSD_9__find_if7functorIS9_EEEE10hipError_tPvRmT1_T2_T3_mT4_P12ihipStream_tbEUlT_E0_NS1_11comp_targetILNS1_3genE9ELNS1_11target_archE1100ELNS1_3gpuE3ELNS1_3repE0EEENS1_30default_config_static_selectorELNS0_4arch9wavefront6targetE0EEEvS15_
; %bb.0:
	s_clause 0x1
	s_load_b256 s[4:11], s[0:1], 0x20
	s_load_b128 s[24:27], s[0:1], 0x0
	s_mov_b32 s16, s15
	s_load_b128 s[12:15], s[0:1], 0x40
	s_mov_b32 s23, 0
	s_delay_alu instid0(SALU_CYCLE_1) | instskip(SKIP_2) | instid1(SALU_CYCLE_1)
	s_mov_b32 s17, s23
	s_waitcnt lgkmcnt(0)
	s_lshl_b64 s[2:3], s[6:7], 9
	s_add_u32 s18, s24, s2
	s_addc_u32 s19, s25, s3
	s_add_u32 s20, s26, s2
	s_addc_u32 s21, s27, s3
	s_lshl_b32 s22, s16, 10
	s_lshr_b64 s[24:25], s[8:9], 10
	s_lshl_b64 s[2:3], s[22:23], 9
	s_delay_alu instid0(SALU_CYCLE_1)
	s_add_u32 s18, s18, s2
	s_addc_u32 s19, s19, s3
	s_add_u32 s20, s20, s2
	s_addc_u32 s21, s21, s3
	;; [unrolled: 2-line block ×4, first 2 shown]
	s_cmp_lg_u64 s[24:25], s[16:17]
	s_cbranch_scc0 .LBB742_16
; %bb.1:
	v_lshlrev_b32_e32 v11, 9, v0
	s_delay_alu instid0(VALU_DEP_1) | instskip(NEXT) | instid1(VALU_DEP_1)
	v_add_co_u32 v7, s2, s18, v11
	v_add_co_ci_u32_e64 v8, null, s19, 0, s2
	v_add_co_u32 v9, s2, s20, v11
	s_delay_alu instid0(VALU_DEP_3) | instskip(NEXT) | instid1(VALU_DEP_3)
	v_add_co_u32 v1, vcc_lo, 0x20000, v7
	v_add_co_ci_u32_e32 v2, vcc_lo, 0, v8, vcc_lo
	v_add_co_ci_u32_e64 v10, null, s21, 0, s2
	global_load_u8 v12, v[1:2], off
	v_add_co_u32 v1, vcc_lo, 0x20000, v9
	v_add_co_ci_u32_e32 v2, vcc_lo, 0, v10, vcc_lo
	v_add_co_u32 v3, vcc_lo, 0x40000, v7
	v_add_co_ci_u32_e32 v4, vcc_lo, 0, v8, vcc_lo
	;; [unrolled: 2-line block ×5, first 2 shown]
	global_load_u8 v3, v[3:4], off
	global_load_u8 v4, v[5:6], off
	;; [unrolled: 1-line block ×3, first 2 shown]
	s_clause 0x1
	global_load_u8 v1, v[1:2], off
	global_load_u8 v2, v[9:10], off
	s_clause 0x1
	global_load_u8 v6, v11, s[18:19]
	global_load_u8 v7, v11, s[20:21]
	v_mov_b32_e32 v8, 0x100
	s_waitcnt vmcnt(6)
	v_and_b32_e32 v3, 0xff, v3
	s_waitcnt vmcnt(5)
	v_and_b32_e32 v4, 0xff, v4
	;; [unrolled: 2-line block ×3, first 2 shown]
	s_waitcnt vmcnt(3)
	v_cmp_ne_u16_e32 vcc_lo, v12, v1
	s_waitcnt vmcnt(2)
	v_and_b32_e32 v2, 0xff, v2
	s_waitcnt vmcnt(0)
	v_cmp_ne_u16_e64 s2, v6, v7
	v_cmp_ne_u16_e64 s3, v3, v4
	v_cndmask_b32_e32 v1, 0x200, v8, vcc_lo
	v_cmp_ne_u16_e64 s4, v5, v2
	s_delay_alu instid0(VALU_DEP_2) | instskip(SKIP_1) | instid1(SALU_CYCLE_1)
	v_cndmask_b32_e64 v1, v1, 0, s2
	s_or_b32 s2, s2, vcc_lo
	s_or_b32 vcc_lo, s2, s3
	v_add_co_u32 v2, s2, s5, v0
	s_delay_alu instid0(VALU_DEP_2) | instskip(SKIP_3) | instid1(VALU_DEP_3)
	v_cndmask_b32_e32 v1, 0x300, v1, vcc_lo
	s_or_b32 s3, vcc_lo, s4
	v_add_co_ci_u32_e64 v3, null, s23, 0, s2
	v_cndmask_b32_e64 v5, 0, 1, s3
	v_add_co_u32 v1, vcc_lo, v2, v1
	s_delay_alu instid0(VALU_DEP_3) | instskip(NEXT) | instid1(VALU_DEP_3)
	v_add_co_ci_u32_e32 v2, vcc_lo, 0, v3, vcc_lo
	v_mov_b32_dpp v6, v5 quad_perm:[1,0,3,2] row_mask:0xf bank_mask:0xf
	s_delay_alu instid0(VALU_DEP_3) | instskip(SKIP_1) | instid1(VALU_DEP_3)
	v_mov_b32_dpp v3, v1 quad_perm:[1,0,3,2] row_mask:0xf bank_mask:0xf
	s_mov_b32 s4, exec_lo
	v_mov_b32_dpp v4, v2 quad_perm:[1,0,3,2] row_mask:0xf bank_mask:0xf
	s_delay_alu instid0(VALU_DEP_3) | instskip(NEXT) | instid1(VALU_DEP_1)
	v_and_b32_e32 v7, 1, v6
	v_cmpx_eq_u32_e32 1, v7
; %bb.2:
	v_cndmask_b32_e64 v5, v6, 1, s3
	s_delay_alu instid0(VALU_DEP_4) | instskip(NEXT) | instid1(VALU_DEP_2)
	v_cmp_lt_i64_e32 vcc_lo, v[1:2], v[3:4]
	v_and_b32_e32 v6, 1, v5
	v_and_b32_e32 v5, 0xff, v5
	s_and_b32 vcc_lo, s3, vcc_lo
	s_and_not1_b32 s3, s3, exec_lo
	v_dual_cndmask_b32 v2, v4, v2 :: v_dual_cndmask_b32 v1, v3, v1
	v_cmp_eq_u32_e64 s2, 1, v6
	s_delay_alu instid0(VALU_DEP_1) | instskip(NEXT) | instid1(SALU_CYCLE_1)
	s_and_b32 s2, s2, exec_lo
	s_or_b32 s3, s3, s2
; %bb.3:
	s_or_b32 exec_lo, exec_lo, s4
	v_mov_b32_dpp v6, v5 quad_perm:[2,3,0,1] row_mask:0xf bank_mask:0xf
	v_mov_b32_dpp v3, v1 quad_perm:[2,3,0,1] row_mask:0xf bank_mask:0xf
	;; [unrolled: 1-line block ×3, first 2 shown]
	s_mov_b32 s4, exec_lo
	s_delay_alu instid0(VALU_DEP_3) | instskip(NEXT) | instid1(VALU_DEP_1)
	v_and_b32_e32 v7, 1, v6
	v_cmpx_eq_u32_e32 1, v7
; %bb.4:
	v_cndmask_b32_e64 v5, v6, 1, s3
	v_cmp_lt_i64_e32 vcc_lo, v[1:2], v[3:4]
	s_delay_alu instid0(VALU_DEP_2)
	v_and_b32_e32 v6, 1, v5
	v_and_b32_e32 v5, 0xff, v5
	s_and_b32 vcc_lo, s3, vcc_lo
	s_and_not1_b32 s3, s3, exec_lo
	v_dual_cndmask_b32 v2, v4, v2 :: v_dual_cndmask_b32 v1, v3, v1
	v_cmp_eq_u32_e64 s2, 1, v6
	s_delay_alu instid0(VALU_DEP_1) | instskip(NEXT) | instid1(SALU_CYCLE_1)
	s_and_b32 s2, s2, exec_lo
	s_or_b32 s3, s3, s2
; %bb.5:
	s_or_b32 exec_lo, exec_lo, s4
	v_mov_b32_dpp v6, v5 row_ror:4 row_mask:0xf bank_mask:0xf
	v_mov_b32_dpp v3, v1 row_ror:4 row_mask:0xf bank_mask:0xf
	v_mov_b32_dpp v4, v2 row_ror:4 row_mask:0xf bank_mask:0xf
	s_mov_b32 s4, exec_lo
	s_delay_alu instid0(VALU_DEP_3) | instskip(NEXT) | instid1(VALU_DEP_1)
	v_and_b32_e32 v7, 1, v6
	v_cmpx_eq_u32_e32 1, v7
; %bb.6:
	v_cndmask_b32_e64 v5, v6, 1, s3
	v_cmp_lt_i64_e32 vcc_lo, v[1:2], v[3:4]
	s_delay_alu instid0(VALU_DEP_2)
	v_and_b32_e32 v6, 1, v5
	v_and_b32_e32 v5, 0xff, v5
	s_and_b32 vcc_lo, s3, vcc_lo
	s_and_not1_b32 s3, s3, exec_lo
	v_dual_cndmask_b32 v2, v4, v2 :: v_dual_cndmask_b32 v1, v3, v1
	v_cmp_eq_u32_e64 s2, 1, v6
	s_delay_alu instid0(VALU_DEP_1) | instskip(NEXT) | instid1(SALU_CYCLE_1)
	s_and_b32 s2, s2, exec_lo
	s_or_b32 s3, s3, s2
; %bb.7:
	s_or_b32 exec_lo, exec_lo, s4
	v_mov_b32_dpp v6, v5 row_ror:8 row_mask:0xf bank_mask:0xf
	v_mov_b32_dpp v3, v1 row_ror:8 row_mask:0xf bank_mask:0xf
	;; [unrolled: 1-line block ×3, first 2 shown]
	s_mov_b32 s4, exec_lo
	s_delay_alu instid0(VALU_DEP_3) | instskip(NEXT) | instid1(VALU_DEP_1)
	v_and_b32_e32 v7, 1, v6
	v_cmpx_eq_u32_e32 1, v7
; %bb.8:
	v_cndmask_b32_e64 v5, v6, 1, s3
	v_cmp_lt_i64_e32 vcc_lo, v[1:2], v[3:4]
	s_delay_alu instid0(VALU_DEP_2)
	v_and_b32_e32 v6, 1, v5
	v_and_b32_e32 v5, 0xff, v5
	s_and_b32 vcc_lo, s3, vcc_lo
	s_and_not1_b32 s3, s3, exec_lo
	v_dual_cndmask_b32 v2, v4, v2 :: v_dual_cndmask_b32 v1, v3, v1
	v_cmp_eq_u32_e64 s2, 1, v6
	s_delay_alu instid0(VALU_DEP_1) | instskip(NEXT) | instid1(SALU_CYCLE_1)
	s_and_b32 s2, s2, exec_lo
	s_or_b32 s3, s3, s2
; %bb.9:
	s_or_b32 exec_lo, exec_lo, s4
	ds_swizzle_b32 v6, v5 offset:swizzle(BROADCAST,32,15)
	ds_swizzle_b32 v3, v1 offset:swizzle(BROADCAST,32,15)
	;; [unrolled: 1-line block ×3, first 2 shown]
	s_mov_b32 s2, exec_lo
	s_waitcnt lgkmcnt(2)
	v_and_b32_e32 v7, 1, v6
	s_delay_alu instid0(VALU_DEP_1)
	v_cmpx_eq_u32_e32 1, v7
	s_cbranch_execz .LBB742_11
; %bb.10:
	s_waitcnt lgkmcnt(0)
	v_cmp_lt_i64_e32 vcc_lo, v[1:2], v[3:4]
	v_and_b32_e32 v5, 0xff, v6
	s_delay_alu instid0(VALU_DEP_1)
	v_cndmask_b32_e64 v5, v5, 1, s3
	s_and_b32 vcc_lo, s3, vcc_lo
	v_dual_cndmask_b32 v1, v3, v1 :: v_dual_cndmask_b32 v2, v4, v2
.LBB742_11:
	s_or_b32 exec_lo, exec_lo, s2
	s_waitcnt lgkmcnt(1)
	v_mov_b32_e32 v3, 0
	s_mov_b32 s2, exec_lo
	ds_bpermute_b32 v6, v3, v5 offset:124
	ds_bpermute_b32 v1, v3, v1 offset:124
	;; [unrolled: 1-line block ×3, first 2 shown]
	v_mbcnt_lo_u32_b32 v3, -1, 0
	s_delay_alu instid0(VALU_DEP_1)
	v_cmpx_eq_u32_e32 0, v3
	s_cbranch_execz .LBB742_13
; %bb.12:
	s_waitcnt lgkmcnt(3)
	v_lshrrev_b32_e32 v4, 1, v0
	s_delay_alu instid0(VALU_DEP_1)
	v_and_b32_e32 v4, 0x70, v4
	s_waitcnt lgkmcnt(2)
	ds_store_b8 v4, v6
	s_waitcnt lgkmcnt(1)
	ds_store_b64 v4, v[1:2] offset:8
.LBB742_13:
	s_or_b32 exec_lo, exec_lo, s2
	s_delay_alu instid0(SALU_CYCLE_1)
	s_mov_b32 s4, exec_lo
	s_waitcnt lgkmcnt(0)
	s_barrier
	buffer_gl0_inv
	v_cmpx_gt_u32_e32 32, v0
	s_cbranch_execz .LBB742_15
; %bb.14:
	v_and_b32_e32 v6, 7, v3
	s_delay_alu instid0(VALU_DEP_1)
	v_lshlrev_b32_e32 v1, 4, v6
	v_cmp_ne_u32_e32 vcc_lo, 7, v6
	ds_load_u8 v7, v1
	ds_load_b64 v[1:2], v1 offset:8
	v_add_co_ci_u32_e32 v4, vcc_lo, 0, v3, vcc_lo
	v_cmp_gt_u32_e32 vcc_lo, 6, v6
	s_delay_alu instid0(VALU_DEP_2)
	v_lshlrev_b32_e32 v5, 2, v4
	v_cndmask_b32_e64 v10, 0, 1, vcc_lo
	s_waitcnt lgkmcnt(1)
	v_and_b32_e32 v4, 0xff, v7
	v_and_b32_e32 v11, 1, v7
	ds_bpermute_b32 v8, v5, v4
	s_waitcnt lgkmcnt(1)
	ds_bpermute_b32 v4, v5, v1
	ds_bpermute_b32 v5, v5, v2
	v_cmp_eq_u32_e64 s3, 1, v11
	s_waitcnt lgkmcnt(2)
	v_and_b32_e32 v9, 1, v8
	s_waitcnt lgkmcnt(0)
	v_cmp_lt_i64_e64 s2, v[4:5], v[1:2]
	s_delay_alu instid0(VALU_DEP_2) | instskip(SKIP_2) | instid1(VALU_DEP_4)
	v_cmp_eq_u32_e32 vcc_lo, 1, v9
	v_lshlrev_b32_e32 v9, 1, v10
	v_cndmask_b32_e64 v7, v7, 1, vcc_lo
	s_and_b32 vcc_lo, vcc_lo, s2
	v_dual_cndmask_b32 v1, v1, v4 :: v_dual_cndmask_b32 v2, v2, v5
	s_delay_alu instid0(VALU_DEP_2) | instskip(SKIP_2) | instid1(VALU_DEP_4)
	v_cndmask_b32_e64 v7, v8, v7, s3
	v_add_lshl_u32 v8, v9, v3, 2
	v_cmp_gt_u32_e32 vcc_lo, 4, v6
	v_cndmask_b32_e64 v1, v4, v1, s3
	v_cndmask_b32_e64 v2, v5, v2, s3
	v_and_b32_e32 v9, 0xff, v7
	v_and_b32_e32 v10, 1, v7
	v_cndmask_b32_e64 v6, 0, 1, vcc_lo
	ds_bpermute_b32 v4, v8, v1
	ds_bpermute_b32 v5, v8, v2
	;; [unrolled: 1-line block ×3, first 2 shown]
	v_cmp_eq_u32_e64 s3, 1, v10
	s_waitcnt lgkmcnt(1)
	v_cmp_lt_i64_e64 s2, v[4:5], v[1:2]
	s_waitcnt lgkmcnt(0)
	v_and_b32_e32 v8, 1, v9
	s_delay_alu instid0(VALU_DEP_1) | instskip(SKIP_1) | instid1(VALU_DEP_4)
	v_cmp_eq_u32_e32 vcc_lo, 1, v8
	v_cndmask_b32_e64 v7, v7, 1, vcc_lo
	s_and_b32 vcc_lo, vcc_lo, s2
	v_dual_cndmask_b32 v1, v1, v4 :: v_dual_cndmask_b32 v2, v2, v5
	s_delay_alu instid0(VALU_DEP_2) | instskip(NEXT) | instid1(VALU_DEP_2)
	v_cndmask_b32_e64 v7, v9, v7, s3
	v_cndmask_b32_e64 v1, v4, v1, s3
	v_lshlrev_b32_e32 v6, 2, v6
	s_delay_alu instid0(VALU_DEP_4) | instskip(NEXT) | instid1(VALU_DEP_2)
	v_cndmask_b32_e64 v2, v5, v2, s3
	v_add_lshl_u32 v6, v6, v3, 2
	v_and_b32_e32 v3, 0xff, v7
	ds_bpermute_b32 v4, v6, v2
	ds_bpermute_b32 v5, v6, v3
	;; [unrolled: 1-line block ×3, first 2 shown]
	s_waitcnt lgkmcnt(1)
	v_and_b32_e32 v6, 1, v5
	s_waitcnt lgkmcnt(0)
	v_cmp_lt_i64_e32 vcc_lo, v[3:4], v[1:2]
	s_delay_alu instid0(VALU_DEP_2) | instskip(SKIP_1) | instid1(VALU_DEP_2)
	v_cmp_eq_u32_e64 s2, 1, v6
	v_and_b32_e32 v6, 1, v7
	v_cndmask_b32_e64 v7, v7, 1, s2
	s_and_b32 vcc_lo, s2, vcc_lo
	s_delay_alu instid0(VALU_DEP_2) | instskip(SKIP_1) | instid1(VALU_DEP_2)
	v_cmp_eq_u32_e64 s2, 1, v6
	v_dual_cndmask_b32 v1, v1, v3 :: v_dual_cndmask_b32 v2, v2, v4
	v_cndmask_b32_e64 v5, v5, v7, s2
	s_delay_alu instid0(VALU_DEP_2) | instskip(NEXT) | instid1(VALU_DEP_3)
	v_cndmask_b32_e64 v1, v3, v1, s2
	v_cndmask_b32_e64 v2, v4, v2, s2
	s_delay_alu instid0(VALU_DEP_3)
	v_and_b32_e32 v6, 0xff, v5
.LBB742_15:
	s_or_b32 exec_lo, exec_lo, s4
	s_load_b64 s[6:7], s[0:1], 0x58
	s_branch .LBB742_49
.LBB742_16:
                                        ; implicit-def: $vgpr1_vgpr2
                                        ; implicit-def: $vgpr6
	s_load_b64 s[6:7], s[0:1], 0x58
	s_cbranch_execz .LBB742_49
; %bb.17:
	v_mov_b32_e32 v5, 0
	v_dual_mov_b32 v6, 0 :: v_dual_mov_b32 v11, 0
	s_delay_alu instid0(VALU_DEP_2) | instskip(SKIP_2) | instid1(VALU_DEP_3)
	v_mov_b32_e32 v1, v5
	v_mov_b32_e32 v9, 0
	s_sub_i32 s22, s8, s22
	v_mov_b32_e32 v2, v6
	s_mov_b32 s2, exec_lo
	v_cmpx_gt_u32_e64 s22, v0
	s_cbranch_execz .LBB742_19
; %bb.18:
	v_lshlrev_b32_e32 v1, 9, v0
	s_clause 0x1
	global_load_u8 v3, v1, s[18:19]
	global_load_u8 v4, v1, s[20:21]
	v_add_co_u32 v1, s3, s5, v0
	s_delay_alu instid0(VALU_DEP_1)
	v_add_co_ci_u32_e64 v2, null, s23, 0, s3
	s_waitcnt vmcnt(0)
	v_cmp_ne_u16_e32 vcc_lo, v3, v4
	v_cndmask_b32_e64 v9, 0, 1, vcc_lo
.LBB742_19:
	s_or_b32 exec_lo, exec_lo, s2
	v_or_b32_e32 v3, 0x100, v0
	s_delay_alu instid0(VALU_DEP_1) | instskip(NEXT) | instid1(VALU_DEP_1)
	v_cmp_gt_u32_e64 s3, s22, v3
	s_and_saveexec_b32 s2, s3
	s_cbranch_execz .LBB742_21
; %bb.20:
	v_lshlrev_b32_e32 v4, 9, v3
	v_add_co_u32 v5, s4, s5, v3
	s_delay_alu instid0(VALU_DEP_1)
	v_add_co_ci_u32_e64 v6, null, s23, 0, s4
	s_clause 0x1
	global_load_u8 v7, v4, s[18:19]
	global_load_u8 v4, v4, s[20:21]
	s_waitcnt vmcnt(0)
	v_cmp_ne_u16_e32 vcc_lo, v7, v4
	v_cndmask_b32_e64 v11, 0, 1, vcc_lo
.LBB742_21:
	s_or_b32 exec_lo, exec_lo, s2
	v_dual_mov_b32 v3, 0 :: v_dual_mov_b32 v10, 0
	v_mov_b32_e32 v4, 0
	v_or_b32_e32 v13, 0x200, v0
	v_mov_b32_e32 v12, 0
	s_delay_alu instid0(VALU_DEP_3) | instskip(NEXT) | instid1(VALU_DEP_3)
	v_dual_mov_b32 v8, v4 :: v_dual_mov_b32 v7, v3
	v_cmp_gt_u32_e64 s2, s22, v13
	s_delay_alu instid0(VALU_DEP_1)
	s_and_saveexec_b32 s4, s2
	s_cbranch_execz .LBB742_23
; %bb.22:
	v_lshlrev_b32_e32 v7, 9, v13
	s_clause 0x1
	global_load_u8 v12, v7, s[18:19]
	global_load_u8 v14, v7, s[20:21]
	v_add_co_u32 v7, s24, s5, v13
	s_delay_alu instid0(VALU_DEP_1)
	v_add_co_ci_u32_e64 v8, null, s23, 0, s24
	s_waitcnt vmcnt(0)
	v_cmp_ne_u16_e32 vcc_lo, v12, v14
	v_cndmask_b32_e64 v12, 0, 1, vcc_lo
.LBB742_23:
	s_or_b32 exec_lo, exec_lo, s4
	v_or_b32_e32 v13, 0x300, v0
	s_delay_alu instid0(VALU_DEP_1)
	v_cmp_gt_u32_e32 vcc_lo, s22, v13
	s_and_saveexec_b32 s24, vcc_lo
	s_cbranch_execnz .LBB742_52
; %bb.24:
	s_or_b32 exec_lo, exec_lo, s24
	s_and_saveexec_b32 s5, s3
	s_cbranch_execnz .LBB742_53
.LBB742_25:
	s_or_b32 exec_lo, exec_lo, s5
	s_and_saveexec_b32 s4, s2
	s_cbranch_execnz .LBB742_54
.LBB742_26:
	s_or_b32 exec_lo, exec_lo, s4
	s_and_saveexec_b32 s3, vcc_lo
.LBB742_27:
	v_and_b32_e32 v5, 1, v10
	v_cmp_lt_i64_e32 vcc_lo, v[3:4], v[1:2]
	s_delay_alu instid0(VALU_DEP_2) | instskip(NEXT) | instid1(VALU_DEP_1)
	v_cmp_eq_u32_e64 s2, 1, v5
	s_and_b32 vcc_lo, s2, vcc_lo
	v_cndmask_b32_e64 v6, v9, 1, s2
	v_dual_cndmask_b32 v2, v2, v4 :: v_dual_and_b32 v5, 1, v9
	v_cndmask_b32_e32 v1, v1, v3, vcc_lo
	s_delay_alu instid0(VALU_DEP_2) | instskip(NEXT) | instid1(VALU_DEP_3)
	v_cmp_eq_u32_e32 vcc_lo, 1, v5
	v_cndmask_b32_e32 v2, v4, v2, vcc_lo
	v_cndmask_b32_e32 v9, v10, v6, vcc_lo
	s_delay_alu instid0(VALU_DEP_4)
	v_cndmask_b32_e32 v1, v3, v1, vcc_lo
.LBB742_28:
	s_or_b32 exec_lo, exec_lo, s3
	v_mbcnt_lo_u32_b32 v5, -1, 0
	v_and_b32_e32 v7, 0xe0, v0
	s_min_u32 s3, s22, 0x100
	v_and_b32_e32 v6, 0xffff, v9
	s_delay_alu instid0(VALU_DEP_3) | instskip(NEXT) | instid1(VALU_DEP_3)
	v_cmp_ne_u32_e32 vcc_lo, 31, v5
	v_sub_nc_u32_e64 v8, s3, v7 clamp
	v_add_nc_u32_e32 v7, 1, v5
	v_add_co_ci_u32_e32 v3, vcc_lo, 0, v5, vcc_lo
	s_delay_alu instid0(VALU_DEP_2) | instskip(NEXT) | instid1(VALU_DEP_2)
	v_cmp_lt_u32_e32 vcc_lo, v7, v8
	v_dual_mov_b32 v7, v6 :: v_dual_lshlrev_b32 v4, 2, v3
	ds_bpermute_b32 v10, v4, v6
	ds_bpermute_b32 v3, v4, v1
	;; [unrolled: 1-line block ×3, first 2 shown]
	s_and_saveexec_b32 s2, vcc_lo
	s_delay_alu instid0(SALU_CYCLE_1)
	s_xor_b32 s4, exec_lo, s2
	s_cbranch_execz .LBB742_30
; %bb.29:
	s_waitcnt lgkmcnt(0)
	v_and_b32_e32 v7, 1, v10
	v_cmp_lt_i64_e32 vcc_lo, v[3:4], v[1:2]
	s_delay_alu instid0(VALU_DEP_2) | instskip(SKIP_1) | instid1(VALU_DEP_2)
	v_cmp_eq_u32_e64 s2, 1, v7
	v_and_b32_e32 v7, 1, v9
	v_cndmask_b32_e64 v6, v6, 1, s2
	s_and_b32 vcc_lo, s2, vcc_lo
	s_delay_alu instid0(VALU_DEP_2) | instskip(SKIP_1) | instid1(VALU_DEP_2)
	v_cmp_eq_u32_e64 s2, 1, v7
	v_dual_cndmask_b32 v2, v2, v4 :: v_dual_cndmask_b32 v1, v1, v3
	v_cndmask_b32_e64 v7, v10, v6, s2
	s_delay_alu instid0(VALU_DEP_2) | instskip(NEXT) | instid1(VALU_DEP_3)
	v_cndmask_b32_e64 v2, v4, v2, s2
	v_cndmask_b32_e64 v1, v3, v1, s2
	s_delay_alu instid0(VALU_DEP_3)
	v_and_b32_e32 v6, 0xff, v7
.LBB742_30:
	s_or_b32 exec_lo, exec_lo, s4
	v_cmp_gt_u32_e32 vcc_lo, 30, v5
	s_waitcnt lgkmcnt(0)
	v_add_nc_u32_e32 v10, 2, v5
	s_mov_b32 s4, exec_lo
	v_cndmask_b32_e64 v3, 0, 1, vcc_lo
	s_delay_alu instid0(VALU_DEP_1) | instskip(NEXT) | instid1(VALU_DEP_1)
	v_lshlrev_b32_e32 v3, 1, v3
	v_add_lshl_u32 v4, v3, v5, 2
	ds_bpermute_b32 v9, v4, v6
	ds_bpermute_b32 v3, v4, v1
	ds_bpermute_b32 v4, v4, v2
	v_cmpx_lt_u32_e64 v10, v8
	s_cbranch_execz .LBB742_32
; %bb.31:
	s_waitcnt lgkmcnt(2)
	v_and_b32_e32 v6, 1, v9
	s_waitcnt lgkmcnt(0)
	v_cmp_lt_i64_e32 vcc_lo, v[3:4], v[1:2]
	s_delay_alu instid0(VALU_DEP_2) | instskip(SKIP_1) | instid1(VALU_DEP_2)
	v_cmp_eq_u32_e64 s2, 1, v6
	v_and_b32_e32 v6, 1, v7
	v_cndmask_b32_e64 v7, v7, 1, s2
	s_and_b32 vcc_lo, s2, vcc_lo
	s_delay_alu instid0(VALU_DEP_2) | instskip(SKIP_1) | instid1(VALU_DEP_2)
	v_cmp_eq_u32_e64 s2, 1, v6
	v_dual_cndmask_b32 v1, v1, v3 :: v_dual_cndmask_b32 v2, v2, v4
	v_cndmask_b32_e64 v7, v9, v7, s2
	s_delay_alu instid0(VALU_DEP_2) | instskip(NEXT) | instid1(VALU_DEP_3)
	v_cndmask_b32_e64 v1, v3, v1, s2
	v_cndmask_b32_e64 v2, v4, v2, s2
	s_delay_alu instid0(VALU_DEP_3)
	v_and_b32_e32 v6, 0xff, v7
.LBB742_32:
	s_or_b32 exec_lo, exec_lo, s4
	v_cmp_gt_u32_e32 vcc_lo, 28, v5
	v_add_nc_u32_e32 v10, 4, v5
	s_mov_b32 s4, exec_lo
	s_waitcnt lgkmcnt(1)
	v_cndmask_b32_e64 v3, 0, 1, vcc_lo
	s_delay_alu instid0(VALU_DEP_1) | instskip(SKIP_1) | instid1(VALU_DEP_1)
	v_lshlrev_b32_e32 v3, 2, v3
	s_waitcnt lgkmcnt(0)
	v_add_lshl_u32 v4, v3, v5, 2
	ds_bpermute_b32 v9, v4, v6
	ds_bpermute_b32 v3, v4, v1
	ds_bpermute_b32 v4, v4, v2
	v_cmpx_lt_u32_e64 v10, v8
	s_cbranch_execz .LBB742_34
; %bb.33:
	s_waitcnt lgkmcnt(2)
	v_and_b32_e32 v6, 1, v9
	s_waitcnt lgkmcnt(0)
	v_cmp_lt_i64_e32 vcc_lo, v[3:4], v[1:2]
	s_delay_alu instid0(VALU_DEP_2) | instskip(SKIP_1) | instid1(VALU_DEP_2)
	v_cmp_eq_u32_e64 s2, 1, v6
	v_and_b32_e32 v6, 1, v7
	v_cndmask_b32_e64 v7, v7, 1, s2
	s_and_b32 vcc_lo, s2, vcc_lo
	s_delay_alu instid0(VALU_DEP_2) | instskip(SKIP_1) | instid1(VALU_DEP_2)
	v_cmp_eq_u32_e64 s2, 1, v6
	v_dual_cndmask_b32 v1, v1, v3 :: v_dual_cndmask_b32 v2, v2, v4
	v_cndmask_b32_e64 v7, v9, v7, s2
	s_delay_alu instid0(VALU_DEP_2) | instskip(NEXT) | instid1(VALU_DEP_3)
	v_cndmask_b32_e64 v1, v3, v1, s2
	v_cndmask_b32_e64 v2, v4, v2, s2
	s_delay_alu instid0(VALU_DEP_3)
	v_and_b32_e32 v6, 0xff, v7
.LBB742_34:
	s_or_b32 exec_lo, exec_lo, s4
	v_cmp_gt_u32_e32 vcc_lo, 24, v5
	v_add_nc_u32_e32 v10, 8, v5
	s_mov_b32 s4, exec_lo
	s_waitcnt lgkmcnt(1)
	v_cndmask_b32_e64 v3, 0, 1, vcc_lo
	s_delay_alu instid0(VALU_DEP_1) | instskip(SKIP_1) | instid1(VALU_DEP_1)
	v_lshlrev_b32_e32 v3, 3, v3
	s_waitcnt lgkmcnt(0)
	;; [unrolled: 35-line block ×3, first 2 shown]
	v_add_lshl_u32 v4, v3, v5, 2
	ds_bpermute_b32 v9, v4, v6
	ds_bpermute_b32 v3, v4, v1
	;; [unrolled: 1-line block ×3, first 2 shown]
	v_cmpx_lt_u32_e64 v10, v8
	s_cbranch_execz .LBB742_38
; %bb.37:
	s_waitcnt lgkmcnt(2)
	v_and_b32_e32 v6, 1, v9
	s_waitcnt lgkmcnt(0)
	v_cmp_lt_i64_e32 vcc_lo, v[3:4], v[1:2]
	s_delay_alu instid0(VALU_DEP_2) | instskip(SKIP_1) | instid1(VALU_DEP_2)
	v_cmp_eq_u32_e64 s2, 1, v6
	v_and_b32_e32 v6, 1, v7
	v_cndmask_b32_e64 v7, v7, 1, s2
	s_and_b32 vcc_lo, s2, vcc_lo
	s_delay_alu instid0(VALU_DEP_2) | instskip(SKIP_1) | instid1(VALU_DEP_2)
	v_cmp_eq_u32_e64 s2, 1, v6
	v_dual_cndmask_b32 v1, v1, v3 :: v_dual_cndmask_b32 v2, v2, v4
	v_cndmask_b32_e64 v7, v9, v7, s2
	s_delay_alu instid0(VALU_DEP_2) | instskip(NEXT) | instid1(VALU_DEP_3)
	v_cndmask_b32_e64 v1, v3, v1, s2
	v_cndmask_b32_e64 v2, v4, v2, s2
	s_delay_alu instid0(VALU_DEP_3)
	v_and_b32_e32 v6, 0xff, v7
.LBB742_38:
	s_or_b32 exec_lo, exec_lo, s4
	s_delay_alu instid0(SALU_CYCLE_1)
	s_mov_b32 s2, exec_lo
	v_cmpx_eq_u32_e32 0, v5
	s_cbranch_execz .LBB742_40
; %bb.39:
	s_waitcnt lgkmcnt(1)
	v_lshrrev_b32_e32 v3, 1, v0
	s_delay_alu instid0(VALU_DEP_1)
	v_and_b32_e32 v3, 0x70, v3
	ds_store_b8 v3, v7 offset:128
	ds_store_b64 v3, v[1:2] offset:136
.LBB742_40:
	s_or_b32 exec_lo, exec_lo, s2
	s_delay_alu instid0(SALU_CYCLE_1)
	s_mov_b32 s4, exec_lo
	s_waitcnt lgkmcnt(0)
	s_barrier
	buffer_gl0_inv
	v_cmpx_gt_u32_e32 8, v0
	s_cbranch_execz .LBB742_48
; %bb.41:
	v_lshlrev_b32_e32 v1, 4, v5
	v_and_b32_e32 v8, 7, v5
	s_add_i32 s3, s3, 31
	s_mov_b32 s5, exec_lo
	s_lshr_b32 s3, s3, 5
	ds_load_u8 v7, v1 offset:128
	ds_load_b64 v[1:2], v1 offset:136
	v_cmp_ne_u32_e32 vcc_lo, 7, v8
	v_add_nc_u32_e32 v10, 1, v8
	v_add_co_ci_u32_e32 v3, vcc_lo, 0, v5, vcc_lo
	s_delay_alu instid0(VALU_DEP_1)
	v_lshlrev_b32_e32 v4, 2, v3
	s_waitcnt lgkmcnt(1)
	v_and_b32_e32 v6, 0xff, v7
	s_waitcnt lgkmcnt(0)
	ds_bpermute_b32 v3, v4, v1
	ds_bpermute_b32 v9, v4, v6
	;; [unrolled: 1-line block ×3, first 2 shown]
	v_cmpx_gt_u32_e64 s3, v10
	s_cbranch_execz .LBB742_43
; %bb.42:
	s_waitcnt lgkmcnt(1)
	v_and_b32_e32 v6, 1, v9
	s_waitcnt lgkmcnt(0)
	v_cmp_lt_i64_e32 vcc_lo, v[3:4], v[1:2]
	s_delay_alu instid0(VALU_DEP_2) | instskip(SKIP_1) | instid1(VALU_DEP_2)
	v_cmp_eq_u32_e64 s2, 1, v6
	v_and_b32_e32 v6, 1, v7
	v_cndmask_b32_e64 v7, v7, 1, s2
	s_and_b32 vcc_lo, s2, vcc_lo
	s_delay_alu instid0(VALU_DEP_2) | instskip(SKIP_1) | instid1(VALU_DEP_2)
	v_cmp_eq_u32_e64 s2, 1, v6
	v_dual_cndmask_b32 v1, v1, v3 :: v_dual_cndmask_b32 v2, v2, v4
	v_cndmask_b32_e64 v7, v9, v7, s2
	s_delay_alu instid0(VALU_DEP_2) | instskip(NEXT) | instid1(VALU_DEP_3)
	v_cndmask_b32_e64 v1, v3, v1, s2
	v_cndmask_b32_e64 v2, v4, v2, s2
	s_delay_alu instid0(VALU_DEP_3)
	v_and_b32_e32 v6, 0xff, v7
.LBB742_43:
	s_or_b32 exec_lo, exec_lo, s5
	v_cmp_gt_u32_e32 vcc_lo, 6, v8
	v_add_nc_u32_e32 v10, 2, v8
	s_mov_b32 s5, exec_lo
	s_waitcnt lgkmcnt(2)
	v_cndmask_b32_e64 v3, 0, 1, vcc_lo
	s_delay_alu instid0(VALU_DEP_1) | instskip(SKIP_1) | instid1(VALU_DEP_1)
	v_lshlrev_b32_e32 v3, 1, v3
	s_waitcnt lgkmcnt(0)
	v_add_lshl_u32 v4, v3, v5, 2
	ds_bpermute_b32 v9, v4, v6
	ds_bpermute_b32 v3, v4, v1
	;; [unrolled: 1-line block ×3, first 2 shown]
	v_cmpx_gt_u32_e64 s3, v10
	s_cbranch_execz .LBB742_45
; %bb.44:
	s_waitcnt lgkmcnt(2)
	v_and_b32_e32 v6, 1, v9
	s_waitcnt lgkmcnt(0)
	v_cmp_lt_i64_e32 vcc_lo, v[3:4], v[1:2]
	s_delay_alu instid0(VALU_DEP_2) | instskip(SKIP_1) | instid1(VALU_DEP_2)
	v_cmp_eq_u32_e64 s2, 1, v6
	v_and_b32_e32 v6, 1, v7
	v_cndmask_b32_e64 v7, v7, 1, s2
	s_and_b32 vcc_lo, s2, vcc_lo
	s_delay_alu instid0(VALU_DEP_2) | instskip(SKIP_1) | instid1(VALU_DEP_2)
	v_cmp_eq_u32_e64 s2, 1, v6
	v_dual_cndmask_b32 v1, v1, v3 :: v_dual_cndmask_b32 v2, v2, v4
	v_cndmask_b32_e64 v7, v9, v7, s2
	s_delay_alu instid0(VALU_DEP_2) | instskip(NEXT) | instid1(VALU_DEP_3)
	v_cndmask_b32_e64 v1, v3, v1, s2
	v_cndmask_b32_e64 v2, v4, v2, s2
	s_delay_alu instid0(VALU_DEP_3)
	v_and_b32_e32 v6, 0xff, v7
.LBB742_45:
	s_or_b32 exec_lo, exec_lo, s5
	v_cmp_gt_u32_e32 vcc_lo, 4, v8
	v_add_nc_u32_e32 v8, 4, v8
	s_waitcnt lgkmcnt(1)
	v_cndmask_b32_e64 v3, 0, 1, vcc_lo
	s_delay_alu instid0(VALU_DEP_2) | instskip(NEXT) | instid1(VALU_DEP_2)
	v_cmp_gt_u32_e32 vcc_lo, s3, v8
	v_lshlrev_b32_e32 v3, 2, v3
	s_waitcnt lgkmcnt(0)
	s_delay_alu instid0(VALU_DEP_1)
	v_add_lshl_u32 v4, v3, v5, 2
	ds_bpermute_b32 v5, v4, v6
	ds_bpermute_b32 v3, v4, v1
	;; [unrolled: 1-line block ×3, first 2 shown]
	s_and_saveexec_b32 s3, vcc_lo
	s_cbranch_execz .LBB742_47
; %bb.46:
	s_waitcnt lgkmcnt(2)
	v_and_b32_e32 v6, 1, v5
	s_waitcnt lgkmcnt(0)
	v_cmp_lt_i64_e32 vcc_lo, v[3:4], v[1:2]
	s_delay_alu instid0(VALU_DEP_2) | instskip(SKIP_1) | instid1(VALU_DEP_2)
	v_cmp_eq_u32_e64 s2, 1, v6
	v_and_b32_e32 v6, 1, v7
	v_cndmask_b32_e64 v7, v7, 1, s2
	s_and_b32 vcc_lo, s2, vcc_lo
	s_delay_alu instid0(VALU_DEP_2) | instskip(SKIP_1) | instid1(VALU_DEP_2)
	v_cmp_eq_u32_e64 s2, 1, v6
	v_dual_cndmask_b32 v1, v1, v3 :: v_dual_cndmask_b32 v2, v2, v4
	v_cndmask_b32_e64 v5, v5, v7, s2
	s_delay_alu instid0(VALU_DEP_2) | instskip(NEXT) | instid1(VALU_DEP_3)
	v_cndmask_b32_e64 v1, v3, v1, s2
	v_cndmask_b32_e64 v2, v4, v2, s2
	s_delay_alu instid0(VALU_DEP_3)
	v_and_b32_e32 v6, 0xff, v5
.LBB742_47:
	s_or_b32 exec_lo, exec_lo, s3
.LBB742_48:
	s_delay_alu instid0(SALU_CYCLE_1)
	s_or_b32 exec_lo, exec_lo, s4
.LBB742_49:
	s_load_b32 s0, s[0:1], 0x50
	s_mov_b32 s1, exec_lo
	v_cmpx_eq_u32_e32 0, v0
	s_cbranch_execz .LBB742_51
; %bb.50:
	s_mul_i32 s1, s14, s13
	s_mul_hi_u32 s2, s14, s12
	s_mul_i32 s3, s15, s12
	s_add_i32 s1, s2, s1
	s_mul_i32 s2, s14, s12
	s_add_i32 s3, s1, s3
	v_mov_b32_e32 v0, 0
	s_lshl_b64 s[2:3], s[2:3], 4
	s_delay_alu instid0(SALU_CYCLE_1)
	s_add_u32 s1, s10, s2
	s_addc_u32 s4, s11, s3
	s_cmp_eq_u64 s[8:9], 0
	s_cselect_b32 s5, -1, 0
	s_lshl_b64 s[2:3], s[16:17], 4
	s_waitcnt lgkmcnt(0)
	v_cndmask_b32_e64 v3, v6, s0, s5
	v_cndmask_b32_e64 v2, v2, s7, s5
	;; [unrolled: 1-line block ×3, first 2 shown]
	s_add_u32 s0, s1, s2
	s_addc_u32 s1, s4, s3
	s_clause 0x1
	global_store_b8 v0, v3, s[0:1]
	global_store_b64 v0, v[1:2], s[0:1] offset:8
.LBB742_51:
	s_nop 0
	s_sendmsg sendmsg(MSG_DEALLOC_VGPRS)
	s_endpgm
.LBB742_52:
	v_lshlrev_b32_e32 v3, 9, v13
	s_clause 0x1
	global_load_u8 v10, v3, s[18:19]
	global_load_u8 v14, v3, s[20:21]
	v_add_co_u32 v3, s4, s5, v13
	s_delay_alu instid0(VALU_DEP_1) | instskip(SKIP_2) | instid1(VALU_DEP_1)
	v_add_co_ci_u32_e64 v4, null, s23, 0, s4
	s_waitcnt vmcnt(0)
	v_cmp_ne_u16_e64 s4, v10, v14
	v_cndmask_b32_e64 v10, 0, 1, s4
	s_or_b32 exec_lo, exec_lo, s24
	s_and_saveexec_b32 s5, s3
	s_cbranch_execz .LBB742_25
.LBB742_53:
	v_and_b32_e32 v13, 1, v11
	v_cmp_lt_i64_e64 s3, v[5:6], v[1:2]
	s_delay_alu instid0(VALU_DEP_2) | instskip(SKIP_1) | instid1(VALU_DEP_2)
	v_cmp_eq_u32_e64 s4, 1, v13
	v_and_b32_e32 v13, 1, v9
	s_and_b32 s3, s4, s3
	v_cndmask_b32_e64 v9, v9, 1, s4
	v_cndmask_b32_e64 v1, v1, v5, s3
	;; [unrolled: 1-line block ×3, first 2 shown]
	v_cmp_eq_u32_e64 s3, 1, v13
	s_delay_alu instid0(VALU_DEP_1) | instskip(NEXT) | instid1(VALU_DEP_3)
	v_cndmask_b32_e64 v9, v11, v9, s3
	v_cndmask_b32_e64 v2, v6, v2, s3
	;; [unrolled: 1-line block ×3, first 2 shown]
	s_or_b32 exec_lo, exec_lo, s5
	s_and_saveexec_b32 s4, s2
	s_cbranch_execz .LBB742_26
.LBB742_54:
	v_and_b32_e32 v5, 1, v12
	v_cmp_lt_i64_e64 s2, v[7:8], v[1:2]
	s_delay_alu instid0(VALU_DEP_2) | instskip(SKIP_1) | instid1(VALU_DEP_2)
	v_cmp_eq_u32_e64 s3, 1, v5
	v_and_b32_e32 v5, 1, v9
	s_and_b32 s2, s3, s2
	v_cndmask_b32_e64 v6, v9, 1, s3
	v_cndmask_b32_e64 v1, v1, v7, s2
	;; [unrolled: 1-line block ×3, first 2 shown]
	v_cmp_eq_u32_e64 s2, 1, v5
	s_delay_alu instid0(VALU_DEP_1) | instskip(NEXT) | instid1(VALU_DEP_3)
	v_cndmask_b32_e64 v9, v12, v6, s2
	v_cndmask_b32_e64 v2, v8, v2, s2
	;; [unrolled: 1-line block ×3, first 2 shown]
	s_or_b32 exec_lo, exec_lo, s4
	s_and_saveexec_b32 s3, vcc_lo
	s_cbranch_execnz .LBB742_27
	s_branch .LBB742_28
	.section	.rodata,"a",@progbits
	.p2align	6, 0x0
	.amdhsa_kernel _ZN7rocprim17ROCPRIM_400000_NS6detail17trampoline_kernelINS0_14default_configENS1_22reduce_config_selectorIN6thrust23THRUST_200600_302600_NS5tupleIblNS6_9null_typeES8_S8_S8_S8_S8_S8_S8_EEEEZNS1_11reduce_implILb1ES3_NS6_12zip_iteratorINS7_INS6_11hip_rocprim26transform_input_iterator_tIbNSD_35transform_pair_of_input_iterators_tIbNS6_6detail15normal_iteratorINS6_10device_ptrIK10large_dataEEEESM_NS6_8equal_toISJ_EEEENSG_9not_fun_tINSD_8identityEEEEENSD_19counting_iterator_tIlEES8_S8_S8_S8_S8_S8_S8_S8_EEEEPS9_S9_NSD_9__find_if7functorIS9_EEEE10hipError_tPvRmT1_T2_T3_mT4_P12ihipStream_tbEUlT_E0_NS1_11comp_targetILNS1_3genE9ELNS1_11target_archE1100ELNS1_3gpuE3ELNS1_3repE0EEENS1_30default_config_static_selectorELNS0_4arch9wavefront6targetE0EEEvS15_
		.amdhsa_group_segment_fixed_size 256
		.amdhsa_private_segment_fixed_size 0
		.amdhsa_kernarg_size 104
		.amdhsa_user_sgpr_count 15
		.amdhsa_user_sgpr_dispatch_ptr 0
		.amdhsa_user_sgpr_queue_ptr 0
		.amdhsa_user_sgpr_kernarg_segment_ptr 1
		.amdhsa_user_sgpr_dispatch_id 0
		.amdhsa_user_sgpr_private_segment_size 0
		.amdhsa_wavefront_size32 1
		.amdhsa_uses_dynamic_stack 0
		.amdhsa_enable_private_segment 0
		.amdhsa_system_sgpr_workgroup_id_x 1
		.amdhsa_system_sgpr_workgroup_id_y 0
		.amdhsa_system_sgpr_workgroup_id_z 0
		.amdhsa_system_sgpr_workgroup_info 0
		.amdhsa_system_vgpr_workitem_id 0
		.amdhsa_next_free_vgpr 15
		.amdhsa_next_free_sgpr 28
		.amdhsa_reserve_vcc 1
		.amdhsa_float_round_mode_32 0
		.amdhsa_float_round_mode_16_64 0
		.amdhsa_float_denorm_mode_32 3
		.amdhsa_float_denorm_mode_16_64 3
		.amdhsa_dx10_clamp 1
		.amdhsa_ieee_mode 1
		.amdhsa_fp16_overflow 0
		.amdhsa_workgroup_processor_mode 1
		.amdhsa_memory_ordered 1
		.amdhsa_forward_progress 0
		.amdhsa_shared_vgpr_count 0
		.amdhsa_exception_fp_ieee_invalid_op 0
		.amdhsa_exception_fp_denorm_src 0
		.amdhsa_exception_fp_ieee_div_zero 0
		.amdhsa_exception_fp_ieee_overflow 0
		.amdhsa_exception_fp_ieee_underflow 0
		.amdhsa_exception_fp_ieee_inexact 0
		.amdhsa_exception_int_div_zero 0
	.end_amdhsa_kernel
	.section	.text._ZN7rocprim17ROCPRIM_400000_NS6detail17trampoline_kernelINS0_14default_configENS1_22reduce_config_selectorIN6thrust23THRUST_200600_302600_NS5tupleIblNS6_9null_typeES8_S8_S8_S8_S8_S8_S8_EEEEZNS1_11reduce_implILb1ES3_NS6_12zip_iteratorINS7_INS6_11hip_rocprim26transform_input_iterator_tIbNSD_35transform_pair_of_input_iterators_tIbNS6_6detail15normal_iteratorINS6_10device_ptrIK10large_dataEEEESM_NS6_8equal_toISJ_EEEENSG_9not_fun_tINSD_8identityEEEEENSD_19counting_iterator_tIlEES8_S8_S8_S8_S8_S8_S8_S8_EEEEPS9_S9_NSD_9__find_if7functorIS9_EEEE10hipError_tPvRmT1_T2_T3_mT4_P12ihipStream_tbEUlT_E0_NS1_11comp_targetILNS1_3genE9ELNS1_11target_archE1100ELNS1_3gpuE3ELNS1_3repE0EEENS1_30default_config_static_selectorELNS0_4arch9wavefront6targetE0EEEvS15_,"axG",@progbits,_ZN7rocprim17ROCPRIM_400000_NS6detail17trampoline_kernelINS0_14default_configENS1_22reduce_config_selectorIN6thrust23THRUST_200600_302600_NS5tupleIblNS6_9null_typeES8_S8_S8_S8_S8_S8_S8_EEEEZNS1_11reduce_implILb1ES3_NS6_12zip_iteratorINS7_INS6_11hip_rocprim26transform_input_iterator_tIbNSD_35transform_pair_of_input_iterators_tIbNS6_6detail15normal_iteratorINS6_10device_ptrIK10large_dataEEEESM_NS6_8equal_toISJ_EEEENSG_9not_fun_tINSD_8identityEEEEENSD_19counting_iterator_tIlEES8_S8_S8_S8_S8_S8_S8_S8_EEEEPS9_S9_NSD_9__find_if7functorIS9_EEEE10hipError_tPvRmT1_T2_T3_mT4_P12ihipStream_tbEUlT_E0_NS1_11comp_targetILNS1_3genE9ELNS1_11target_archE1100ELNS1_3gpuE3ELNS1_3repE0EEENS1_30default_config_static_selectorELNS0_4arch9wavefront6targetE0EEEvS15_,comdat
.Lfunc_end742:
	.size	_ZN7rocprim17ROCPRIM_400000_NS6detail17trampoline_kernelINS0_14default_configENS1_22reduce_config_selectorIN6thrust23THRUST_200600_302600_NS5tupleIblNS6_9null_typeES8_S8_S8_S8_S8_S8_S8_EEEEZNS1_11reduce_implILb1ES3_NS6_12zip_iteratorINS7_INS6_11hip_rocprim26transform_input_iterator_tIbNSD_35transform_pair_of_input_iterators_tIbNS6_6detail15normal_iteratorINS6_10device_ptrIK10large_dataEEEESM_NS6_8equal_toISJ_EEEENSG_9not_fun_tINSD_8identityEEEEENSD_19counting_iterator_tIlEES8_S8_S8_S8_S8_S8_S8_S8_EEEEPS9_S9_NSD_9__find_if7functorIS9_EEEE10hipError_tPvRmT1_T2_T3_mT4_P12ihipStream_tbEUlT_E0_NS1_11comp_targetILNS1_3genE9ELNS1_11target_archE1100ELNS1_3gpuE3ELNS1_3repE0EEENS1_30default_config_static_selectorELNS0_4arch9wavefront6targetE0EEEvS15_, .Lfunc_end742-_ZN7rocprim17ROCPRIM_400000_NS6detail17trampoline_kernelINS0_14default_configENS1_22reduce_config_selectorIN6thrust23THRUST_200600_302600_NS5tupleIblNS6_9null_typeES8_S8_S8_S8_S8_S8_S8_EEEEZNS1_11reduce_implILb1ES3_NS6_12zip_iteratorINS7_INS6_11hip_rocprim26transform_input_iterator_tIbNSD_35transform_pair_of_input_iterators_tIbNS6_6detail15normal_iteratorINS6_10device_ptrIK10large_dataEEEESM_NS6_8equal_toISJ_EEEENSG_9not_fun_tINSD_8identityEEEEENSD_19counting_iterator_tIlEES8_S8_S8_S8_S8_S8_S8_S8_EEEEPS9_S9_NSD_9__find_if7functorIS9_EEEE10hipError_tPvRmT1_T2_T3_mT4_P12ihipStream_tbEUlT_E0_NS1_11comp_targetILNS1_3genE9ELNS1_11target_archE1100ELNS1_3gpuE3ELNS1_3repE0EEENS1_30default_config_static_selectorELNS0_4arch9wavefront6targetE0EEEvS15_
                                        ; -- End function
	.section	.AMDGPU.csdata,"",@progbits
; Kernel info:
; codeLenInByte = 4220
; NumSgprs: 30
; NumVgprs: 15
; ScratchSize: 0
; MemoryBound: 0
; FloatMode: 240
; IeeeMode: 1
; LDSByteSize: 256 bytes/workgroup (compile time only)
; SGPRBlocks: 3
; VGPRBlocks: 1
; NumSGPRsForWavesPerEU: 30
; NumVGPRsForWavesPerEU: 15
; Occupancy: 16
; WaveLimiterHint : 0
; COMPUTE_PGM_RSRC2:SCRATCH_EN: 0
; COMPUTE_PGM_RSRC2:USER_SGPR: 15
; COMPUTE_PGM_RSRC2:TRAP_HANDLER: 0
; COMPUTE_PGM_RSRC2:TGID_X_EN: 1
; COMPUTE_PGM_RSRC2:TGID_Y_EN: 0
; COMPUTE_PGM_RSRC2:TGID_Z_EN: 0
; COMPUTE_PGM_RSRC2:TIDIG_COMP_CNT: 0
	.section	.text._ZN7rocprim17ROCPRIM_400000_NS6detail17trampoline_kernelINS0_14default_configENS1_22reduce_config_selectorIN6thrust23THRUST_200600_302600_NS5tupleIblNS6_9null_typeES8_S8_S8_S8_S8_S8_S8_EEEEZNS1_11reduce_implILb1ES3_NS6_12zip_iteratorINS7_INS6_11hip_rocprim26transform_input_iterator_tIbNSD_35transform_pair_of_input_iterators_tIbNS6_6detail15normal_iteratorINS6_10device_ptrIK10large_dataEEEESM_NS6_8equal_toISJ_EEEENSG_9not_fun_tINSD_8identityEEEEENSD_19counting_iterator_tIlEES8_S8_S8_S8_S8_S8_S8_S8_EEEEPS9_S9_NSD_9__find_if7functorIS9_EEEE10hipError_tPvRmT1_T2_T3_mT4_P12ihipStream_tbEUlT_E0_NS1_11comp_targetILNS1_3genE8ELNS1_11target_archE1030ELNS1_3gpuE2ELNS1_3repE0EEENS1_30default_config_static_selectorELNS0_4arch9wavefront6targetE0EEEvS15_,"axG",@progbits,_ZN7rocprim17ROCPRIM_400000_NS6detail17trampoline_kernelINS0_14default_configENS1_22reduce_config_selectorIN6thrust23THRUST_200600_302600_NS5tupleIblNS6_9null_typeES8_S8_S8_S8_S8_S8_S8_EEEEZNS1_11reduce_implILb1ES3_NS6_12zip_iteratorINS7_INS6_11hip_rocprim26transform_input_iterator_tIbNSD_35transform_pair_of_input_iterators_tIbNS6_6detail15normal_iteratorINS6_10device_ptrIK10large_dataEEEESM_NS6_8equal_toISJ_EEEENSG_9not_fun_tINSD_8identityEEEEENSD_19counting_iterator_tIlEES8_S8_S8_S8_S8_S8_S8_S8_EEEEPS9_S9_NSD_9__find_if7functorIS9_EEEE10hipError_tPvRmT1_T2_T3_mT4_P12ihipStream_tbEUlT_E0_NS1_11comp_targetILNS1_3genE8ELNS1_11target_archE1030ELNS1_3gpuE2ELNS1_3repE0EEENS1_30default_config_static_selectorELNS0_4arch9wavefront6targetE0EEEvS15_,comdat
	.protected	_ZN7rocprim17ROCPRIM_400000_NS6detail17trampoline_kernelINS0_14default_configENS1_22reduce_config_selectorIN6thrust23THRUST_200600_302600_NS5tupleIblNS6_9null_typeES8_S8_S8_S8_S8_S8_S8_EEEEZNS1_11reduce_implILb1ES3_NS6_12zip_iteratorINS7_INS6_11hip_rocprim26transform_input_iterator_tIbNSD_35transform_pair_of_input_iterators_tIbNS6_6detail15normal_iteratorINS6_10device_ptrIK10large_dataEEEESM_NS6_8equal_toISJ_EEEENSG_9not_fun_tINSD_8identityEEEEENSD_19counting_iterator_tIlEES8_S8_S8_S8_S8_S8_S8_S8_EEEEPS9_S9_NSD_9__find_if7functorIS9_EEEE10hipError_tPvRmT1_T2_T3_mT4_P12ihipStream_tbEUlT_E0_NS1_11comp_targetILNS1_3genE8ELNS1_11target_archE1030ELNS1_3gpuE2ELNS1_3repE0EEENS1_30default_config_static_selectorELNS0_4arch9wavefront6targetE0EEEvS15_ ; -- Begin function _ZN7rocprim17ROCPRIM_400000_NS6detail17trampoline_kernelINS0_14default_configENS1_22reduce_config_selectorIN6thrust23THRUST_200600_302600_NS5tupleIblNS6_9null_typeES8_S8_S8_S8_S8_S8_S8_EEEEZNS1_11reduce_implILb1ES3_NS6_12zip_iteratorINS7_INS6_11hip_rocprim26transform_input_iterator_tIbNSD_35transform_pair_of_input_iterators_tIbNS6_6detail15normal_iteratorINS6_10device_ptrIK10large_dataEEEESM_NS6_8equal_toISJ_EEEENSG_9not_fun_tINSD_8identityEEEEENSD_19counting_iterator_tIlEES8_S8_S8_S8_S8_S8_S8_S8_EEEEPS9_S9_NSD_9__find_if7functorIS9_EEEE10hipError_tPvRmT1_T2_T3_mT4_P12ihipStream_tbEUlT_E0_NS1_11comp_targetILNS1_3genE8ELNS1_11target_archE1030ELNS1_3gpuE2ELNS1_3repE0EEENS1_30default_config_static_selectorELNS0_4arch9wavefront6targetE0EEEvS15_
	.globl	_ZN7rocprim17ROCPRIM_400000_NS6detail17trampoline_kernelINS0_14default_configENS1_22reduce_config_selectorIN6thrust23THRUST_200600_302600_NS5tupleIblNS6_9null_typeES8_S8_S8_S8_S8_S8_S8_EEEEZNS1_11reduce_implILb1ES3_NS6_12zip_iteratorINS7_INS6_11hip_rocprim26transform_input_iterator_tIbNSD_35transform_pair_of_input_iterators_tIbNS6_6detail15normal_iteratorINS6_10device_ptrIK10large_dataEEEESM_NS6_8equal_toISJ_EEEENSG_9not_fun_tINSD_8identityEEEEENSD_19counting_iterator_tIlEES8_S8_S8_S8_S8_S8_S8_S8_EEEEPS9_S9_NSD_9__find_if7functorIS9_EEEE10hipError_tPvRmT1_T2_T3_mT4_P12ihipStream_tbEUlT_E0_NS1_11comp_targetILNS1_3genE8ELNS1_11target_archE1030ELNS1_3gpuE2ELNS1_3repE0EEENS1_30default_config_static_selectorELNS0_4arch9wavefront6targetE0EEEvS15_
	.p2align	8
	.type	_ZN7rocprim17ROCPRIM_400000_NS6detail17trampoline_kernelINS0_14default_configENS1_22reduce_config_selectorIN6thrust23THRUST_200600_302600_NS5tupleIblNS6_9null_typeES8_S8_S8_S8_S8_S8_S8_EEEEZNS1_11reduce_implILb1ES3_NS6_12zip_iteratorINS7_INS6_11hip_rocprim26transform_input_iterator_tIbNSD_35transform_pair_of_input_iterators_tIbNS6_6detail15normal_iteratorINS6_10device_ptrIK10large_dataEEEESM_NS6_8equal_toISJ_EEEENSG_9not_fun_tINSD_8identityEEEEENSD_19counting_iterator_tIlEES8_S8_S8_S8_S8_S8_S8_S8_EEEEPS9_S9_NSD_9__find_if7functorIS9_EEEE10hipError_tPvRmT1_T2_T3_mT4_P12ihipStream_tbEUlT_E0_NS1_11comp_targetILNS1_3genE8ELNS1_11target_archE1030ELNS1_3gpuE2ELNS1_3repE0EEENS1_30default_config_static_selectorELNS0_4arch9wavefront6targetE0EEEvS15_,@function
_ZN7rocprim17ROCPRIM_400000_NS6detail17trampoline_kernelINS0_14default_configENS1_22reduce_config_selectorIN6thrust23THRUST_200600_302600_NS5tupleIblNS6_9null_typeES8_S8_S8_S8_S8_S8_S8_EEEEZNS1_11reduce_implILb1ES3_NS6_12zip_iteratorINS7_INS6_11hip_rocprim26transform_input_iterator_tIbNSD_35transform_pair_of_input_iterators_tIbNS6_6detail15normal_iteratorINS6_10device_ptrIK10large_dataEEEESM_NS6_8equal_toISJ_EEEENSG_9not_fun_tINSD_8identityEEEEENSD_19counting_iterator_tIlEES8_S8_S8_S8_S8_S8_S8_S8_EEEEPS9_S9_NSD_9__find_if7functorIS9_EEEE10hipError_tPvRmT1_T2_T3_mT4_P12ihipStream_tbEUlT_E0_NS1_11comp_targetILNS1_3genE8ELNS1_11target_archE1030ELNS1_3gpuE2ELNS1_3repE0EEENS1_30default_config_static_selectorELNS0_4arch9wavefront6targetE0EEEvS15_: ; @_ZN7rocprim17ROCPRIM_400000_NS6detail17trampoline_kernelINS0_14default_configENS1_22reduce_config_selectorIN6thrust23THRUST_200600_302600_NS5tupleIblNS6_9null_typeES8_S8_S8_S8_S8_S8_S8_EEEEZNS1_11reduce_implILb1ES3_NS6_12zip_iteratorINS7_INS6_11hip_rocprim26transform_input_iterator_tIbNSD_35transform_pair_of_input_iterators_tIbNS6_6detail15normal_iteratorINS6_10device_ptrIK10large_dataEEEESM_NS6_8equal_toISJ_EEEENSG_9not_fun_tINSD_8identityEEEEENSD_19counting_iterator_tIlEES8_S8_S8_S8_S8_S8_S8_S8_EEEEPS9_S9_NSD_9__find_if7functorIS9_EEEE10hipError_tPvRmT1_T2_T3_mT4_P12ihipStream_tbEUlT_E0_NS1_11comp_targetILNS1_3genE8ELNS1_11target_archE1030ELNS1_3gpuE2ELNS1_3repE0EEENS1_30default_config_static_selectorELNS0_4arch9wavefront6targetE0EEEvS15_
; %bb.0:
	.section	.rodata,"a",@progbits
	.p2align	6, 0x0
	.amdhsa_kernel _ZN7rocprim17ROCPRIM_400000_NS6detail17trampoline_kernelINS0_14default_configENS1_22reduce_config_selectorIN6thrust23THRUST_200600_302600_NS5tupleIblNS6_9null_typeES8_S8_S8_S8_S8_S8_S8_EEEEZNS1_11reduce_implILb1ES3_NS6_12zip_iteratorINS7_INS6_11hip_rocprim26transform_input_iterator_tIbNSD_35transform_pair_of_input_iterators_tIbNS6_6detail15normal_iteratorINS6_10device_ptrIK10large_dataEEEESM_NS6_8equal_toISJ_EEEENSG_9not_fun_tINSD_8identityEEEEENSD_19counting_iterator_tIlEES8_S8_S8_S8_S8_S8_S8_S8_EEEEPS9_S9_NSD_9__find_if7functorIS9_EEEE10hipError_tPvRmT1_T2_T3_mT4_P12ihipStream_tbEUlT_E0_NS1_11comp_targetILNS1_3genE8ELNS1_11target_archE1030ELNS1_3gpuE2ELNS1_3repE0EEENS1_30default_config_static_selectorELNS0_4arch9wavefront6targetE0EEEvS15_
		.amdhsa_group_segment_fixed_size 0
		.amdhsa_private_segment_fixed_size 0
		.amdhsa_kernarg_size 104
		.amdhsa_user_sgpr_count 15
		.amdhsa_user_sgpr_dispatch_ptr 0
		.amdhsa_user_sgpr_queue_ptr 0
		.amdhsa_user_sgpr_kernarg_segment_ptr 1
		.amdhsa_user_sgpr_dispatch_id 0
		.amdhsa_user_sgpr_private_segment_size 0
		.amdhsa_wavefront_size32 1
		.amdhsa_uses_dynamic_stack 0
		.amdhsa_enable_private_segment 0
		.amdhsa_system_sgpr_workgroup_id_x 1
		.amdhsa_system_sgpr_workgroup_id_y 0
		.amdhsa_system_sgpr_workgroup_id_z 0
		.amdhsa_system_sgpr_workgroup_info 0
		.amdhsa_system_vgpr_workitem_id 0
		.amdhsa_next_free_vgpr 1
		.amdhsa_next_free_sgpr 1
		.amdhsa_reserve_vcc 0
		.amdhsa_float_round_mode_32 0
		.amdhsa_float_round_mode_16_64 0
		.amdhsa_float_denorm_mode_32 3
		.amdhsa_float_denorm_mode_16_64 3
		.amdhsa_dx10_clamp 1
		.amdhsa_ieee_mode 1
		.amdhsa_fp16_overflow 0
		.amdhsa_workgroup_processor_mode 1
		.amdhsa_memory_ordered 1
		.amdhsa_forward_progress 0
		.amdhsa_shared_vgpr_count 0
		.amdhsa_exception_fp_ieee_invalid_op 0
		.amdhsa_exception_fp_denorm_src 0
		.amdhsa_exception_fp_ieee_div_zero 0
		.amdhsa_exception_fp_ieee_overflow 0
		.amdhsa_exception_fp_ieee_underflow 0
		.amdhsa_exception_fp_ieee_inexact 0
		.amdhsa_exception_int_div_zero 0
	.end_amdhsa_kernel
	.section	.text._ZN7rocprim17ROCPRIM_400000_NS6detail17trampoline_kernelINS0_14default_configENS1_22reduce_config_selectorIN6thrust23THRUST_200600_302600_NS5tupleIblNS6_9null_typeES8_S8_S8_S8_S8_S8_S8_EEEEZNS1_11reduce_implILb1ES3_NS6_12zip_iteratorINS7_INS6_11hip_rocprim26transform_input_iterator_tIbNSD_35transform_pair_of_input_iterators_tIbNS6_6detail15normal_iteratorINS6_10device_ptrIK10large_dataEEEESM_NS6_8equal_toISJ_EEEENSG_9not_fun_tINSD_8identityEEEEENSD_19counting_iterator_tIlEES8_S8_S8_S8_S8_S8_S8_S8_EEEEPS9_S9_NSD_9__find_if7functorIS9_EEEE10hipError_tPvRmT1_T2_T3_mT4_P12ihipStream_tbEUlT_E0_NS1_11comp_targetILNS1_3genE8ELNS1_11target_archE1030ELNS1_3gpuE2ELNS1_3repE0EEENS1_30default_config_static_selectorELNS0_4arch9wavefront6targetE0EEEvS15_,"axG",@progbits,_ZN7rocprim17ROCPRIM_400000_NS6detail17trampoline_kernelINS0_14default_configENS1_22reduce_config_selectorIN6thrust23THRUST_200600_302600_NS5tupleIblNS6_9null_typeES8_S8_S8_S8_S8_S8_S8_EEEEZNS1_11reduce_implILb1ES3_NS6_12zip_iteratorINS7_INS6_11hip_rocprim26transform_input_iterator_tIbNSD_35transform_pair_of_input_iterators_tIbNS6_6detail15normal_iteratorINS6_10device_ptrIK10large_dataEEEESM_NS6_8equal_toISJ_EEEENSG_9not_fun_tINSD_8identityEEEEENSD_19counting_iterator_tIlEES8_S8_S8_S8_S8_S8_S8_S8_EEEEPS9_S9_NSD_9__find_if7functorIS9_EEEE10hipError_tPvRmT1_T2_T3_mT4_P12ihipStream_tbEUlT_E0_NS1_11comp_targetILNS1_3genE8ELNS1_11target_archE1030ELNS1_3gpuE2ELNS1_3repE0EEENS1_30default_config_static_selectorELNS0_4arch9wavefront6targetE0EEEvS15_,comdat
.Lfunc_end743:
	.size	_ZN7rocprim17ROCPRIM_400000_NS6detail17trampoline_kernelINS0_14default_configENS1_22reduce_config_selectorIN6thrust23THRUST_200600_302600_NS5tupleIblNS6_9null_typeES8_S8_S8_S8_S8_S8_S8_EEEEZNS1_11reduce_implILb1ES3_NS6_12zip_iteratorINS7_INS6_11hip_rocprim26transform_input_iterator_tIbNSD_35transform_pair_of_input_iterators_tIbNS6_6detail15normal_iteratorINS6_10device_ptrIK10large_dataEEEESM_NS6_8equal_toISJ_EEEENSG_9not_fun_tINSD_8identityEEEEENSD_19counting_iterator_tIlEES8_S8_S8_S8_S8_S8_S8_S8_EEEEPS9_S9_NSD_9__find_if7functorIS9_EEEE10hipError_tPvRmT1_T2_T3_mT4_P12ihipStream_tbEUlT_E0_NS1_11comp_targetILNS1_3genE8ELNS1_11target_archE1030ELNS1_3gpuE2ELNS1_3repE0EEENS1_30default_config_static_selectorELNS0_4arch9wavefront6targetE0EEEvS15_, .Lfunc_end743-_ZN7rocprim17ROCPRIM_400000_NS6detail17trampoline_kernelINS0_14default_configENS1_22reduce_config_selectorIN6thrust23THRUST_200600_302600_NS5tupleIblNS6_9null_typeES8_S8_S8_S8_S8_S8_S8_EEEEZNS1_11reduce_implILb1ES3_NS6_12zip_iteratorINS7_INS6_11hip_rocprim26transform_input_iterator_tIbNSD_35transform_pair_of_input_iterators_tIbNS6_6detail15normal_iteratorINS6_10device_ptrIK10large_dataEEEESM_NS6_8equal_toISJ_EEEENSG_9not_fun_tINSD_8identityEEEEENSD_19counting_iterator_tIlEES8_S8_S8_S8_S8_S8_S8_S8_EEEEPS9_S9_NSD_9__find_if7functorIS9_EEEE10hipError_tPvRmT1_T2_T3_mT4_P12ihipStream_tbEUlT_E0_NS1_11comp_targetILNS1_3genE8ELNS1_11target_archE1030ELNS1_3gpuE2ELNS1_3repE0EEENS1_30default_config_static_selectorELNS0_4arch9wavefront6targetE0EEEvS15_
                                        ; -- End function
	.section	.AMDGPU.csdata,"",@progbits
; Kernel info:
; codeLenInByte = 0
; NumSgprs: 0
; NumVgprs: 0
; ScratchSize: 0
; MemoryBound: 0
; FloatMode: 240
; IeeeMode: 1
; LDSByteSize: 0 bytes/workgroup (compile time only)
; SGPRBlocks: 0
; VGPRBlocks: 0
; NumSGPRsForWavesPerEU: 1
; NumVGPRsForWavesPerEU: 1
; Occupancy: 16
; WaveLimiterHint : 0
; COMPUTE_PGM_RSRC2:SCRATCH_EN: 0
; COMPUTE_PGM_RSRC2:USER_SGPR: 15
; COMPUTE_PGM_RSRC2:TRAP_HANDLER: 0
; COMPUTE_PGM_RSRC2:TGID_X_EN: 1
; COMPUTE_PGM_RSRC2:TGID_Y_EN: 0
; COMPUTE_PGM_RSRC2:TGID_Z_EN: 0
; COMPUTE_PGM_RSRC2:TIDIG_COMP_CNT: 0
	.section	.text._ZN7rocprim17ROCPRIM_400000_NS6detail17trampoline_kernelINS0_14default_configENS1_22reduce_config_selectorIN6thrust23THRUST_200600_302600_NS5tupleIblNS6_9null_typeES8_S8_S8_S8_S8_S8_S8_EEEEZNS1_11reduce_implILb1ES3_NS6_12zip_iteratorINS7_INS6_11hip_rocprim26transform_input_iterator_tIbNSD_35transform_pair_of_input_iterators_tIbNS6_6detail15normal_iteratorINS6_10device_ptrIK10large_dataEEEESM_NS6_8equal_toISJ_EEEENSG_9not_fun_tINSD_8identityEEEEENSD_19counting_iterator_tIlEES8_S8_S8_S8_S8_S8_S8_S8_EEEEPS9_S9_NSD_9__find_if7functorIS9_EEEE10hipError_tPvRmT1_T2_T3_mT4_P12ihipStream_tbEUlT_E1_NS1_11comp_targetILNS1_3genE0ELNS1_11target_archE4294967295ELNS1_3gpuE0ELNS1_3repE0EEENS1_30default_config_static_selectorELNS0_4arch9wavefront6targetE0EEEvS15_,"axG",@progbits,_ZN7rocprim17ROCPRIM_400000_NS6detail17trampoline_kernelINS0_14default_configENS1_22reduce_config_selectorIN6thrust23THRUST_200600_302600_NS5tupleIblNS6_9null_typeES8_S8_S8_S8_S8_S8_S8_EEEEZNS1_11reduce_implILb1ES3_NS6_12zip_iteratorINS7_INS6_11hip_rocprim26transform_input_iterator_tIbNSD_35transform_pair_of_input_iterators_tIbNS6_6detail15normal_iteratorINS6_10device_ptrIK10large_dataEEEESM_NS6_8equal_toISJ_EEEENSG_9not_fun_tINSD_8identityEEEEENSD_19counting_iterator_tIlEES8_S8_S8_S8_S8_S8_S8_S8_EEEEPS9_S9_NSD_9__find_if7functorIS9_EEEE10hipError_tPvRmT1_T2_T3_mT4_P12ihipStream_tbEUlT_E1_NS1_11comp_targetILNS1_3genE0ELNS1_11target_archE4294967295ELNS1_3gpuE0ELNS1_3repE0EEENS1_30default_config_static_selectorELNS0_4arch9wavefront6targetE0EEEvS15_,comdat
	.protected	_ZN7rocprim17ROCPRIM_400000_NS6detail17trampoline_kernelINS0_14default_configENS1_22reduce_config_selectorIN6thrust23THRUST_200600_302600_NS5tupleIblNS6_9null_typeES8_S8_S8_S8_S8_S8_S8_EEEEZNS1_11reduce_implILb1ES3_NS6_12zip_iteratorINS7_INS6_11hip_rocprim26transform_input_iterator_tIbNSD_35transform_pair_of_input_iterators_tIbNS6_6detail15normal_iteratorINS6_10device_ptrIK10large_dataEEEESM_NS6_8equal_toISJ_EEEENSG_9not_fun_tINSD_8identityEEEEENSD_19counting_iterator_tIlEES8_S8_S8_S8_S8_S8_S8_S8_EEEEPS9_S9_NSD_9__find_if7functorIS9_EEEE10hipError_tPvRmT1_T2_T3_mT4_P12ihipStream_tbEUlT_E1_NS1_11comp_targetILNS1_3genE0ELNS1_11target_archE4294967295ELNS1_3gpuE0ELNS1_3repE0EEENS1_30default_config_static_selectorELNS0_4arch9wavefront6targetE0EEEvS15_ ; -- Begin function _ZN7rocprim17ROCPRIM_400000_NS6detail17trampoline_kernelINS0_14default_configENS1_22reduce_config_selectorIN6thrust23THRUST_200600_302600_NS5tupleIblNS6_9null_typeES8_S8_S8_S8_S8_S8_S8_EEEEZNS1_11reduce_implILb1ES3_NS6_12zip_iteratorINS7_INS6_11hip_rocprim26transform_input_iterator_tIbNSD_35transform_pair_of_input_iterators_tIbNS6_6detail15normal_iteratorINS6_10device_ptrIK10large_dataEEEESM_NS6_8equal_toISJ_EEEENSG_9not_fun_tINSD_8identityEEEEENSD_19counting_iterator_tIlEES8_S8_S8_S8_S8_S8_S8_S8_EEEEPS9_S9_NSD_9__find_if7functorIS9_EEEE10hipError_tPvRmT1_T2_T3_mT4_P12ihipStream_tbEUlT_E1_NS1_11comp_targetILNS1_3genE0ELNS1_11target_archE4294967295ELNS1_3gpuE0ELNS1_3repE0EEENS1_30default_config_static_selectorELNS0_4arch9wavefront6targetE0EEEvS15_
	.globl	_ZN7rocprim17ROCPRIM_400000_NS6detail17trampoline_kernelINS0_14default_configENS1_22reduce_config_selectorIN6thrust23THRUST_200600_302600_NS5tupleIblNS6_9null_typeES8_S8_S8_S8_S8_S8_S8_EEEEZNS1_11reduce_implILb1ES3_NS6_12zip_iteratorINS7_INS6_11hip_rocprim26transform_input_iterator_tIbNSD_35transform_pair_of_input_iterators_tIbNS6_6detail15normal_iteratorINS6_10device_ptrIK10large_dataEEEESM_NS6_8equal_toISJ_EEEENSG_9not_fun_tINSD_8identityEEEEENSD_19counting_iterator_tIlEES8_S8_S8_S8_S8_S8_S8_S8_EEEEPS9_S9_NSD_9__find_if7functorIS9_EEEE10hipError_tPvRmT1_T2_T3_mT4_P12ihipStream_tbEUlT_E1_NS1_11comp_targetILNS1_3genE0ELNS1_11target_archE4294967295ELNS1_3gpuE0ELNS1_3repE0EEENS1_30default_config_static_selectorELNS0_4arch9wavefront6targetE0EEEvS15_
	.p2align	8
	.type	_ZN7rocprim17ROCPRIM_400000_NS6detail17trampoline_kernelINS0_14default_configENS1_22reduce_config_selectorIN6thrust23THRUST_200600_302600_NS5tupleIblNS6_9null_typeES8_S8_S8_S8_S8_S8_S8_EEEEZNS1_11reduce_implILb1ES3_NS6_12zip_iteratorINS7_INS6_11hip_rocprim26transform_input_iterator_tIbNSD_35transform_pair_of_input_iterators_tIbNS6_6detail15normal_iteratorINS6_10device_ptrIK10large_dataEEEESM_NS6_8equal_toISJ_EEEENSG_9not_fun_tINSD_8identityEEEEENSD_19counting_iterator_tIlEES8_S8_S8_S8_S8_S8_S8_S8_EEEEPS9_S9_NSD_9__find_if7functorIS9_EEEE10hipError_tPvRmT1_T2_T3_mT4_P12ihipStream_tbEUlT_E1_NS1_11comp_targetILNS1_3genE0ELNS1_11target_archE4294967295ELNS1_3gpuE0ELNS1_3repE0EEENS1_30default_config_static_selectorELNS0_4arch9wavefront6targetE0EEEvS15_,@function
_ZN7rocprim17ROCPRIM_400000_NS6detail17trampoline_kernelINS0_14default_configENS1_22reduce_config_selectorIN6thrust23THRUST_200600_302600_NS5tupleIblNS6_9null_typeES8_S8_S8_S8_S8_S8_S8_EEEEZNS1_11reduce_implILb1ES3_NS6_12zip_iteratorINS7_INS6_11hip_rocprim26transform_input_iterator_tIbNSD_35transform_pair_of_input_iterators_tIbNS6_6detail15normal_iteratorINS6_10device_ptrIK10large_dataEEEESM_NS6_8equal_toISJ_EEEENSG_9not_fun_tINSD_8identityEEEEENSD_19counting_iterator_tIlEES8_S8_S8_S8_S8_S8_S8_S8_EEEEPS9_S9_NSD_9__find_if7functorIS9_EEEE10hipError_tPvRmT1_T2_T3_mT4_P12ihipStream_tbEUlT_E1_NS1_11comp_targetILNS1_3genE0ELNS1_11target_archE4294967295ELNS1_3gpuE0ELNS1_3repE0EEENS1_30default_config_static_selectorELNS0_4arch9wavefront6targetE0EEEvS15_: ; @_ZN7rocprim17ROCPRIM_400000_NS6detail17trampoline_kernelINS0_14default_configENS1_22reduce_config_selectorIN6thrust23THRUST_200600_302600_NS5tupleIblNS6_9null_typeES8_S8_S8_S8_S8_S8_S8_EEEEZNS1_11reduce_implILb1ES3_NS6_12zip_iteratorINS7_INS6_11hip_rocprim26transform_input_iterator_tIbNSD_35transform_pair_of_input_iterators_tIbNS6_6detail15normal_iteratorINS6_10device_ptrIK10large_dataEEEESM_NS6_8equal_toISJ_EEEENSG_9not_fun_tINSD_8identityEEEEENSD_19counting_iterator_tIlEES8_S8_S8_S8_S8_S8_S8_S8_EEEEPS9_S9_NSD_9__find_if7functorIS9_EEEE10hipError_tPvRmT1_T2_T3_mT4_P12ihipStream_tbEUlT_E1_NS1_11comp_targetILNS1_3genE0ELNS1_11target_archE4294967295ELNS1_3gpuE0ELNS1_3repE0EEENS1_30default_config_static_selectorELNS0_4arch9wavefront6targetE0EEEvS15_
; %bb.0:
	.section	.rodata,"a",@progbits
	.p2align	6, 0x0
	.amdhsa_kernel _ZN7rocprim17ROCPRIM_400000_NS6detail17trampoline_kernelINS0_14default_configENS1_22reduce_config_selectorIN6thrust23THRUST_200600_302600_NS5tupleIblNS6_9null_typeES8_S8_S8_S8_S8_S8_S8_EEEEZNS1_11reduce_implILb1ES3_NS6_12zip_iteratorINS7_INS6_11hip_rocprim26transform_input_iterator_tIbNSD_35transform_pair_of_input_iterators_tIbNS6_6detail15normal_iteratorINS6_10device_ptrIK10large_dataEEEESM_NS6_8equal_toISJ_EEEENSG_9not_fun_tINSD_8identityEEEEENSD_19counting_iterator_tIlEES8_S8_S8_S8_S8_S8_S8_S8_EEEEPS9_S9_NSD_9__find_if7functorIS9_EEEE10hipError_tPvRmT1_T2_T3_mT4_P12ihipStream_tbEUlT_E1_NS1_11comp_targetILNS1_3genE0ELNS1_11target_archE4294967295ELNS1_3gpuE0ELNS1_3repE0EEENS1_30default_config_static_selectorELNS0_4arch9wavefront6targetE0EEEvS15_
		.amdhsa_group_segment_fixed_size 0
		.amdhsa_private_segment_fixed_size 0
		.amdhsa_kernarg_size 88
		.amdhsa_user_sgpr_count 15
		.amdhsa_user_sgpr_dispatch_ptr 0
		.amdhsa_user_sgpr_queue_ptr 0
		.amdhsa_user_sgpr_kernarg_segment_ptr 1
		.amdhsa_user_sgpr_dispatch_id 0
		.amdhsa_user_sgpr_private_segment_size 0
		.amdhsa_wavefront_size32 1
		.amdhsa_uses_dynamic_stack 0
		.amdhsa_enable_private_segment 0
		.amdhsa_system_sgpr_workgroup_id_x 1
		.amdhsa_system_sgpr_workgroup_id_y 0
		.amdhsa_system_sgpr_workgroup_id_z 0
		.amdhsa_system_sgpr_workgroup_info 0
		.amdhsa_system_vgpr_workitem_id 0
		.amdhsa_next_free_vgpr 1
		.amdhsa_next_free_sgpr 1
		.amdhsa_reserve_vcc 0
		.amdhsa_float_round_mode_32 0
		.amdhsa_float_round_mode_16_64 0
		.amdhsa_float_denorm_mode_32 3
		.amdhsa_float_denorm_mode_16_64 3
		.amdhsa_dx10_clamp 1
		.amdhsa_ieee_mode 1
		.amdhsa_fp16_overflow 0
		.amdhsa_workgroup_processor_mode 1
		.amdhsa_memory_ordered 1
		.amdhsa_forward_progress 0
		.amdhsa_shared_vgpr_count 0
		.amdhsa_exception_fp_ieee_invalid_op 0
		.amdhsa_exception_fp_denorm_src 0
		.amdhsa_exception_fp_ieee_div_zero 0
		.amdhsa_exception_fp_ieee_overflow 0
		.amdhsa_exception_fp_ieee_underflow 0
		.amdhsa_exception_fp_ieee_inexact 0
		.amdhsa_exception_int_div_zero 0
	.end_amdhsa_kernel
	.section	.text._ZN7rocprim17ROCPRIM_400000_NS6detail17trampoline_kernelINS0_14default_configENS1_22reduce_config_selectorIN6thrust23THRUST_200600_302600_NS5tupleIblNS6_9null_typeES8_S8_S8_S8_S8_S8_S8_EEEEZNS1_11reduce_implILb1ES3_NS6_12zip_iteratorINS7_INS6_11hip_rocprim26transform_input_iterator_tIbNSD_35transform_pair_of_input_iterators_tIbNS6_6detail15normal_iteratorINS6_10device_ptrIK10large_dataEEEESM_NS6_8equal_toISJ_EEEENSG_9not_fun_tINSD_8identityEEEEENSD_19counting_iterator_tIlEES8_S8_S8_S8_S8_S8_S8_S8_EEEEPS9_S9_NSD_9__find_if7functorIS9_EEEE10hipError_tPvRmT1_T2_T3_mT4_P12ihipStream_tbEUlT_E1_NS1_11comp_targetILNS1_3genE0ELNS1_11target_archE4294967295ELNS1_3gpuE0ELNS1_3repE0EEENS1_30default_config_static_selectorELNS0_4arch9wavefront6targetE0EEEvS15_,"axG",@progbits,_ZN7rocprim17ROCPRIM_400000_NS6detail17trampoline_kernelINS0_14default_configENS1_22reduce_config_selectorIN6thrust23THRUST_200600_302600_NS5tupleIblNS6_9null_typeES8_S8_S8_S8_S8_S8_S8_EEEEZNS1_11reduce_implILb1ES3_NS6_12zip_iteratorINS7_INS6_11hip_rocprim26transform_input_iterator_tIbNSD_35transform_pair_of_input_iterators_tIbNS6_6detail15normal_iteratorINS6_10device_ptrIK10large_dataEEEESM_NS6_8equal_toISJ_EEEENSG_9not_fun_tINSD_8identityEEEEENSD_19counting_iterator_tIlEES8_S8_S8_S8_S8_S8_S8_S8_EEEEPS9_S9_NSD_9__find_if7functorIS9_EEEE10hipError_tPvRmT1_T2_T3_mT4_P12ihipStream_tbEUlT_E1_NS1_11comp_targetILNS1_3genE0ELNS1_11target_archE4294967295ELNS1_3gpuE0ELNS1_3repE0EEENS1_30default_config_static_selectorELNS0_4arch9wavefront6targetE0EEEvS15_,comdat
.Lfunc_end744:
	.size	_ZN7rocprim17ROCPRIM_400000_NS6detail17trampoline_kernelINS0_14default_configENS1_22reduce_config_selectorIN6thrust23THRUST_200600_302600_NS5tupleIblNS6_9null_typeES8_S8_S8_S8_S8_S8_S8_EEEEZNS1_11reduce_implILb1ES3_NS6_12zip_iteratorINS7_INS6_11hip_rocprim26transform_input_iterator_tIbNSD_35transform_pair_of_input_iterators_tIbNS6_6detail15normal_iteratorINS6_10device_ptrIK10large_dataEEEESM_NS6_8equal_toISJ_EEEENSG_9not_fun_tINSD_8identityEEEEENSD_19counting_iterator_tIlEES8_S8_S8_S8_S8_S8_S8_S8_EEEEPS9_S9_NSD_9__find_if7functorIS9_EEEE10hipError_tPvRmT1_T2_T3_mT4_P12ihipStream_tbEUlT_E1_NS1_11comp_targetILNS1_3genE0ELNS1_11target_archE4294967295ELNS1_3gpuE0ELNS1_3repE0EEENS1_30default_config_static_selectorELNS0_4arch9wavefront6targetE0EEEvS15_, .Lfunc_end744-_ZN7rocprim17ROCPRIM_400000_NS6detail17trampoline_kernelINS0_14default_configENS1_22reduce_config_selectorIN6thrust23THRUST_200600_302600_NS5tupleIblNS6_9null_typeES8_S8_S8_S8_S8_S8_S8_EEEEZNS1_11reduce_implILb1ES3_NS6_12zip_iteratorINS7_INS6_11hip_rocprim26transform_input_iterator_tIbNSD_35transform_pair_of_input_iterators_tIbNS6_6detail15normal_iteratorINS6_10device_ptrIK10large_dataEEEESM_NS6_8equal_toISJ_EEEENSG_9not_fun_tINSD_8identityEEEEENSD_19counting_iterator_tIlEES8_S8_S8_S8_S8_S8_S8_S8_EEEEPS9_S9_NSD_9__find_if7functorIS9_EEEE10hipError_tPvRmT1_T2_T3_mT4_P12ihipStream_tbEUlT_E1_NS1_11comp_targetILNS1_3genE0ELNS1_11target_archE4294967295ELNS1_3gpuE0ELNS1_3repE0EEENS1_30default_config_static_selectorELNS0_4arch9wavefront6targetE0EEEvS15_
                                        ; -- End function
	.section	.AMDGPU.csdata,"",@progbits
; Kernel info:
; codeLenInByte = 0
; NumSgprs: 0
; NumVgprs: 0
; ScratchSize: 0
; MemoryBound: 0
; FloatMode: 240
; IeeeMode: 1
; LDSByteSize: 0 bytes/workgroup (compile time only)
; SGPRBlocks: 0
; VGPRBlocks: 0
; NumSGPRsForWavesPerEU: 1
; NumVGPRsForWavesPerEU: 1
; Occupancy: 16
; WaveLimiterHint : 0
; COMPUTE_PGM_RSRC2:SCRATCH_EN: 0
; COMPUTE_PGM_RSRC2:USER_SGPR: 15
; COMPUTE_PGM_RSRC2:TRAP_HANDLER: 0
; COMPUTE_PGM_RSRC2:TGID_X_EN: 1
; COMPUTE_PGM_RSRC2:TGID_Y_EN: 0
; COMPUTE_PGM_RSRC2:TGID_Z_EN: 0
; COMPUTE_PGM_RSRC2:TIDIG_COMP_CNT: 0
	.section	.text._ZN7rocprim17ROCPRIM_400000_NS6detail17trampoline_kernelINS0_14default_configENS1_22reduce_config_selectorIN6thrust23THRUST_200600_302600_NS5tupleIblNS6_9null_typeES8_S8_S8_S8_S8_S8_S8_EEEEZNS1_11reduce_implILb1ES3_NS6_12zip_iteratorINS7_INS6_11hip_rocprim26transform_input_iterator_tIbNSD_35transform_pair_of_input_iterators_tIbNS6_6detail15normal_iteratorINS6_10device_ptrIK10large_dataEEEESM_NS6_8equal_toISJ_EEEENSG_9not_fun_tINSD_8identityEEEEENSD_19counting_iterator_tIlEES8_S8_S8_S8_S8_S8_S8_S8_EEEEPS9_S9_NSD_9__find_if7functorIS9_EEEE10hipError_tPvRmT1_T2_T3_mT4_P12ihipStream_tbEUlT_E1_NS1_11comp_targetILNS1_3genE5ELNS1_11target_archE942ELNS1_3gpuE9ELNS1_3repE0EEENS1_30default_config_static_selectorELNS0_4arch9wavefront6targetE0EEEvS15_,"axG",@progbits,_ZN7rocprim17ROCPRIM_400000_NS6detail17trampoline_kernelINS0_14default_configENS1_22reduce_config_selectorIN6thrust23THRUST_200600_302600_NS5tupleIblNS6_9null_typeES8_S8_S8_S8_S8_S8_S8_EEEEZNS1_11reduce_implILb1ES3_NS6_12zip_iteratorINS7_INS6_11hip_rocprim26transform_input_iterator_tIbNSD_35transform_pair_of_input_iterators_tIbNS6_6detail15normal_iteratorINS6_10device_ptrIK10large_dataEEEESM_NS6_8equal_toISJ_EEEENSG_9not_fun_tINSD_8identityEEEEENSD_19counting_iterator_tIlEES8_S8_S8_S8_S8_S8_S8_S8_EEEEPS9_S9_NSD_9__find_if7functorIS9_EEEE10hipError_tPvRmT1_T2_T3_mT4_P12ihipStream_tbEUlT_E1_NS1_11comp_targetILNS1_3genE5ELNS1_11target_archE942ELNS1_3gpuE9ELNS1_3repE0EEENS1_30default_config_static_selectorELNS0_4arch9wavefront6targetE0EEEvS15_,comdat
	.protected	_ZN7rocprim17ROCPRIM_400000_NS6detail17trampoline_kernelINS0_14default_configENS1_22reduce_config_selectorIN6thrust23THRUST_200600_302600_NS5tupleIblNS6_9null_typeES8_S8_S8_S8_S8_S8_S8_EEEEZNS1_11reduce_implILb1ES3_NS6_12zip_iteratorINS7_INS6_11hip_rocprim26transform_input_iterator_tIbNSD_35transform_pair_of_input_iterators_tIbNS6_6detail15normal_iteratorINS6_10device_ptrIK10large_dataEEEESM_NS6_8equal_toISJ_EEEENSG_9not_fun_tINSD_8identityEEEEENSD_19counting_iterator_tIlEES8_S8_S8_S8_S8_S8_S8_S8_EEEEPS9_S9_NSD_9__find_if7functorIS9_EEEE10hipError_tPvRmT1_T2_T3_mT4_P12ihipStream_tbEUlT_E1_NS1_11comp_targetILNS1_3genE5ELNS1_11target_archE942ELNS1_3gpuE9ELNS1_3repE0EEENS1_30default_config_static_selectorELNS0_4arch9wavefront6targetE0EEEvS15_ ; -- Begin function _ZN7rocprim17ROCPRIM_400000_NS6detail17trampoline_kernelINS0_14default_configENS1_22reduce_config_selectorIN6thrust23THRUST_200600_302600_NS5tupleIblNS6_9null_typeES8_S8_S8_S8_S8_S8_S8_EEEEZNS1_11reduce_implILb1ES3_NS6_12zip_iteratorINS7_INS6_11hip_rocprim26transform_input_iterator_tIbNSD_35transform_pair_of_input_iterators_tIbNS6_6detail15normal_iteratorINS6_10device_ptrIK10large_dataEEEESM_NS6_8equal_toISJ_EEEENSG_9not_fun_tINSD_8identityEEEEENSD_19counting_iterator_tIlEES8_S8_S8_S8_S8_S8_S8_S8_EEEEPS9_S9_NSD_9__find_if7functorIS9_EEEE10hipError_tPvRmT1_T2_T3_mT4_P12ihipStream_tbEUlT_E1_NS1_11comp_targetILNS1_3genE5ELNS1_11target_archE942ELNS1_3gpuE9ELNS1_3repE0EEENS1_30default_config_static_selectorELNS0_4arch9wavefront6targetE0EEEvS15_
	.globl	_ZN7rocprim17ROCPRIM_400000_NS6detail17trampoline_kernelINS0_14default_configENS1_22reduce_config_selectorIN6thrust23THRUST_200600_302600_NS5tupleIblNS6_9null_typeES8_S8_S8_S8_S8_S8_S8_EEEEZNS1_11reduce_implILb1ES3_NS6_12zip_iteratorINS7_INS6_11hip_rocprim26transform_input_iterator_tIbNSD_35transform_pair_of_input_iterators_tIbNS6_6detail15normal_iteratorINS6_10device_ptrIK10large_dataEEEESM_NS6_8equal_toISJ_EEEENSG_9not_fun_tINSD_8identityEEEEENSD_19counting_iterator_tIlEES8_S8_S8_S8_S8_S8_S8_S8_EEEEPS9_S9_NSD_9__find_if7functorIS9_EEEE10hipError_tPvRmT1_T2_T3_mT4_P12ihipStream_tbEUlT_E1_NS1_11comp_targetILNS1_3genE5ELNS1_11target_archE942ELNS1_3gpuE9ELNS1_3repE0EEENS1_30default_config_static_selectorELNS0_4arch9wavefront6targetE0EEEvS15_
	.p2align	8
	.type	_ZN7rocprim17ROCPRIM_400000_NS6detail17trampoline_kernelINS0_14default_configENS1_22reduce_config_selectorIN6thrust23THRUST_200600_302600_NS5tupleIblNS6_9null_typeES8_S8_S8_S8_S8_S8_S8_EEEEZNS1_11reduce_implILb1ES3_NS6_12zip_iteratorINS7_INS6_11hip_rocprim26transform_input_iterator_tIbNSD_35transform_pair_of_input_iterators_tIbNS6_6detail15normal_iteratorINS6_10device_ptrIK10large_dataEEEESM_NS6_8equal_toISJ_EEEENSG_9not_fun_tINSD_8identityEEEEENSD_19counting_iterator_tIlEES8_S8_S8_S8_S8_S8_S8_S8_EEEEPS9_S9_NSD_9__find_if7functorIS9_EEEE10hipError_tPvRmT1_T2_T3_mT4_P12ihipStream_tbEUlT_E1_NS1_11comp_targetILNS1_3genE5ELNS1_11target_archE942ELNS1_3gpuE9ELNS1_3repE0EEENS1_30default_config_static_selectorELNS0_4arch9wavefront6targetE0EEEvS15_,@function
_ZN7rocprim17ROCPRIM_400000_NS6detail17trampoline_kernelINS0_14default_configENS1_22reduce_config_selectorIN6thrust23THRUST_200600_302600_NS5tupleIblNS6_9null_typeES8_S8_S8_S8_S8_S8_S8_EEEEZNS1_11reduce_implILb1ES3_NS6_12zip_iteratorINS7_INS6_11hip_rocprim26transform_input_iterator_tIbNSD_35transform_pair_of_input_iterators_tIbNS6_6detail15normal_iteratorINS6_10device_ptrIK10large_dataEEEESM_NS6_8equal_toISJ_EEEENSG_9not_fun_tINSD_8identityEEEEENSD_19counting_iterator_tIlEES8_S8_S8_S8_S8_S8_S8_S8_EEEEPS9_S9_NSD_9__find_if7functorIS9_EEEE10hipError_tPvRmT1_T2_T3_mT4_P12ihipStream_tbEUlT_E1_NS1_11comp_targetILNS1_3genE5ELNS1_11target_archE942ELNS1_3gpuE9ELNS1_3repE0EEENS1_30default_config_static_selectorELNS0_4arch9wavefront6targetE0EEEvS15_: ; @_ZN7rocprim17ROCPRIM_400000_NS6detail17trampoline_kernelINS0_14default_configENS1_22reduce_config_selectorIN6thrust23THRUST_200600_302600_NS5tupleIblNS6_9null_typeES8_S8_S8_S8_S8_S8_S8_EEEEZNS1_11reduce_implILb1ES3_NS6_12zip_iteratorINS7_INS6_11hip_rocprim26transform_input_iterator_tIbNSD_35transform_pair_of_input_iterators_tIbNS6_6detail15normal_iteratorINS6_10device_ptrIK10large_dataEEEESM_NS6_8equal_toISJ_EEEENSG_9not_fun_tINSD_8identityEEEEENSD_19counting_iterator_tIlEES8_S8_S8_S8_S8_S8_S8_S8_EEEEPS9_S9_NSD_9__find_if7functorIS9_EEEE10hipError_tPvRmT1_T2_T3_mT4_P12ihipStream_tbEUlT_E1_NS1_11comp_targetILNS1_3genE5ELNS1_11target_archE942ELNS1_3gpuE9ELNS1_3repE0EEENS1_30default_config_static_selectorELNS0_4arch9wavefront6targetE0EEEvS15_
; %bb.0:
	.section	.rodata,"a",@progbits
	.p2align	6, 0x0
	.amdhsa_kernel _ZN7rocprim17ROCPRIM_400000_NS6detail17trampoline_kernelINS0_14default_configENS1_22reduce_config_selectorIN6thrust23THRUST_200600_302600_NS5tupleIblNS6_9null_typeES8_S8_S8_S8_S8_S8_S8_EEEEZNS1_11reduce_implILb1ES3_NS6_12zip_iteratorINS7_INS6_11hip_rocprim26transform_input_iterator_tIbNSD_35transform_pair_of_input_iterators_tIbNS6_6detail15normal_iteratorINS6_10device_ptrIK10large_dataEEEESM_NS6_8equal_toISJ_EEEENSG_9not_fun_tINSD_8identityEEEEENSD_19counting_iterator_tIlEES8_S8_S8_S8_S8_S8_S8_S8_EEEEPS9_S9_NSD_9__find_if7functorIS9_EEEE10hipError_tPvRmT1_T2_T3_mT4_P12ihipStream_tbEUlT_E1_NS1_11comp_targetILNS1_3genE5ELNS1_11target_archE942ELNS1_3gpuE9ELNS1_3repE0EEENS1_30default_config_static_selectorELNS0_4arch9wavefront6targetE0EEEvS15_
		.amdhsa_group_segment_fixed_size 0
		.amdhsa_private_segment_fixed_size 0
		.amdhsa_kernarg_size 88
		.amdhsa_user_sgpr_count 15
		.amdhsa_user_sgpr_dispatch_ptr 0
		.amdhsa_user_sgpr_queue_ptr 0
		.amdhsa_user_sgpr_kernarg_segment_ptr 1
		.amdhsa_user_sgpr_dispatch_id 0
		.amdhsa_user_sgpr_private_segment_size 0
		.amdhsa_wavefront_size32 1
		.amdhsa_uses_dynamic_stack 0
		.amdhsa_enable_private_segment 0
		.amdhsa_system_sgpr_workgroup_id_x 1
		.amdhsa_system_sgpr_workgroup_id_y 0
		.amdhsa_system_sgpr_workgroup_id_z 0
		.amdhsa_system_sgpr_workgroup_info 0
		.amdhsa_system_vgpr_workitem_id 0
		.amdhsa_next_free_vgpr 1
		.amdhsa_next_free_sgpr 1
		.amdhsa_reserve_vcc 0
		.amdhsa_float_round_mode_32 0
		.amdhsa_float_round_mode_16_64 0
		.amdhsa_float_denorm_mode_32 3
		.amdhsa_float_denorm_mode_16_64 3
		.amdhsa_dx10_clamp 1
		.amdhsa_ieee_mode 1
		.amdhsa_fp16_overflow 0
		.amdhsa_workgroup_processor_mode 1
		.amdhsa_memory_ordered 1
		.amdhsa_forward_progress 0
		.amdhsa_shared_vgpr_count 0
		.amdhsa_exception_fp_ieee_invalid_op 0
		.amdhsa_exception_fp_denorm_src 0
		.amdhsa_exception_fp_ieee_div_zero 0
		.amdhsa_exception_fp_ieee_overflow 0
		.amdhsa_exception_fp_ieee_underflow 0
		.amdhsa_exception_fp_ieee_inexact 0
		.amdhsa_exception_int_div_zero 0
	.end_amdhsa_kernel
	.section	.text._ZN7rocprim17ROCPRIM_400000_NS6detail17trampoline_kernelINS0_14default_configENS1_22reduce_config_selectorIN6thrust23THRUST_200600_302600_NS5tupleIblNS6_9null_typeES8_S8_S8_S8_S8_S8_S8_EEEEZNS1_11reduce_implILb1ES3_NS6_12zip_iteratorINS7_INS6_11hip_rocprim26transform_input_iterator_tIbNSD_35transform_pair_of_input_iterators_tIbNS6_6detail15normal_iteratorINS6_10device_ptrIK10large_dataEEEESM_NS6_8equal_toISJ_EEEENSG_9not_fun_tINSD_8identityEEEEENSD_19counting_iterator_tIlEES8_S8_S8_S8_S8_S8_S8_S8_EEEEPS9_S9_NSD_9__find_if7functorIS9_EEEE10hipError_tPvRmT1_T2_T3_mT4_P12ihipStream_tbEUlT_E1_NS1_11comp_targetILNS1_3genE5ELNS1_11target_archE942ELNS1_3gpuE9ELNS1_3repE0EEENS1_30default_config_static_selectorELNS0_4arch9wavefront6targetE0EEEvS15_,"axG",@progbits,_ZN7rocprim17ROCPRIM_400000_NS6detail17trampoline_kernelINS0_14default_configENS1_22reduce_config_selectorIN6thrust23THRUST_200600_302600_NS5tupleIblNS6_9null_typeES8_S8_S8_S8_S8_S8_S8_EEEEZNS1_11reduce_implILb1ES3_NS6_12zip_iteratorINS7_INS6_11hip_rocprim26transform_input_iterator_tIbNSD_35transform_pair_of_input_iterators_tIbNS6_6detail15normal_iteratorINS6_10device_ptrIK10large_dataEEEESM_NS6_8equal_toISJ_EEEENSG_9not_fun_tINSD_8identityEEEEENSD_19counting_iterator_tIlEES8_S8_S8_S8_S8_S8_S8_S8_EEEEPS9_S9_NSD_9__find_if7functorIS9_EEEE10hipError_tPvRmT1_T2_T3_mT4_P12ihipStream_tbEUlT_E1_NS1_11comp_targetILNS1_3genE5ELNS1_11target_archE942ELNS1_3gpuE9ELNS1_3repE0EEENS1_30default_config_static_selectorELNS0_4arch9wavefront6targetE0EEEvS15_,comdat
.Lfunc_end745:
	.size	_ZN7rocprim17ROCPRIM_400000_NS6detail17trampoline_kernelINS0_14default_configENS1_22reduce_config_selectorIN6thrust23THRUST_200600_302600_NS5tupleIblNS6_9null_typeES8_S8_S8_S8_S8_S8_S8_EEEEZNS1_11reduce_implILb1ES3_NS6_12zip_iteratorINS7_INS6_11hip_rocprim26transform_input_iterator_tIbNSD_35transform_pair_of_input_iterators_tIbNS6_6detail15normal_iteratorINS6_10device_ptrIK10large_dataEEEESM_NS6_8equal_toISJ_EEEENSG_9not_fun_tINSD_8identityEEEEENSD_19counting_iterator_tIlEES8_S8_S8_S8_S8_S8_S8_S8_EEEEPS9_S9_NSD_9__find_if7functorIS9_EEEE10hipError_tPvRmT1_T2_T3_mT4_P12ihipStream_tbEUlT_E1_NS1_11comp_targetILNS1_3genE5ELNS1_11target_archE942ELNS1_3gpuE9ELNS1_3repE0EEENS1_30default_config_static_selectorELNS0_4arch9wavefront6targetE0EEEvS15_, .Lfunc_end745-_ZN7rocprim17ROCPRIM_400000_NS6detail17trampoline_kernelINS0_14default_configENS1_22reduce_config_selectorIN6thrust23THRUST_200600_302600_NS5tupleIblNS6_9null_typeES8_S8_S8_S8_S8_S8_S8_EEEEZNS1_11reduce_implILb1ES3_NS6_12zip_iteratorINS7_INS6_11hip_rocprim26transform_input_iterator_tIbNSD_35transform_pair_of_input_iterators_tIbNS6_6detail15normal_iteratorINS6_10device_ptrIK10large_dataEEEESM_NS6_8equal_toISJ_EEEENSG_9not_fun_tINSD_8identityEEEEENSD_19counting_iterator_tIlEES8_S8_S8_S8_S8_S8_S8_S8_EEEEPS9_S9_NSD_9__find_if7functorIS9_EEEE10hipError_tPvRmT1_T2_T3_mT4_P12ihipStream_tbEUlT_E1_NS1_11comp_targetILNS1_3genE5ELNS1_11target_archE942ELNS1_3gpuE9ELNS1_3repE0EEENS1_30default_config_static_selectorELNS0_4arch9wavefront6targetE0EEEvS15_
                                        ; -- End function
	.section	.AMDGPU.csdata,"",@progbits
; Kernel info:
; codeLenInByte = 0
; NumSgprs: 0
; NumVgprs: 0
; ScratchSize: 0
; MemoryBound: 0
; FloatMode: 240
; IeeeMode: 1
; LDSByteSize: 0 bytes/workgroup (compile time only)
; SGPRBlocks: 0
; VGPRBlocks: 0
; NumSGPRsForWavesPerEU: 1
; NumVGPRsForWavesPerEU: 1
; Occupancy: 16
; WaveLimiterHint : 0
; COMPUTE_PGM_RSRC2:SCRATCH_EN: 0
; COMPUTE_PGM_RSRC2:USER_SGPR: 15
; COMPUTE_PGM_RSRC2:TRAP_HANDLER: 0
; COMPUTE_PGM_RSRC2:TGID_X_EN: 1
; COMPUTE_PGM_RSRC2:TGID_Y_EN: 0
; COMPUTE_PGM_RSRC2:TGID_Z_EN: 0
; COMPUTE_PGM_RSRC2:TIDIG_COMP_CNT: 0
	.section	.text._ZN7rocprim17ROCPRIM_400000_NS6detail17trampoline_kernelINS0_14default_configENS1_22reduce_config_selectorIN6thrust23THRUST_200600_302600_NS5tupleIblNS6_9null_typeES8_S8_S8_S8_S8_S8_S8_EEEEZNS1_11reduce_implILb1ES3_NS6_12zip_iteratorINS7_INS6_11hip_rocprim26transform_input_iterator_tIbNSD_35transform_pair_of_input_iterators_tIbNS6_6detail15normal_iteratorINS6_10device_ptrIK10large_dataEEEESM_NS6_8equal_toISJ_EEEENSG_9not_fun_tINSD_8identityEEEEENSD_19counting_iterator_tIlEES8_S8_S8_S8_S8_S8_S8_S8_EEEEPS9_S9_NSD_9__find_if7functorIS9_EEEE10hipError_tPvRmT1_T2_T3_mT4_P12ihipStream_tbEUlT_E1_NS1_11comp_targetILNS1_3genE4ELNS1_11target_archE910ELNS1_3gpuE8ELNS1_3repE0EEENS1_30default_config_static_selectorELNS0_4arch9wavefront6targetE0EEEvS15_,"axG",@progbits,_ZN7rocprim17ROCPRIM_400000_NS6detail17trampoline_kernelINS0_14default_configENS1_22reduce_config_selectorIN6thrust23THRUST_200600_302600_NS5tupleIblNS6_9null_typeES8_S8_S8_S8_S8_S8_S8_EEEEZNS1_11reduce_implILb1ES3_NS6_12zip_iteratorINS7_INS6_11hip_rocprim26transform_input_iterator_tIbNSD_35transform_pair_of_input_iterators_tIbNS6_6detail15normal_iteratorINS6_10device_ptrIK10large_dataEEEESM_NS6_8equal_toISJ_EEEENSG_9not_fun_tINSD_8identityEEEEENSD_19counting_iterator_tIlEES8_S8_S8_S8_S8_S8_S8_S8_EEEEPS9_S9_NSD_9__find_if7functorIS9_EEEE10hipError_tPvRmT1_T2_T3_mT4_P12ihipStream_tbEUlT_E1_NS1_11comp_targetILNS1_3genE4ELNS1_11target_archE910ELNS1_3gpuE8ELNS1_3repE0EEENS1_30default_config_static_selectorELNS0_4arch9wavefront6targetE0EEEvS15_,comdat
	.protected	_ZN7rocprim17ROCPRIM_400000_NS6detail17trampoline_kernelINS0_14default_configENS1_22reduce_config_selectorIN6thrust23THRUST_200600_302600_NS5tupleIblNS6_9null_typeES8_S8_S8_S8_S8_S8_S8_EEEEZNS1_11reduce_implILb1ES3_NS6_12zip_iteratorINS7_INS6_11hip_rocprim26transform_input_iterator_tIbNSD_35transform_pair_of_input_iterators_tIbNS6_6detail15normal_iteratorINS6_10device_ptrIK10large_dataEEEESM_NS6_8equal_toISJ_EEEENSG_9not_fun_tINSD_8identityEEEEENSD_19counting_iterator_tIlEES8_S8_S8_S8_S8_S8_S8_S8_EEEEPS9_S9_NSD_9__find_if7functorIS9_EEEE10hipError_tPvRmT1_T2_T3_mT4_P12ihipStream_tbEUlT_E1_NS1_11comp_targetILNS1_3genE4ELNS1_11target_archE910ELNS1_3gpuE8ELNS1_3repE0EEENS1_30default_config_static_selectorELNS0_4arch9wavefront6targetE0EEEvS15_ ; -- Begin function _ZN7rocprim17ROCPRIM_400000_NS6detail17trampoline_kernelINS0_14default_configENS1_22reduce_config_selectorIN6thrust23THRUST_200600_302600_NS5tupleIblNS6_9null_typeES8_S8_S8_S8_S8_S8_S8_EEEEZNS1_11reduce_implILb1ES3_NS6_12zip_iteratorINS7_INS6_11hip_rocprim26transform_input_iterator_tIbNSD_35transform_pair_of_input_iterators_tIbNS6_6detail15normal_iteratorINS6_10device_ptrIK10large_dataEEEESM_NS6_8equal_toISJ_EEEENSG_9not_fun_tINSD_8identityEEEEENSD_19counting_iterator_tIlEES8_S8_S8_S8_S8_S8_S8_S8_EEEEPS9_S9_NSD_9__find_if7functorIS9_EEEE10hipError_tPvRmT1_T2_T3_mT4_P12ihipStream_tbEUlT_E1_NS1_11comp_targetILNS1_3genE4ELNS1_11target_archE910ELNS1_3gpuE8ELNS1_3repE0EEENS1_30default_config_static_selectorELNS0_4arch9wavefront6targetE0EEEvS15_
	.globl	_ZN7rocprim17ROCPRIM_400000_NS6detail17trampoline_kernelINS0_14default_configENS1_22reduce_config_selectorIN6thrust23THRUST_200600_302600_NS5tupleIblNS6_9null_typeES8_S8_S8_S8_S8_S8_S8_EEEEZNS1_11reduce_implILb1ES3_NS6_12zip_iteratorINS7_INS6_11hip_rocprim26transform_input_iterator_tIbNSD_35transform_pair_of_input_iterators_tIbNS6_6detail15normal_iteratorINS6_10device_ptrIK10large_dataEEEESM_NS6_8equal_toISJ_EEEENSG_9not_fun_tINSD_8identityEEEEENSD_19counting_iterator_tIlEES8_S8_S8_S8_S8_S8_S8_S8_EEEEPS9_S9_NSD_9__find_if7functorIS9_EEEE10hipError_tPvRmT1_T2_T3_mT4_P12ihipStream_tbEUlT_E1_NS1_11comp_targetILNS1_3genE4ELNS1_11target_archE910ELNS1_3gpuE8ELNS1_3repE0EEENS1_30default_config_static_selectorELNS0_4arch9wavefront6targetE0EEEvS15_
	.p2align	8
	.type	_ZN7rocprim17ROCPRIM_400000_NS6detail17trampoline_kernelINS0_14default_configENS1_22reduce_config_selectorIN6thrust23THRUST_200600_302600_NS5tupleIblNS6_9null_typeES8_S8_S8_S8_S8_S8_S8_EEEEZNS1_11reduce_implILb1ES3_NS6_12zip_iteratorINS7_INS6_11hip_rocprim26transform_input_iterator_tIbNSD_35transform_pair_of_input_iterators_tIbNS6_6detail15normal_iteratorINS6_10device_ptrIK10large_dataEEEESM_NS6_8equal_toISJ_EEEENSG_9not_fun_tINSD_8identityEEEEENSD_19counting_iterator_tIlEES8_S8_S8_S8_S8_S8_S8_S8_EEEEPS9_S9_NSD_9__find_if7functorIS9_EEEE10hipError_tPvRmT1_T2_T3_mT4_P12ihipStream_tbEUlT_E1_NS1_11comp_targetILNS1_3genE4ELNS1_11target_archE910ELNS1_3gpuE8ELNS1_3repE0EEENS1_30default_config_static_selectorELNS0_4arch9wavefront6targetE0EEEvS15_,@function
_ZN7rocprim17ROCPRIM_400000_NS6detail17trampoline_kernelINS0_14default_configENS1_22reduce_config_selectorIN6thrust23THRUST_200600_302600_NS5tupleIblNS6_9null_typeES8_S8_S8_S8_S8_S8_S8_EEEEZNS1_11reduce_implILb1ES3_NS6_12zip_iteratorINS7_INS6_11hip_rocprim26transform_input_iterator_tIbNSD_35transform_pair_of_input_iterators_tIbNS6_6detail15normal_iteratorINS6_10device_ptrIK10large_dataEEEESM_NS6_8equal_toISJ_EEEENSG_9not_fun_tINSD_8identityEEEEENSD_19counting_iterator_tIlEES8_S8_S8_S8_S8_S8_S8_S8_EEEEPS9_S9_NSD_9__find_if7functorIS9_EEEE10hipError_tPvRmT1_T2_T3_mT4_P12ihipStream_tbEUlT_E1_NS1_11comp_targetILNS1_3genE4ELNS1_11target_archE910ELNS1_3gpuE8ELNS1_3repE0EEENS1_30default_config_static_selectorELNS0_4arch9wavefront6targetE0EEEvS15_: ; @_ZN7rocprim17ROCPRIM_400000_NS6detail17trampoline_kernelINS0_14default_configENS1_22reduce_config_selectorIN6thrust23THRUST_200600_302600_NS5tupleIblNS6_9null_typeES8_S8_S8_S8_S8_S8_S8_EEEEZNS1_11reduce_implILb1ES3_NS6_12zip_iteratorINS7_INS6_11hip_rocprim26transform_input_iterator_tIbNSD_35transform_pair_of_input_iterators_tIbNS6_6detail15normal_iteratorINS6_10device_ptrIK10large_dataEEEESM_NS6_8equal_toISJ_EEEENSG_9not_fun_tINSD_8identityEEEEENSD_19counting_iterator_tIlEES8_S8_S8_S8_S8_S8_S8_S8_EEEEPS9_S9_NSD_9__find_if7functorIS9_EEEE10hipError_tPvRmT1_T2_T3_mT4_P12ihipStream_tbEUlT_E1_NS1_11comp_targetILNS1_3genE4ELNS1_11target_archE910ELNS1_3gpuE8ELNS1_3repE0EEENS1_30default_config_static_selectorELNS0_4arch9wavefront6targetE0EEEvS15_
; %bb.0:
	.section	.rodata,"a",@progbits
	.p2align	6, 0x0
	.amdhsa_kernel _ZN7rocprim17ROCPRIM_400000_NS6detail17trampoline_kernelINS0_14default_configENS1_22reduce_config_selectorIN6thrust23THRUST_200600_302600_NS5tupleIblNS6_9null_typeES8_S8_S8_S8_S8_S8_S8_EEEEZNS1_11reduce_implILb1ES3_NS6_12zip_iteratorINS7_INS6_11hip_rocprim26transform_input_iterator_tIbNSD_35transform_pair_of_input_iterators_tIbNS6_6detail15normal_iteratorINS6_10device_ptrIK10large_dataEEEESM_NS6_8equal_toISJ_EEEENSG_9not_fun_tINSD_8identityEEEEENSD_19counting_iterator_tIlEES8_S8_S8_S8_S8_S8_S8_S8_EEEEPS9_S9_NSD_9__find_if7functorIS9_EEEE10hipError_tPvRmT1_T2_T3_mT4_P12ihipStream_tbEUlT_E1_NS1_11comp_targetILNS1_3genE4ELNS1_11target_archE910ELNS1_3gpuE8ELNS1_3repE0EEENS1_30default_config_static_selectorELNS0_4arch9wavefront6targetE0EEEvS15_
		.amdhsa_group_segment_fixed_size 0
		.amdhsa_private_segment_fixed_size 0
		.amdhsa_kernarg_size 88
		.amdhsa_user_sgpr_count 15
		.amdhsa_user_sgpr_dispatch_ptr 0
		.amdhsa_user_sgpr_queue_ptr 0
		.amdhsa_user_sgpr_kernarg_segment_ptr 1
		.amdhsa_user_sgpr_dispatch_id 0
		.amdhsa_user_sgpr_private_segment_size 0
		.amdhsa_wavefront_size32 1
		.amdhsa_uses_dynamic_stack 0
		.amdhsa_enable_private_segment 0
		.amdhsa_system_sgpr_workgroup_id_x 1
		.amdhsa_system_sgpr_workgroup_id_y 0
		.amdhsa_system_sgpr_workgroup_id_z 0
		.amdhsa_system_sgpr_workgroup_info 0
		.amdhsa_system_vgpr_workitem_id 0
		.amdhsa_next_free_vgpr 1
		.amdhsa_next_free_sgpr 1
		.amdhsa_reserve_vcc 0
		.amdhsa_float_round_mode_32 0
		.amdhsa_float_round_mode_16_64 0
		.amdhsa_float_denorm_mode_32 3
		.amdhsa_float_denorm_mode_16_64 3
		.amdhsa_dx10_clamp 1
		.amdhsa_ieee_mode 1
		.amdhsa_fp16_overflow 0
		.amdhsa_workgroup_processor_mode 1
		.amdhsa_memory_ordered 1
		.amdhsa_forward_progress 0
		.amdhsa_shared_vgpr_count 0
		.amdhsa_exception_fp_ieee_invalid_op 0
		.amdhsa_exception_fp_denorm_src 0
		.amdhsa_exception_fp_ieee_div_zero 0
		.amdhsa_exception_fp_ieee_overflow 0
		.amdhsa_exception_fp_ieee_underflow 0
		.amdhsa_exception_fp_ieee_inexact 0
		.amdhsa_exception_int_div_zero 0
	.end_amdhsa_kernel
	.section	.text._ZN7rocprim17ROCPRIM_400000_NS6detail17trampoline_kernelINS0_14default_configENS1_22reduce_config_selectorIN6thrust23THRUST_200600_302600_NS5tupleIblNS6_9null_typeES8_S8_S8_S8_S8_S8_S8_EEEEZNS1_11reduce_implILb1ES3_NS6_12zip_iteratorINS7_INS6_11hip_rocprim26transform_input_iterator_tIbNSD_35transform_pair_of_input_iterators_tIbNS6_6detail15normal_iteratorINS6_10device_ptrIK10large_dataEEEESM_NS6_8equal_toISJ_EEEENSG_9not_fun_tINSD_8identityEEEEENSD_19counting_iterator_tIlEES8_S8_S8_S8_S8_S8_S8_S8_EEEEPS9_S9_NSD_9__find_if7functorIS9_EEEE10hipError_tPvRmT1_T2_T3_mT4_P12ihipStream_tbEUlT_E1_NS1_11comp_targetILNS1_3genE4ELNS1_11target_archE910ELNS1_3gpuE8ELNS1_3repE0EEENS1_30default_config_static_selectorELNS0_4arch9wavefront6targetE0EEEvS15_,"axG",@progbits,_ZN7rocprim17ROCPRIM_400000_NS6detail17trampoline_kernelINS0_14default_configENS1_22reduce_config_selectorIN6thrust23THRUST_200600_302600_NS5tupleIblNS6_9null_typeES8_S8_S8_S8_S8_S8_S8_EEEEZNS1_11reduce_implILb1ES3_NS6_12zip_iteratorINS7_INS6_11hip_rocprim26transform_input_iterator_tIbNSD_35transform_pair_of_input_iterators_tIbNS6_6detail15normal_iteratorINS6_10device_ptrIK10large_dataEEEESM_NS6_8equal_toISJ_EEEENSG_9not_fun_tINSD_8identityEEEEENSD_19counting_iterator_tIlEES8_S8_S8_S8_S8_S8_S8_S8_EEEEPS9_S9_NSD_9__find_if7functorIS9_EEEE10hipError_tPvRmT1_T2_T3_mT4_P12ihipStream_tbEUlT_E1_NS1_11comp_targetILNS1_3genE4ELNS1_11target_archE910ELNS1_3gpuE8ELNS1_3repE0EEENS1_30default_config_static_selectorELNS0_4arch9wavefront6targetE0EEEvS15_,comdat
.Lfunc_end746:
	.size	_ZN7rocprim17ROCPRIM_400000_NS6detail17trampoline_kernelINS0_14default_configENS1_22reduce_config_selectorIN6thrust23THRUST_200600_302600_NS5tupleIblNS6_9null_typeES8_S8_S8_S8_S8_S8_S8_EEEEZNS1_11reduce_implILb1ES3_NS6_12zip_iteratorINS7_INS6_11hip_rocprim26transform_input_iterator_tIbNSD_35transform_pair_of_input_iterators_tIbNS6_6detail15normal_iteratorINS6_10device_ptrIK10large_dataEEEESM_NS6_8equal_toISJ_EEEENSG_9not_fun_tINSD_8identityEEEEENSD_19counting_iterator_tIlEES8_S8_S8_S8_S8_S8_S8_S8_EEEEPS9_S9_NSD_9__find_if7functorIS9_EEEE10hipError_tPvRmT1_T2_T3_mT4_P12ihipStream_tbEUlT_E1_NS1_11comp_targetILNS1_3genE4ELNS1_11target_archE910ELNS1_3gpuE8ELNS1_3repE0EEENS1_30default_config_static_selectorELNS0_4arch9wavefront6targetE0EEEvS15_, .Lfunc_end746-_ZN7rocprim17ROCPRIM_400000_NS6detail17trampoline_kernelINS0_14default_configENS1_22reduce_config_selectorIN6thrust23THRUST_200600_302600_NS5tupleIblNS6_9null_typeES8_S8_S8_S8_S8_S8_S8_EEEEZNS1_11reduce_implILb1ES3_NS6_12zip_iteratorINS7_INS6_11hip_rocprim26transform_input_iterator_tIbNSD_35transform_pair_of_input_iterators_tIbNS6_6detail15normal_iteratorINS6_10device_ptrIK10large_dataEEEESM_NS6_8equal_toISJ_EEEENSG_9not_fun_tINSD_8identityEEEEENSD_19counting_iterator_tIlEES8_S8_S8_S8_S8_S8_S8_S8_EEEEPS9_S9_NSD_9__find_if7functorIS9_EEEE10hipError_tPvRmT1_T2_T3_mT4_P12ihipStream_tbEUlT_E1_NS1_11comp_targetILNS1_3genE4ELNS1_11target_archE910ELNS1_3gpuE8ELNS1_3repE0EEENS1_30default_config_static_selectorELNS0_4arch9wavefront6targetE0EEEvS15_
                                        ; -- End function
	.section	.AMDGPU.csdata,"",@progbits
; Kernel info:
; codeLenInByte = 0
; NumSgprs: 0
; NumVgprs: 0
; ScratchSize: 0
; MemoryBound: 0
; FloatMode: 240
; IeeeMode: 1
; LDSByteSize: 0 bytes/workgroup (compile time only)
; SGPRBlocks: 0
; VGPRBlocks: 0
; NumSGPRsForWavesPerEU: 1
; NumVGPRsForWavesPerEU: 1
; Occupancy: 16
; WaveLimiterHint : 0
; COMPUTE_PGM_RSRC2:SCRATCH_EN: 0
; COMPUTE_PGM_RSRC2:USER_SGPR: 15
; COMPUTE_PGM_RSRC2:TRAP_HANDLER: 0
; COMPUTE_PGM_RSRC2:TGID_X_EN: 1
; COMPUTE_PGM_RSRC2:TGID_Y_EN: 0
; COMPUTE_PGM_RSRC2:TGID_Z_EN: 0
; COMPUTE_PGM_RSRC2:TIDIG_COMP_CNT: 0
	.section	.text._ZN7rocprim17ROCPRIM_400000_NS6detail17trampoline_kernelINS0_14default_configENS1_22reduce_config_selectorIN6thrust23THRUST_200600_302600_NS5tupleIblNS6_9null_typeES8_S8_S8_S8_S8_S8_S8_EEEEZNS1_11reduce_implILb1ES3_NS6_12zip_iteratorINS7_INS6_11hip_rocprim26transform_input_iterator_tIbNSD_35transform_pair_of_input_iterators_tIbNS6_6detail15normal_iteratorINS6_10device_ptrIK10large_dataEEEESM_NS6_8equal_toISJ_EEEENSG_9not_fun_tINSD_8identityEEEEENSD_19counting_iterator_tIlEES8_S8_S8_S8_S8_S8_S8_S8_EEEEPS9_S9_NSD_9__find_if7functorIS9_EEEE10hipError_tPvRmT1_T2_T3_mT4_P12ihipStream_tbEUlT_E1_NS1_11comp_targetILNS1_3genE3ELNS1_11target_archE908ELNS1_3gpuE7ELNS1_3repE0EEENS1_30default_config_static_selectorELNS0_4arch9wavefront6targetE0EEEvS15_,"axG",@progbits,_ZN7rocprim17ROCPRIM_400000_NS6detail17trampoline_kernelINS0_14default_configENS1_22reduce_config_selectorIN6thrust23THRUST_200600_302600_NS5tupleIblNS6_9null_typeES8_S8_S8_S8_S8_S8_S8_EEEEZNS1_11reduce_implILb1ES3_NS6_12zip_iteratorINS7_INS6_11hip_rocprim26transform_input_iterator_tIbNSD_35transform_pair_of_input_iterators_tIbNS6_6detail15normal_iteratorINS6_10device_ptrIK10large_dataEEEESM_NS6_8equal_toISJ_EEEENSG_9not_fun_tINSD_8identityEEEEENSD_19counting_iterator_tIlEES8_S8_S8_S8_S8_S8_S8_S8_EEEEPS9_S9_NSD_9__find_if7functorIS9_EEEE10hipError_tPvRmT1_T2_T3_mT4_P12ihipStream_tbEUlT_E1_NS1_11comp_targetILNS1_3genE3ELNS1_11target_archE908ELNS1_3gpuE7ELNS1_3repE0EEENS1_30default_config_static_selectorELNS0_4arch9wavefront6targetE0EEEvS15_,comdat
	.protected	_ZN7rocprim17ROCPRIM_400000_NS6detail17trampoline_kernelINS0_14default_configENS1_22reduce_config_selectorIN6thrust23THRUST_200600_302600_NS5tupleIblNS6_9null_typeES8_S8_S8_S8_S8_S8_S8_EEEEZNS1_11reduce_implILb1ES3_NS6_12zip_iteratorINS7_INS6_11hip_rocprim26transform_input_iterator_tIbNSD_35transform_pair_of_input_iterators_tIbNS6_6detail15normal_iteratorINS6_10device_ptrIK10large_dataEEEESM_NS6_8equal_toISJ_EEEENSG_9not_fun_tINSD_8identityEEEEENSD_19counting_iterator_tIlEES8_S8_S8_S8_S8_S8_S8_S8_EEEEPS9_S9_NSD_9__find_if7functorIS9_EEEE10hipError_tPvRmT1_T2_T3_mT4_P12ihipStream_tbEUlT_E1_NS1_11comp_targetILNS1_3genE3ELNS1_11target_archE908ELNS1_3gpuE7ELNS1_3repE0EEENS1_30default_config_static_selectorELNS0_4arch9wavefront6targetE0EEEvS15_ ; -- Begin function _ZN7rocprim17ROCPRIM_400000_NS6detail17trampoline_kernelINS0_14default_configENS1_22reduce_config_selectorIN6thrust23THRUST_200600_302600_NS5tupleIblNS6_9null_typeES8_S8_S8_S8_S8_S8_S8_EEEEZNS1_11reduce_implILb1ES3_NS6_12zip_iteratorINS7_INS6_11hip_rocprim26transform_input_iterator_tIbNSD_35transform_pair_of_input_iterators_tIbNS6_6detail15normal_iteratorINS6_10device_ptrIK10large_dataEEEESM_NS6_8equal_toISJ_EEEENSG_9not_fun_tINSD_8identityEEEEENSD_19counting_iterator_tIlEES8_S8_S8_S8_S8_S8_S8_S8_EEEEPS9_S9_NSD_9__find_if7functorIS9_EEEE10hipError_tPvRmT1_T2_T3_mT4_P12ihipStream_tbEUlT_E1_NS1_11comp_targetILNS1_3genE3ELNS1_11target_archE908ELNS1_3gpuE7ELNS1_3repE0EEENS1_30default_config_static_selectorELNS0_4arch9wavefront6targetE0EEEvS15_
	.globl	_ZN7rocprim17ROCPRIM_400000_NS6detail17trampoline_kernelINS0_14default_configENS1_22reduce_config_selectorIN6thrust23THRUST_200600_302600_NS5tupleIblNS6_9null_typeES8_S8_S8_S8_S8_S8_S8_EEEEZNS1_11reduce_implILb1ES3_NS6_12zip_iteratorINS7_INS6_11hip_rocprim26transform_input_iterator_tIbNSD_35transform_pair_of_input_iterators_tIbNS6_6detail15normal_iteratorINS6_10device_ptrIK10large_dataEEEESM_NS6_8equal_toISJ_EEEENSG_9not_fun_tINSD_8identityEEEEENSD_19counting_iterator_tIlEES8_S8_S8_S8_S8_S8_S8_S8_EEEEPS9_S9_NSD_9__find_if7functorIS9_EEEE10hipError_tPvRmT1_T2_T3_mT4_P12ihipStream_tbEUlT_E1_NS1_11comp_targetILNS1_3genE3ELNS1_11target_archE908ELNS1_3gpuE7ELNS1_3repE0EEENS1_30default_config_static_selectorELNS0_4arch9wavefront6targetE0EEEvS15_
	.p2align	8
	.type	_ZN7rocprim17ROCPRIM_400000_NS6detail17trampoline_kernelINS0_14default_configENS1_22reduce_config_selectorIN6thrust23THRUST_200600_302600_NS5tupleIblNS6_9null_typeES8_S8_S8_S8_S8_S8_S8_EEEEZNS1_11reduce_implILb1ES3_NS6_12zip_iteratorINS7_INS6_11hip_rocprim26transform_input_iterator_tIbNSD_35transform_pair_of_input_iterators_tIbNS6_6detail15normal_iteratorINS6_10device_ptrIK10large_dataEEEESM_NS6_8equal_toISJ_EEEENSG_9not_fun_tINSD_8identityEEEEENSD_19counting_iterator_tIlEES8_S8_S8_S8_S8_S8_S8_S8_EEEEPS9_S9_NSD_9__find_if7functorIS9_EEEE10hipError_tPvRmT1_T2_T3_mT4_P12ihipStream_tbEUlT_E1_NS1_11comp_targetILNS1_3genE3ELNS1_11target_archE908ELNS1_3gpuE7ELNS1_3repE0EEENS1_30default_config_static_selectorELNS0_4arch9wavefront6targetE0EEEvS15_,@function
_ZN7rocprim17ROCPRIM_400000_NS6detail17trampoline_kernelINS0_14default_configENS1_22reduce_config_selectorIN6thrust23THRUST_200600_302600_NS5tupleIblNS6_9null_typeES8_S8_S8_S8_S8_S8_S8_EEEEZNS1_11reduce_implILb1ES3_NS6_12zip_iteratorINS7_INS6_11hip_rocprim26transform_input_iterator_tIbNSD_35transform_pair_of_input_iterators_tIbNS6_6detail15normal_iteratorINS6_10device_ptrIK10large_dataEEEESM_NS6_8equal_toISJ_EEEENSG_9not_fun_tINSD_8identityEEEEENSD_19counting_iterator_tIlEES8_S8_S8_S8_S8_S8_S8_S8_EEEEPS9_S9_NSD_9__find_if7functorIS9_EEEE10hipError_tPvRmT1_T2_T3_mT4_P12ihipStream_tbEUlT_E1_NS1_11comp_targetILNS1_3genE3ELNS1_11target_archE908ELNS1_3gpuE7ELNS1_3repE0EEENS1_30default_config_static_selectorELNS0_4arch9wavefront6targetE0EEEvS15_: ; @_ZN7rocprim17ROCPRIM_400000_NS6detail17trampoline_kernelINS0_14default_configENS1_22reduce_config_selectorIN6thrust23THRUST_200600_302600_NS5tupleIblNS6_9null_typeES8_S8_S8_S8_S8_S8_S8_EEEEZNS1_11reduce_implILb1ES3_NS6_12zip_iteratorINS7_INS6_11hip_rocprim26transform_input_iterator_tIbNSD_35transform_pair_of_input_iterators_tIbNS6_6detail15normal_iteratorINS6_10device_ptrIK10large_dataEEEESM_NS6_8equal_toISJ_EEEENSG_9not_fun_tINSD_8identityEEEEENSD_19counting_iterator_tIlEES8_S8_S8_S8_S8_S8_S8_S8_EEEEPS9_S9_NSD_9__find_if7functorIS9_EEEE10hipError_tPvRmT1_T2_T3_mT4_P12ihipStream_tbEUlT_E1_NS1_11comp_targetILNS1_3genE3ELNS1_11target_archE908ELNS1_3gpuE7ELNS1_3repE0EEENS1_30default_config_static_selectorELNS0_4arch9wavefront6targetE0EEEvS15_
; %bb.0:
	.section	.rodata,"a",@progbits
	.p2align	6, 0x0
	.amdhsa_kernel _ZN7rocprim17ROCPRIM_400000_NS6detail17trampoline_kernelINS0_14default_configENS1_22reduce_config_selectorIN6thrust23THRUST_200600_302600_NS5tupleIblNS6_9null_typeES8_S8_S8_S8_S8_S8_S8_EEEEZNS1_11reduce_implILb1ES3_NS6_12zip_iteratorINS7_INS6_11hip_rocprim26transform_input_iterator_tIbNSD_35transform_pair_of_input_iterators_tIbNS6_6detail15normal_iteratorINS6_10device_ptrIK10large_dataEEEESM_NS6_8equal_toISJ_EEEENSG_9not_fun_tINSD_8identityEEEEENSD_19counting_iterator_tIlEES8_S8_S8_S8_S8_S8_S8_S8_EEEEPS9_S9_NSD_9__find_if7functorIS9_EEEE10hipError_tPvRmT1_T2_T3_mT4_P12ihipStream_tbEUlT_E1_NS1_11comp_targetILNS1_3genE3ELNS1_11target_archE908ELNS1_3gpuE7ELNS1_3repE0EEENS1_30default_config_static_selectorELNS0_4arch9wavefront6targetE0EEEvS15_
		.amdhsa_group_segment_fixed_size 0
		.amdhsa_private_segment_fixed_size 0
		.amdhsa_kernarg_size 88
		.amdhsa_user_sgpr_count 15
		.amdhsa_user_sgpr_dispatch_ptr 0
		.amdhsa_user_sgpr_queue_ptr 0
		.amdhsa_user_sgpr_kernarg_segment_ptr 1
		.amdhsa_user_sgpr_dispatch_id 0
		.amdhsa_user_sgpr_private_segment_size 0
		.amdhsa_wavefront_size32 1
		.amdhsa_uses_dynamic_stack 0
		.amdhsa_enable_private_segment 0
		.amdhsa_system_sgpr_workgroup_id_x 1
		.amdhsa_system_sgpr_workgroup_id_y 0
		.amdhsa_system_sgpr_workgroup_id_z 0
		.amdhsa_system_sgpr_workgroup_info 0
		.amdhsa_system_vgpr_workitem_id 0
		.amdhsa_next_free_vgpr 1
		.amdhsa_next_free_sgpr 1
		.amdhsa_reserve_vcc 0
		.amdhsa_float_round_mode_32 0
		.amdhsa_float_round_mode_16_64 0
		.amdhsa_float_denorm_mode_32 3
		.amdhsa_float_denorm_mode_16_64 3
		.amdhsa_dx10_clamp 1
		.amdhsa_ieee_mode 1
		.amdhsa_fp16_overflow 0
		.amdhsa_workgroup_processor_mode 1
		.amdhsa_memory_ordered 1
		.amdhsa_forward_progress 0
		.amdhsa_shared_vgpr_count 0
		.amdhsa_exception_fp_ieee_invalid_op 0
		.amdhsa_exception_fp_denorm_src 0
		.amdhsa_exception_fp_ieee_div_zero 0
		.amdhsa_exception_fp_ieee_overflow 0
		.amdhsa_exception_fp_ieee_underflow 0
		.amdhsa_exception_fp_ieee_inexact 0
		.amdhsa_exception_int_div_zero 0
	.end_amdhsa_kernel
	.section	.text._ZN7rocprim17ROCPRIM_400000_NS6detail17trampoline_kernelINS0_14default_configENS1_22reduce_config_selectorIN6thrust23THRUST_200600_302600_NS5tupleIblNS6_9null_typeES8_S8_S8_S8_S8_S8_S8_EEEEZNS1_11reduce_implILb1ES3_NS6_12zip_iteratorINS7_INS6_11hip_rocprim26transform_input_iterator_tIbNSD_35transform_pair_of_input_iterators_tIbNS6_6detail15normal_iteratorINS6_10device_ptrIK10large_dataEEEESM_NS6_8equal_toISJ_EEEENSG_9not_fun_tINSD_8identityEEEEENSD_19counting_iterator_tIlEES8_S8_S8_S8_S8_S8_S8_S8_EEEEPS9_S9_NSD_9__find_if7functorIS9_EEEE10hipError_tPvRmT1_T2_T3_mT4_P12ihipStream_tbEUlT_E1_NS1_11comp_targetILNS1_3genE3ELNS1_11target_archE908ELNS1_3gpuE7ELNS1_3repE0EEENS1_30default_config_static_selectorELNS0_4arch9wavefront6targetE0EEEvS15_,"axG",@progbits,_ZN7rocprim17ROCPRIM_400000_NS6detail17trampoline_kernelINS0_14default_configENS1_22reduce_config_selectorIN6thrust23THRUST_200600_302600_NS5tupleIblNS6_9null_typeES8_S8_S8_S8_S8_S8_S8_EEEEZNS1_11reduce_implILb1ES3_NS6_12zip_iteratorINS7_INS6_11hip_rocprim26transform_input_iterator_tIbNSD_35transform_pair_of_input_iterators_tIbNS6_6detail15normal_iteratorINS6_10device_ptrIK10large_dataEEEESM_NS6_8equal_toISJ_EEEENSG_9not_fun_tINSD_8identityEEEEENSD_19counting_iterator_tIlEES8_S8_S8_S8_S8_S8_S8_S8_EEEEPS9_S9_NSD_9__find_if7functorIS9_EEEE10hipError_tPvRmT1_T2_T3_mT4_P12ihipStream_tbEUlT_E1_NS1_11comp_targetILNS1_3genE3ELNS1_11target_archE908ELNS1_3gpuE7ELNS1_3repE0EEENS1_30default_config_static_selectorELNS0_4arch9wavefront6targetE0EEEvS15_,comdat
.Lfunc_end747:
	.size	_ZN7rocprim17ROCPRIM_400000_NS6detail17trampoline_kernelINS0_14default_configENS1_22reduce_config_selectorIN6thrust23THRUST_200600_302600_NS5tupleIblNS6_9null_typeES8_S8_S8_S8_S8_S8_S8_EEEEZNS1_11reduce_implILb1ES3_NS6_12zip_iteratorINS7_INS6_11hip_rocprim26transform_input_iterator_tIbNSD_35transform_pair_of_input_iterators_tIbNS6_6detail15normal_iteratorINS6_10device_ptrIK10large_dataEEEESM_NS6_8equal_toISJ_EEEENSG_9not_fun_tINSD_8identityEEEEENSD_19counting_iterator_tIlEES8_S8_S8_S8_S8_S8_S8_S8_EEEEPS9_S9_NSD_9__find_if7functorIS9_EEEE10hipError_tPvRmT1_T2_T3_mT4_P12ihipStream_tbEUlT_E1_NS1_11comp_targetILNS1_3genE3ELNS1_11target_archE908ELNS1_3gpuE7ELNS1_3repE0EEENS1_30default_config_static_selectorELNS0_4arch9wavefront6targetE0EEEvS15_, .Lfunc_end747-_ZN7rocprim17ROCPRIM_400000_NS6detail17trampoline_kernelINS0_14default_configENS1_22reduce_config_selectorIN6thrust23THRUST_200600_302600_NS5tupleIblNS6_9null_typeES8_S8_S8_S8_S8_S8_S8_EEEEZNS1_11reduce_implILb1ES3_NS6_12zip_iteratorINS7_INS6_11hip_rocprim26transform_input_iterator_tIbNSD_35transform_pair_of_input_iterators_tIbNS6_6detail15normal_iteratorINS6_10device_ptrIK10large_dataEEEESM_NS6_8equal_toISJ_EEEENSG_9not_fun_tINSD_8identityEEEEENSD_19counting_iterator_tIlEES8_S8_S8_S8_S8_S8_S8_S8_EEEEPS9_S9_NSD_9__find_if7functorIS9_EEEE10hipError_tPvRmT1_T2_T3_mT4_P12ihipStream_tbEUlT_E1_NS1_11comp_targetILNS1_3genE3ELNS1_11target_archE908ELNS1_3gpuE7ELNS1_3repE0EEENS1_30default_config_static_selectorELNS0_4arch9wavefront6targetE0EEEvS15_
                                        ; -- End function
	.section	.AMDGPU.csdata,"",@progbits
; Kernel info:
; codeLenInByte = 0
; NumSgprs: 0
; NumVgprs: 0
; ScratchSize: 0
; MemoryBound: 0
; FloatMode: 240
; IeeeMode: 1
; LDSByteSize: 0 bytes/workgroup (compile time only)
; SGPRBlocks: 0
; VGPRBlocks: 0
; NumSGPRsForWavesPerEU: 1
; NumVGPRsForWavesPerEU: 1
; Occupancy: 16
; WaveLimiterHint : 0
; COMPUTE_PGM_RSRC2:SCRATCH_EN: 0
; COMPUTE_PGM_RSRC2:USER_SGPR: 15
; COMPUTE_PGM_RSRC2:TRAP_HANDLER: 0
; COMPUTE_PGM_RSRC2:TGID_X_EN: 1
; COMPUTE_PGM_RSRC2:TGID_Y_EN: 0
; COMPUTE_PGM_RSRC2:TGID_Z_EN: 0
; COMPUTE_PGM_RSRC2:TIDIG_COMP_CNT: 0
	.section	.text._ZN7rocprim17ROCPRIM_400000_NS6detail17trampoline_kernelINS0_14default_configENS1_22reduce_config_selectorIN6thrust23THRUST_200600_302600_NS5tupleIblNS6_9null_typeES8_S8_S8_S8_S8_S8_S8_EEEEZNS1_11reduce_implILb1ES3_NS6_12zip_iteratorINS7_INS6_11hip_rocprim26transform_input_iterator_tIbNSD_35transform_pair_of_input_iterators_tIbNS6_6detail15normal_iteratorINS6_10device_ptrIK10large_dataEEEESM_NS6_8equal_toISJ_EEEENSG_9not_fun_tINSD_8identityEEEEENSD_19counting_iterator_tIlEES8_S8_S8_S8_S8_S8_S8_S8_EEEEPS9_S9_NSD_9__find_if7functorIS9_EEEE10hipError_tPvRmT1_T2_T3_mT4_P12ihipStream_tbEUlT_E1_NS1_11comp_targetILNS1_3genE2ELNS1_11target_archE906ELNS1_3gpuE6ELNS1_3repE0EEENS1_30default_config_static_selectorELNS0_4arch9wavefront6targetE0EEEvS15_,"axG",@progbits,_ZN7rocprim17ROCPRIM_400000_NS6detail17trampoline_kernelINS0_14default_configENS1_22reduce_config_selectorIN6thrust23THRUST_200600_302600_NS5tupleIblNS6_9null_typeES8_S8_S8_S8_S8_S8_S8_EEEEZNS1_11reduce_implILb1ES3_NS6_12zip_iteratorINS7_INS6_11hip_rocprim26transform_input_iterator_tIbNSD_35transform_pair_of_input_iterators_tIbNS6_6detail15normal_iteratorINS6_10device_ptrIK10large_dataEEEESM_NS6_8equal_toISJ_EEEENSG_9not_fun_tINSD_8identityEEEEENSD_19counting_iterator_tIlEES8_S8_S8_S8_S8_S8_S8_S8_EEEEPS9_S9_NSD_9__find_if7functorIS9_EEEE10hipError_tPvRmT1_T2_T3_mT4_P12ihipStream_tbEUlT_E1_NS1_11comp_targetILNS1_3genE2ELNS1_11target_archE906ELNS1_3gpuE6ELNS1_3repE0EEENS1_30default_config_static_selectorELNS0_4arch9wavefront6targetE0EEEvS15_,comdat
	.protected	_ZN7rocprim17ROCPRIM_400000_NS6detail17trampoline_kernelINS0_14default_configENS1_22reduce_config_selectorIN6thrust23THRUST_200600_302600_NS5tupleIblNS6_9null_typeES8_S8_S8_S8_S8_S8_S8_EEEEZNS1_11reduce_implILb1ES3_NS6_12zip_iteratorINS7_INS6_11hip_rocprim26transform_input_iterator_tIbNSD_35transform_pair_of_input_iterators_tIbNS6_6detail15normal_iteratorINS6_10device_ptrIK10large_dataEEEESM_NS6_8equal_toISJ_EEEENSG_9not_fun_tINSD_8identityEEEEENSD_19counting_iterator_tIlEES8_S8_S8_S8_S8_S8_S8_S8_EEEEPS9_S9_NSD_9__find_if7functorIS9_EEEE10hipError_tPvRmT1_T2_T3_mT4_P12ihipStream_tbEUlT_E1_NS1_11comp_targetILNS1_3genE2ELNS1_11target_archE906ELNS1_3gpuE6ELNS1_3repE0EEENS1_30default_config_static_selectorELNS0_4arch9wavefront6targetE0EEEvS15_ ; -- Begin function _ZN7rocprim17ROCPRIM_400000_NS6detail17trampoline_kernelINS0_14default_configENS1_22reduce_config_selectorIN6thrust23THRUST_200600_302600_NS5tupleIblNS6_9null_typeES8_S8_S8_S8_S8_S8_S8_EEEEZNS1_11reduce_implILb1ES3_NS6_12zip_iteratorINS7_INS6_11hip_rocprim26transform_input_iterator_tIbNSD_35transform_pair_of_input_iterators_tIbNS6_6detail15normal_iteratorINS6_10device_ptrIK10large_dataEEEESM_NS6_8equal_toISJ_EEEENSG_9not_fun_tINSD_8identityEEEEENSD_19counting_iterator_tIlEES8_S8_S8_S8_S8_S8_S8_S8_EEEEPS9_S9_NSD_9__find_if7functorIS9_EEEE10hipError_tPvRmT1_T2_T3_mT4_P12ihipStream_tbEUlT_E1_NS1_11comp_targetILNS1_3genE2ELNS1_11target_archE906ELNS1_3gpuE6ELNS1_3repE0EEENS1_30default_config_static_selectorELNS0_4arch9wavefront6targetE0EEEvS15_
	.globl	_ZN7rocprim17ROCPRIM_400000_NS6detail17trampoline_kernelINS0_14default_configENS1_22reduce_config_selectorIN6thrust23THRUST_200600_302600_NS5tupleIblNS6_9null_typeES8_S8_S8_S8_S8_S8_S8_EEEEZNS1_11reduce_implILb1ES3_NS6_12zip_iteratorINS7_INS6_11hip_rocprim26transform_input_iterator_tIbNSD_35transform_pair_of_input_iterators_tIbNS6_6detail15normal_iteratorINS6_10device_ptrIK10large_dataEEEESM_NS6_8equal_toISJ_EEEENSG_9not_fun_tINSD_8identityEEEEENSD_19counting_iterator_tIlEES8_S8_S8_S8_S8_S8_S8_S8_EEEEPS9_S9_NSD_9__find_if7functorIS9_EEEE10hipError_tPvRmT1_T2_T3_mT4_P12ihipStream_tbEUlT_E1_NS1_11comp_targetILNS1_3genE2ELNS1_11target_archE906ELNS1_3gpuE6ELNS1_3repE0EEENS1_30default_config_static_selectorELNS0_4arch9wavefront6targetE0EEEvS15_
	.p2align	8
	.type	_ZN7rocprim17ROCPRIM_400000_NS6detail17trampoline_kernelINS0_14default_configENS1_22reduce_config_selectorIN6thrust23THRUST_200600_302600_NS5tupleIblNS6_9null_typeES8_S8_S8_S8_S8_S8_S8_EEEEZNS1_11reduce_implILb1ES3_NS6_12zip_iteratorINS7_INS6_11hip_rocprim26transform_input_iterator_tIbNSD_35transform_pair_of_input_iterators_tIbNS6_6detail15normal_iteratorINS6_10device_ptrIK10large_dataEEEESM_NS6_8equal_toISJ_EEEENSG_9not_fun_tINSD_8identityEEEEENSD_19counting_iterator_tIlEES8_S8_S8_S8_S8_S8_S8_S8_EEEEPS9_S9_NSD_9__find_if7functorIS9_EEEE10hipError_tPvRmT1_T2_T3_mT4_P12ihipStream_tbEUlT_E1_NS1_11comp_targetILNS1_3genE2ELNS1_11target_archE906ELNS1_3gpuE6ELNS1_3repE0EEENS1_30default_config_static_selectorELNS0_4arch9wavefront6targetE0EEEvS15_,@function
_ZN7rocprim17ROCPRIM_400000_NS6detail17trampoline_kernelINS0_14default_configENS1_22reduce_config_selectorIN6thrust23THRUST_200600_302600_NS5tupleIblNS6_9null_typeES8_S8_S8_S8_S8_S8_S8_EEEEZNS1_11reduce_implILb1ES3_NS6_12zip_iteratorINS7_INS6_11hip_rocprim26transform_input_iterator_tIbNSD_35transform_pair_of_input_iterators_tIbNS6_6detail15normal_iteratorINS6_10device_ptrIK10large_dataEEEESM_NS6_8equal_toISJ_EEEENSG_9not_fun_tINSD_8identityEEEEENSD_19counting_iterator_tIlEES8_S8_S8_S8_S8_S8_S8_S8_EEEEPS9_S9_NSD_9__find_if7functorIS9_EEEE10hipError_tPvRmT1_T2_T3_mT4_P12ihipStream_tbEUlT_E1_NS1_11comp_targetILNS1_3genE2ELNS1_11target_archE906ELNS1_3gpuE6ELNS1_3repE0EEENS1_30default_config_static_selectorELNS0_4arch9wavefront6targetE0EEEvS15_: ; @_ZN7rocprim17ROCPRIM_400000_NS6detail17trampoline_kernelINS0_14default_configENS1_22reduce_config_selectorIN6thrust23THRUST_200600_302600_NS5tupleIblNS6_9null_typeES8_S8_S8_S8_S8_S8_S8_EEEEZNS1_11reduce_implILb1ES3_NS6_12zip_iteratorINS7_INS6_11hip_rocprim26transform_input_iterator_tIbNSD_35transform_pair_of_input_iterators_tIbNS6_6detail15normal_iteratorINS6_10device_ptrIK10large_dataEEEESM_NS6_8equal_toISJ_EEEENSG_9not_fun_tINSD_8identityEEEEENSD_19counting_iterator_tIlEES8_S8_S8_S8_S8_S8_S8_S8_EEEEPS9_S9_NSD_9__find_if7functorIS9_EEEE10hipError_tPvRmT1_T2_T3_mT4_P12ihipStream_tbEUlT_E1_NS1_11comp_targetILNS1_3genE2ELNS1_11target_archE906ELNS1_3gpuE6ELNS1_3repE0EEENS1_30default_config_static_selectorELNS0_4arch9wavefront6targetE0EEEvS15_
; %bb.0:
	.section	.rodata,"a",@progbits
	.p2align	6, 0x0
	.amdhsa_kernel _ZN7rocprim17ROCPRIM_400000_NS6detail17trampoline_kernelINS0_14default_configENS1_22reduce_config_selectorIN6thrust23THRUST_200600_302600_NS5tupleIblNS6_9null_typeES8_S8_S8_S8_S8_S8_S8_EEEEZNS1_11reduce_implILb1ES3_NS6_12zip_iteratorINS7_INS6_11hip_rocprim26transform_input_iterator_tIbNSD_35transform_pair_of_input_iterators_tIbNS6_6detail15normal_iteratorINS6_10device_ptrIK10large_dataEEEESM_NS6_8equal_toISJ_EEEENSG_9not_fun_tINSD_8identityEEEEENSD_19counting_iterator_tIlEES8_S8_S8_S8_S8_S8_S8_S8_EEEEPS9_S9_NSD_9__find_if7functorIS9_EEEE10hipError_tPvRmT1_T2_T3_mT4_P12ihipStream_tbEUlT_E1_NS1_11comp_targetILNS1_3genE2ELNS1_11target_archE906ELNS1_3gpuE6ELNS1_3repE0EEENS1_30default_config_static_selectorELNS0_4arch9wavefront6targetE0EEEvS15_
		.amdhsa_group_segment_fixed_size 0
		.amdhsa_private_segment_fixed_size 0
		.amdhsa_kernarg_size 88
		.amdhsa_user_sgpr_count 15
		.amdhsa_user_sgpr_dispatch_ptr 0
		.amdhsa_user_sgpr_queue_ptr 0
		.amdhsa_user_sgpr_kernarg_segment_ptr 1
		.amdhsa_user_sgpr_dispatch_id 0
		.amdhsa_user_sgpr_private_segment_size 0
		.amdhsa_wavefront_size32 1
		.amdhsa_uses_dynamic_stack 0
		.amdhsa_enable_private_segment 0
		.amdhsa_system_sgpr_workgroup_id_x 1
		.amdhsa_system_sgpr_workgroup_id_y 0
		.amdhsa_system_sgpr_workgroup_id_z 0
		.amdhsa_system_sgpr_workgroup_info 0
		.amdhsa_system_vgpr_workitem_id 0
		.amdhsa_next_free_vgpr 1
		.amdhsa_next_free_sgpr 1
		.amdhsa_reserve_vcc 0
		.amdhsa_float_round_mode_32 0
		.amdhsa_float_round_mode_16_64 0
		.amdhsa_float_denorm_mode_32 3
		.amdhsa_float_denorm_mode_16_64 3
		.amdhsa_dx10_clamp 1
		.amdhsa_ieee_mode 1
		.amdhsa_fp16_overflow 0
		.amdhsa_workgroup_processor_mode 1
		.amdhsa_memory_ordered 1
		.amdhsa_forward_progress 0
		.amdhsa_shared_vgpr_count 0
		.amdhsa_exception_fp_ieee_invalid_op 0
		.amdhsa_exception_fp_denorm_src 0
		.amdhsa_exception_fp_ieee_div_zero 0
		.amdhsa_exception_fp_ieee_overflow 0
		.amdhsa_exception_fp_ieee_underflow 0
		.amdhsa_exception_fp_ieee_inexact 0
		.amdhsa_exception_int_div_zero 0
	.end_amdhsa_kernel
	.section	.text._ZN7rocprim17ROCPRIM_400000_NS6detail17trampoline_kernelINS0_14default_configENS1_22reduce_config_selectorIN6thrust23THRUST_200600_302600_NS5tupleIblNS6_9null_typeES8_S8_S8_S8_S8_S8_S8_EEEEZNS1_11reduce_implILb1ES3_NS6_12zip_iteratorINS7_INS6_11hip_rocprim26transform_input_iterator_tIbNSD_35transform_pair_of_input_iterators_tIbNS6_6detail15normal_iteratorINS6_10device_ptrIK10large_dataEEEESM_NS6_8equal_toISJ_EEEENSG_9not_fun_tINSD_8identityEEEEENSD_19counting_iterator_tIlEES8_S8_S8_S8_S8_S8_S8_S8_EEEEPS9_S9_NSD_9__find_if7functorIS9_EEEE10hipError_tPvRmT1_T2_T3_mT4_P12ihipStream_tbEUlT_E1_NS1_11comp_targetILNS1_3genE2ELNS1_11target_archE906ELNS1_3gpuE6ELNS1_3repE0EEENS1_30default_config_static_selectorELNS0_4arch9wavefront6targetE0EEEvS15_,"axG",@progbits,_ZN7rocprim17ROCPRIM_400000_NS6detail17trampoline_kernelINS0_14default_configENS1_22reduce_config_selectorIN6thrust23THRUST_200600_302600_NS5tupleIblNS6_9null_typeES8_S8_S8_S8_S8_S8_S8_EEEEZNS1_11reduce_implILb1ES3_NS6_12zip_iteratorINS7_INS6_11hip_rocprim26transform_input_iterator_tIbNSD_35transform_pair_of_input_iterators_tIbNS6_6detail15normal_iteratorINS6_10device_ptrIK10large_dataEEEESM_NS6_8equal_toISJ_EEEENSG_9not_fun_tINSD_8identityEEEEENSD_19counting_iterator_tIlEES8_S8_S8_S8_S8_S8_S8_S8_EEEEPS9_S9_NSD_9__find_if7functorIS9_EEEE10hipError_tPvRmT1_T2_T3_mT4_P12ihipStream_tbEUlT_E1_NS1_11comp_targetILNS1_3genE2ELNS1_11target_archE906ELNS1_3gpuE6ELNS1_3repE0EEENS1_30default_config_static_selectorELNS0_4arch9wavefront6targetE0EEEvS15_,comdat
.Lfunc_end748:
	.size	_ZN7rocprim17ROCPRIM_400000_NS6detail17trampoline_kernelINS0_14default_configENS1_22reduce_config_selectorIN6thrust23THRUST_200600_302600_NS5tupleIblNS6_9null_typeES8_S8_S8_S8_S8_S8_S8_EEEEZNS1_11reduce_implILb1ES3_NS6_12zip_iteratorINS7_INS6_11hip_rocprim26transform_input_iterator_tIbNSD_35transform_pair_of_input_iterators_tIbNS6_6detail15normal_iteratorINS6_10device_ptrIK10large_dataEEEESM_NS6_8equal_toISJ_EEEENSG_9not_fun_tINSD_8identityEEEEENSD_19counting_iterator_tIlEES8_S8_S8_S8_S8_S8_S8_S8_EEEEPS9_S9_NSD_9__find_if7functorIS9_EEEE10hipError_tPvRmT1_T2_T3_mT4_P12ihipStream_tbEUlT_E1_NS1_11comp_targetILNS1_3genE2ELNS1_11target_archE906ELNS1_3gpuE6ELNS1_3repE0EEENS1_30default_config_static_selectorELNS0_4arch9wavefront6targetE0EEEvS15_, .Lfunc_end748-_ZN7rocprim17ROCPRIM_400000_NS6detail17trampoline_kernelINS0_14default_configENS1_22reduce_config_selectorIN6thrust23THRUST_200600_302600_NS5tupleIblNS6_9null_typeES8_S8_S8_S8_S8_S8_S8_EEEEZNS1_11reduce_implILb1ES3_NS6_12zip_iteratorINS7_INS6_11hip_rocprim26transform_input_iterator_tIbNSD_35transform_pair_of_input_iterators_tIbNS6_6detail15normal_iteratorINS6_10device_ptrIK10large_dataEEEESM_NS6_8equal_toISJ_EEEENSG_9not_fun_tINSD_8identityEEEEENSD_19counting_iterator_tIlEES8_S8_S8_S8_S8_S8_S8_S8_EEEEPS9_S9_NSD_9__find_if7functorIS9_EEEE10hipError_tPvRmT1_T2_T3_mT4_P12ihipStream_tbEUlT_E1_NS1_11comp_targetILNS1_3genE2ELNS1_11target_archE906ELNS1_3gpuE6ELNS1_3repE0EEENS1_30default_config_static_selectorELNS0_4arch9wavefront6targetE0EEEvS15_
                                        ; -- End function
	.section	.AMDGPU.csdata,"",@progbits
; Kernel info:
; codeLenInByte = 0
; NumSgprs: 0
; NumVgprs: 0
; ScratchSize: 0
; MemoryBound: 0
; FloatMode: 240
; IeeeMode: 1
; LDSByteSize: 0 bytes/workgroup (compile time only)
; SGPRBlocks: 0
; VGPRBlocks: 0
; NumSGPRsForWavesPerEU: 1
; NumVGPRsForWavesPerEU: 1
; Occupancy: 16
; WaveLimiterHint : 0
; COMPUTE_PGM_RSRC2:SCRATCH_EN: 0
; COMPUTE_PGM_RSRC2:USER_SGPR: 15
; COMPUTE_PGM_RSRC2:TRAP_HANDLER: 0
; COMPUTE_PGM_RSRC2:TGID_X_EN: 1
; COMPUTE_PGM_RSRC2:TGID_Y_EN: 0
; COMPUTE_PGM_RSRC2:TGID_Z_EN: 0
; COMPUTE_PGM_RSRC2:TIDIG_COMP_CNT: 0
	.section	.text._ZN7rocprim17ROCPRIM_400000_NS6detail17trampoline_kernelINS0_14default_configENS1_22reduce_config_selectorIN6thrust23THRUST_200600_302600_NS5tupleIblNS6_9null_typeES8_S8_S8_S8_S8_S8_S8_EEEEZNS1_11reduce_implILb1ES3_NS6_12zip_iteratorINS7_INS6_11hip_rocprim26transform_input_iterator_tIbNSD_35transform_pair_of_input_iterators_tIbNS6_6detail15normal_iteratorINS6_10device_ptrIK10large_dataEEEESM_NS6_8equal_toISJ_EEEENSG_9not_fun_tINSD_8identityEEEEENSD_19counting_iterator_tIlEES8_S8_S8_S8_S8_S8_S8_S8_EEEEPS9_S9_NSD_9__find_if7functorIS9_EEEE10hipError_tPvRmT1_T2_T3_mT4_P12ihipStream_tbEUlT_E1_NS1_11comp_targetILNS1_3genE10ELNS1_11target_archE1201ELNS1_3gpuE5ELNS1_3repE0EEENS1_30default_config_static_selectorELNS0_4arch9wavefront6targetE0EEEvS15_,"axG",@progbits,_ZN7rocprim17ROCPRIM_400000_NS6detail17trampoline_kernelINS0_14default_configENS1_22reduce_config_selectorIN6thrust23THRUST_200600_302600_NS5tupleIblNS6_9null_typeES8_S8_S8_S8_S8_S8_S8_EEEEZNS1_11reduce_implILb1ES3_NS6_12zip_iteratorINS7_INS6_11hip_rocprim26transform_input_iterator_tIbNSD_35transform_pair_of_input_iterators_tIbNS6_6detail15normal_iteratorINS6_10device_ptrIK10large_dataEEEESM_NS6_8equal_toISJ_EEEENSG_9not_fun_tINSD_8identityEEEEENSD_19counting_iterator_tIlEES8_S8_S8_S8_S8_S8_S8_S8_EEEEPS9_S9_NSD_9__find_if7functorIS9_EEEE10hipError_tPvRmT1_T2_T3_mT4_P12ihipStream_tbEUlT_E1_NS1_11comp_targetILNS1_3genE10ELNS1_11target_archE1201ELNS1_3gpuE5ELNS1_3repE0EEENS1_30default_config_static_selectorELNS0_4arch9wavefront6targetE0EEEvS15_,comdat
	.protected	_ZN7rocprim17ROCPRIM_400000_NS6detail17trampoline_kernelINS0_14default_configENS1_22reduce_config_selectorIN6thrust23THRUST_200600_302600_NS5tupleIblNS6_9null_typeES8_S8_S8_S8_S8_S8_S8_EEEEZNS1_11reduce_implILb1ES3_NS6_12zip_iteratorINS7_INS6_11hip_rocprim26transform_input_iterator_tIbNSD_35transform_pair_of_input_iterators_tIbNS6_6detail15normal_iteratorINS6_10device_ptrIK10large_dataEEEESM_NS6_8equal_toISJ_EEEENSG_9not_fun_tINSD_8identityEEEEENSD_19counting_iterator_tIlEES8_S8_S8_S8_S8_S8_S8_S8_EEEEPS9_S9_NSD_9__find_if7functorIS9_EEEE10hipError_tPvRmT1_T2_T3_mT4_P12ihipStream_tbEUlT_E1_NS1_11comp_targetILNS1_3genE10ELNS1_11target_archE1201ELNS1_3gpuE5ELNS1_3repE0EEENS1_30default_config_static_selectorELNS0_4arch9wavefront6targetE0EEEvS15_ ; -- Begin function _ZN7rocprim17ROCPRIM_400000_NS6detail17trampoline_kernelINS0_14default_configENS1_22reduce_config_selectorIN6thrust23THRUST_200600_302600_NS5tupleIblNS6_9null_typeES8_S8_S8_S8_S8_S8_S8_EEEEZNS1_11reduce_implILb1ES3_NS6_12zip_iteratorINS7_INS6_11hip_rocprim26transform_input_iterator_tIbNSD_35transform_pair_of_input_iterators_tIbNS6_6detail15normal_iteratorINS6_10device_ptrIK10large_dataEEEESM_NS6_8equal_toISJ_EEEENSG_9not_fun_tINSD_8identityEEEEENSD_19counting_iterator_tIlEES8_S8_S8_S8_S8_S8_S8_S8_EEEEPS9_S9_NSD_9__find_if7functorIS9_EEEE10hipError_tPvRmT1_T2_T3_mT4_P12ihipStream_tbEUlT_E1_NS1_11comp_targetILNS1_3genE10ELNS1_11target_archE1201ELNS1_3gpuE5ELNS1_3repE0EEENS1_30default_config_static_selectorELNS0_4arch9wavefront6targetE0EEEvS15_
	.globl	_ZN7rocprim17ROCPRIM_400000_NS6detail17trampoline_kernelINS0_14default_configENS1_22reduce_config_selectorIN6thrust23THRUST_200600_302600_NS5tupleIblNS6_9null_typeES8_S8_S8_S8_S8_S8_S8_EEEEZNS1_11reduce_implILb1ES3_NS6_12zip_iteratorINS7_INS6_11hip_rocprim26transform_input_iterator_tIbNSD_35transform_pair_of_input_iterators_tIbNS6_6detail15normal_iteratorINS6_10device_ptrIK10large_dataEEEESM_NS6_8equal_toISJ_EEEENSG_9not_fun_tINSD_8identityEEEEENSD_19counting_iterator_tIlEES8_S8_S8_S8_S8_S8_S8_S8_EEEEPS9_S9_NSD_9__find_if7functorIS9_EEEE10hipError_tPvRmT1_T2_T3_mT4_P12ihipStream_tbEUlT_E1_NS1_11comp_targetILNS1_3genE10ELNS1_11target_archE1201ELNS1_3gpuE5ELNS1_3repE0EEENS1_30default_config_static_selectorELNS0_4arch9wavefront6targetE0EEEvS15_
	.p2align	8
	.type	_ZN7rocprim17ROCPRIM_400000_NS6detail17trampoline_kernelINS0_14default_configENS1_22reduce_config_selectorIN6thrust23THRUST_200600_302600_NS5tupleIblNS6_9null_typeES8_S8_S8_S8_S8_S8_S8_EEEEZNS1_11reduce_implILb1ES3_NS6_12zip_iteratorINS7_INS6_11hip_rocprim26transform_input_iterator_tIbNSD_35transform_pair_of_input_iterators_tIbNS6_6detail15normal_iteratorINS6_10device_ptrIK10large_dataEEEESM_NS6_8equal_toISJ_EEEENSG_9not_fun_tINSD_8identityEEEEENSD_19counting_iterator_tIlEES8_S8_S8_S8_S8_S8_S8_S8_EEEEPS9_S9_NSD_9__find_if7functorIS9_EEEE10hipError_tPvRmT1_T2_T3_mT4_P12ihipStream_tbEUlT_E1_NS1_11comp_targetILNS1_3genE10ELNS1_11target_archE1201ELNS1_3gpuE5ELNS1_3repE0EEENS1_30default_config_static_selectorELNS0_4arch9wavefront6targetE0EEEvS15_,@function
_ZN7rocprim17ROCPRIM_400000_NS6detail17trampoline_kernelINS0_14default_configENS1_22reduce_config_selectorIN6thrust23THRUST_200600_302600_NS5tupleIblNS6_9null_typeES8_S8_S8_S8_S8_S8_S8_EEEEZNS1_11reduce_implILb1ES3_NS6_12zip_iteratorINS7_INS6_11hip_rocprim26transform_input_iterator_tIbNSD_35transform_pair_of_input_iterators_tIbNS6_6detail15normal_iteratorINS6_10device_ptrIK10large_dataEEEESM_NS6_8equal_toISJ_EEEENSG_9not_fun_tINSD_8identityEEEEENSD_19counting_iterator_tIlEES8_S8_S8_S8_S8_S8_S8_S8_EEEEPS9_S9_NSD_9__find_if7functorIS9_EEEE10hipError_tPvRmT1_T2_T3_mT4_P12ihipStream_tbEUlT_E1_NS1_11comp_targetILNS1_3genE10ELNS1_11target_archE1201ELNS1_3gpuE5ELNS1_3repE0EEENS1_30default_config_static_selectorELNS0_4arch9wavefront6targetE0EEEvS15_: ; @_ZN7rocprim17ROCPRIM_400000_NS6detail17trampoline_kernelINS0_14default_configENS1_22reduce_config_selectorIN6thrust23THRUST_200600_302600_NS5tupleIblNS6_9null_typeES8_S8_S8_S8_S8_S8_S8_EEEEZNS1_11reduce_implILb1ES3_NS6_12zip_iteratorINS7_INS6_11hip_rocprim26transform_input_iterator_tIbNSD_35transform_pair_of_input_iterators_tIbNS6_6detail15normal_iteratorINS6_10device_ptrIK10large_dataEEEESM_NS6_8equal_toISJ_EEEENSG_9not_fun_tINSD_8identityEEEEENSD_19counting_iterator_tIlEES8_S8_S8_S8_S8_S8_S8_S8_EEEEPS9_S9_NSD_9__find_if7functorIS9_EEEE10hipError_tPvRmT1_T2_T3_mT4_P12ihipStream_tbEUlT_E1_NS1_11comp_targetILNS1_3genE10ELNS1_11target_archE1201ELNS1_3gpuE5ELNS1_3repE0EEENS1_30default_config_static_selectorELNS0_4arch9wavefront6targetE0EEEvS15_
; %bb.0:
	.section	.rodata,"a",@progbits
	.p2align	6, 0x0
	.amdhsa_kernel _ZN7rocprim17ROCPRIM_400000_NS6detail17trampoline_kernelINS0_14default_configENS1_22reduce_config_selectorIN6thrust23THRUST_200600_302600_NS5tupleIblNS6_9null_typeES8_S8_S8_S8_S8_S8_S8_EEEEZNS1_11reduce_implILb1ES3_NS6_12zip_iteratorINS7_INS6_11hip_rocprim26transform_input_iterator_tIbNSD_35transform_pair_of_input_iterators_tIbNS6_6detail15normal_iteratorINS6_10device_ptrIK10large_dataEEEESM_NS6_8equal_toISJ_EEEENSG_9not_fun_tINSD_8identityEEEEENSD_19counting_iterator_tIlEES8_S8_S8_S8_S8_S8_S8_S8_EEEEPS9_S9_NSD_9__find_if7functorIS9_EEEE10hipError_tPvRmT1_T2_T3_mT4_P12ihipStream_tbEUlT_E1_NS1_11comp_targetILNS1_3genE10ELNS1_11target_archE1201ELNS1_3gpuE5ELNS1_3repE0EEENS1_30default_config_static_selectorELNS0_4arch9wavefront6targetE0EEEvS15_
		.amdhsa_group_segment_fixed_size 0
		.amdhsa_private_segment_fixed_size 0
		.amdhsa_kernarg_size 88
		.amdhsa_user_sgpr_count 15
		.amdhsa_user_sgpr_dispatch_ptr 0
		.amdhsa_user_sgpr_queue_ptr 0
		.amdhsa_user_sgpr_kernarg_segment_ptr 1
		.amdhsa_user_sgpr_dispatch_id 0
		.amdhsa_user_sgpr_private_segment_size 0
		.amdhsa_wavefront_size32 1
		.amdhsa_uses_dynamic_stack 0
		.amdhsa_enable_private_segment 0
		.amdhsa_system_sgpr_workgroup_id_x 1
		.amdhsa_system_sgpr_workgroup_id_y 0
		.amdhsa_system_sgpr_workgroup_id_z 0
		.amdhsa_system_sgpr_workgroup_info 0
		.amdhsa_system_vgpr_workitem_id 0
		.amdhsa_next_free_vgpr 1
		.amdhsa_next_free_sgpr 1
		.amdhsa_reserve_vcc 0
		.amdhsa_float_round_mode_32 0
		.amdhsa_float_round_mode_16_64 0
		.amdhsa_float_denorm_mode_32 3
		.amdhsa_float_denorm_mode_16_64 3
		.amdhsa_dx10_clamp 1
		.amdhsa_ieee_mode 1
		.amdhsa_fp16_overflow 0
		.amdhsa_workgroup_processor_mode 1
		.amdhsa_memory_ordered 1
		.amdhsa_forward_progress 0
		.amdhsa_shared_vgpr_count 0
		.amdhsa_exception_fp_ieee_invalid_op 0
		.amdhsa_exception_fp_denorm_src 0
		.amdhsa_exception_fp_ieee_div_zero 0
		.amdhsa_exception_fp_ieee_overflow 0
		.amdhsa_exception_fp_ieee_underflow 0
		.amdhsa_exception_fp_ieee_inexact 0
		.amdhsa_exception_int_div_zero 0
	.end_amdhsa_kernel
	.section	.text._ZN7rocprim17ROCPRIM_400000_NS6detail17trampoline_kernelINS0_14default_configENS1_22reduce_config_selectorIN6thrust23THRUST_200600_302600_NS5tupleIblNS6_9null_typeES8_S8_S8_S8_S8_S8_S8_EEEEZNS1_11reduce_implILb1ES3_NS6_12zip_iteratorINS7_INS6_11hip_rocprim26transform_input_iterator_tIbNSD_35transform_pair_of_input_iterators_tIbNS6_6detail15normal_iteratorINS6_10device_ptrIK10large_dataEEEESM_NS6_8equal_toISJ_EEEENSG_9not_fun_tINSD_8identityEEEEENSD_19counting_iterator_tIlEES8_S8_S8_S8_S8_S8_S8_S8_EEEEPS9_S9_NSD_9__find_if7functorIS9_EEEE10hipError_tPvRmT1_T2_T3_mT4_P12ihipStream_tbEUlT_E1_NS1_11comp_targetILNS1_3genE10ELNS1_11target_archE1201ELNS1_3gpuE5ELNS1_3repE0EEENS1_30default_config_static_selectorELNS0_4arch9wavefront6targetE0EEEvS15_,"axG",@progbits,_ZN7rocprim17ROCPRIM_400000_NS6detail17trampoline_kernelINS0_14default_configENS1_22reduce_config_selectorIN6thrust23THRUST_200600_302600_NS5tupleIblNS6_9null_typeES8_S8_S8_S8_S8_S8_S8_EEEEZNS1_11reduce_implILb1ES3_NS6_12zip_iteratorINS7_INS6_11hip_rocprim26transform_input_iterator_tIbNSD_35transform_pair_of_input_iterators_tIbNS6_6detail15normal_iteratorINS6_10device_ptrIK10large_dataEEEESM_NS6_8equal_toISJ_EEEENSG_9not_fun_tINSD_8identityEEEEENSD_19counting_iterator_tIlEES8_S8_S8_S8_S8_S8_S8_S8_EEEEPS9_S9_NSD_9__find_if7functorIS9_EEEE10hipError_tPvRmT1_T2_T3_mT4_P12ihipStream_tbEUlT_E1_NS1_11comp_targetILNS1_3genE10ELNS1_11target_archE1201ELNS1_3gpuE5ELNS1_3repE0EEENS1_30default_config_static_selectorELNS0_4arch9wavefront6targetE0EEEvS15_,comdat
.Lfunc_end749:
	.size	_ZN7rocprim17ROCPRIM_400000_NS6detail17trampoline_kernelINS0_14default_configENS1_22reduce_config_selectorIN6thrust23THRUST_200600_302600_NS5tupleIblNS6_9null_typeES8_S8_S8_S8_S8_S8_S8_EEEEZNS1_11reduce_implILb1ES3_NS6_12zip_iteratorINS7_INS6_11hip_rocprim26transform_input_iterator_tIbNSD_35transform_pair_of_input_iterators_tIbNS6_6detail15normal_iteratorINS6_10device_ptrIK10large_dataEEEESM_NS6_8equal_toISJ_EEEENSG_9not_fun_tINSD_8identityEEEEENSD_19counting_iterator_tIlEES8_S8_S8_S8_S8_S8_S8_S8_EEEEPS9_S9_NSD_9__find_if7functorIS9_EEEE10hipError_tPvRmT1_T2_T3_mT4_P12ihipStream_tbEUlT_E1_NS1_11comp_targetILNS1_3genE10ELNS1_11target_archE1201ELNS1_3gpuE5ELNS1_3repE0EEENS1_30default_config_static_selectorELNS0_4arch9wavefront6targetE0EEEvS15_, .Lfunc_end749-_ZN7rocprim17ROCPRIM_400000_NS6detail17trampoline_kernelINS0_14default_configENS1_22reduce_config_selectorIN6thrust23THRUST_200600_302600_NS5tupleIblNS6_9null_typeES8_S8_S8_S8_S8_S8_S8_EEEEZNS1_11reduce_implILb1ES3_NS6_12zip_iteratorINS7_INS6_11hip_rocprim26transform_input_iterator_tIbNSD_35transform_pair_of_input_iterators_tIbNS6_6detail15normal_iteratorINS6_10device_ptrIK10large_dataEEEESM_NS6_8equal_toISJ_EEEENSG_9not_fun_tINSD_8identityEEEEENSD_19counting_iterator_tIlEES8_S8_S8_S8_S8_S8_S8_S8_EEEEPS9_S9_NSD_9__find_if7functorIS9_EEEE10hipError_tPvRmT1_T2_T3_mT4_P12ihipStream_tbEUlT_E1_NS1_11comp_targetILNS1_3genE10ELNS1_11target_archE1201ELNS1_3gpuE5ELNS1_3repE0EEENS1_30default_config_static_selectorELNS0_4arch9wavefront6targetE0EEEvS15_
                                        ; -- End function
	.section	.AMDGPU.csdata,"",@progbits
; Kernel info:
; codeLenInByte = 0
; NumSgprs: 0
; NumVgprs: 0
; ScratchSize: 0
; MemoryBound: 0
; FloatMode: 240
; IeeeMode: 1
; LDSByteSize: 0 bytes/workgroup (compile time only)
; SGPRBlocks: 0
; VGPRBlocks: 0
; NumSGPRsForWavesPerEU: 1
; NumVGPRsForWavesPerEU: 1
; Occupancy: 16
; WaveLimiterHint : 0
; COMPUTE_PGM_RSRC2:SCRATCH_EN: 0
; COMPUTE_PGM_RSRC2:USER_SGPR: 15
; COMPUTE_PGM_RSRC2:TRAP_HANDLER: 0
; COMPUTE_PGM_RSRC2:TGID_X_EN: 1
; COMPUTE_PGM_RSRC2:TGID_Y_EN: 0
; COMPUTE_PGM_RSRC2:TGID_Z_EN: 0
; COMPUTE_PGM_RSRC2:TIDIG_COMP_CNT: 0
	.section	.text._ZN7rocprim17ROCPRIM_400000_NS6detail17trampoline_kernelINS0_14default_configENS1_22reduce_config_selectorIN6thrust23THRUST_200600_302600_NS5tupleIblNS6_9null_typeES8_S8_S8_S8_S8_S8_S8_EEEEZNS1_11reduce_implILb1ES3_NS6_12zip_iteratorINS7_INS6_11hip_rocprim26transform_input_iterator_tIbNSD_35transform_pair_of_input_iterators_tIbNS6_6detail15normal_iteratorINS6_10device_ptrIK10large_dataEEEESM_NS6_8equal_toISJ_EEEENSG_9not_fun_tINSD_8identityEEEEENSD_19counting_iterator_tIlEES8_S8_S8_S8_S8_S8_S8_S8_EEEEPS9_S9_NSD_9__find_if7functorIS9_EEEE10hipError_tPvRmT1_T2_T3_mT4_P12ihipStream_tbEUlT_E1_NS1_11comp_targetILNS1_3genE10ELNS1_11target_archE1200ELNS1_3gpuE4ELNS1_3repE0EEENS1_30default_config_static_selectorELNS0_4arch9wavefront6targetE0EEEvS15_,"axG",@progbits,_ZN7rocprim17ROCPRIM_400000_NS6detail17trampoline_kernelINS0_14default_configENS1_22reduce_config_selectorIN6thrust23THRUST_200600_302600_NS5tupleIblNS6_9null_typeES8_S8_S8_S8_S8_S8_S8_EEEEZNS1_11reduce_implILb1ES3_NS6_12zip_iteratorINS7_INS6_11hip_rocprim26transform_input_iterator_tIbNSD_35transform_pair_of_input_iterators_tIbNS6_6detail15normal_iteratorINS6_10device_ptrIK10large_dataEEEESM_NS6_8equal_toISJ_EEEENSG_9not_fun_tINSD_8identityEEEEENSD_19counting_iterator_tIlEES8_S8_S8_S8_S8_S8_S8_S8_EEEEPS9_S9_NSD_9__find_if7functorIS9_EEEE10hipError_tPvRmT1_T2_T3_mT4_P12ihipStream_tbEUlT_E1_NS1_11comp_targetILNS1_3genE10ELNS1_11target_archE1200ELNS1_3gpuE4ELNS1_3repE0EEENS1_30default_config_static_selectorELNS0_4arch9wavefront6targetE0EEEvS15_,comdat
	.protected	_ZN7rocprim17ROCPRIM_400000_NS6detail17trampoline_kernelINS0_14default_configENS1_22reduce_config_selectorIN6thrust23THRUST_200600_302600_NS5tupleIblNS6_9null_typeES8_S8_S8_S8_S8_S8_S8_EEEEZNS1_11reduce_implILb1ES3_NS6_12zip_iteratorINS7_INS6_11hip_rocprim26transform_input_iterator_tIbNSD_35transform_pair_of_input_iterators_tIbNS6_6detail15normal_iteratorINS6_10device_ptrIK10large_dataEEEESM_NS6_8equal_toISJ_EEEENSG_9not_fun_tINSD_8identityEEEEENSD_19counting_iterator_tIlEES8_S8_S8_S8_S8_S8_S8_S8_EEEEPS9_S9_NSD_9__find_if7functorIS9_EEEE10hipError_tPvRmT1_T2_T3_mT4_P12ihipStream_tbEUlT_E1_NS1_11comp_targetILNS1_3genE10ELNS1_11target_archE1200ELNS1_3gpuE4ELNS1_3repE0EEENS1_30default_config_static_selectorELNS0_4arch9wavefront6targetE0EEEvS15_ ; -- Begin function _ZN7rocprim17ROCPRIM_400000_NS6detail17trampoline_kernelINS0_14default_configENS1_22reduce_config_selectorIN6thrust23THRUST_200600_302600_NS5tupleIblNS6_9null_typeES8_S8_S8_S8_S8_S8_S8_EEEEZNS1_11reduce_implILb1ES3_NS6_12zip_iteratorINS7_INS6_11hip_rocprim26transform_input_iterator_tIbNSD_35transform_pair_of_input_iterators_tIbNS6_6detail15normal_iteratorINS6_10device_ptrIK10large_dataEEEESM_NS6_8equal_toISJ_EEEENSG_9not_fun_tINSD_8identityEEEEENSD_19counting_iterator_tIlEES8_S8_S8_S8_S8_S8_S8_S8_EEEEPS9_S9_NSD_9__find_if7functorIS9_EEEE10hipError_tPvRmT1_T2_T3_mT4_P12ihipStream_tbEUlT_E1_NS1_11comp_targetILNS1_3genE10ELNS1_11target_archE1200ELNS1_3gpuE4ELNS1_3repE0EEENS1_30default_config_static_selectorELNS0_4arch9wavefront6targetE0EEEvS15_
	.globl	_ZN7rocprim17ROCPRIM_400000_NS6detail17trampoline_kernelINS0_14default_configENS1_22reduce_config_selectorIN6thrust23THRUST_200600_302600_NS5tupleIblNS6_9null_typeES8_S8_S8_S8_S8_S8_S8_EEEEZNS1_11reduce_implILb1ES3_NS6_12zip_iteratorINS7_INS6_11hip_rocprim26transform_input_iterator_tIbNSD_35transform_pair_of_input_iterators_tIbNS6_6detail15normal_iteratorINS6_10device_ptrIK10large_dataEEEESM_NS6_8equal_toISJ_EEEENSG_9not_fun_tINSD_8identityEEEEENSD_19counting_iterator_tIlEES8_S8_S8_S8_S8_S8_S8_S8_EEEEPS9_S9_NSD_9__find_if7functorIS9_EEEE10hipError_tPvRmT1_T2_T3_mT4_P12ihipStream_tbEUlT_E1_NS1_11comp_targetILNS1_3genE10ELNS1_11target_archE1200ELNS1_3gpuE4ELNS1_3repE0EEENS1_30default_config_static_selectorELNS0_4arch9wavefront6targetE0EEEvS15_
	.p2align	8
	.type	_ZN7rocprim17ROCPRIM_400000_NS6detail17trampoline_kernelINS0_14default_configENS1_22reduce_config_selectorIN6thrust23THRUST_200600_302600_NS5tupleIblNS6_9null_typeES8_S8_S8_S8_S8_S8_S8_EEEEZNS1_11reduce_implILb1ES3_NS6_12zip_iteratorINS7_INS6_11hip_rocprim26transform_input_iterator_tIbNSD_35transform_pair_of_input_iterators_tIbNS6_6detail15normal_iteratorINS6_10device_ptrIK10large_dataEEEESM_NS6_8equal_toISJ_EEEENSG_9not_fun_tINSD_8identityEEEEENSD_19counting_iterator_tIlEES8_S8_S8_S8_S8_S8_S8_S8_EEEEPS9_S9_NSD_9__find_if7functorIS9_EEEE10hipError_tPvRmT1_T2_T3_mT4_P12ihipStream_tbEUlT_E1_NS1_11comp_targetILNS1_3genE10ELNS1_11target_archE1200ELNS1_3gpuE4ELNS1_3repE0EEENS1_30default_config_static_selectorELNS0_4arch9wavefront6targetE0EEEvS15_,@function
_ZN7rocprim17ROCPRIM_400000_NS6detail17trampoline_kernelINS0_14default_configENS1_22reduce_config_selectorIN6thrust23THRUST_200600_302600_NS5tupleIblNS6_9null_typeES8_S8_S8_S8_S8_S8_S8_EEEEZNS1_11reduce_implILb1ES3_NS6_12zip_iteratorINS7_INS6_11hip_rocprim26transform_input_iterator_tIbNSD_35transform_pair_of_input_iterators_tIbNS6_6detail15normal_iteratorINS6_10device_ptrIK10large_dataEEEESM_NS6_8equal_toISJ_EEEENSG_9not_fun_tINSD_8identityEEEEENSD_19counting_iterator_tIlEES8_S8_S8_S8_S8_S8_S8_S8_EEEEPS9_S9_NSD_9__find_if7functorIS9_EEEE10hipError_tPvRmT1_T2_T3_mT4_P12ihipStream_tbEUlT_E1_NS1_11comp_targetILNS1_3genE10ELNS1_11target_archE1200ELNS1_3gpuE4ELNS1_3repE0EEENS1_30default_config_static_selectorELNS0_4arch9wavefront6targetE0EEEvS15_: ; @_ZN7rocprim17ROCPRIM_400000_NS6detail17trampoline_kernelINS0_14default_configENS1_22reduce_config_selectorIN6thrust23THRUST_200600_302600_NS5tupleIblNS6_9null_typeES8_S8_S8_S8_S8_S8_S8_EEEEZNS1_11reduce_implILb1ES3_NS6_12zip_iteratorINS7_INS6_11hip_rocprim26transform_input_iterator_tIbNSD_35transform_pair_of_input_iterators_tIbNS6_6detail15normal_iteratorINS6_10device_ptrIK10large_dataEEEESM_NS6_8equal_toISJ_EEEENSG_9not_fun_tINSD_8identityEEEEENSD_19counting_iterator_tIlEES8_S8_S8_S8_S8_S8_S8_S8_EEEEPS9_S9_NSD_9__find_if7functorIS9_EEEE10hipError_tPvRmT1_T2_T3_mT4_P12ihipStream_tbEUlT_E1_NS1_11comp_targetILNS1_3genE10ELNS1_11target_archE1200ELNS1_3gpuE4ELNS1_3repE0EEENS1_30default_config_static_selectorELNS0_4arch9wavefront6targetE0EEEvS15_
; %bb.0:
	.section	.rodata,"a",@progbits
	.p2align	6, 0x0
	.amdhsa_kernel _ZN7rocprim17ROCPRIM_400000_NS6detail17trampoline_kernelINS0_14default_configENS1_22reduce_config_selectorIN6thrust23THRUST_200600_302600_NS5tupleIblNS6_9null_typeES8_S8_S8_S8_S8_S8_S8_EEEEZNS1_11reduce_implILb1ES3_NS6_12zip_iteratorINS7_INS6_11hip_rocprim26transform_input_iterator_tIbNSD_35transform_pair_of_input_iterators_tIbNS6_6detail15normal_iteratorINS6_10device_ptrIK10large_dataEEEESM_NS6_8equal_toISJ_EEEENSG_9not_fun_tINSD_8identityEEEEENSD_19counting_iterator_tIlEES8_S8_S8_S8_S8_S8_S8_S8_EEEEPS9_S9_NSD_9__find_if7functorIS9_EEEE10hipError_tPvRmT1_T2_T3_mT4_P12ihipStream_tbEUlT_E1_NS1_11comp_targetILNS1_3genE10ELNS1_11target_archE1200ELNS1_3gpuE4ELNS1_3repE0EEENS1_30default_config_static_selectorELNS0_4arch9wavefront6targetE0EEEvS15_
		.amdhsa_group_segment_fixed_size 0
		.amdhsa_private_segment_fixed_size 0
		.amdhsa_kernarg_size 88
		.amdhsa_user_sgpr_count 15
		.amdhsa_user_sgpr_dispatch_ptr 0
		.amdhsa_user_sgpr_queue_ptr 0
		.amdhsa_user_sgpr_kernarg_segment_ptr 1
		.amdhsa_user_sgpr_dispatch_id 0
		.amdhsa_user_sgpr_private_segment_size 0
		.amdhsa_wavefront_size32 1
		.amdhsa_uses_dynamic_stack 0
		.amdhsa_enable_private_segment 0
		.amdhsa_system_sgpr_workgroup_id_x 1
		.amdhsa_system_sgpr_workgroup_id_y 0
		.amdhsa_system_sgpr_workgroup_id_z 0
		.amdhsa_system_sgpr_workgroup_info 0
		.amdhsa_system_vgpr_workitem_id 0
		.amdhsa_next_free_vgpr 1
		.amdhsa_next_free_sgpr 1
		.amdhsa_reserve_vcc 0
		.amdhsa_float_round_mode_32 0
		.amdhsa_float_round_mode_16_64 0
		.amdhsa_float_denorm_mode_32 3
		.amdhsa_float_denorm_mode_16_64 3
		.amdhsa_dx10_clamp 1
		.amdhsa_ieee_mode 1
		.amdhsa_fp16_overflow 0
		.amdhsa_workgroup_processor_mode 1
		.amdhsa_memory_ordered 1
		.amdhsa_forward_progress 0
		.amdhsa_shared_vgpr_count 0
		.amdhsa_exception_fp_ieee_invalid_op 0
		.amdhsa_exception_fp_denorm_src 0
		.amdhsa_exception_fp_ieee_div_zero 0
		.amdhsa_exception_fp_ieee_overflow 0
		.amdhsa_exception_fp_ieee_underflow 0
		.amdhsa_exception_fp_ieee_inexact 0
		.amdhsa_exception_int_div_zero 0
	.end_amdhsa_kernel
	.section	.text._ZN7rocprim17ROCPRIM_400000_NS6detail17trampoline_kernelINS0_14default_configENS1_22reduce_config_selectorIN6thrust23THRUST_200600_302600_NS5tupleIblNS6_9null_typeES8_S8_S8_S8_S8_S8_S8_EEEEZNS1_11reduce_implILb1ES3_NS6_12zip_iteratorINS7_INS6_11hip_rocprim26transform_input_iterator_tIbNSD_35transform_pair_of_input_iterators_tIbNS6_6detail15normal_iteratorINS6_10device_ptrIK10large_dataEEEESM_NS6_8equal_toISJ_EEEENSG_9not_fun_tINSD_8identityEEEEENSD_19counting_iterator_tIlEES8_S8_S8_S8_S8_S8_S8_S8_EEEEPS9_S9_NSD_9__find_if7functorIS9_EEEE10hipError_tPvRmT1_T2_T3_mT4_P12ihipStream_tbEUlT_E1_NS1_11comp_targetILNS1_3genE10ELNS1_11target_archE1200ELNS1_3gpuE4ELNS1_3repE0EEENS1_30default_config_static_selectorELNS0_4arch9wavefront6targetE0EEEvS15_,"axG",@progbits,_ZN7rocprim17ROCPRIM_400000_NS6detail17trampoline_kernelINS0_14default_configENS1_22reduce_config_selectorIN6thrust23THRUST_200600_302600_NS5tupleIblNS6_9null_typeES8_S8_S8_S8_S8_S8_S8_EEEEZNS1_11reduce_implILb1ES3_NS6_12zip_iteratorINS7_INS6_11hip_rocprim26transform_input_iterator_tIbNSD_35transform_pair_of_input_iterators_tIbNS6_6detail15normal_iteratorINS6_10device_ptrIK10large_dataEEEESM_NS6_8equal_toISJ_EEEENSG_9not_fun_tINSD_8identityEEEEENSD_19counting_iterator_tIlEES8_S8_S8_S8_S8_S8_S8_S8_EEEEPS9_S9_NSD_9__find_if7functorIS9_EEEE10hipError_tPvRmT1_T2_T3_mT4_P12ihipStream_tbEUlT_E1_NS1_11comp_targetILNS1_3genE10ELNS1_11target_archE1200ELNS1_3gpuE4ELNS1_3repE0EEENS1_30default_config_static_selectorELNS0_4arch9wavefront6targetE0EEEvS15_,comdat
.Lfunc_end750:
	.size	_ZN7rocprim17ROCPRIM_400000_NS6detail17trampoline_kernelINS0_14default_configENS1_22reduce_config_selectorIN6thrust23THRUST_200600_302600_NS5tupleIblNS6_9null_typeES8_S8_S8_S8_S8_S8_S8_EEEEZNS1_11reduce_implILb1ES3_NS6_12zip_iteratorINS7_INS6_11hip_rocprim26transform_input_iterator_tIbNSD_35transform_pair_of_input_iterators_tIbNS6_6detail15normal_iteratorINS6_10device_ptrIK10large_dataEEEESM_NS6_8equal_toISJ_EEEENSG_9not_fun_tINSD_8identityEEEEENSD_19counting_iterator_tIlEES8_S8_S8_S8_S8_S8_S8_S8_EEEEPS9_S9_NSD_9__find_if7functorIS9_EEEE10hipError_tPvRmT1_T2_T3_mT4_P12ihipStream_tbEUlT_E1_NS1_11comp_targetILNS1_3genE10ELNS1_11target_archE1200ELNS1_3gpuE4ELNS1_3repE0EEENS1_30default_config_static_selectorELNS0_4arch9wavefront6targetE0EEEvS15_, .Lfunc_end750-_ZN7rocprim17ROCPRIM_400000_NS6detail17trampoline_kernelINS0_14default_configENS1_22reduce_config_selectorIN6thrust23THRUST_200600_302600_NS5tupleIblNS6_9null_typeES8_S8_S8_S8_S8_S8_S8_EEEEZNS1_11reduce_implILb1ES3_NS6_12zip_iteratorINS7_INS6_11hip_rocprim26transform_input_iterator_tIbNSD_35transform_pair_of_input_iterators_tIbNS6_6detail15normal_iteratorINS6_10device_ptrIK10large_dataEEEESM_NS6_8equal_toISJ_EEEENSG_9not_fun_tINSD_8identityEEEEENSD_19counting_iterator_tIlEES8_S8_S8_S8_S8_S8_S8_S8_EEEEPS9_S9_NSD_9__find_if7functorIS9_EEEE10hipError_tPvRmT1_T2_T3_mT4_P12ihipStream_tbEUlT_E1_NS1_11comp_targetILNS1_3genE10ELNS1_11target_archE1200ELNS1_3gpuE4ELNS1_3repE0EEENS1_30default_config_static_selectorELNS0_4arch9wavefront6targetE0EEEvS15_
                                        ; -- End function
	.section	.AMDGPU.csdata,"",@progbits
; Kernel info:
; codeLenInByte = 0
; NumSgprs: 0
; NumVgprs: 0
; ScratchSize: 0
; MemoryBound: 0
; FloatMode: 240
; IeeeMode: 1
; LDSByteSize: 0 bytes/workgroup (compile time only)
; SGPRBlocks: 0
; VGPRBlocks: 0
; NumSGPRsForWavesPerEU: 1
; NumVGPRsForWavesPerEU: 1
; Occupancy: 16
; WaveLimiterHint : 0
; COMPUTE_PGM_RSRC2:SCRATCH_EN: 0
; COMPUTE_PGM_RSRC2:USER_SGPR: 15
; COMPUTE_PGM_RSRC2:TRAP_HANDLER: 0
; COMPUTE_PGM_RSRC2:TGID_X_EN: 1
; COMPUTE_PGM_RSRC2:TGID_Y_EN: 0
; COMPUTE_PGM_RSRC2:TGID_Z_EN: 0
; COMPUTE_PGM_RSRC2:TIDIG_COMP_CNT: 0
	.section	.text._ZN7rocprim17ROCPRIM_400000_NS6detail17trampoline_kernelINS0_14default_configENS1_22reduce_config_selectorIN6thrust23THRUST_200600_302600_NS5tupleIblNS6_9null_typeES8_S8_S8_S8_S8_S8_S8_EEEEZNS1_11reduce_implILb1ES3_NS6_12zip_iteratorINS7_INS6_11hip_rocprim26transform_input_iterator_tIbNSD_35transform_pair_of_input_iterators_tIbNS6_6detail15normal_iteratorINS6_10device_ptrIK10large_dataEEEESM_NS6_8equal_toISJ_EEEENSG_9not_fun_tINSD_8identityEEEEENSD_19counting_iterator_tIlEES8_S8_S8_S8_S8_S8_S8_S8_EEEEPS9_S9_NSD_9__find_if7functorIS9_EEEE10hipError_tPvRmT1_T2_T3_mT4_P12ihipStream_tbEUlT_E1_NS1_11comp_targetILNS1_3genE9ELNS1_11target_archE1100ELNS1_3gpuE3ELNS1_3repE0EEENS1_30default_config_static_selectorELNS0_4arch9wavefront6targetE0EEEvS15_,"axG",@progbits,_ZN7rocprim17ROCPRIM_400000_NS6detail17trampoline_kernelINS0_14default_configENS1_22reduce_config_selectorIN6thrust23THRUST_200600_302600_NS5tupleIblNS6_9null_typeES8_S8_S8_S8_S8_S8_S8_EEEEZNS1_11reduce_implILb1ES3_NS6_12zip_iteratorINS7_INS6_11hip_rocprim26transform_input_iterator_tIbNSD_35transform_pair_of_input_iterators_tIbNS6_6detail15normal_iteratorINS6_10device_ptrIK10large_dataEEEESM_NS6_8equal_toISJ_EEEENSG_9not_fun_tINSD_8identityEEEEENSD_19counting_iterator_tIlEES8_S8_S8_S8_S8_S8_S8_S8_EEEEPS9_S9_NSD_9__find_if7functorIS9_EEEE10hipError_tPvRmT1_T2_T3_mT4_P12ihipStream_tbEUlT_E1_NS1_11comp_targetILNS1_3genE9ELNS1_11target_archE1100ELNS1_3gpuE3ELNS1_3repE0EEENS1_30default_config_static_selectorELNS0_4arch9wavefront6targetE0EEEvS15_,comdat
	.protected	_ZN7rocprim17ROCPRIM_400000_NS6detail17trampoline_kernelINS0_14default_configENS1_22reduce_config_selectorIN6thrust23THRUST_200600_302600_NS5tupleIblNS6_9null_typeES8_S8_S8_S8_S8_S8_S8_EEEEZNS1_11reduce_implILb1ES3_NS6_12zip_iteratorINS7_INS6_11hip_rocprim26transform_input_iterator_tIbNSD_35transform_pair_of_input_iterators_tIbNS6_6detail15normal_iteratorINS6_10device_ptrIK10large_dataEEEESM_NS6_8equal_toISJ_EEEENSG_9not_fun_tINSD_8identityEEEEENSD_19counting_iterator_tIlEES8_S8_S8_S8_S8_S8_S8_S8_EEEEPS9_S9_NSD_9__find_if7functorIS9_EEEE10hipError_tPvRmT1_T2_T3_mT4_P12ihipStream_tbEUlT_E1_NS1_11comp_targetILNS1_3genE9ELNS1_11target_archE1100ELNS1_3gpuE3ELNS1_3repE0EEENS1_30default_config_static_selectorELNS0_4arch9wavefront6targetE0EEEvS15_ ; -- Begin function _ZN7rocprim17ROCPRIM_400000_NS6detail17trampoline_kernelINS0_14default_configENS1_22reduce_config_selectorIN6thrust23THRUST_200600_302600_NS5tupleIblNS6_9null_typeES8_S8_S8_S8_S8_S8_S8_EEEEZNS1_11reduce_implILb1ES3_NS6_12zip_iteratorINS7_INS6_11hip_rocprim26transform_input_iterator_tIbNSD_35transform_pair_of_input_iterators_tIbNS6_6detail15normal_iteratorINS6_10device_ptrIK10large_dataEEEESM_NS6_8equal_toISJ_EEEENSG_9not_fun_tINSD_8identityEEEEENSD_19counting_iterator_tIlEES8_S8_S8_S8_S8_S8_S8_S8_EEEEPS9_S9_NSD_9__find_if7functorIS9_EEEE10hipError_tPvRmT1_T2_T3_mT4_P12ihipStream_tbEUlT_E1_NS1_11comp_targetILNS1_3genE9ELNS1_11target_archE1100ELNS1_3gpuE3ELNS1_3repE0EEENS1_30default_config_static_selectorELNS0_4arch9wavefront6targetE0EEEvS15_
	.globl	_ZN7rocprim17ROCPRIM_400000_NS6detail17trampoline_kernelINS0_14default_configENS1_22reduce_config_selectorIN6thrust23THRUST_200600_302600_NS5tupleIblNS6_9null_typeES8_S8_S8_S8_S8_S8_S8_EEEEZNS1_11reduce_implILb1ES3_NS6_12zip_iteratorINS7_INS6_11hip_rocprim26transform_input_iterator_tIbNSD_35transform_pair_of_input_iterators_tIbNS6_6detail15normal_iteratorINS6_10device_ptrIK10large_dataEEEESM_NS6_8equal_toISJ_EEEENSG_9not_fun_tINSD_8identityEEEEENSD_19counting_iterator_tIlEES8_S8_S8_S8_S8_S8_S8_S8_EEEEPS9_S9_NSD_9__find_if7functorIS9_EEEE10hipError_tPvRmT1_T2_T3_mT4_P12ihipStream_tbEUlT_E1_NS1_11comp_targetILNS1_3genE9ELNS1_11target_archE1100ELNS1_3gpuE3ELNS1_3repE0EEENS1_30default_config_static_selectorELNS0_4arch9wavefront6targetE0EEEvS15_
	.p2align	8
	.type	_ZN7rocprim17ROCPRIM_400000_NS6detail17trampoline_kernelINS0_14default_configENS1_22reduce_config_selectorIN6thrust23THRUST_200600_302600_NS5tupleIblNS6_9null_typeES8_S8_S8_S8_S8_S8_S8_EEEEZNS1_11reduce_implILb1ES3_NS6_12zip_iteratorINS7_INS6_11hip_rocprim26transform_input_iterator_tIbNSD_35transform_pair_of_input_iterators_tIbNS6_6detail15normal_iteratorINS6_10device_ptrIK10large_dataEEEESM_NS6_8equal_toISJ_EEEENSG_9not_fun_tINSD_8identityEEEEENSD_19counting_iterator_tIlEES8_S8_S8_S8_S8_S8_S8_S8_EEEEPS9_S9_NSD_9__find_if7functorIS9_EEEE10hipError_tPvRmT1_T2_T3_mT4_P12ihipStream_tbEUlT_E1_NS1_11comp_targetILNS1_3genE9ELNS1_11target_archE1100ELNS1_3gpuE3ELNS1_3repE0EEENS1_30default_config_static_selectorELNS0_4arch9wavefront6targetE0EEEvS15_,@function
_ZN7rocprim17ROCPRIM_400000_NS6detail17trampoline_kernelINS0_14default_configENS1_22reduce_config_selectorIN6thrust23THRUST_200600_302600_NS5tupleIblNS6_9null_typeES8_S8_S8_S8_S8_S8_S8_EEEEZNS1_11reduce_implILb1ES3_NS6_12zip_iteratorINS7_INS6_11hip_rocprim26transform_input_iterator_tIbNSD_35transform_pair_of_input_iterators_tIbNS6_6detail15normal_iteratorINS6_10device_ptrIK10large_dataEEEESM_NS6_8equal_toISJ_EEEENSG_9not_fun_tINSD_8identityEEEEENSD_19counting_iterator_tIlEES8_S8_S8_S8_S8_S8_S8_S8_EEEEPS9_S9_NSD_9__find_if7functorIS9_EEEE10hipError_tPvRmT1_T2_T3_mT4_P12ihipStream_tbEUlT_E1_NS1_11comp_targetILNS1_3genE9ELNS1_11target_archE1100ELNS1_3gpuE3ELNS1_3repE0EEENS1_30default_config_static_selectorELNS0_4arch9wavefront6targetE0EEEvS15_: ; @_ZN7rocprim17ROCPRIM_400000_NS6detail17trampoline_kernelINS0_14default_configENS1_22reduce_config_selectorIN6thrust23THRUST_200600_302600_NS5tupleIblNS6_9null_typeES8_S8_S8_S8_S8_S8_S8_EEEEZNS1_11reduce_implILb1ES3_NS6_12zip_iteratorINS7_INS6_11hip_rocprim26transform_input_iterator_tIbNSD_35transform_pair_of_input_iterators_tIbNS6_6detail15normal_iteratorINS6_10device_ptrIK10large_dataEEEESM_NS6_8equal_toISJ_EEEENSG_9not_fun_tINSD_8identityEEEEENSD_19counting_iterator_tIlEES8_S8_S8_S8_S8_S8_S8_S8_EEEEPS9_S9_NSD_9__find_if7functorIS9_EEEE10hipError_tPvRmT1_T2_T3_mT4_P12ihipStream_tbEUlT_E1_NS1_11comp_targetILNS1_3genE9ELNS1_11target_archE1100ELNS1_3gpuE3ELNS1_3repE0EEENS1_30default_config_static_selectorELNS0_4arch9wavefront6targetE0EEEvS15_
; %bb.0:
	s_mov_b32 s10, s15
	s_clause 0x4
	s_load_b32 s25, s[0:1], 0x4
	s_load_b128 s[16:19], s[0:1], 0x8
	s_load_b128 s[12:15], s[0:1], 0x28
	s_load_b32 s24, s[0:1], 0x40
	s_load_b64 s[20:21], s[0:1], 0x48
	s_waitcnt lgkmcnt(0)
	s_cmp_lt_i32 s25, 4
	s_cbranch_scc1 .LBB751_19
; %bb.1:
	s_cmp_gt_i32 s25, 7
	s_cbranch_scc0 .LBB751_20
; %bb.2:
	s_cmp_eq_u32 s25, 8
	s_mov_b32 s27, 0
	s_cbranch_scc0 .LBB751_21
; %bb.3:
	s_mov_b32 s11, 0
	s_lshl_b32 s6, s10, 11
	s_mov_b32 s7, s11
	s_lshr_b64 s[4:5], s[14:15], 11
	s_lshl_b64 s[2:3], s[6:7], 9
	s_delay_alu instid0(SALU_CYCLE_1)
	s_add_u32 s8, s16, s2
	s_addc_u32 s9, s17, s3
	s_add_u32 s22, s18, s2
	s_addc_u32 s23, s19, s3
	;; [unrolled: 2-line block ×3, first 2 shown]
	s_cmp_lg_u64 s[4:5], s[10:11]
	s_cbranch_scc0 .LBB751_40
; %bb.4:
	v_lshlrev_b32_e32 v3, 9, v0
	s_delay_alu instid0(VALU_DEP_1) | instskip(NEXT) | instid1(VALU_DEP_1)
	v_add_co_u32 v13, s2, s8, v3
	v_add_co_ci_u32_e64 v14, null, s9, 0, s2
	v_add_co_u32 v17, s2, s22, v3
	s_delay_alu instid0(VALU_DEP_3) | instskip(NEXT) | instid1(VALU_DEP_3)
	v_add_co_u32 v1, vcc_lo, 0x20000, v13
	v_add_co_ci_u32_e32 v2, vcc_lo, 0, v14, vcc_lo
	v_add_co_ci_u32_e64 v18, null, s23, 0, s2
	s_clause 0x1
	global_load_u8 v19, v3, s[8:9]
	global_load_u8 v20, v3, s[22:23]
	global_load_u8 v21, v[1:2], off
	v_add_co_u32 v1, vcc_lo, 0x40000, v13
	v_add_co_ci_u32_e32 v2, vcc_lo, 0, v14, vcc_lo
	v_add_co_u32 v3, vcc_lo, 0x40000, v17
	v_add_co_ci_u32_e32 v4, vcc_lo, 0, v18, vcc_lo
	;; [unrolled: 2-line block ×3, first 2 shown]
	global_load_u8 v22, v[1:2], off
	global_load_u8 v23, v[3:4], off
	v_add_co_u32 v1, vcc_lo, 0x60000, v13
	v_add_co_ci_u32_e32 v2, vcc_lo, 0, v14, vcc_lo
	v_add_co_u32 v3, vcc_lo, 0x80000, v13
	v_add_co_ci_u32_e32 v4, vcc_lo, 0, v14, vcc_lo
	;; [unrolled: 2-line block ×4, first 2 shown]
	global_load_u8 v24, v[3:4], off
	global_load_u8 v25, v[7:8], off
	v_add_co_u32 v3, vcc_lo, 0xa0000, v13
	v_add_co_ci_u32_e32 v4, vcc_lo, 0, v14, vcc_lo
	v_add_co_u32 v7, vcc_lo, 0xc0000, v13
	v_add_co_ci_u32_e32 v8, vcc_lo, 0, v14, vcc_lo
	;; [unrolled: 2-line block ×5, first 2 shown]
	global_load_u8 v7, v[7:8], off
	global_load_u8 v8, v[11:12], off
	;; [unrolled: 1-line block ×8, first 2 shown]
	v_add_co_u32 v1, vcc_lo, 0xe0000, v17
	v_add_co_ci_u32_e32 v2, vcc_lo, 0, v18, vcc_lo
	v_mov_b32_e32 v10, 0x300
	v_mov_b32_e32 v12, 0x500
	global_load_u8 v1, v[1:2], off
	v_mov_b32_e32 v2, 0x100
	s_waitcnt vmcnt(14)
	v_cmp_ne_u16_e64 s3, v19, v20
	s_waitcnt vmcnt(12)
	v_and_b32_e32 v13, 0xff, v22
	s_waitcnt vmcnt(11)
	v_and_b32_e32 v14, 0xff, v23
	s_delay_alu instid0(VALU_DEP_1)
	v_cmp_ne_u16_e64 s4, v13, v14
	s_waitcnt vmcnt(9)
	v_and_b32_e32 v16, 0xff, v25
	s_waitcnt vmcnt(8)
	v_and_b32_e32 v7, 0xff, v7
	;; [unrolled: 2-line block ×4, first 2 shown]
	s_waitcnt vmcnt(5)
	v_cmp_ne_u16_e32 vcc_lo, v21, v5
	s_waitcnt vmcnt(3)
	v_cmp_ne_u16_e64 s2, v6, v9
	s_waitcnt vmcnt(1)
	v_cmp_ne_u16_e64 s5, v3, v4
	v_cndmask_b32_e32 v2, 0x200, v2, vcc_lo
	s_delay_alu instid0(VALU_DEP_3) | instskip(NEXT) | instid1(VALU_DEP_3)
	v_cndmask_b32_e64 v5, 0x400, v10, s2
	v_cndmask_b32_e64 v3, 0x600, v12, s5
	s_delay_alu instid0(VALU_DEP_3) | instskip(SKIP_4) | instid1(SALU_CYCLE_1)
	v_cndmask_b32_e64 v2, v2, 0, s3
	s_or_b32 s3, s3, vcc_lo
	s_waitcnt vmcnt(0)
	v_and_b32_e32 v1, 0xff, v1
	s_or_b32 s3, s3, s4
	v_cndmask_b32_e64 v2, v5, v2, s3
	v_and_b32_e32 v15, 0xff, v24
	s_or_b32 s3, s3, s2
	v_cmp_ne_u16_e64 s2, v7, v8
	s_delay_alu instid0(VALU_DEP_2) | instskip(SKIP_4) | instid1(SALU_CYCLE_1)
	v_cmp_ne_u16_e32 vcc_lo, v15, v16
	s_or_b32 vcc_lo, s3, vcc_lo
	v_cmp_ne_u16_e64 s3, v11, v1
	v_cndmask_b32_e32 v2, v3, v2, vcc_lo
	s_or_b32 s4, vcc_lo, s5
	s_or_b32 vcc_lo, s4, s2
	s_mov_b32 s4, exec_lo
	s_delay_alu instid0(VALU_DEP_1) | instskip(SKIP_4) | instid1(VALU_DEP_3)
	v_cndmask_b32_e32 v1, 0x700, v2, vcc_lo
	s_or_b32 s3, vcc_lo, s3
	v_add_co_u32 v2, s2, s26, v0
	v_cndmask_b32_e64 v5, 0, 1, s3
	v_add_co_ci_u32_e64 v3, null, s28, 0, s2
	v_add_co_u32 v1, vcc_lo, v2, v1
	s_delay_alu instid0(VALU_DEP_3) | instskip(NEXT) | instid1(VALU_DEP_3)
	v_mov_b32_dpp v6, v5 quad_perm:[1,0,3,2] row_mask:0xf bank_mask:0xf
	v_add_co_ci_u32_e32 v2, vcc_lo, 0, v3, vcc_lo
	s_delay_alu instid0(VALU_DEP_3) | instskip(NEXT) | instid1(VALU_DEP_3)
	v_mov_b32_dpp v3, v1 quad_perm:[1,0,3,2] row_mask:0xf bank_mask:0xf
	v_and_b32_e32 v7, 1, v6
	s_delay_alu instid0(VALU_DEP_3) | instskip(NEXT) | instid1(VALU_DEP_2)
	v_mov_b32_dpp v4, v2 quad_perm:[1,0,3,2] row_mask:0xf bank_mask:0xf
	v_cmpx_eq_u32_e32 1, v7
; %bb.5:
	v_cndmask_b32_e64 v5, v6, 1, s3
	s_delay_alu instid0(VALU_DEP_3) | instskip(NEXT) | instid1(VALU_DEP_2)
	v_cmp_lt_i64_e32 vcc_lo, v[1:2], v[3:4]
	v_and_b32_e32 v6, 1, v5
	v_and_b32_e32 v5, 0xff, v5
	s_and_b32 vcc_lo, s3, vcc_lo
	s_and_not1_b32 s3, s3, exec_lo
	v_dual_cndmask_b32 v2, v4, v2 :: v_dual_cndmask_b32 v1, v3, v1
	v_cmp_eq_u32_e64 s2, 1, v6
	s_delay_alu instid0(VALU_DEP_1) | instskip(NEXT) | instid1(SALU_CYCLE_1)
	s_and_b32 s2, s2, exec_lo
	s_or_b32 s3, s3, s2
; %bb.6:
	s_or_b32 exec_lo, exec_lo, s4
	v_mov_b32_dpp v6, v5 quad_perm:[2,3,0,1] row_mask:0xf bank_mask:0xf
	v_mov_b32_dpp v3, v1 quad_perm:[2,3,0,1] row_mask:0xf bank_mask:0xf
	;; [unrolled: 1-line block ×3, first 2 shown]
	s_mov_b32 s4, exec_lo
	s_delay_alu instid0(VALU_DEP_3) | instskip(NEXT) | instid1(VALU_DEP_1)
	v_and_b32_e32 v7, 1, v6
	v_cmpx_eq_u32_e32 1, v7
; %bb.7:
	v_cndmask_b32_e64 v5, v6, 1, s3
	v_cmp_lt_i64_e32 vcc_lo, v[1:2], v[3:4]
	s_delay_alu instid0(VALU_DEP_2)
	v_and_b32_e32 v6, 1, v5
	v_and_b32_e32 v5, 0xff, v5
	s_and_b32 vcc_lo, s3, vcc_lo
	s_and_not1_b32 s3, s3, exec_lo
	v_dual_cndmask_b32 v2, v4, v2 :: v_dual_cndmask_b32 v1, v3, v1
	v_cmp_eq_u32_e64 s2, 1, v6
	s_delay_alu instid0(VALU_DEP_1) | instskip(NEXT) | instid1(SALU_CYCLE_1)
	s_and_b32 s2, s2, exec_lo
	s_or_b32 s3, s3, s2
; %bb.8:
	s_or_b32 exec_lo, exec_lo, s4
	v_mov_b32_dpp v6, v5 row_ror:4 row_mask:0xf bank_mask:0xf
	v_mov_b32_dpp v3, v1 row_ror:4 row_mask:0xf bank_mask:0xf
	;; [unrolled: 1-line block ×3, first 2 shown]
	s_mov_b32 s4, exec_lo
	s_delay_alu instid0(VALU_DEP_3) | instskip(NEXT) | instid1(VALU_DEP_1)
	v_and_b32_e32 v7, 1, v6
	v_cmpx_eq_u32_e32 1, v7
; %bb.9:
	v_cndmask_b32_e64 v5, v6, 1, s3
	v_cmp_lt_i64_e32 vcc_lo, v[1:2], v[3:4]
	s_delay_alu instid0(VALU_DEP_2)
	v_and_b32_e32 v6, 1, v5
	v_and_b32_e32 v5, 0xff, v5
	s_and_b32 vcc_lo, s3, vcc_lo
	s_and_not1_b32 s3, s3, exec_lo
	v_dual_cndmask_b32 v2, v4, v2 :: v_dual_cndmask_b32 v1, v3, v1
	v_cmp_eq_u32_e64 s2, 1, v6
	s_delay_alu instid0(VALU_DEP_1) | instskip(NEXT) | instid1(SALU_CYCLE_1)
	s_and_b32 s2, s2, exec_lo
	s_or_b32 s3, s3, s2
; %bb.10:
	s_or_b32 exec_lo, exec_lo, s4
	v_mov_b32_dpp v6, v5 row_ror:8 row_mask:0xf bank_mask:0xf
	v_mov_b32_dpp v3, v1 row_ror:8 row_mask:0xf bank_mask:0xf
	;; [unrolled: 1-line block ×3, first 2 shown]
	s_mov_b32 s4, exec_lo
	s_delay_alu instid0(VALU_DEP_3) | instskip(NEXT) | instid1(VALU_DEP_1)
	v_and_b32_e32 v7, 1, v6
	v_cmpx_eq_u32_e32 1, v7
; %bb.11:
	v_cndmask_b32_e64 v5, v6, 1, s3
	v_cmp_lt_i64_e32 vcc_lo, v[1:2], v[3:4]
	s_delay_alu instid0(VALU_DEP_2)
	v_and_b32_e32 v6, 1, v5
	v_and_b32_e32 v5, 0xff, v5
	s_and_b32 vcc_lo, s3, vcc_lo
	s_and_not1_b32 s3, s3, exec_lo
	v_dual_cndmask_b32 v2, v4, v2 :: v_dual_cndmask_b32 v1, v3, v1
	v_cmp_eq_u32_e64 s2, 1, v6
	s_delay_alu instid0(VALU_DEP_1) | instskip(NEXT) | instid1(SALU_CYCLE_1)
	s_and_b32 s2, s2, exec_lo
	s_or_b32 s3, s3, s2
; %bb.12:
	s_or_b32 exec_lo, exec_lo, s4
	ds_swizzle_b32 v6, v5 offset:swizzle(BROADCAST,32,15)
	ds_swizzle_b32 v3, v1 offset:swizzle(BROADCAST,32,15)
	;; [unrolled: 1-line block ×3, first 2 shown]
	s_mov_b32 s2, exec_lo
	s_waitcnt lgkmcnt(2)
	v_and_b32_e32 v7, 1, v6
	s_delay_alu instid0(VALU_DEP_1)
	v_cmpx_eq_u32_e32 1, v7
	s_cbranch_execz .LBB751_14
; %bb.13:
	s_waitcnt lgkmcnt(0)
	v_cmp_lt_i64_e32 vcc_lo, v[1:2], v[3:4]
	v_and_b32_e32 v5, 0xff, v6
	s_delay_alu instid0(VALU_DEP_1)
	v_cndmask_b32_e64 v5, v5, 1, s3
	s_and_b32 vcc_lo, s3, vcc_lo
	v_dual_cndmask_b32 v1, v3, v1 :: v_dual_cndmask_b32 v2, v4, v2
.LBB751_14:
	s_or_b32 exec_lo, exec_lo, s2
	s_waitcnt lgkmcnt(1)
	v_mov_b32_e32 v3, 0
	s_mov_b32 s2, exec_lo
	ds_bpermute_b32 v6, v3, v5 offset:124
	ds_bpermute_b32 v1, v3, v1 offset:124
	ds_bpermute_b32 v2, v3, v2 offset:124
	v_mbcnt_lo_u32_b32 v3, -1, 0
	s_delay_alu instid0(VALU_DEP_1)
	v_cmpx_eq_u32_e32 0, v3
	s_cbranch_execz .LBB751_16
; %bb.15:
	s_waitcnt lgkmcnt(3)
	v_lshrrev_b32_e32 v4, 1, v0
	s_delay_alu instid0(VALU_DEP_1)
	v_and_b32_e32 v4, 0x70, v4
	s_waitcnt lgkmcnt(2)
	ds_store_b8 v4, v6 offset:384
	s_waitcnt lgkmcnt(1)
	ds_store_b64 v4, v[1:2] offset:392
.LBB751_16:
	s_or_b32 exec_lo, exec_lo, s2
	s_delay_alu instid0(SALU_CYCLE_1)
	s_mov_b32 s4, exec_lo
	s_waitcnt lgkmcnt(0)
	s_barrier
	buffer_gl0_inv
	v_cmpx_gt_u32_e32 32, v0
	s_cbranch_execz .LBB751_18
; %bb.17:
	v_and_b32_e32 v6, 7, v3
	s_delay_alu instid0(VALU_DEP_1)
	v_lshlrev_b32_e32 v1, 4, v6
	v_cmp_ne_u32_e32 vcc_lo, 7, v6
	ds_load_u8 v7, v1 offset:384
	ds_load_b64 v[1:2], v1 offset:392
	v_add_co_ci_u32_e32 v4, vcc_lo, 0, v3, vcc_lo
	v_cmp_gt_u32_e32 vcc_lo, 6, v6
	s_delay_alu instid0(VALU_DEP_2)
	v_lshlrev_b32_e32 v5, 2, v4
	v_cndmask_b32_e64 v10, 0, 1, vcc_lo
	s_waitcnt lgkmcnt(1)
	v_and_b32_e32 v4, 0xff, v7
	v_and_b32_e32 v11, 1, v7
	ds_bpermute_b32 v8, v5, v4
	s_waitcnt lgkmcnt(1)
	ds_bpermute_b32 v4, v5, v1
	ds_bpermute_b32 v5, v5, v2
	v_cmp_eq_u32_e64 s3, 1, v11
	s_waitcnt lgkmcnt(2)
	v_and_b32_e32 v9, 1, v8
	s_waitcnt lgkmcnt(0)
	v_cmp_lt_i64_e64 s2, v[4:5], v[1:2]
	s_delay_alu instid0(VALU_DEP_2) | instskip(SKIP_2) | instid1(VALU_DEP_4)
	v_cmp_eq_u32_e32 vcc_lo, 1, v9
	v_lshlrev_b32_e32 v9, 1, v10
	v_cndmask_b32_e64 v7, v7, 1, vcc_lo
	s_and_b32 vcc_lo, vcc_lo, s2
	v_dual_cndmask_b32 v1, v1, v4 :: v_dual_cndmask_b32 v2, v2, v5
	s_delay_alu instid0(VALU_DEP_2) | instskip(SKIP_2) | instid1(VALU_DEP_4)
	v_cndmask_b32_e64 v7, v8, v7, s3
	v_add_lshl_u32 v8, v9, v3, 2
	v_cmp_gt_u32_e32 vcc_lo, 4, v6
	v_cndmask_b32_e64 v1, v4, v1, s3
	v_cndmask_b32_e64 v2, v5, v2, s3
	v_and_b32_e32 v9, 0xff, v7
	v_and_b32_e32 v10, 1, v7
	v_cndmask_b32_e64 v6, 0, 1, vcc_lo
	ds_bpermute_b32 v4, v8, v1
	ds_bpermute_b32 v5, v8, v2
	;; [unrolled: 1-line block ×3, first 2 shown]
	v_cmp_eq_u32_e64 s3, 1, v10
	s_waitcnt lgkmcnt(1)
	v_cmp_lt_i64_e64 s2, v[4:5], v[1:2]
	s_waitcnt lgkmcnt(0)
	v_and_b32_e32 v8, 1, v9
	s_delay_alu instid0(VALU_DEP_1) | instskip(SKIP_1) | instid1(VALU_DEP_4)
	v_cmp_eq_u32_e32 vcc_lo, 1, v8
	v_cndmask_b32_e64 v7, v7, 1, vcc_lo
	s_and_b32 vcc_lo, vcc_lo, s2
	v_dual_cndmask_b32 v1, v1, v4 :: v_dual_cndmask_b32 v2, v2, v5
	s_delay_alu instid0(VALU_DEP_2) | instskip(NEXT) | instid1(VALU_DEP_2)
	v_cndmask_b32_e64 v7, v9, v7, s3
	v_cndmask_b32_e64 v1, v4, v1, s3
	v_lshlrev_b32_e32 v6, 2, v6
	s_delay_alu instid0(VALU_DEP_4) | instskip(NEXT) | instid1(VALU_DEP_2)
	v_cndmask_b32_e64 v2, v5, v2, s3
	v_add_lshl_u32 v6, v6, v3, 2
	v_and_b32_e32 v3, 0xff, v7
	ds_bpermute_b32 v4, v6, v2
	ds_bpermute_b32 v5, v6, v3
	;; [unrolled: 1-line block ×3, first 2 shown]
	s_waitcnt lgkmcnt(1)
	v_and_b32_e32 v6, 1, v5
	s_waitcnt lgkmcnt(0)
	v_cmp_lt_i64_e32 vcc_lo, v[3:4], v[1:2]
	s_delay_alu instid0(VALU_DEP_2) | instskip(SKIP_1) | instid1(VALU_DEP_2)
	v_cmp_eq_u32_e64 s2, 1, v6
	v_and_b32_e32 v6, 1, v7
	v_cndmask_b32_e64 v7, v7, 1, s2
	s_and_b32 vcc_lo, s2, vcc_lo
	s_delay_alu instid0(VALU_DEP_2) | instskip(SKIP_1) | instid1(VALU_DEP_2)
	v_cmp_eq_u32_e64 s2, 1, v6
	v_dual_cndmask_b32 v1, v1, v3 :: v_dual_cndmask_b32 v2, v2, v4
	v_cndmask_b32_e64 v5, v5, v7, s2
	s_delay_alu instid0(VALU_DEP_2) | instskip(NEXT) | instid1(VALU_DEP_3)
	v_cndmask_b32_e64 v1, v3, v1, s2
	v_cndmask_b32_e64 v2, v4, v2, s2
	s_delay_alu instid0(VALU_DEP_3)
	v_and_b32_e32 v6, 0xff, v5
.LBB751_18:
	s_or_b32 exec_lo, exec_lo, s4
	s_branch .LBB751_85
.LBB751_19:
	s_mov_b32 s26, 0
                                        ; implicit-def: $vgpr3_vgpr4
                                        ; implicit-def: $vgpr5
	s_cbranch_execnz .LBB751_129
	s_branch .LBB751_200
.LBB751_20:
	s_mov_b32 s27, -1
.LBB751_21:
	s_mov_b32 s26, 0
                                        ; implicit-def: $vgpr3_vgpr4
                                        ; implicit-def: $vgpr5
	s_and_b32 vcc_lo, exec_lo, s27
	s_cbranch_vccz .LBB751_90
.LBB751_22:
	s_cmp_eq_u32 s25, 4
	s_cbranch_scc0 .LBB751_39
; %bb.23:
	s_mov_b32 s11, 0
	s_lshl_b32 s22, s10, 10
	s_mov_b32 s23, s11
	s_lshr_b64 s[28:29], s[14:15], 10
	s_lshl_b64 s[2:3], s[22:23], 9
	s_delay_alu instid0(SALU_CYCLE_1)
	s_add_u32 s6, s16, s2
	s_addc_u32 s7, s17, s3
	s_add_u32 s8, s18, s2
	s_addc_u32 s9, s19, s3
	;; [unrolled: 2-line block ×3, first 2 shown]
	s_cmp_lg_u64 s[28:29], s[10:11]
	s_cbranch_scc0 .LBB751_91
; %bb.24:
	v_lshlrev_b32_e32 v11, 9, v0
	s_delay_alu instid0(VALU_DEP_1) | instskip(NEXT) | instid1(VALU_DEP_1)
	v_add_co_u32 v7, s2, s6, v11
	v_add_co_ci_u32_e64 v8, null, s7, 0, s2
	v_add_co_u32 v9, s2, s8, v11
	s_delay_alu instid0(VALU_DEP_3) | instskip(NEXT) | instid1(VALU_DEP_3)
	v_add_co_u32 v1, vcc_lo, 0x20000, v7
	v_add_co_ci_u32_e32 v2, vcc_lo, 0, v8, vcc_lo
	v_add_co_ci_u32_e64 v10, null, s9, 0, s2
	global_load_u8 v12, v[1:2], off
	v_add_co_u32 v1, vcc_lo, 0x20000, v9
	v_add_co_ci_u32_e32 v2, vcc_lo, 0, v10, vcc_lo
	s_waitcnt lgkmcnt(1)
	v_add_co_u32 v3, vcc_lo, 0x40000, v7
	s_waitcnt lgkmcnt(0)
	v_add_co_ci_u32_e32 v4, vcc_lo, 0, v8, vcc_lo
	v_add_co_u32 v5, vcc_lo, 0x40000, v9
	v_add_co_ci_u32_e32 v6, vcc_lo, 0, v10, vcc_lo
	v_add_co_u32 v7, vcc_lo, 0x60000, v7
	;; [unrolled: 2-line block ×3, first 2 shown]
	v_add_co_ci_u32_e32 v10, vcc_lo, 0, v10, vcc_lo
	global_load_u8 v3, v[3:4], off
	global_load_u8 v4, v[5:6], off
	;; [unrolled: 1-line block ×3, first 2 shown]
	s_clause 0x1
	global_load_u8 v1, v[1:2], off
	global_load_u8 v2, v[9:10], off
	s_clause 0x1
	global_load_u8 v6, v11, s[6:7]
	global_load_u8 v7, v11, s[8:9]
	v_mov_b32_e32 v8, 0x100
	s_waitcnt vmcnt(6)
	v_and_b32_e32 v3, 0xff, v3
	s_waitcnt vmcnt(5)
	v_and_b32_e32 v4, 0xff, v4
	;; [unrolled: 2-line block ×3, first 2 shown]
	s_waitcnt vmcnt(3)
	v_cmp_ne_u16_e32 vcc_lo, v12, v1
	s_waitcnt vmcnt(2)
	v_and_b32_e32 v2, 0xff, v2
	s_waitcnt vmcnt(0)
	v_cmp_ne_u16_e64 s2, v6, v7
	v_cmp_ne_u16_e64 s3, v3, v4
	v_cndmask_b32_e32 v1, 0x200, v8, vcc_lo
	v_cmp_ne_u16_e64 s4, v5, v2
	s_delay_alu instid0(VALU_DEP_2) | instskip(SKIP_1) | instid1(SALU_CYCLE_1)
	v_cndmask_b32_e64 v1, v1, 0, s2
	s_or_b32 s2, s2, vcc_lo
	s_or_b32 vcc_lo, s2, s3
	v_add_co_u32 v2, s2, s5, v0
	s_delay_alu instid0(VALU_DEP_2) | instskip(SKIP_3) | instid1(VALU_DEP_3)
	v_cndmask_b32_e32 v1, 0x300, v1, vcc_lo
	s_or_b32 s3, vcc_lo, s4
	v_add_co_ci_u32_e64 v3, null, s23, 0, s2
	v_cndmask_b32_e64 v5, 0, 1, s3
	v_add_co_u32 v1, vcc_lo, v2, v1
	s_delay_alu instid0(VALU_DEP_3) | instskip(NEXT) | instid1(VALU_DEP_3)
	v_add_co_ci_u32_e32 v2, vcc_lo, 0, v3, vcc_lo
	v_mov_b32_dpp v6, v5 quad_perm:[1,0,3,2] row_mask:0xf bank_mask:0xf
	s_delay_alu instid0(VALU_DEP_3) | instskip(SKIP_1) | instid1(VALU_DEP_3)
	v_mov_b32_dpp v3, v1 quad_perm:[1,0,3,2] row_mask:0xf bank_mask:0xf
	s_mov_b32 s4, exec_lo
	v_mov_b32_dpp v4, v2 quad_perm:[1,0,3,2] row_mask:0xf bank_mask:0xf
	s_delay_alu instid0(VALU_DEP_3) | instskip(NEXT) | instid1(VALU_DEP_1)
	v_and_b32_e32 v7, 1, v6
	v_cmpx_eq_u32_e32 1, v7
; %bb.25:
	v_cndmask_b32_e64 v5, v6, 1, s3
	s_delay_alu instid0(VALU_DEP_4) | instskip(NEXT) | instid1(VALU_DEP_2)
	v_cmp_lt_i64_e32 vcc_lo, v[1:2], v[3:4]
	v_and_b32_e32 v6, 1, v5
	v_and_b32_e32 v5, 0xff, v5
	s_and_b32 vcc_lo, s3, vcc_lo
	s_and_not1_b32 s3, s3, exec_lo
	v_dual_cndmask_b32 v2, v4, v2 :: v_dual_cndmask_b32 v1, v3, v1
	v_cmp_eq_u32_e64 s2, 1, v6
	s_delay_alu instid0(VALU_DEP_1) | instskip(NEXT) | instid1(SALU_CYCLE_1)
	s_and_b32 s2, s2, exec_lo
	s_or_b32 s3, s3, s2
; %bb.26:
	s_or_b32 exec_lo, exec_lo, s4
	v_mov_b32_dpp v6, v5 quad_perm:[2,3,0,1] row_mask:0xf bank_mask:0xf
	v_mov_b32_dpp v3, v1 quad_perm:[2,3,0,1] row_mask:0xf bank_mask:0xf
	;; [unrolled: 1-line block ×3, first 2 shown]
	s_mov_b32 s4, exec_lo
	s_delay_alu instid0(VALU_DEP_3) | instskip(NEXT) | instid1(VALU_DEP_1)
	v_and_b32_e32 v7, 1, v6
	v_cmpx_eq_u32_e32 1, v7
; %bb.27:
	v_cndmask_b32_e64 v5, v6, 1, s3
	v_cmp_lt_i64_e32 vcc_lo, v[1:2], v[3:4]
	s_delay_alu instid0(VALU_DEP_2)
	v_and_b32_e32 v6, 1, v5
	v_and_b32_e32 v5, 0xff, v5
	s_and_b32 vcc_lo, s3, vcc_lo
	s_and_not1_b32 s3, s3, exec_lo
	v_dual_cndmask_b32 v2, v4, v2 :: v_dual_cndmask_b32 v1, v3, v1
	v_cmp_eq_u32_e64 s2, 1, v6
	s_delay_alu instid0(VALU_DEP_1) | instskip(NEXT) | instid1(SALU_CYCLE_1)
	s_and_b32 s2, s2, exec_lo
	s_or_b32 s3, s3, s2
; %bb.28:
	s_or_b32 exec_lo, exec_lo, s4
	v_mov_b32_dpp v6, v5 row_ror:4 row_mask:0xf bank_mask:0xf
	v_mov_b32_dpp v3, v1 row_ror:4 row_mask:0xf bank_mask:0xf
	;; [unrolled: 1-line block ×3, first 2 shown]
	s_mov_b32 s4, exec_lo
	s_delay_alu instid0(VALU_DEP_3) | instskip(NEXT) | instid1(VALU_DEP_1)
	v_and_b32_e32 v7, 1, v6
	v_cmpx_eq_u32_e32 1, v7
; %bb.29:
	v_cndmask_b32_e64 v5, v6, 1, s3
	v_cmp_lt_i64_e32 vcc_lo, v[1:2], v[3:4]
	s_delay_alu instid0(VALU_DEP_2)
	v_and_b32_e32 v6, 1, v5
	v_and_b32_e32 v5, 0xff, v5
	s_and_b32 vcc_lo, s3, vcc_lo
	s_and_not1_b32 s3, s3, exec_lo
	v_dual_cndmask_b32 v2, v4, v2 :: v_dual_cndmask_b32 v1, v3, v1
	v_cmp_eq_u32_e64 s2, 1, v6
	s_delay_alu instid0(VALU_DEP_1) | instskip(NEXT) | instid1(SALU_CYCLE_1)
	s_and_b32 s2, s2, exec_lo
	s_or_b32 s3, s3, s2
; %bb.30:
	s_or_b32 exec_lo, exec_lo, s4
	v_mov_b32_dpp v6, v5 row_ror:8 row_mask:0xf bank_mask:0xf
	v_mov_b32_dpp v3, v1 row_ror:8 row_mask:0xf bank_mask:0xf
	v_mov_b32_dpp v4, v2 row_ror:8 row_mask:0xf bank_mask:0xf
	s_mov_b32 s4, exec_lo
	s_delay_alu instid0(VALU_DEP_3) | instskip(NEXT) | instid1(VALU_DEP_1)
	v_and_b32_e32 v7, 1, v6
	v_cmpx_eq_u32_e32 1, v7
; %bb.31:
	v_cndmask_b32_e64 v5, v6, 1, s3
	v_cmp_lt_i64_e32 vcc_lo, v[1:2], v[3:4]
	s_delay_alu instid0(VALU_DEP_2)
	v_and_b32_e32 v6, 1, v5
	v_and_b32_e32 v5, 0xff, v5
	s_and_b32 vcc_lo, s3, vcc_lo
	s_and_not1_b32 s3, s3, exec_lo
	v_dual_cndmask_b32 v2, v4, v2 :: v_dual_cndmask_b32 v1, v3, v1
	v_cmp_eq_u32_e64 s2, 1, v6
	s_delay_alu instid0(VALU_DEP_1) | instskip(NEXT) | instid1(SALU_CYCLE_1)
	s_and_b32 s2, s2, exec_lo
	s_or_b32 s3, s3, s2
; %bb.32:
	s_or_b32 exec_lo, exec_lo, s4
	ds_swizzle_b32 v6, v5 offset:swizzle(BROADCAST,32,15)
	ds_swizzle_b32 v3, v1 offset:swizzle(BROADCAST,32,15)
	;; [unrolled: 1-line block ×3, first 2 shown]
	s_mov_b32 s2, exec_lo
	s_waitcnt lgkmcnt(2)
	v_and_b32_e32 v7, 1, v6
	s_delay_alu instid0(VALU_DEP_1)
	v_cmpx_eq_u32_e32 1, v7
	s_cbranch_execz .LBB751_34
; %bb.33:
	s_waitcnt lgkmcnt(0)
	v_cmp_lt_i64_e32 vcc_lo, v[1:2], v[3:4]
	v_and_b32_e32 v5, 0xff, v6
	s_delay_alu instid0(VALU_DEP_1)
	v_cndmask_b32_e64 v5, v5, 1, s3
	s_and_b32 vcc_lo, s3, vcc_lo
	v_dual_cndmask_b32 v1, v3, v1 :: v_dual_cndmask_b32 v2, v4, v2
.LBB751_34:
	s_or_b32 exec_lo, exec_lo, s2
	s_waitcnt lgkmcnt(1)
	v_mov_b32_e32 v3, 0
	s_mov_b32 s2, exec_lo
	ds_bpermute_b32 v6, v3, v5 offset:124
	ds_bpermute_b32 v1, v3, v1 offset:124
	;; [unrolled: 1-line block ×3, first 2 shown]
	v_mbcnt_lo_u32_b32 v3, -1, 0
	s_delay_alu instid0(VALU_DEP_1)
	v_cmpx_eq_u32_e32 0, v3
	s_cbranch_execz .LBB751_36
; %bb.35:
	s_waitcnt lgkmcnt(3)
	v_lshrrev_b32_e32 v4, 1, v0
	s_delay_alu instid0(VALU_DEP_1)
	v_and_b32_e32 v4, 0x70, v4
	s_waitcnt lgkmcnt(2)
	ds_store_b8 v4, v6 offset:256
	s_waitcnt lgkmcnt(1)
	ds_store_b64 v4, v[1:2] offset:264
.LBB751_36:
	s_or_b32 exec_lo, exec_lo, s2
	s_delay_alu instid0(SALU_CYCLE_1)
	s_mov_b32 s4, exec_lo
	s_waitcnt lgkmcnt(0)
	s_barrier
	buffer_gl0_inv
	v_cmpx_gt_u32_e32 32, v0
	s_cbranch_execz .LBB751_38
; %bb.37:
	v_and_b32_e32 v6, 7, v3
	s_delay_alu instid0(VALU_DEP_1)
	v_lshlrev_b32_e32 v1, 4, v6
	v_cmp_ne_u32_e32 vcc_lo, 7, v6
	ds_load_u8 v7, v1 offset:256
	ds_load_b64 v[1:2], v1 offset:264
	v_add_co_ci_u32_e32 v4, vcc_lo, 0, v3, vcc_lo
	v_cmp_gt_u32_e32 vcc_lo, 6, v6
	s_delay_alu instid0(VALU_DEP_2)
	v_lshlrev_b32_e32 v5, 2, v4
	v_cndmask_b32_e64 v10, 0, 1, vcc_lo
	s_waitcnt lgkmcnt(1)
	v_and_b32_e32 v4, 0xff, v7
	v_and_b32_e32 v11, 1, v7
	ds_bpermute_b32 v8, v5, v4
	s_waitcnt lgkmcnt(1)
	ds_bpermute_b32 v4, v5, v1
	ds_bpermute_b32 v5, v5, v2
	v_cmp_eq_u32_e64 s3, 1, v11
	s_waitcnt lgkmcnt(2)
	v_and_b32_e32 v9, 1, v8
	s_waitcnt lgkmcnt(0)
	v_cmp_lt_i64_e64 s2, v[4:5], v[1:2]
	s_delay_alu instid0(VALU_DEP_2) | instskip(SKIP_2) | instid1(VALU_DEP_4)
	v_cmp_eq_u32_e32 vcc_lo, 1, v9
	v_lshlrev_b32_e32 v9, 1, v10
	v_cndmask_b32_e64 v7, v7, 1, vcc_lo
	s_and_b32 vcc_lo, vcc_lo, s2
	v_dual_cndmask_b32 v1, v1, v4 :: v_dual_cndmask_b32 v2, v2, v5
	s_delay_alu instid0(VALU_DEP_2) | instskip(SKIP_2) | instid1(VALU_DEP_4)
	v_cndmask_b32_e64 v7, v8, v7, s3
	v_add_lshl_u32 v8, v9, v3, 2
	v_cmp_gt_u32_e32 vcc_lo, 4, v6
	v_cndmask_b32_e64 v1, v4, v1, s3
	v_cndmask_b32_e64 v2, v5, v2, s3
	v_and_b32_e32 v9, 0xff, v7
	v_and_b32_e32 v10, 1, v7
	v_cndmask_b32_e64 v6, 0, 1, vcc_lo
	ds_bpermute_b32 v4, v8, v1
	ds_bpermute_b32 v5, v8, v2
	ds_bpermute_b32 v9, v8, v9
	v_cmp_eq_u32_e64 s3, 1, v10
	s_waitcnt lgkmcnt(1)
	v_cmp_lt_i64_e64 s2, v[4:5], v[1:2]
	s_waitcnt lgkmcnt(0)
	v_and_b32_e32 v8, 1, v9
	s_delay_alu instid0(VALU_DEP_1) | instskip(SKIP_1) | instid1(VALU_DEP_4)
	v_cmp_eq_u32_e32 vcc_lo, 1, v8
	v_cndmask_b32_e64 v7, v7, 1, vcc_lo
	s_and_b32 vcc_lo, vcc_lo, s2
	v_dual_cndmask_b32 v1, v1, v4 :: v_dual_cndmask_b32 v2, v2, v5
	s_delay_alu instid0(VALU_DEP_2) | instskip(NEXT) | instid1(VALU_DEP_2)
	v_cndmask_b32_e64 v7, v9, v7, s3
	v_cndmask_b32_e64 v1, v4, v1, s3
	v_lshlrev_b32_e32 v6, 2, v6
	s_delay_alu instid0(VALU_DEP_4) | instskip(NEXT) | instid1(VALU_DEP_2)
	v_cndmask_b32_e64 v2, v5, v2, s3
	v_add_lshl_u32 v6, v6, v3, 2
	v_and_b32_e32 v3, 0xff, v7
	ds_bpermute_b32 v4, v6, v2
	ds_bpermute_b32 v5, v6, v3
	;; [unrolled: 1-line block ×3, first 2 shown]
	s_waitcnt lgkmcnt(1)
	v_and_b32_e32 v6, 1, v5
	s_waitcnt lgkmcnt(0)
	v_cmp_lt_i64_e32 vcc_lo, v[3:4], v[1:2]
	s_delay_alu instid0(VALU_DEP_2) | instskip(SKIP_1) | instid1(VALU_DEP_2)
	v_cmp_eq_u32_e64 s2, 1, v6
	v_and_b32_e32 v6, 1, v7
	v_cndmask_b32_e64 v7, v7, 1, s2
	s_and_b32 vcc_lo, s2, vcc_lo
	s_delay_alu instid0(VALU_DEP_2) | instskip(SKIP_1) | instid1(VALU_DEP_2)
	v_cmp_eq_u32_e64 s2, 1, v6
	v_dual_cndmask_b32 v1, v1, v3 :: v_dual_cndmask_b32 v2, v2, v4
	v_cndmask_b32_e64 v5, v5, v7, s2
	s_delay_alu instid0(VALU_DEP_2) | instskip(NEXT) | instid1(VALU_DEP_3)
	v_cndmask_b32_e64 v1, v3, v1, s2
	v_cndmask_b32_e64 v2, v4, v2, s2
	s_delay_alu instid0(VALU_DEP_3)
	v_and_b32_e32 v6, 0xff, v5
.LBB751_38:
	s_or_b32 exec_lo, exec_lo, s4
	s_branch .LBB751_124
.LBB751_39:
                                        ; implicit-def: $vgpr3_vgpr4
                                        ; implicit-def: $vgpr5
	s_branch .LBB751_200
.LBB751_40:
                                        ; implicit-def: $vgpr1_vgpr2
                                        ; implicit-def: $vgpr6
	s_cbranch_execz .LBB751_85
; %bb.41:
	v_mov_b32_e32 v9, 0
	v_dual_mov_b32 v10, 0 :: v_dual_mov_b32 v21, 0
	s_delay_alu instid0(VALU_DEP_2) | instskip(SKIP_2) | instid1(VALU_DEP_3)
	v_mov_b32_e32 v1, v9
	v_mov_b32_e32 v17, 0
	s_sub_i32 s29, s14, s6
	v_mov_b32_e32 v2, v10
	s_mov_b32 s2, exec_lo
	v_cmpx_gt_u32_e64 s29, v0
	s_cbranch_execz .LBB751_43
; %bb.42:
	v_lshlrev_b32_e32 v1, 9, v0
	s_clause 0x1
	global_load_u8 v3, v1, s[8:9]
	global_load_u8 v4, v1, s[22:23]
	v_add_co_u32 v1, s3, s26, v0
	s_delay_alu instid0(VALU_DEP_1)
	v_add_co_ci_u32_e64 v2, null, s28, 0, s3
	s_waitcnt vmcnt(0)
	v_cmp_ne_u16_e32 vcc_lo, v3, v4
	v_cndmask_b32_e64 v17, 0, 1, vcc_lo
.LBB751_43:
	s_or_b32 exec_lo, exec_lo, s2
	v_or_b32_e32 v3, 0x100, v0
	s_delay_alu instid0(VALU_DEP_1) | instskip(NEXT) | instid1(VALU_DEP_1)
	v_cmp_gt_u32_e64 s7, s29, v3
	s_and_saveexec_b32 s2, s7
	s_cbranch_execz .LBB751_45
; %bb.44:
	v_lshlrev_b32_e32 v4, 9, v3
	v_add_co_u32 v9, s3, s26, v3
	s_delay_alu instid0(VALU_DEP_1)
	v_add_co_ci_u32_e64 v10, null, s28, 0, s3
	s_clause 0x1
	global_load_u8 v5, v4, s[8:9]
	global_load_u8 v4, v4, s[22:23]
	s_waitcnt vmcnt(0)
	v_cmp_ne_u16_e32 vcc_lo, v5, v4
	v_cndmask_b32_e64 v21, 0, 1, vcc_lo
.LBB751_45:
	s_or_b32 exec_lo, exec_lo, s2
	v_dual_mov_b32 v7, 0 :: v_dual_mov_b32 v20, 0
	v_mov_b32_e32 v8, 0
	v_or_b32_e32 v3, 0x200, v0
	v_mov_b32_e32 v24, 0
	s_delay_alu instid0(VALU_DEP_3) | instskip(NEXT) | instid1(VALU_DEP_3)
	v_dual_mov_b32 v16, v8 :: v_dual_mov_b32 v15, v7
	v_cmp_gt_u32_e64 s6, s29, v3
	s_delay_alu instid0(VALU_DEP_1)
	s_and_saveexec_b32 s2, s6
	s_cbranch_execz .LBB751_47
; %bb.46:
	v_lshlrev_b32_e32 v4, 9, v3
	v_add_co_u32 v15, s3, s26, v3
	s_delay_alu instid0(VALU_DEP_1)
	v_add_co_ci_u32_e64 v16, null, s28, 0, s3
	s_clause 0x1
	global_load_u8 v5, v4, s[8:9]
	global_load_u8 v4, v4, s[22:23]
	s_waitcnt vmcnt(0)
	v_cmp_ne_u16_e32 vcc_lo, v5, v4
	v_cndmask_b32_e64 v24, 0, 1, vcc_lo
.LBB751_47:
	s_or_b32 exec_lo, exec_lo, s2
	v_or_b32_e32 v3, 0x300, v0
	s_delay_alu instid0(VALU_DEP_1) | instskip(NEXT) | instid1(VALU_DEP_1)
	v_cmp_gt_u32_e64 s5, s29, v3
	s_and_saveexec_b32 s2, s5
	s_cbranch_execz .LBB751_49
; %bb.48:
	v_lshlrev_b32_e32 v4, 9, v3
	v_add_co_u32 v7, s3, s26, v3
	s_delay_alu instid0(VALU_DEP_1)
	v_add_co_ci_u32_e64 v8, null, s28, 0, s3
	s_clause 0x1
	global_load_u8 v5, v4, s[8:9]
	global_load_u8 v4, v4, s[22:23]
	s_waitcnt vmcnt(0)
	v_cmp_ne_u16_e32 vcc_lo, v5, v4
	v_cndmask_b32_e64 v20, 0, 1, vcc_lo
.LBB751_49:
	s_or_b32 exec_lo, exec_lo, s2
	v_mov_b32_e32 v5, 0
	v_dual_mov_b32 v6, 0 :: v_dual_mov_b32 v19, 0
	v_or_b32_e32 v3, 0x400, v0
	s_delay_alu instid0(VALU_DEP_2) | instskip(NEXT) | instid1(VALU_DEP_4)
	v_dual_mov_b32 v23, 0 :: v_dual_mov_b32 v14, v6
	v_mov_b32_e32 v13, v5
	s_delay_alu instid0(VALU_DEP_3) | instskip(NEXT) | instid1(VALU_DEP_1)
	v_cmp_gt_u32_e64 s4, s29, v3
	s_and_saveexec_b32 s2, s4
	s_cbranch_execz .LBB751_51
; %bb.50:
	v_lshlrev_b32_e32 v4, 9, v3
	v_add_co_u32 v13, s3, s26, v3
	s_delay_alu instid0(VALU_DEP_1)
	v_add_co_ci_u32_e64 v14, null, s28, 0, s3
	s_clause 0x1
	global_load_u8 v11, v4, s[8:9]
	global_load_u8 v4, v4, s[22:23]
	s_waitcnt vmcnt(0)
	v_cmp_ne_u16_e32 vcc_lo, v11, v4
	v_cndmask_b32_e64 v23, 0, 1, vcc_lo
.LBB751_51:
	s_or_b32 exec_lo, exec_lo, s2
	v_or_b32_e32 v3, 0x500, v0
	s_delay_alu instid0(VALU_DEP_1) | instskip(NEXT) | instid1(VALU_DEP_1)
	v_cmp_gt_u32_e64 s3, s29, v3
	s_and_saveexec_b32 s2, s3
	s_cbranch_execz .LBB751_53
; %bb.52:
	v_lshlrev_b32_e32 v4, 9, v3
	v_add_co_u32 v5, s30, s26, v3
	s_delay_alu instid0(VALU_DEP_1)
	v_add_co_ci_u32_e64 v6, null, s28, 0, s30
	s_clause 0x1
	global_load_u8 v11, v4, s[8:9]
	global_load_u8 v4, v4, s[22:23]
	s_waitcnt vmcnt(0)
	v_cmp_ne_u16_e32 vcc_lo, v11, v4
	v_cndmask_b32_e64 v19, 0, 1, vcc_lo
.LBB751_53:
	s_or_b32 exec_lo, exec_lo, s2
	v_dual_mov_b32 v3, 0 :: v_dual_mov_b32 v18, 0
	v_mov_b32_e32 v4, 0
	v_or_b32_e32 v25, 0x600, v0
	v_mov_b32_e32 v22, 0
	s_delay_alu instid0(VALU_DEP_3) | instskip(NEXT) | instid1(VALU_DEP_3)
	v_dual_mov_b32 v12, v4 :: v_dual_mov_b32 v11, v3
	v_cmp_gt_u32_e64 s2, s29, v25
	s_delay_alu instid0(VALU_DEP_1)
	s_and_saveexec_b32 s30, s2
	s_cbranch_execz .LBB751_55
; %bb.54:
	v_lshlrev_b32_e32 v11, 9, v25
	s_clause 0x1
	global_load_u8 v22, v11, s[8:9]
	global_load_u8 v26, v11, s[22:23]
	v_add_co_u32 v11, s31, s26, v25
	s_delay_alu instid0(VALU_DEP_1)
	v_add_co_ci_u32_e64 v12, null, s28, 0, s31
	s_waitcnt vmcnt(0)
	v_cmp_ne_u16_e32 vcc_lo, v22, v26
	v_cndmask_b32_e64 v22, 0, 1, vcc_lo
.LBB751_55:
	s_or_b32 exec_lo, exec_lo, s30
	v_or_b32_e32 v25, 0x700, v0
	s_delay_alu instid0(VALU_DEP_1)
	v_cmp_gt_u32_e32 vcc_lo, s29, v25
	s_and_saveexec_b32 s30, vcc_lo
	s_cbranch_execnz .LBB751_232
; %bb.56:
	s_or_b32 exec_lo, exec_lo, s30
	s_and_saveexec_b32 s9, s7
	s_cbranch_execnz .LBB751_233
.LBB751_57:
	s_or_b32 exec_lo, exec_lo, s9
	s_and_saveexec_b32 s8, s6
	s_cbranch_execnz .LBB751_234
.LBB751_58:
	s_or_b32 exec_lo, exec_lo, s8
	s_and_saveexec_b32 s7, s5
	s_cbranch_execnz .LBB751_235
.LBB751_59:
	s_or_b32 exec_lo, exec_lo, s7
	s_and_saveexec_b32 s6, s4
	s_cbranch_execnz .LBB751_236
.LBB751_60:
	s_or_b32 exec_lo, exec_lo, s6
	s_and_saveexec_b32 s5, s3
	s_cbranch_execnz .LBB751_237
.LBB751_61:
	s_or_b32 exec_lo, exec_lo, s5
	s_and_saveexec_b32 s4, s2
	s_cbranch_execnz .LBB751_238
.LBB751_62:
	s_or_b32 exec_lo, exec_lo, s4
	s_and_saveexec_b32 s3, vcc_lo
.LBB751_63:
	v_and_b32_e32 v5, 1, v18
	v_cmp_lt_i64_e32 vcc_lo, v[3:4], v[1:2]
	s_delay_alu instid0(VALU_DEP_2) | instskip(NEXT) | instid1(VALU_DEP_1)
	v_cmp_eq_u32_e64 s2, 1, v5
	s_and_b32 vcc_lo, s2, vcc_lo
	v_cndmask_b32_e64 v6, v17, 1, s2
	v_dual_cndmask_b32 v2, v2, v4 :: v_dual_and_b32 v5, 1, v17
	v_cndmask_b32_e32 v1, v1, v3, vcc_lo
	s_delay_alu instid0(VALU_DEP_2) | instskip(NEXT) | instid1(VALU_DEP_3)
	v_cmp_eq_u32_e32 vcc_lo, 1, v5
	v_cndmask_b32_e32 v2, v4, v2, vcc_lo
	v_cndmask_b32_e32 v17, v18, v6, vcc_lo
	s_delay_alu instid0(VALU_DEP_4)
	v_cndmask_b32_e32 v1, v3, v1, vcc_lo
.LBB751_64:
	s_or_b32 exec_lo, exec_lo, s3
	v_mbcnt_lo_u32_b32 v5, -1, 0
	v_and_b32_e32 v7, 0xe0, v0
	s_min_u32 s3, s29, 0x100
	v_and_b32_e32 v6, 0xffff, v17
	s_delay_alu instid0(VALU_DEP_3) | instskip(NEXT) | instid1(VALU_DEP_3)
	v_cmp_ne_u32_e32 vcc_lo, 31, v5
	v_sub_nc_u32_e64 v8, s3, v7 clamp
	v_add_nc_u32_e32 v7, 1, v5
	v_add_co_ci_u32_e32 v3, vcc_lo, 0, v5, vcc_lo
	s_delay_alu instid0(VALU_DEP_2) | instskip(NEXT) | instid1(VALU_DEP_2)
	v_cmp_lt_u32_e32 vcc_lo, v7, v8
	v_dual_mov_b32 v7, v6 :: v_dual_lshlrev_b32 v4, 2, v3
	ds_bpermute_b32 v9, v4, v6
	ds_bpermute_b32 v3, v4, v1
	;; [unrolled: 1-line block ×3, first 2 shown]
	s_and_saveexec_b32 s2, vcc_lo
	s_delay_alu instid0(SALU_CYCLE_1)
	s_xor_b32 s4, exec_lo, s2
	s_cbranch_execz .LBB751_66
; %bb.65:
	s_waitcnt lgkmcnt(2)
	v_and_b32_e32 v7, 1, v9
	s_waitcnt lgkmcnt(0)
	v_cmp_lt_i64_e32 vcc_lo, v[3:4], v[1:2]
	s_delay_alu instid0(VALU_DEP_2) | instskip(SKIP_1) | instid1(VALU_DEP_2)
	v_cmp_eq_u32_e64 s2, 1, v7
	v_and_b32_e32 v7, 1, v17
	v_cndmask_b32_e64 v6, v6, 1, s2
	s_and_b32 vcc_lo, s2, vcc_lo
	s_delay_alu instid0(VALU_DEP_2) | instskip(SKIP_1) | instid1(VALU_DEP_2)
	v_cmp_eq_u32_e64 s2, 1, v7
	v_dual_cndmask_b32 v2, v2, v4 :: v_dual_cndmask_b32 v1, v1, v3
	v_cndmask_b32_e64 v7, v9, v6, s2
	s_delay_alu instid0(VALU_DEP_2) | instskip(NEXT) | instid1(VALU_DEP_3)
	v_cndmask_b32_e64 v2, v4, v2, s2
	v_cndmask_b32_e64 v1, v3, v1, s2
	s_delay_alu instid0(VALU_DEP_3)
	v_and_b32_e32 v6, 0xff, v7
.LBB751_66:
	s_or_b32 exec_lo, exec_lo, s4
	v_cmp_gt_u32_e32 vcc_lo, 30, v5
	v_add_nc_u32_e32 v10, 2, v5
	s_mov_b32 s4, exec_lo
	s_waitcnt lgkmcnt(1)
	v_cndmask_b32_e64 v3, 0, 1, vcc_lo
	s_delay_alu instid0(VALU_DEP_1) | instskip(SKIP_1) | instid1(VALU_DEP_1)
	v_lshlrev_b32_e32 v3, 1, v3
	s_waitcnt lgkmcnt(0)
	v_add_lshl_u32 v4, v3, v5, 2
	ds_bpermute_b32 v9, v4, v6
	ds_bpermute_b32 v3, v4, v1
	ds_bpermute_b32 v4, v4, v2
	v_cmpx_lt_u32_e64 v10, v8
	s_cbranch_execz .LBB751_68
; %bb.67:
	s_waitcnt lgkmcnt(2)
	v_and_b32_e32 v6, 1, v9
	s_waitcnt lgkmcnt(0)
	v_cmp_lt_i64_e32 vcc_lo, v[3:4], v[1:2]
	s_delay_alu instid0(VALU_DEP_2) | instskip(SKIP_1) | instid1(VALU_DEP_2)
	v_cmp_eq_u32_e64 s2, 1, v6
	v_and_b32_e32 v6, 1, v7
	v_cndmask_b32_e64 v7, v7, 1, s2
	s_and_b32 vcc_lo, s2, vcc_lo
	s_delay_alu instid0(VALU_DEP_2) | instskip(SKIP_1) | instid1(VALU_DEP_2)
	v_cmp_eq_u32_e64 s2, 1, v6
	v_dual_cndmask_b32 v1, v1, v3 :: v_dual_cndmask_b32 v2, v2, v4
	v_cndmask_b32_e64 v7, v9, v7, s2
	s_delay_alu instid0(VALU_DEP_2) | instskip(NEXT) | instid1(VALU_DEP_3)
	v_cndmask_b32_e64 v1, v3, v1, s2
	v_cndmask_b32_e64 v2, v4, v2, s2
	s_delay_alu instid0(VALU_DEP_3)
	v_and_b32_e32 v6, 0xff, v7
.LBB751_68:
	s_or_b32 exec_lo, exec_lo, s4
	v_cmp_gt_u32_e32 vcc_lo, 28, v5
	v_add_nc_u32_e32 v10, 4, v5
	s_mov_b32 s4, exec_lo
	s_waitcnt lgkmcnt(1)
	v_cndmask_b32_e64 v3, 0, 1, vcc_lo
	s_delay_alu instid0(VALU_DEP_1) | instskip(SKIP_1) | instid1(VALU_DEP_1)
	v_lshlrev_b32_e32 v3, 2, v3
	s_waitcnt lgkmcnt(0)
	v_add_lshl_u32 v4, v3, v5, 2
	ds_bpermute_b32 v9, v4, v6
	ds_bpermute_b32 v3, v4, v1
	ds_bpermute_b32 v4, v4, v2
	v_cmpx_lt_u32_e64 v10, v8
	;; [unrolled: 35-line block ×4, first 2 shown]
	s_cbranch_execz .LBB751_74
; %bb.73:
	s_waitcnt lgkmcnt(2)
	v_and_b32_e32 v6, 1, v9
	s_waitcnt lgkmcnt(0)
	v_cmp_lt_i64_e32 vcc_lo, v[3:4], v[1:2]
	s_delay_alu instid0(VALU_DEP_2) | instskip(SKIP_1) | instid1(VALU_DEP_2)
	v_cmp_eq_u32_e64 s2, 1, v6
	v_and_b32_e32 v6, 1, v7
	v_cndmask_b32_e64 v7, v7, 1, s2
	s_and_b32 vcc_lo, s2, vcc_lo
	s_delay_alu instid0(VALU_DEP_2) | instskip(SKIP_1) | instid1(VALU_DEP_2)
	v_cmp_eq_u32_e64 s2, 1, v6
	v_dual_cndmask_b32 v1, v1, v3 :: v_dual_cndmask_b32 v2, v2, v4
	v_cndmask_b32_e64 v7, v9, v7, s2
	s_delay_alu instid0(VALU_DEP_2) | instskip(NEXT) | instid1(VALU_DEP_3)
	v_cndmask_b32_e64 v1, v3, v1, s2
	v_cndmask_b32_e64 v2, v4, v2, s2
	s_delay_alu instid0(VALU_DEP_3)
	v_and_b32_e32 v6, 0xff, v7
.LBB751_74:
	s_or_b32 exec_lo, exec_lo, s4
	s_delay_alu instid0(SALU_CYCLE_1)
	s_mov_b32 s2, exec_lo
	v_cmpx_eq_u32_e32 0, v5
	s_cbranch_execz .LBB751_76
; %bb.75:
	s_waitcnt lgkmcnt(1)
	v_lshrrev_b32_e32 v3, 1, v0
	s_delay_alu instid0(VALU_DEP_1)
	v_and_b32_e32 v3, 0x70, v3
	ds_store_b8 v3, v7 offset:512
	ds_store_b64 v3, v[1:2] offset:520
.LBB751_76:
	s_or_b32 exec_lo, exec_lo, s2
	s_delay_alu instid0(SALU_CYCLE_1)
	s_mov_b32 s4, exec_lo
	s_waitcnt lgkmcnt(0)
	s_barrier
	buffer_gl0_inv
	v_cmpx_gt_u32_e32 8, v0
	s_cbranch_execz .LBB751_84
; %bb.77:
	v_lshlrev_b32_e32 v1, 4, v5
	v_and_b32_e32 v8, 7, v5
	s_add_i32 s3, s3, 31
	s_mov_b32 s5, exec_lo
	s_lshr_b32 s3, s3, 5
	ds_load_u8 v7, v1 offset:512
	ds_load_b64 v[1:2], v1 offset:520
	v_cmp_ne_u32_e32 vcc_lo, 7, v8
	v_add_nc_u32_e32 v10, 1, v8
	v_add_co_ci_u32_e32 v3, vcc_lo, 0, v5, vcc_lo
	s_delay_alu instid0(VALU_DEP_1)
	v_lshlrev_b32_e32 v4, 2, v3
	s_waitcnt lgkmcnt(1)
	v_and_b32_e32 v6, 0xff, v7
	s_waitcnt lgkmcnt(0)
	ds_bpermute_b32 v3, v4, v1
	ds_bpermute_b32 v9, v4, v6
	;; [unrolled: 1-line block ×3, first 2 shown]
	v_cmpx_gt_u32_e64 s3, v10
	s_cbranch_execz .LBB751_79
; %bb.78:
	s_waitcnt lgkmcnt(1)
	v_and_b32_e32 v6, 1, v9
	s_waitcnt lgkmcnt(0)
	v_cmp_lt_i64_e32 vcc_lo, v[3:4], v[1:2]
	s_delay_alu instid0(VALU_DEP_2) | instskip(SKIP_1) | instid1(VALU_DEP_2)
	v_cmp_eq_u32_e64 s2, 1, v6
	v_and_b32_e32 v6, 1, v7
	v_cndmask_b32_e64 v7, v7, 1, s2
	s_and_b32 vcc_lo, s2, vcc_lo
	s_delay_alu instid0(VALU_DEP_2) | instskip(SKIP_1) | instid1(VALU_DEP_2)
	v_cmp_eq_u32_e64 s2, 1, v6
	v_dual_cndmask_b32 v1, v1, v3 :: v_dual_cndmask_b32 v2, v2, v4
	v_cndmask_b32_e64 v7, v9, v7, s2
	s_delay_alu instid0(VALU_DEP_2) | instskip(NEXT) | instid1(VALU_DEP_3)
	v_cndmask_b32_e64 v1, v3, v1, s2
	v_cndmask_b32_e64 v2, v4, v2, s2
	s_delay_alu instid0(VALU_DEP_3)
	v_and_b32_e32 v6, 0xff, v7
.LBB751_79:
	s_or_b32 exec_lo, exec_lo, s5
	v_cmp_gt_u32_e32 vcc_lo, 6, v8
	v_add_nc_u32_e32 v10, 2, v8
	s_mov_b32 s5, exec_lo
	s_waitcnt lgkmcnt(2)
	v_cndmask_b32_e64 v3, 0, 1, vcc_lo
	s_delay_alu instid0(VALU_DEP_1) | instskip(SKIP_1) | instid1(VALU_DEP_1)
	v_lshlrev_b32_e32 v3, 1, v3
	s_waitcnt lgkmcnt(0)
	v_add_lshl_u32 v4, v3, v5, 2
	ds_bpermute_b32 v9, v4, v6
	ds_bpermute_b32 v3, v4, v1
	;; [unrolled: 1-line block ×3, first 2 shown]
	v_cmpx_gt_u32_e64 s3, v10
	s_cbranch_execz .LBB751_81
; %bb.80:
	s_waitcnt lgkmcnt(2)
	v_and_b32_e32 v6, 1, v9
	s_waitcnt lgkmcnt(0)
	v_cmp_lt_i64_e32 vcc_lo, v[3:4], v[1:2]
	s_delay_alu instid0(VALU_DEP_2) | instskip(SKIP_1) | instid1(VALU_DEP_2)
	v_cmp_eq_u32_e64 s2, 1, v6
	v_and_b32_e32 v6, 1, v7
	v_cndmask_b32_e64 v7, v7, 1, s2
	s_and_b32 vcc_lo, s2, vcc_lo
	s_delay_alu instid0(VALU_DEP_2) | instskip(SKIP_1) | instid1(VALU_DEP_2)
	v_cmp_eq_u32_e64 s2, 1, v6
	v_dual_cndmask_b32 v1, v1, v3 :: v_dual_cndmask_b32 v2, v2, v4
	v_cndmask_b32_e64 v7, v9, v7, s2
	s_delay_alu instid0(VALU_DEP_2) | instskip(NEXT) | instid1(VALU_DEP_3)
	v_cndmask_b32_e64 v1, v3, v1, s2
	v_cndmask_b32_e64 v2, v4, v2, s2
	s_delay_alu instid0(VALU_DEP_3)
	v_and_b32_e32 v6, 0xff, v7
.LBB751_81:
	s_or_b32 exec_lo, exec_lo, s5
	v_cmp_gt_u32_e32 vcc_lo, 4, v8
	v_add_nc_u32_e32 v8, 4, v8
	s_waitcnt lgkmcnt(1)
	v_cndmask_b32_e64 v3, 0, 1, vcc_lo
	s_delay_alu instid0(VALU_DEP_2) | instskip(NEXT) | instid1(VALU_DEP_2)
	v_cmp_gt_u32_e32 vcc_lo, s3, v8
	v_lshlrev_b32_e32 v3, 2, v3
	s_waitcnt lgkmcnt(0)
	s_delay_alu instid0(VALU_DEP_1)
	v_add_lshl_u32 v4, v3, v5, 2
	ds_bpermute_b32 v5, v4, v6
	ds_bpermute_b32 v3, v4, v1
	;; [unrolled: 1-line block ×3, first 2 shown]
	s_and_saveexec_b32 s3, vcc_lo
	s_cbranch_execz .LBB751_83
; %bb.82:
	s_waitcnt lgkmcnt(2)
	v_and_b32_e32 v6, 1, v5
	s_waitcnt lgkmcnt(0)
	v_cmp_lt_i64_e32 vcc_lo, v[3:4], v[1:2]
	s_delay_alu instid0(VALU_DEP_2) | instskip(SKIP_1) | instid1(VALU_DEP_2)
	v_cmp_eq_u32_e64 s2, 1, v6
	v_and_b32_e32 v6, 1, v7
	v_cndmask_b32_e64 v7, v7, 1, s2
	s_and_b32 vcc_lo, s2, vcc_lo
	s_delay_alu instid0(VALU_DEP_2) | instskip(SKIP_1) | instid1(VALU_DEP_2)
	v_cmp_eq_u32_e64 s2, 1, v6
	v_dual_cndmask_b32 v1, v1, v3 :: v_dual_cndmask_b32 v2, v2, v4
	v_cndmask_b32_e64 v5, v5, v7, s2
	s_delay_alu instid0(VALU_DEP_2) | instskip(NEXT) | instid1(VALU_DEP_3)
	v_cndmask_b32_e64 v1, v3, v1, s2
	v_cndmask_b32_e64 v2, v4, v2, s2
	s_delay_alu instid0(VALU_DEP_3)
	v_and_b32_e32 v6, 0xff, v5
.LBB751_83:
	s_or_b32 exec_lo, exec_lo, s3
.LBB751_84:
	s_delay_alu instid0(SALU_CYCLE_1)
	s_or_b32 exec_lo, exec_lo, s4
.LBB751_85:
	s_mov_b32 s26, 0
                                        ; implicit-def: $vgpr3_vgpr4
                                        ; implicit-def: $vgpr5
	s_mov_b32 s2, exec_lo
	v_cmpx_eq_u32_e32 0, v0
	s_xor_b32 s4, exec_lo, s2
	s_cbranch_execz .LBB751_89
; %bb.86:
	s_waitcnt lgkmcnt(0)
	v_dual_mov_b32 v3, s20 :: v_dual_mov_b32 v4, s21
	v_mov_b32_e32 v5, s24
	s_cmp_eq_u64 s[14:15], 0
	s_cbranch_scc1 .LBB751_88
; %bb.87:
	v_and_b32_e32 v3, 1, v6
	v_cmp_gt_i64_e32 vcc_lo, s[20:21], v[1:2]
	s_bitcmp1_b32 s24, 0
	s_cselect_b32 s3, -1, 0
	s_delay_alu instid0(VALU_DEP_2) | instskip(NEXT) | instid1(VALU_DEP_1)
	v_cmp_eq_u32_e64 s2, 1, v3
	s_and_b32 vcc_lo, s2, vcc_lo
	v_cndmask_b32_e64 v3, s24, 1, s2
	v_cndmask_b32_e32 v7, s20, v1, vcc_lo
	v_cndmask_b32_e32 v4, s21, v2, vcc_lo
	s_delay_alu instid0(VALU_DEP_3) | instskip(NEXT) | instid1(VALU_DEP_3)
	v_cndmask_b32_e64 v5, v6, v3, s3
	v_cndmask_b32_e64 v3, v1, v7, s3
	s_delay_alu instid0(VALU_DEP_3)
	v_cndmask_b32_e64 v4, v2, v4, s3
.LBB751_88:
	s_mov_b32 s26, exec_lo
.LBB751_89:
	s_or_b32 exec_lo, exec_lo, s4
	s_delay_alu instid0(SALU_CYCLE_1)
	s_and_b32 vcc_lo, exec_lo, s27
	s_cbranch_vccnz .LBB751_22
.LBB751_90:
	s_branch .LBB751_200
.LBB751_91:
                                        ; implicit-def: $vgpr1_vgpr2
                                        ; implicit-def: $vgpr6
	s_cbranch_execz .LBB751_124
; %bb.92:
	s_waitcnt lgkmcnt(2)
	v_mov_b32_e32 v5, 0
	v_dual_mov_b32 v6, 0 :: v_dual_mov_b32 v11, 0
	s_delay_alu instid0(VALU_DEP_2) | instskip(SKIP_2) | instid1(VALU_DEP_3)
	v_mov_b32_e32 v1, v5
	v_mov_b32_e32 v9, 0
	s_sub_i32 s22, s14, s22
	v_mov_b32_e32 v2, v6
	s_mov_b32 s2, exec_lo
	v_cmpx_gt_u32_e64 s22, v0
	s_cbranch_execz .LBB751_94
; %bb.93:
	v_lshlrev_b32_e32 v1, 9, v0
	s_waitcnt lgkmcnt(1)
	global_load_u8 v3, v1, s[6:7]
	s_waitcnt lgkmcnt(0)
	global_load_u8 v4, v1, s[8:9]
	v_add_co_u32 v1, s3, s5, v0
	s_delay_alu instid0(VALU_DEP_1)
	v_add_co_ci_u32_e64 v2, null, s23, 0, s3
	s_waitcnt vmcnt(0)
	v_cmp_ne_u16_e32 vcc_lo, v3, v4
	v_cndmask_b32_e64 v9, 0, 1, vcc_lo
.LBB751_94:
	s_or_b32 exec_lo, exec_lo, s2
	s_waitcnt lgkmcnt(1)
	v_or_b32_e32 v3, 0x100, v0
	s_delay_alu instid0(VALU_DEP_1) | instskip(NEXT) | instid1(VALU_DEP_1)
	v_cmp_gt_u32_e64 s3, s22, v3
	s_and_saveexec_b32 s2, s3
	s_cbranch_execz .LBB751_96
; %bb.95:
	s_waitcnt lgkmcnt(0)
	v_lshlrev_b32_e32 v4, 9, v3
	v_add_co_u32 v5, s4, s5, v3
	s_delay_alu instid0(VALU_DEP_1)
	v_add_co_ci_u32_e64 v6, null, s23, 0, s4
	s_clause 0x1
	global_load_u8 v7, v4, s[6:7]
	global_load_u8 v4, v4, s[8:9]
	s_waitcnt vmcnt(0)
	v_cmp_ne_u16_e32 vcc_lo, v7, v4
	v_cndmask_b32_e64 v11, 0, 1, vcc_lo
.LBB751_96:
	s_or_b32 exec_lo, exec_lo, s2
	s_waitcnt lgkmcnt(0)
	v_dual_mov_b32 v3, 0 :: v_dual_mov_b32 v10, 0
	v_mov_b32_e32 v4, 0
	v_or_b32_e32 v13, 0x200, v0
	v_mov_b32_e32 v12, 0
	s_delay_alu instid0(VALU_DEP_3) | instskip(NEXT) | instid1(VALU_DEP_3)
	v_dual_mov_b32 v8, v4 :: v_dual_mov_b32 v7, v3
	v_cmp_gt_u32_e64 s2, s22, v13
	s_delay_alu instid0(VALU_DEP_1)
	s_and_saveexec_b32 s4, s2
	s_cbranch_execz .LBB751_98
; %bb.97:
	v_lshlrev_b32_e32 v7, 9, v13
	s_clause 0x1
	global_load_u8 v12, v7, s[6:7]
	global_load_u8 v14, v7, s[8:9]
	v_add_co_u32 v7, s27, s5, v13
	s_delay_alu instid0(VALU_DEP_1)
	v_add_co_ci_u32_e64 v8, null, s23, 0, s27
	s_waitcnt vmcnt(0)
	v_cmp_ne_u16_e32 vcc_lo, v12, v14
	v_cndmask_b32_e64 v12, 0, 1, vcc_lo
.LBB751_98:
	s_or_b32 exec_lo, exec_lo, s4
	v_or_b32_e32 v13, 0x300, v0
	s_delay_alu instid0(VALU_DEP_1)
	v_cmp_gt_u32_e32 vcc_lo, s22, v13
	s_and_saveexec_b32 s27, vcc_lo
	s_cbranch_execnz .LBB751_239
; %bb.99:
	s_or_b32 exec_lo, exec_lo, s27
	s_and_saveexec_b32 s5, s3
	s_cbranch_execnz .LBB751_240
.LBB751_100:
	s_or_b32 exec_lo, exec_lo, s5
	s_and_saveexec_b32 s4, s2
	s_cbranch_execnz .LBB751_241
.LBB751_101:
	s_or_b32 exec_lo, exec_lo, s4
	s_and_saveexec_b32 s3, vcc_lo
.LBB751_102:
	v_and_b32_e32 v5, 1, v10
	v_cmp_lt_i64_e32 vcc_lo, v[3:4], v[1:2]
	s_delay_alu instid0(VALU_DEP_2) | instskip(NEXT) | instid1(VALU_DEP_1)
	v_cmp_eq_u32_e64 s2, 1, v5
	s_and_b32 vcc_lo, s2, vcc_lo
	v_cndmask_b32_e64 v6, v9, 1, s2
	v_dual_cndmask_b32 v2, v2, v4 :: v_dual_and_b32 v5, 1, v9
	v_cndmask_b32_e32 v1, v1, v3, vcc_lo
	s_delay_alu instid0(VALU_DEP_2) | instskip(NEXT) | instid1(VALU_DEP_3)
	v_cmp_eq_u32_e32 vcc_lo, 1, v5
	v_cndmask_b32_e32 v2, v4, v2, vcc_lo
	v_cndmask_b32_e32 v9, v10, v6, vcc_lo
	s_delay_alu instid0(VALU_DEP_4)
	v_cndmask_b32_e32 v1, v3, v1, vcc_lo
.LBB751_103:
	s_or_b32 exec_lo, exec_lo, s3
	v_mbcnt_lo_u32_b32 v5, -1, 0
	v_and_b32_e32 v7, 0xe0, v0
	s_min_u32 s3, s22, 0x100
	v_and_b32_e32 v6, 0xffff, v9
	s_delay_alu instid0(VALU_DEP_3) | instskip(NEXT) | instid1(VALU_DEP_3)
	v_cmp_ne_u32_e32 vcc_lo, 31, v5
	v_sub_nc_u32_e64 v8, s3, v7 clamp
	v_add_nc_u32_e32 v7, 1, v5
	v_add_co_ci_u32_e32 v3, vcc_lo, 0, v5, vcc_lo
	s_delay_alu instid0(VALU_DEP_2) | instskip(NEXT) | instid1(VALU_DEP_2)
	v_cmp_lt_u32_e32 vcc_lo, v7, v8
	v_dual_mov_b32 v7, v6 :: v_dual_lshlrev_b32 v4, 2, v3
	ds_bpermute_b32 v10, v4, v6
	ds_bpermute_b32 v3, v4, v1
	;; [unrolled: 1-line block ×3, first 2 shown]
	s_and_saveexec_b32 s2, vcc_lo
	s_delay_alu instid0(SALU_CYCLE_1)
	s_xor_b32 s4, exec_lo, s2
	s_cbranch_execz .LBB751_105
; %bb.104:
	s_waitcnt lgkmcnt(2)
	v_and_b32_e32 v7, 1, v10
	s_waitcnt lgkmcnt(0)
	v_cmp_lt_i64_e32 vcc_lo, v[3:4], v[1:2]
	s_delay_alu instid0(VALU_DEP_2) | instskip(SKIP_1) | instid1(VALU_DEP_2)
	v_cmp_eq_u32_e64 s2, 1, v7
	v_and_b32_e32 v7, 1, v9
	v_cndmask_b32_e64 v6, v6, 1, s2
	s_and_b32 vcc_lo, s2, vcc_lo
	s_delay_alu instid0(VALU_DEP_2) | instskip(SKIP_1) | instid1(VALU_DEP_2)
	v_cmp_eq_u32_e64 s2, 1, v7
	v_dual_cndmask_b32 v2, v2, v4 :: v_dual_cndmask_b32 v1, v1, v3
	v_cndmask_b32_e64 v7, v10, v6, s2
	s_delay_alu instid0(VALU_DEP_2) | instskip(NEXT) | instid1(VALU_DEP_3)
	v_cndmask_b32_e64 v2, v4, v2, s2
	v_cndmask_b32_e64 v1, v3, v1, s2
	s_delay_alu instid0(VALU_DEP_3)
	v_and_b32_e32 v6, 0xff, v7
.LBB751_105:
	s_or_b32 exec_lo, exec_lo, s4
	v_cmp_gt_u32_e32 vcc_lo, 30, v5
	s_waitcnt lgkmcnt(2)
	v_add_nc_u32_e32 v10, 2, v5
	s_mov_b32 s4, exec_lo
	s_waitcnt lgkmcnt(1)
	v_cndmask_b32_e64 v3, 0, 1, vcc_lo
	s_delay_alu instid0(VALU_DEP_1) | instskip(SKIP_1) | instid1(VALU_DEP_1)
	v_lshlrev_b32_e32 v3, 1, v3
	s_waitcnt lgkmcnt(0)
	v_add_lshl_u32 v4, v3, v5, 2
	ds_bpermute_b32 v9, v4, v6
	ds_bpermute_b32 v3, v4, v1
	ds_bpermute_b32 v4, v4, v2
	v_cmpx_lt_u32_e64 v10, v8
	s_cbranch_execz .LBB751_107
; %bb.106:
	s_waitcnt lgkmcnt(2)
	v_and_b32_e32 v6, 1, v9
	s_waitcnt lgkmcnt(0)
	v_cmp_lt_i64_e32 vcc_lo, v[3:4], v[1:2]
	s_delay_alu instid0(VALU_DEP_2) | instskip(SKIP_1) | instid1(VALU_DEP_2)
	v_cmp_eq_u32_e64 s2, 1, v6
	v_and_b32_e32 v6, 1, v7
	v_cndmask_b32_e64 v7, v7, 1, s2
	s_and_b32 vcc_lo, s2, vcc_lo
	s_delay_alu instid0(VALU_DEP_2) | instskip(SKIP_1) | instid1(VALU_DEP_2)
	v_cmp_eq_u32_e64 s2, 1, v6
	v_dual_cndmask_b32 v1, v1, v3 :: v_dual_cndmask_b32 v2, v2, v4
	v_cndmask_b32_e64 v7, v9, v7, s2
	s_delay_alu instid0(VALU_DEP_2) | instskip(NEXT) | instid1(VALU_DEP_3)
	v_cndmask_b32_e64 v1, v3, v1, s2
	v_cndmask_b32_e64 v2, v4, v2, s2
	s_delay_alu instid0(VALU_DEP_3)
	v_and_b32_e32 v6, 0xff, v7
.LBB751_107:
	s_or_b32 exec_lo, exec_lo, s4
	v_cmp_gt_u32_e32 vcc_lo, 28, v5
	v_add_nc_u32_e32 v10, 4, v5
	s_mov_b32 s4, exec_lo
	s_waitcnt lgkmcnt(1)
	v_cndmask_b32_e64 v3, 0, 1, vcc_lo
	s_delay_alu instid0(VALU_DEP_1) | instskip(SKIP_1) | instid1(VALU_DEP_1)
	v_lshlrev_b32_e32 v3, 2, v3
	s_waitcnt lgkmcnt(0)
	v_add_lshl_u32 v4, v3, v5, 2
	ds_bpermute_b32 v9, v4, v6
	ds_bpermute_b32 v3, v4, v1
	ds_bpermute_b32 v4, v4, v2
	v_cmpx_lt_u32_e64 v10, v8
	s_cbranch_execz .LBB751_109
; %bb.108:
	s_waitcnt lgkmcnt(2)
	v_and_b32_e32 v6, 1, v9
	s_waitcnt lgkmcnt(0)
	v_cmp_lt_i64_e32 vcc_lo, v[3:4], v[1:2]
	s_delay_alu instid0(VALU_DEP_2) | instskip(SKIP_1) | instid1(VALU_DEP_2)
	v_cmp_eq_u32_e64 s2, 1, v6
	v_and_b32_e32 v6, 1, v7
	v_cndmask_b32_e64 v7, v7, 1, s2
	s_and_b32 vcc_lo, s2, vcc_lo
	s_delay_alu instid0(VALU_DEP_2) | instskip(SKIP_1) | instid1(VALU_DEP_2)
	v_cmp_eq_u32_e64 s2, 1, v6
	v_dual_cndmask_b32 v1, v1, v3 :: v_dual_cndmask_b32 v2, v2, v4
	v_cndmask_b32_e64 v7, v9, v7, s2
	s_delay_alu instid0(VALU_DEP_2) | instskip(NEXT) | instid1(VALU_DEP_3)
	v_cndmask_b32_e64 v1, v3, v1, s2
	v_cndmask_b32_e64 v2, v4, v2, s2
	s_delay_alu instid0(VALU_DEP_3)
	v_and_b32_e32 v6, 0xff, v7
.LBB751_109:
	s_or_b32 exec_lo, exec_lo, s4
	v_cmp_gt_u32_e32 vcc_lo, 24, v5
	;; [unrolled: 35-line block ×3, first 2 shown]
	v_add_nc_u32_e32 v10, 16, v5
	s_mov_b32 s4, exec_lo
	s_waitcnt lgkmcnt(1)
	v_cndmask_b32_e64 v3, 0, 1, vcc_lo
	s_delay_alu instid0(VALU_DEP_1) | instskip(SKIP_1) | instid1(VALU_DEP_1)
	v_lshlrev_b32_e32 v3, 4, v3
	s_waitcnt lgkmcnt(0)
	v_add_lshl_u32 v4, v3, v5, 2
	ds_bpermute_b32 v9, v4, v6
	ds_bpermute_b32 v3, v4, v1
	;; [unrolled: 1-line block ×3, first 2 shown]
	v_cmpx_lt_u32_e64 v10, v8
	s_cbranch_execz .LBB751_113
; %bb.112:
	s_waitcnt lgkmcnt(2)
	v_and_b32_e32 v6, 1, v9
	s_waitcnt lgkmcnt(0)
	v_cmp_lt_i64_e32 vcc_lo, v[3:4], v[1:2]
	s_delay_alu instid0(VALU_DEP_2) | instskip(SKIP_1) | instid1(VALU_DEP_2)
	v_cmp_eq_u32_e64 s2, 1, v6
	v_and_b32_e32 v6, 1, v7
	v_cndmask_b32_e64 v7, v7, 1, s2
	s_and_b32 vcc_lo, s2, vcc_lo
	s_delay_alu instid0(VALU_DEP_2) | instskip(SKIP_1) | instid1(VALU_DEP_2)
	v_cmp_eq_u32_e64 s2, 1, v6
	v_dual_cndmask_b32 v1, v1, v3 :: v_dual_cndmask_b32 v2, v2, v4
	v_cndmask_b32_e64 v7, v9, v7, s2
	s_delay_alu instid0(VALU_DEP_2) | instskip(NEXT) | instid1(VALU_DEP_3)
	v_cndmask_b32_e64 v1, v3, v1, s2
	v_cndmask_b32_e64 v2, v4, v2, s2
	s_delay_alu instid0(VALU_DEP_3)
	v_and_b32_e32 v6, 0xff, v7
.LBB751_113:
	s_or_b32 exec_lo, exec_lo, s4
	s_delay_alu instid0(SALU_CYCLE_1)
	s_mov_b32 s2, exec_lo
	v_cmpx_eq_u32_e32 0, v5
	s_cbranch_execz .LBB751_115
; %bb.114:
	s_waitcnt lgkmcnt(1)
	v_lshrrev_b32_e32 v3, 1, v0
	s_delay_alu instid0(VALU_DEP_1)
	v_and_b32_e32 v3, 0x70, v3
	ds_store_b8 v3, v7 offset:512
	ds_store_b64 v3, v[1:2] offset:520
.LBB751_115:
	s_or_b32 exec_lo, exec_lo, s2
	s_delay_alu instid0(SALU_CYCLE_1)
	s_mov_b32 s4, exec_lo
	s_waitcnt lgkmcnt(0)
	s_barrier
	buffer_gl0_inv
	v_cmpx_gt_u32_e32 8, v0
	s_cbranch_execz .LBB751_123
; %bb.116:
	v_lshlrev_b32_e32 v1, 4, v5
	v_and_b32_e32 v8, 7, v5
	s_add_i32 s3, s3, 31
	s_mov_b32 s5, exec_lo
	s_lshr_b32 s3, s3, 5
	ds_load_u8 v7, v1 offset:512
	ds_load_b64 v[1:2], v1 offset:520
	v_cmp_ne_u32_e32 vcc_lo, 7, v8
	v_add_nc_u32_e32 v10, 1, v8
	v_add_co_ci_u32_e32 v3, vcc_lo, 0, v5, vcc_lo
	s_delay_alu instid0(VALU_DEP_1)
	v_lshlrev_b32_e32 v4, 2, v3
	s_waitcnt lgkmcnt(1)
	v_and_b32_e32 v6, 0xff, v7
	s_waitcnt lgkmcnt(0)
	ds_bpermute_b32 v3, v4, v1
	ds_bpermute_b32 v9, v4, v6
	;; [unrolled: 1-line block ×3, first 2 shown]
	v_cmpx_gt_u32_e64 s3, v10
	s_cbranch_execz .LBB751_118
; %bb.117:
	s_waitcnt lgkmcnt(1)
	v_and_b32_e32 v6, 1, v9
	s_waitcnt lgkmcnt(0)
	v_cmp_lt_i64_e32 vcc_lo, v[3:4], v[1:2]
	s_delay_alu instid0(VALU_DEP_2) | instskip(SKIP_1) | instid1(VALU_DEP_2)
	v_cmp_eq_u32_e64 s2, 1, v6
	v_and_b32_e32 v6, 1, v7
	v_cndmask_b32_e64 v7, v7, 1, s2
	s_and_b32 vcc_lo, s2, vcc_lo
	s_delay_alu instid0(VALU_DEP_2) | instskip(SKIP_1) | instid1(VALU_DEP_2)
	v_cmp_eq_u32_e64 s2, 1, v6
	v_dual_cndmask_b32 v1, v1, v3 :: v_dual_cndmask_b32 v2, v2, v4
	v_cndmask_b32_e64 v7, v9, v7, s2
	s_delay_alu instid0(VALU_DEP_2) | instskip(NEXT) | instid1(VALU_DEP_3)
	v_cndmask_b32_e64 v1, v3, v1, s2
	v_cndmask_b32_e64 v2, v4, v2, s2
	s_delay_alu instid0(VALU_DEP_3)
	v_and_b32_e32 v6, 0xff, v7
.LBB751_118:
	s_or_b32 exec_lo, exec_lo, s5
	v_cmp_gt_u32_e32 vcc_lo, 6, v8
	v_add_nc_u32_e32 v10, 2, v8
	s_mov_b32 s5, exec_lo
	s_waitcnt lgkmcnt(2)
	v_cndmask_b32_e64 v3, 0, 1, vcc_lo
	s_delay_alu instid0(VALU_DEP_1) | instskip(SKIP_1) | instid1(VALU_DEP_1)
	v_lshlrev_b32_e32 v3, 1, v3
	s_waitcnt lgkmcnt(0)
	v_add_lshl_u32 v4, v3, v5, 2
	ds_bpermute_b32 v9, v4, v6
	ds_bpermute_b32 v3, v4, v1
	;; [unrolled: 1-line block ×3, first 2 shown]
	v_cmpx_gt_u32_e64 s3, v10
	s_cbranch_execz .LBB751_120
; %bb.119:
	s_waitcnt lgkmcnt(2)
	v_and_b32_e32 v6, 1, v9
	s_waitcnt lgkmcnt(0)
	v_cmp_lt_i64_e32 vcc_lo, v[3:4], v[1:2]
	s_delay_alu instid0(VALU_DEP_2) | instskip(SKIP_1) | instid1(VALU_DEP_2)
	v_cmp_eq_u32_e64 s2, 1, v6
	v_and_b32_e32 v6, 1, v7
	v_cndmask_b32_e64 v7, v7, 1, s2
	s_and_b32 vcc_lo, s2, vcc_lo
	s_delay_alu instid0(VALU_DEP_2) | instskip(SKIP_1) | instid1(VALU_DEP_2)
	v_cmp_eq_u32_e64 s2, 1, v6
	v_dual_cndmask_b32 v1, v1, v3 :: v_dual_cndmask_b32 v2, v2, v4
	v_cndmask_b32_e64 v7, v9, v7, s2
	s_delay_alu instid0(VALU_DEP_2) | instskip(NEXT) | instid1(VALU_DEP_3)
	v_cndmask_b32_e64 v1, v3, v1, s2
	v_cndmask_b32_e64 v2, v4, v2, s2
	s_delay_alu instid0(VALU_DEP_3)
	v_and_b32_e32 v6, 0xff, v7
.LBB751_120:
	s_or_b32 exec_lo, exec_lo, s5
	v_cmp_gt_u32_e32 vcc_lo, 4, v8
	v_add_nc_u32_e32 v8, 4, v8
	s_waitcnt lgkmcnt(1)
	v_cndmask_b32_e64 v3, 0, 1, vcc_lo
	s_delay_alu instid0(VALU_DEP_2) | instskip(NEXT) | instid1(VALU_DEP_2)
	v_cmp_gt_u32_e32 vcc_lo, s3, v8
	v_lshlrev_b32_e32 v3, 2, v3
	s_waitcnt lgkmcnt(0)
	s_delay_alu instid0(VALU_DEP_1)
	v_add_lshl_u32 v4, v3, v5, 2
	ds_bpermute_b32 v5, v4, v6
	ds_bpermute_b32 v3, v4, v1
	;; [unrolled: 1-line block ×3, first 2 shown]
	s_and_saveexec_b32 s3, vcc_lo
	s_cbranch_execz .LBB751_122
; %bb.121:
	s_waitcnt lgkmcnt(2)
	v_and_b32_e32 v6, 1, v5
	s_waitcnt lgkmcnt(0)
	v_cmp_lt_i64_e32 vcc_lo, v[3:4], v[1:2]
	s_delay_alu instid0(VALU_DEP_2) | instskip(SKIP_1) | instid1(VALU_DEP_2)
	v_cmp_eq_u32_e64 s2, 1, v6
	v_and_b32_e32 v6, 1, v7
	v_cndmask_b32_e64 v7, v7, 1, s2
	s_and_b32 vcc_lo, s2, vcc_lo
	s_delay_alu instid0(VALU_DEP_2) | instskip(SKIP_1) | instid1(VALU_DEP_2)
	v_cmp_eq_u32_e64 s2, 1, v6
	v_dual_cndmask_b32 v1, v1, v3 :: v_dual_cndmask_b32 v2, v2, v4
	v_cndmask_b32_e64 v5, v5, v7, s2
	s_delay_alu instid0(VALU_DEP_2) | instskip(NEXT) | instid1(VALU_DEP_3)
	v_cndmask_b32_e64 v1, v3, v1, s2
	v_cndmask_b32_e64 v2, v4, v2, s2
	s_delay_alu instid0(VALU_DEP_3)
	v_and_b32_e32 v6, 0xff, v5
.LBB751_122:
	s_or_b32 exec_lo, exec_lo, s3
.LBB751_123:
	s_delay_alu instid0(SALU_CYCLE_1)
	s_or_b32 exec_lo, exec_lo, s4
.LBB751_124:
                                        ; implicit-def: $vgpr3_vgpr4
                                        ; implicit-def: $vgpr5
	s_delay_alu instid0(SALU_CYCLE_1)
	s_mov_b32 s2, exec_lo
	v_cmpx_eq_u32_e32 0, v0
	s_xor_b32 s4, exec_lo, s2
	s_cbranch_execz .LBB751_128
; %bb.125:
	s_waitcnt lgkmcnt(0)
	v_dual_mov_b32 v3, s20 :: v_dual_mov_b32 v4, s21
	v_mov_b32_e32 v5, s24
	s_cmp_eq_u64 s[14:15], 0
	s_cbranch_scc1 .LBB751_127
; %bb.126:
	v_and_b32_e32 v3, 1, v6
	v_cmp_gt_i64_e32 vcc_lo, s[20:21], v[1:2]
	s_bitcmp1_b32 s24, 0
	s_cselect_b32 s3, -1, 0
	s_delay_alu instid0(VALU_DEP_2) | instskip(NEXT) | instid1(VALU_DEP_1)
	v_cmp_eq_u32_e64 s2, 1, v3
	s_and_b32 vcc_lo, s2, vcc_lo
	v_cndmask_b32_e64 v3, s24, 1, s2
	v_cndmask_b32_e32 v7, s20, v1, vcc_lo
	v_cndmask_b32_e32 v4, s21, v2, vcc_lo
	s_delay_alu instid0(VALU_DEP_3) | instskip(NEXT) | instid1(VALU_DEP_3)
	v_cndmask_b32_e64 v5, v6, v3, s3
	v_cndmask_b32_e64 v3, v1, v7, s3
	s_delay_alu instid0(VALU_DEP_3)
	v_cndmask_b32_e64 v4, v2, v4, s3
.LBB751_127:
	s_or_b32 s26, s26, exec_lo
.LBB751_128:
	s_or_b32 exec_lo, exec_lo, s4
	s_branch .LBB751_200
.LBB751_129:
	s_cmp_gt_i32 s25, 1
	s_cbranch_scc0 .LBB751_147
; %bb.130:
	s_cmp_eq_u32 s25, 2
	s_cbranch_scc0 .LBB751_148
; %bb.131:
	s_mov_b32 s11, 0
	s_lshl_b32 s8, s10, 9
	s_mov_b32 s9, s11
	s_lshr_b64 s[28:29], s[14:15], 9
	s_lshl_b64 s[2:3], s[8:9], 9
	s_delay_alu instid0(SALU_CYCLE_1)
	s_add_u32 s4, s16, s2
	s_addc_u32 s5, s17, s3
	s_add_u32 s6, s18, s2
	s_addc_u32 s7, s19, s3
	;; [unrolled: 2-line block ×3, first 2 shown]
	s_cmp_lg_u64 s[28:29], s[10:11]
	s_cbranch_scc0 .LBB751_149
; %bb.132:
	s_waitcnt lgkmcnt(2)
	v_lshlrev_b32_e32 v5, 9, v0
	s_mov_b32 s23, exec_lo
	s_delay_alu instid0(VALU_DEP_1) | instskip(NEXT) | instid1(VALU_DEP_1)
	v_add_co_u32 v1, s2, s4, v5
	v_add_co_ci_u32_e64 v2, null, s5, 0, s2
	s_waitcnt lgkmcnt(1)
	v_add_co_u32 v3, s2, s6, v5
	s_waitcnt lgkmcnt(0)
	v_add_co_ci_u32_e64 v4, null, s7, 0, s2
	v_add_co_u32 v1, vcc_lo, 0x20000, v1
	v_add_co_ci_u32_e32 v2, vcc_lo, 0, v2, vcc_lo
	v_add_co_u32 v3, vcc_lo, 0x20000, v3
	s_delay_alu instid0(VALU_DEP_4)
	v_add_co_ci_u32_e32 v4, vcc_lo, 0, v4, vcc_lo
	global_load_u8 v1, v[1:2], off
	global_load_u8 v2, v[3:4], off
	s_clause 0x1
	global_load_u8 v3, v5, s[4:5]
	global_load_u8 v4, v5, s[6:7]
	v_add_co_u32 v7, s2, s9, v0
	s_delay_alu instid0(VALU_DEP_1) | instskip(NEXT) | instid1(VALU_DEP_2)
	v_add_co_ci_u32_e64 v5, null, s22, 0, s2
	v_add_co_u32 v8, vcc_lo, 0x100, v7
	s_delay_alu instid0(VALU_DEP_2)
	v_add_co_ci_u32_e32 v6, vcc_lo, 0, v5, vcc_lo
	s_waitcnt vmcnt(3)
	v_and_b32_e32 v1, 0xff, v1
	s_waitcnt vmcnt(2)
	v_and_b32_e32 v2, 0xff, v2
	s_waitcnt vmcnt(0)
	v_cmp_ne_u16_e64 s2, v3, v4
	s_delay_alu instid0(VALU_DEP_2) | instskip(NEXT) | instid1(VALU_DEP_2)
	v_cmp_ne_u16_e32 vcc_lo, v1, v2
	v_cndmask_b32_e64 v2, v6, v5, s2
	v_cndmask_b32_e64 v1, v8, v7, s2
	s_or_b32 s3, s2, vcc_lo
	s_delay_alu instid0(SALU_CYCLE_1) | instskip(NEXT) | instid1(VALU_DEP_2)
	v_cndmask_b32_e64 v5, 0, 1, s3
	v_mov_b32_dpp v3, v1 quad_perm:[1,0,3,2] row_mask:0xf bank_mask:0xf
	v_mov_b32_dpp v4, v2 quad_perm:[1,0,3,2] row_mask:0xf bank_mask:0xf
	s_delay_alu instid0(VALU_DEP_3) | instskip(NEXT) | instid1(VALU_DEP_1)
	v_mov_b32_dpp v6, v5 quad_perm:[1,0,3,2] row_mask:0xf bank_mask:0xf
	v_and_b32_e32 v7, 1, v6
	s_delay_alu instid0(VALU_DEP_1)
	v_cmpx_eq_u32_e32 1, v7
; %bb.133:
	v_cndmask_b32_e64 v5, v6, 1, s3
	v_cmp_lt_i64_e32 vcc_lo, v[1:2], v[3:4]
	s_delay_alu instid0(VALU_DEP_2)
	v_and_b32_e32 v6, 1, v5
	v_and_b32_e32 v5, 0xff, v5
	s_and_b32 vcc_lo, s3, vcc_lo
	s_and_not1_b32 s3, s3, exec_lo
	v_dual_cndmask_b32 v2, v4, v2 :: v_dual_cndmask_b32 v1, v3, v1
	v_cmp_eq_u32_e64 s2, 1, v6
	s_delay_alu instid0(VALU_DEP_1) | instskip(NEXT) | instid1(SALU_CYCLE_1)
	s_and_b32 s2, s2, exec_lo
	s_or_b32 s3, s3, s2
; %bb.134:
	s_or_b32 exec_lo, exec_lo, s23
	v_mov_b32_dpp v6, v5 quad_perm:[2,3,0,1] row_mask:0xf bank_mask:0xf
	v_mov_b32_dpp v3, v1 quad_perm:[2,3,0,1] row_mask:0xf bank_mask:0xf
	;; [unrolled: 1-line block ×3, first 2 shown]
	s_mov_b32 s23, exec_lo
	s_delay_alu instid0(VALU_DEP_3) | instskip(NEXT) | instid1(VALU_DEP_1)
	v_and_b32_e32 v7, 1, v6
	v_cmpx_eq_u32_e32 1, v7
; %bb.135:
	v_cndmask_b32_e64 v5, v6, 1, s3
	v_cmp_lt_i64_e32 vcc_lo, v[1:2], v[3:4]
	s_delay_alu instid0(VALU_DEP_2)
	v_and_b32_e32 v6, 1, v5
	v_and_b32_e32 v5, 0xff, v5
	s_and_b32 vcc_lo, s3, vcc_lo
	s_and_not1_b32 s3, s3, exec_lo
	v_dual_cndmask_b32 v2, v4, v2 :: v_dual_cndmask_b32 v1, v3, v1
	v_cmp_eq_u32_e64 s2, 1, v6
	s_delay_alu instid0(VALU_DEP_1) | instskip(NEXT) | instid1(SALU_CYCLE_1)
	s_and_b32 s2, s2, exec_lo
	s_or_b32 s3, s3, s2
; %bb.136:
	s_or_b32 exec_lo, exec_lo, s23
	v_mov_b32_dpp v6, v5 row_ror:4 row_mask:0xf bank_mask:0xf
	v_mov_b32_dpp v3, v1 row_ror:4 row_mask:0xf bank_mask:0xf
	;; [unrolled: 1-line block ×3, first 2 shown]
	s_mov_b32 s23, exec_lo
	s_delay_alu instid0(VALU_DEP_3) | instskip(NEXT) | instid1(VALU_DEP_1)
	v_and_b32_e32 v7, 1, v6
	v_cmpx_eq_u32_e32 1, v7
; %bb.137:
	v_cndmask_b32_e64 v5, v6, 1, s3
	v_cmp_lt_i64_e32 vcc_lo, v[1:2], v[3:4]
	s_delay_alu instid0(VALU_DEP_2)
	v_and_b32_e32 v6, 1, v5
	v_and_b32_e32 v5, 0xff, v5
	s_and_b32 vcc_lo, s3, vcc_lo
	s_and_not1_b32 s3, s3, exec_lo
	v_dual_cndmask_b32 v2, v4, v2 :: v_dual_cndmask_b32 v1, v3, v1
	v_cmp_eq_u32_e64 s2, 1, v6
	s_delay_alu instid0(VALU_DEP_1) | instskip(NEXT) | instid1(SALU_CYCLE_1)
	s_and_b32 s2, s2, exec_lo
	s_or_b32 s3, s3, s2
; %bb.138:
	s_or_b32 exec_lo, exec_lo, s23
	v_mov_b32_dpp v6, v5 row_ror:8 row_mask:0xf bank_mask:0xf
	v_mov_b32_dpp v3, v1 row_ror:8 row_mask:0xf bank_mask:0xf
	;; [unrolled: 1-line block ×3, first 2 shown]
	s_mov_b32 s23, exec_lo
	s_delay_alu instid0(VALU_DEP_3) | instskip(NEXT) | instid1(VALU_DEP_1)
	v_and_b32_e32 v7, 1, v6
	v_cmpx_eq_u32_e32 1, v7
; %bb.139:
	v_cndmask_b32_e64 v5, v6, 1, s3
	v_cmp_lt_i64_e32 vcc_lo, v[1:2], v[3:4]
	s_delay_alu instid0(VALU_DEP_2)
	v_and_b32_e32 v6, 1, v5
	v_and_b32_e32 v5, 0xff, v5
	s_and_b32 vcc_lo, s3, vcc_lo
	s_and_not1_b32 s3, s3, exec_lo
	v_dual_cndmask_b32 v2, v4, v2 :: v_dual_cndmask_b32 v1, v3, v1
	v_cmp_eq_u32_e64 s2, 1, v6
	s_delay_alu instid0(VALU_DEP_1) | instskip(NEXT) | instid1(SALU_CYCLE_1)
	s_and_b32 s2, s2, exec_lo
	s_or_b32 s3, s3, s2
; %bb.140:
	s_or_b32 exec_lo, exec_lo, s23
	ds_swizzle_b32 v6, v5 offset:swizzle(BROADCAST,32,15)
	ds_swizzle_b32 v3, v1 offset:swizzle(BROADCAST,32,15)
	;; [unrolled: 1-line block ×3, first 2 shown]
	s_mov_b32 s2, exec_lo
	s_waitcnt lgkmcnt(2)
	v_and_b32_e32 v7, 1, v6
	s_delay_alu instid0(VALU_DEP_1)
	v_cmpx_eq_u32_e32 1, v7
	s_cbranch_execz .LBB751_142
; %bb.141:
	s_waitcnt lgkmcnt(0)
	v_cmp_lt_i64_e32 vcc_lo, v[1:2], v[3:4]
	v_and_b32_e32 v5, 0xff, v6
	s_delay_alu instid0(VALU_DEP_1)
	v_cndmask_b32_e64 v5, v5, 1, s3
	s_and_b32 vcc_lo, s3, vcc_lo
	v_dual_cndmask_b32 v1, v3, v1 :: v_dual_cndmask_b32 v2, v4, v2
.LBB751_142:
	s_or_b32 exec_lo, exec_lo, s2
	s_waitcnt lgkmcnt(1)
	v_mov_b32_e32 v3, 0
	s_mov_b32 s2, exec_lo
	ds_bpermute_b32 v6, v3, v5 offset:124
	ds_bpermute_b32 v1, v3, v1 offset:124
	;; [unrolled: 1-line block ×3, first 2 shown]
	v_mbcnt_lo_u32_b32 v3, -1, 0
	s_delay_alu instid0(VALU_DEP_1)
	v_cmpx_eq_u32_e32 0, v3
	s_cbranch_execz .LBB751_144
; %bb.143:
	s_waitcnt lgkmcnt(3)
	v_lshrrev_b32_e32 v4, 1, v0
	s_delay_alu instid0(VALU_DEP_1)
	v_and_b32_e32 v4, 0x70, v4
	s_waitcnt lgkmcnt(2)
	ds_store_b8 v4, v6 offset:128
	s_waitcnt lgkmcnt(1)
	ds_store_b64 v4, v[1:2] offset:136
.LBB751_144:
	s_or_b32 exec_lo, exec_lo, s2
	s_delay_alu instid0(SALU_CYCLE_1)
	s_mov_b32 s23, exec_lo
	s_waitcnt lgkmcnt(0)
	s_barrier
	buffer_gl0_inv
	v_cmpx_gt_u32_e32 32, v0
	s_cbranch_execz .LBB751_146
; %bb.145:
	v_and_b32_e32 v6, 7, v3
	s_delay_alu instid0(VALU_DEP_1)
	v_lshlrev_b32_e32 v1, 4, v6
	v_cmp_ne_u32_e32 vcc_lo, 7, v6
	ds_load_u8 v7, v1 offset:128
	ds_load_b64 v[1:2], v1 offset:136
	v_add_co_ci_u32_e32 v4, vcc_lo, 0, v3, vcc_lo
	v_cmp_gt_u32_e32 vcc_lo, 6, v6
	s_delay_alu instid0(VALU_DEP_2)
	v_lshlrev_b32_e32 v5, 2, v4
	v_cndmask_b32_e64 v10, 0, 1, vcc_lo
	s_waitcnt lgkmcnt(1)
	v_and_b32_e32 v4, 0xff, v7
	v_and_b32_e32 v11, 1, v7
	ds_bpermute_b32 v8, v5, v4
	s_waitcnt lgkmcnt(1)
	ds_bpermute_b32 v4, v5, v1
	ds_bpermute_b32 v5, v5, v2
	v_cmp_eq_u32_e64 s3, 1, v11
	s_waitcnt lgkmcnt(2)
	v_and_b32_e32 v9, 1, v8
	s_waitcnt lgkmcnt(0)
	v_cmp_lt_i64_e64 s2, v[4:5], v[1:2]
	s_delay_alu instid0(VALU_DEP_2) | instskip(SKIP_2) | instid1(VALU_DEP_4)
	v_cmp_eq_u32_e32 vcc_lo, 1, v9
	v_lshlrev_b32_e32 v9, 1, v10
	v_cndmask_b32_e64 v7, v7, 1, vcc_lo
	s_and_b32 vcc_lo, vcc_lo, s2
	v_dual_cndmask_b32 v1, v1, v4 :: v_dual_cndmask_b32 v2, v2, v5
	s_delay_alu instid0(VALU_DEP_2) | instskip(SKIP_2) | instid1(VALU_DEP_4)
	v_cndmask_b32_e64 v7, v8, v7, s3
	v_add_lshl_u32 v8, v9, v3, 2
	v_cmp_gt_u32_e32 vcc_lo, 4, v6
	v_cndmask_b32_e64 v1, v4, v1, s3
	v_cndmask_b32_e64 v2, v5, v2, s3
	v_and_b32_e32 v9, 0xff, v7
	v_and_b32_e32 v10, 1, v7
	v_cndmask_b32_e64 v6, 0, 1, vcc_lo
	ds_bpermute_b32 v4, v8, v1
	ds_bpermute_b32 v5, v8, v2
	;; [unrolled: 1-line block ×3, first 2 shown]
	v_cmp_eq_u32_e64 s3, 1, v10
	s_waitcnt lgkmcnt(1)
	v_cmp_lt_i64_e64 s2, v[4:5], v[1:2]
	s_waitcnt lgkmcnt(0)
	v_and_b32_e32 v8, 1, v9
	s_delay_alu instid0(VALU_DEP_1) | instskip(SKIP_1) | instid1(VALU_DEP_4)
	v_cmp_eq_u32_e32 vcc_lo, 1, v8
	v_cndmask_b32_e64 v7, v7, 1, vcc_lo
	s_and_b32 vcc_lo, vcc_lo, s2
	v_dual_cndmask_b32 v1, v1, v4 :: v_dual_cndmask_b32 v2, v2, v5
	s_delay_alu instid0(VALU_DEP_2) | instskip(NEXT) | instid1(VALU_DEP_2)
	v_cndmask_b32_e64 v7, v9, v7, s3
	v_cndmask_b32_e64 v1, v4, v1, s3
	v_lshlrev_b32_e32 v6, 2, v6
	s_delay_alu instid0(VALU_DEP_4) | instskip(NEXT) | instid1(VALU_DEP_2)
	v_cndmask_b32_e64 v2, v5, v2, s3
	v_add_lshl_u32 v6, v6, v3, 2
	v_and_b32_e32 v3, 0xff, v7
	ds_bpermute_b32 v4, v6, v2
	ds_bpermute_b32 v5, v6, v3
	;; [unrolled: 1-line block ×3, first 2 shown]
	s_waitcnt lgkmcnt(1)
	v_and_b32_e32 v6, 1, v5
	s_waitcnt lgkmcnt(0)
	v_cmp_lt_i64_e32 vcc_lo, v[3:4], v[1:2]
	s_delay_alu instid0(VALU_DEP_2) | instskip(SKIP_1) | instid1(VALU_DEP_2)
	v_cmp_eq_u32_e64 s2, 1, v6
	v_and_b32_e32 v6, 1, v7
	v_cndmask_b32_e64 v7, v7, 1, s2
	s_and_b32 vcc_lo, s2, vcc_lo
	s_delay_alu instid0(VALU_DEP_2) | instskip(SKIP_1) | instid1(VALU_DEP_2)
	v_cmp_eq_u32_e64 s2, 1, v6
	v_dual_cndmask_b32 v1, v1, v3 :: v_dual_cndmask_b32 v2, v2, v4
	v_cndmask_b32_e64 v5, v5, v7, s2
	s_delay_alu instid0(VALU_DEP_2) | instskip(NEXT) | instid1(VALU_DEP_3)
	v_cndmask_b32_e64 v1, v3, v1, s2
	v_cndmask_b32_e64 v2, v4, v2, s2
	s_delay_alu instid0(VALU_DEP_3)
	v_and_b32_e32 v6, 0xff, v5
.LBB751_146:
	s_or_b32 exec_lo, exec_lo, s23
	s_branch .LBB751_177
.LBB751_147:
                                        ; implicit-def: $vgpr3_vgpr4
                                        ; implicit-def: $vgpr5
	s_cbranch_execnz .LBB751_182
	s_branch .LBB751_200
.LBB751_148:
                                        ; implicit-def: $vgpr3_vgpr4
                                        ; implicit-def: $vgpr5
	s_branch .LBB751_200
.LBB751_149:
                                        ; implicit-def: $vgpr1_vgpr2
                                        ; implicit-def: $vgpr6
	s_cbranch_execz .LBB751_177
; %bb.150:
	s_waitcnt lgkmcnt(0)
	v_mov_b32_e32 v3, 0
	v_dual_mov_b32 v4, 0 :: v_dual_mov_b32 v5, 0
	s_delay_alu instid0(VALU_DEP_2) | instskip(SKIP_2) | instid1(VALU_DEP_3)
	v_mov_b32_e32 v1, v3
	v_mov_b32_e32 v7, 0
	s_sub_i32 s3, s14, s8
	v_mov_b32_e32 v2, v4
	s_mov_b32 s2, exec_lo
	v_cmpx_gt_u32_e64 s3, v0
	s_cbranch_execz .LBB751_152
; %bb.151:
	v_lshlrev_b32_e32 v1, 9, v0
	s_clause 0x1
	global_load_u8 v6, v1, s[4:5]
	global_load_u8 v7, v1, s[6:7]
	v_add_co_u32 v1, s8, s9, v0
	s_delay_alu instid0(VALU_DEP_1)
	v_add_co_ci_u32_e64 v2, null, s22, 0, s8
	s_waitcnt vmcnt(0)
	v_cmp_ne_u16_e32 vcc_lo, v6, v7
	v_cndmask_b32_e64 v7, 0, 1, vcc_lo
.LBB751_152:
	s_or_b32 exec_lo, exec_lo, s2
	v_or_b32_e32 v6, 0x100, v0
	s_delay_alu instid0(VALU_DEP_1)
	v_cmp_gt_u32_e32 vcc_lo, s3, v6
	s_and_saveexec_b32 s8, vcc_lo
	s_cbranch_execz .LBB751_154
; %bb.153:
	v_lshlrev_b32_e32 v3, 9, v6
	s_clause 0x1
	global_load_u8 v5, v3, s[4:5]
	global_load_u8 v8, v3, s[6:7]
	v_add_co_u32 v3, s2, s9, v6
	s_delay_alu instid0(VALU_DEP_1) | instskip(SKIP_2) | instid1(VALU_DEP_1)
	v_add_co_ci_u32_e64 v4, null, s22, 0, s2
	s_waitcnt vmcnt(0)
	v_cmp_ne_u16_e64 s2, v5, v8
	v_cndmask_b32_e64 v5, 0, 1, s2
.LBB751_154:
	s_or_b32 exec_lo, exec_lo, s8
	s_and_saveexec_b32 s4, vcc_lo
; %bb.155:
	s_delay_alu instid0(VALU_DEP_1) | instskip(SKIP_1) | instid1(VALU_DEP_2)
	v_and_b32_e32 v6, 1, v5
	v_cmp_lt_i64_e32 vcc_lo, v[3:4], v[1:2]
	v_cmp_eq_u32_e64 s2, 1, v6
	s_delay_alu instid0(VALU_DEP_1) | instskip(SKIP_4) | instid1(VALU_DEP_3)
	s_and_b32 vcc_lo, s2, vcc_lo
	v_cndmask_b32_e32 v1, v1, v3, vcc_lo
	v_and_b32_e32 v6, 1, v7
	v_cndmask_b32_e64 v7, v7, 1, s2
	v_cndmask_b32_e32 v2, v2, v4, vcc_lo
	v_cmp_eq_u32_e32 vcc_lo, 1, v6
	s_delay_alu instid0(VALU_DEP_2)
	v_dual_cndmask_b32 v7, v5, v7 :: v_dual_cndmask_b32 v2, v4, v2
	v_cndmask_b32_e32 v1, v3, v1, vcc_lo
; %bb.156:
	s_or_b32 exec_lo, exec_lo, s4
	v_mbcnt_lo_u32_b32 v5, -1, 0
	s_delay_alu instid0(VALU_DEP_3)
	v_and_b32_e32 v6, 0xffff, v7
	v_and_b32_e32 v8, 0xe0, v0
	s_min_u32 s3, s3, 0x100
	s_mov_b32 s4, exec_lo
	v_cmp_ne_u32_e32 vcc_lo, 31, v5
	v_add_nc_u32_e32 v10, 1, v5
	v_sub_nc_u32_e64 v8, s3, v8 clamp
	v_add_co_ci_u32_e32 v3, vcc_lo, 0, v5, vcc_lo
	s_delay_alu instid0(VALU_DEP_1)
	v_lshlrev_b32_e32 v4, 2, v3
	ds_bpermute_b32 v9, v4, v6
	ds_bpermute_b32 v3, v4, v1
	ds_bpermute_b32 v4, v4, v2
	v_cmpx_lt_u32_e64 v10, v8
	s_cbranch_execz .LBB751_158
; %bb.157:
	s_waitcnt lgkmcnt(2)
	v_and_b32_e32 v6, 1, v9
	s_waitcnt lgkmcnt(0)
	v_cmp_lt_i64_e32 vcc_lo, v[3:4], v[1:2]
	s_delay_alu instid0(VALU_DEP_2) | instskip(SKIP_1) | instid1(VALU_DEP_2)
	v_cmp_eq_u32_e64 s2, 1, v6
	v_and_b32_e32 v6, 1, v7
	v_cndmask_b32_e64 v7, v7, 1, s2
	s_and_b32 vcc_lo, s2, vcc_lo
	s_delay_alu instid0(VALU_DEP_2) | instskip(SKIP_1) | instid1(VALU_DEP_2)
	v_cmp_eq_u32_e64 s2, 1, v6
	v_dual_cndmask_b32 v1, v1, v3 :: v_dual_cndmask_b32 v2, v2, v4
	v_cndmask_b32_e64 v7, v9, v7, s2
	s_delay_alu instid0(VALU_DEP_2) | instskip(NEXT) | instid1(VALU_DEP_3)
	v_cndmask_b32_e64 v1, v3, v1, s2
	v_cndmask_b32_e64 v2, v4, v2, s2
	s_delay_alu instid0(VALU_DEP_3)
	v_and_b32_e32 v6, 0xff, v7
.LBB751_158:
	s_or_b32 exec_lo, exec_lo, s4
	v_cmp_gt_u32_e32 vcc_lo, 30, v5
	v_add_nc_u32_e32 v10, 2, v5
	s_mov_b32 s4, exec_lo
	s_waitcnt lgkmcnt(1)
	v_cndmask_b32_e64 v3, 0, 1, vcc_lo
	s_delay_alu instid0(VALU_DEP_1) | instskip(SKIP_1) | instid1(VALU_DEP_1)
	v_lshlrev_b32_e32 v3, 1, v3
	s_waitcnt lgkmcnt(0)
	v_add_lshl_u32 v4, v3, v5, 2
	ds_bpermute_b32 v9, v4, v6
	ds_bpermute_b32 v3, v4, v1
	ds_bpermute_b32 v4, v4, v2
	v_cmpx_lt_u32_e64 v10, v8
	s_cbranch_execz .LBB751_160
; %bb.159:
	s_waitcnt lgkmcnt(2)
	v_and_b32_e32 v6, 1, v9
	s_waitcnt lgkmcnt(0)
	v_cmp_lt_i64_e32 vcc_lo, v[3:4], v[1:2]
	s_delay_alu instid0(VALU_DEP_2) | instskip(SKIP_1) | instid1(VALU_DEP_2)
	v_cmp_eq_u32_e64 s2, 1, v6
	v_and_b32_e32 v6, 1, v7
	v_cndmask_b32_e64 v7, v7, 1, s2
	s_and_b32 vcc_lo, s2, vcc_lo
	s_delay_alu instid0(VALU_DEP_2) | instskip(SKIP_1) | instid1(VALU_DEP_2)
	v_cmp_eq_u32_e64 s2, 1, v6
	v_dual_cndmask_b32 v1, v1, v3 :: v_dual_cndmask_b32 v2, v2, v4
	v_cndmask_b32_e64 v7, v9, v7, s2
	s_delay_alu instid0(VALU_DEP_2) | instskip(NEXT) | instid1(VALU_DEP_3)
	v_cndmask_b32_e64 v1, v3, v1, s2
	v_cndmask_b32_e64 v2, v4, v2, s2
	s_delay_alu instid0(VALU_DEP_3)
	v_and_b32_e32 v6, 0xff, v7
.LBB751_160:
	s_or_b32 exec_lo, exec_lo, s4
	v_cmp_gt_u32_e32 vcc_lo, 28, v5
	v_add_nc_u32_e32 v10, 4, v5
	s_mov_b32 s4, exec_lo
	s_waitcnt lgkmcnt(1)
	v_cndmask_b32_e64 v3, 0, 1, vcc_lo
	s_delay_alu instid0(VALU_DEP_1) | instskip(SKIP_1) | instid1(VALU_DEP_1)
	v_lshlrev_b32_e32 v3, 2, v3
	s_waitcnt lgkmcnt(0)
	v_add_lshl_u32 v4, v3, v5, 2
	;; [unrolled: 35-line block ×4, first 2 shown]
	ds_bpermute_b32 v9, v4, v6
	ds_bpermute_b32 v3, v4, v1
	;; [unrolled: 1-line block ×3, first 2 shown]
	v_cmpx_lt_u32_e64 v10, v8
	s_cbranch_execz .LBB751_166
; %bb.165:
	s_waitcnt lgkmcnt(2)
	v_and_b32_e32 v6, 1, v9
	s_waitcnt lgkmcnt(0)
	v_cmp_lt_i64_e32 vcc_lo, v[3:4], v[1:2]
	s_delay_alu instid0(VALU_DEP_2) | instskip(SKIP_1) | instid1(VALU_DEP_2)
	v_cmp_eq_u32_e64 s2, 1, v6
	v_and_b32_e32 v6, 1, v7
	v_cndmask_b32_e64 v7, v7, 1, s2
	s_and_b32 vcc_lo, s2, vcc_lo
	s_delay_alu instid0(VALU_DEP_2) | instskip(SKIP_1) | instid1(VALU_DEP_2)
	v_cmp_eq_u32_e64 s2, 1, v6
	v_dual_cndmask_b32 v1, v1, v3 :: v_dual_cndmask_b32 v2, v2, v4
	v_cndmask_b32_e64 v7, v9, v7, s2
	s_delay_alu instid0(VALU_DEP_2) | instskip(NEXT) | instid1(VALU_DEP_3)
	v_cndmask_b32_e64 v1, v3, v1, s2
	v_cndmask_b32_e64 v2, v4, v2, s2
	s_delay_alu instid0(VALU_DEP_3)
	v_and_b32_e32 v6, 0xff, v7
.LBB751_166:
	s_or_b32 exec_lo, exec_lo, s4
	s_delay_alu instid0(SALU_CYCLE_1)
	s_mov_b32 s2, exec_lo
	v_cmpx_eq_u32_e32 0, v5
	s_cbranch_execz .LBB751_168
; %bb.167:
	s_waitcnt lgkmcnt(1)
	v_lshrrev_b32_e32 v3, 1, v0
	s_delay_alu instid0(VALU_DEP_1)
	v_and_b32_e32 v3, 0x70, v3
	ds_store_b8 v3, v7 offset:512
	ds_store_b64 v3, v[1:2] offset:520
.LBB751_168:
	s_or_b32 exec_lo, exec_lo, s2
	s_delay_alu instid0(SALU_CYCLE_1)
	s_mov_b32 s4, exec_lo
	s_waitcnt lgkmcnt(0)
	s_barrier
	buffer_gl0_inv
	v_cmpx_gt_u32_e32 8, v0
	s_cbranch_execz .LBB751_176
; %bb.169:
	v_lshlrev_b32_e32 v1, 4, v5
	v_and_b32_e32 v8, 7, v5
	s_add_i32 s3, s3, 31
	s_mov_b32 s5, exec_lo
	s_lshr_b32 s3, s3, 5
	ds_load_u8 v7, v1 offset:512
	ds_load_b64 v[1:2], v1 offset:520
	v_cmp_ne_u32_e32 vcc_lo, 7, v8
	v_add_nc_u32_e32 v10, 1, v8
	v_add_co_ci_u32_e32 v3, vcc_lo, 0, v5, vcc_lo
	s_delay_alu instid0(VALU_DEP_1)
	v_lshlrev_b32_e32 v4, 2, v3
	s_waitcnt lgkmcnt(1)
	v_and_b32_e32 v6, 0xff, v7
	s_waitcnt lgkmcnt(0)
	ds_bpermute_b32 v3, v4, v1
	ds_bpermute_b32 v9, v4, v6
	ds_bpermute_b32 v4, v4, v2
	v_cmpx_gt_u32_e64 s3, v10
	s_cbranch_execz .LBB751_171
; %bb.170:
	s_waitcnt lgkmcnt(1)
	v_and_b32_e32 v6, 1, v9
	s_waitcnt lgkmcnt(0)
	v_cmp_lt_i64_e32 vcc_lo, v[3:4], v[1:2]
	s_delay_alu instid0(VALU_DEP_2) | instskip(SKIP_1) | instid1(VALU_DEP_2)
	v_cmp_eq_u32_e64 s2, 1, v6
	v_and_b32_e32 v6, 1, v7
	v_cndmask_b32_e64 v7, v7, 1, s2
	s_and_b32 vcc_lo, s2, vcc_lo
	s_delay_alu instid0(VALU_DEP_2) | instskip(SKIP_1) | instid1(VALU_DEP_2)
	v_cmp_eq_u32_e64 s2, 1, v6
	v_dual_cndmask_b32 v1, v1, v3 :: v_dual_cndmask_b32 v2, v2, v4
	v_cndmask_b32_e64 v7, v9, v7, s2
	s_delay_alu instid0(VALU_DEP_2) | instskip(NEXT) | instid1(VALU_DEP_3)
	v_cndmask_b32_e64 v1, v3, v1, s2
	v_cndmask_b32_e64 v2, v4, v2, s2
	s_delay_alu instid0(VALU_DEP_3)
	v_and_b32_e32 v6, 0xff, v7
.LBB751_171:
	s_or_b32 exec_lo, exec_lo, s5
	v_cmp_gt_u32_e32 vcc_lo, 6, v8
	v_add_nc_u32_e32 v10, 2, v8
	s_mov_b32 s5, exec_lo
	s_waitcnt lgkmcnt(2)
	v_cndmask_b32_e64 v3, 0, 1, vcc_lo
	s_delay_alu instid0(VALU_DEP_1) | instskip(SKIP_1) | instid1(VALU_DEP_1)
	v_lshlrev_b32_e32 v3, 1, v3
	s_waitcnt lgkmcnt(0)
	v_add_lshl_u32 v4, v3, v5, 2
	ds_bpermute_b32 v9, v4, v6
	ds_bpermute_b32 v3, v4, v1
	;; [unrolled: 1-line block ×3, first 2 shown]
	v_cmpx_gt_u32_e64 s3, v10
	s_cbranch_execz .LBB751_173
; %bb.172:
	s_waitcnt lgkmcnt(2)
	v_and_b32_e32 v6, 1, v9
	s_waitcnt lgkmcnt(0)
	v_cmp_lt_i64_e32 vcc_lo, v[3:4], v[1:2]
	s_delay_alu instid0(VALU_DEP_2) | instskip(SKIP_1) | instid1(VALU_DEP_2)
	v_cmp_eq_u32_e64 s2, 1, v6
	v_and_b32_e32 v6, 1, v7
	v_cndmask_b32_e64 v7, v7, 1, s2
	s_and_b32 vcc_lo, s2, vcc_lo
	s_delay_alu instid0(VALU_DEP_2) | instskip(SKIP_1) | instid1(VALU_DEP_2)
	v_cmp_eq_u32_e64 s2, 1, v6
	v_dual_cndmask_b32 v1, v1, v3 :: v_dual_cndmask_b32 v2, v2, v4
	v_cndmask_b32_e64 v7, v9, v7, s2
	s_delay_alu instid0(VALU_DEP_2) | instskip(NEXT) | instid1(VALU_DEP_3)
	v_cndmask_b32_e64 v1, v3, v1, s2
	v_cndmask_b32_e64 v2, v4, v2, s2
	s_delay_alu instid0(VALU_DEP_3)
	v_and_b32_e32 v6, 0xff, v7
.LBB751_173:
	s_or_b32 exec_lo, exec_lo, s5
	v_cmp_gt_u32_e32 vcc_lo, 4, v8
	v_add_nc_u32_e32 v8, 4, v8
	s_waitcnt lgkmcnt(1)
	v_cndmask_b32_e64 v3, 0, 1, vcc_lo
	s_delay_alu instid0(VALU_DEP_2) | instskip(NEXT) | instid1(VALU_DEP_2)
	v_cmp_gt_u32_e32 vcc_lo, s3, v8
	v_lshlrev_b32_e32 v3, 2, v3
	s_waitcnt lgkmcnt(0)
	s_delay_alu instid0(VALU_DEP_1)
	v_add_lshl_u32 v4, v3, v5, 2
	ds_bpermute_b32 v5, v4, v6
	ds_bpermute_b32 v3, v4, v1
	;; [unrolled: 1-line block ×3, first 2 shown]
	s_and_saveexec_b32 s3, vcc_lo
	s_cbranch_execz .LBB751_175
; %bb.174:
	s_waitcnt lgkmcnt(2)
	v_and_b32_e32 v6, 1, v5
	s_waitcnt lgkmcnt(0)
	v_cmp_lt_i64_e32 vcc_lo, v[3:4], v[1:2]
	s_delay_alu instid0(VALU_DEP_2) | instskip(SKIP_1) | instid1(VALU_DEP_2)
	v_cmp_eq_u32_e64 s2, 1, v6
	v_and_b32_e32 v6, 1, v7
	v_cndmask_b32_e64 v7, v7, 1, s2
	s_and_b32 vcc_lo, s2, vcc_lo
	s_delay_alu instid0(VALU_DEP_2) | instskip(SKIP_1) | instid1(VALU_DEP_2)
	v_cmp_eq_u32_e64 s2, 1, v6
	v_dual_cndmask_b32 v1, v1, v3 :: v_dual_cndmask_b32 v2, v2, v4
	v_cndmask_b32_e64 v5, v5, v7, s2
	s_delay_alu instid0(VALU_DEP_2) | instskip(NEXT) | instid1(VALU_DEP_3)
	v_cndmask_b32_e64 v1, v3, v1, s2
	v_cndmask_b32_e64 v2, v4, v2, s2
	s_delay_alu instid0(VALU_DEP_3)
	v_and_b32_e32 v6, 0xff, v5
.LBB751_175:
	s_or_b32 exec_lo, exec_lo, s3
.LBB751_176:
	s_delay_alu instid0(SALU_CYCLE_1)
	s_or_b32 exec_lo, exec_lo, s4
.LBB751_177:
                                        ; implicit-def: $vgpr3_vgpr4
                                        ; implicit-def: $vgpr5
	s_delay_alu instid0(SALU_CYCLE_1)
	s_mov_b32 s2, exec_lo
	v_cmpx_eq_u32_e32 0, v0
	s_xor_b32 s4, exec_lo, s2
	s_cbranch_execz .LBB751_181
; %bb.178:
	s_waitcnt lgkmcnt(0)
	v_dual_mov_b32 v3, s20 :: v_dual_mov_b32 v4, s21
	v_mov_b32_e32 v5, s24
	s_cmp_eq_u64 s[14:15], 0
	s_cbranch_scc1 .LBB751_180
; %bb.179:
	v_and_b32_e32 v3, 1, v6
	v_cmp_gt_i64_e32 vcc_lo, s[20:21], v[1:2]
	s_bitcmp1_b32 s24, 0
	s_cselect_b32 s3, -1, 0
	s_delay_alu instid0(VALU_DEP_2) | instskip(NEXT) | instid1(VALU_DEP_1)
	v_cmp_eq_u32_e64 s2, 1, v3
	s_and_b32 vcc_lo, s2, vcc_lo
	v_cndmask_b32_e64 v3, s24, 1, s2
	v_cndmask_b32_e32 v7, s20, v1, vcc_lo
	v_cndmask_b32_e32 v4, s21, v2, vcc_lo
	s_delay_alu instid0(VALU_DEP_3) | instskip(NEXT) | instid1(VALU_DEP_3)
	v_cndmask_b32_e64 v5, v6, v3, s3
	v_cndmask_b32_e64 v3, v1, v7, s3
	s_delay_alu instid0(VALU_DEP_3)
	v_cndmask_b32_e64 v4, v2, v4, s3
.LBB751_180:
	s_or_b32 s26, s26, exec_lo
.LBB751_181:
	s_or_b32 exec_lo, exec_lo, s4
	s_branch .LBB751_200
.LBB751_182:
	s_cmp_eq_u32 s25, 1
	s_cbranch_scc0 .LBB751_199
; %bb.183:
	s_mov_b32 s5, 0
	s_lshr_b64 s[2:3], s[14:15], 8
	s_mov_b32 s11, s5
	s_lshl_b32 s4, s10, 8
	s_cmp_lg_u64 s[2:3], s[10:11]
	s_cbranch_scc0 .LBB751_203
; %bb.184:
	s_lshl_b64 s[2:3], s[4:5], 9
	v_lshlrev_b32_e32 v1, 9, v0
	s_add_u32 s6, s16, s2
	s_addc_u32 s7, s17, s3
	s_add_u32 s2, s18, s2
	s_addc_u32 s3, s19, s3
	s_clause 0x1
	global_load_u8 v2, v1, s[6:7]
	global_load_u8 v1, v1, s[2:3]
	s_add_u32 s2, s12, s4
	s_addc_u32 s3, s13, 0
	s_waitcnt vmcnt(0)
	v_cmp_ne_u16_e32 vcc_lo, v2, v1
	v_cndmask_b32_e64 v1, 0, 1, vcc_lo
	v_cndmask_b32_e64 v6, 0, 1, vcc_lo
	s_waitcnt lgkmcnt(2)
	s_delay_alu instid0(VALU_DEP_2) | instskip(SKIP_1) | instid1(VALU_DEP_1)
	v_mov_b32_dpp v5, v1 quad_perm:[1,0,3,2] row_mask:0xf bank_mask:0xf
	v_add_co_u32 v1, s2, s2, v0
	v_add_co_ci_u32_e64 v2, null, s3, 0, s2
	s_delay_alu instid0(VALU_DEP_3) | instskip(SKIP_1) | instid1(VALU_DEP_3)
	v_and_b32_e32 v7, 1, v5
	s_waitcnt lgkmcnt(1)
	v_mov_b32_dpp v3, v1 quad_perm:[1,0,3,2] row_mask:0xf bank_mask:0xf
	s_mov_b32 s3, exec_lo
	s_waitcnt lgkmcnt(0)
	v_mov_b32_dpp v4, v2 quad_perm:[1,0,3,2] row_mask:0xf bank_mask:0xf
	v_cmpx_eq_u32_e32 1, v7
; %bb.185:
	s_delay_alu instid0(VALU_DEP_2) | instskip(SKIP_1) | instid1(VALU_DEP_2)
	v_cmp_lt_i64_e64 s2, v[1:2], v[3:4]
	v_cndmask_b32_e64 v6, v5, 1, vcc_lo
	s_and_b32 vcc_lo, vcc_lo, s2
	v_dual_cndmask_b32 v2, v4, v2 :: v_dual_cndmask_b32 v1, v3, v1
; %bb.186:
	s_or_b32 exec_lo, exec_lo, s3
	s_delay_alu instid0(VALU_DEP_2) | instskip(SKIP_1) | instid1(VALU_DEP_3)
	v_and_b32_e32 v5, 0xff, v6
	v_and_b32_e32 v6, 1, v6
	v_mov_b32_dpp v3, v1 quad_perm:[2,3,0,1] row_mask:0xf bank_mask:0xf
	v_mov_b32_dpp v4, v2 quad_perm:[2,3,0,1] row_mask:0xf bank_mask:0xf
	s_mov_b32 s6, exec_lo
	v_mov_b32_dpp v7, v5 quad_perm:[2,3,0,1] row_mask:0xf bank_mask:0xf
	v_cmp_eq_u32_e64 s3, 1, v6
	s_delay_alu instid0(VALU_DEP_2) | instskip(NEXT) | instid1(VALU_DEP_1)
	v_and_b32_e32 v8, 1, v7
	v_cmpx_eq_u32_e32 1, v8
; %bb.187:
	s_delay_alu instid0(VALU_DEP_3) | instskip(SKIP_1) | instid1(VALU_DEP_2)
	v_cndmask_b32_e64 v5, v7, 1, s3
	v_cmp_lt_i64_e32 vcc_lo, v[1:2], v[3:4]
	v_and_b32_e32 v6, 1, v5
	v_and_b32_e32 v5, 0xff, v5
	s_and_b32 vcc_lo, s3, vcc_lo
	s_and_not1_b32 s3, s3, exec_lo
	v_dual_cndmask_b32 v2, v4, v2 :: v_dual_cndmask_b32 v1, v3, v1
	v_cmp_eq_u32_e64 s2, 1, v6
	s_delay_alu instid0(VALU_DEP_1) | instskip(NEXT) | instid1(SALU_CYCLE_1)
	s_and_b32 s2, s2, exec_lo
	s_or_b32 s3, s3, s2
; %bb.188:
	s_or_b32 exec_lo, exec_lo, s6
	v_mov_b32_dpp v6, v5 row_ror:4 row_mask:0xf bank_mask:0xf
	v_mov_b32_dpp v3, v1 row_ror:4 row_mask:0xf bank_mask:0xf
	;; [unrolled: 1-line block ×3, first 2 shown]
	s_mov_b32 s6, exec_lo
	s_delay_alu instid0(VALU_DEP_3) | instskip(NEXT) | instid1(VALU_DEP_1)
	v_and_b32_e32 v7, 1, v6
	v_cmpx_eq_u32_e32 1, v7
; %bb.189:
	v_cndmask_b32_e64 v5, v6, 1, s3
	v_cmp_lt_i64_e32 vcc_lo, v[1:2], v[3:4]
	s_delay_alu instid0(VALU_DEP_2)
	v_and_b32_e32 v6, 1, v5
	v_and_b32_e32 v5, 0xff, v5
	s_and_b32 vcc_lo, s3, vcc_lo
	s_and_not1_b32 s3, s3, exec_lo
	v_dual_cndmask_b32 v2, v4, v2 :: v_dual_cndmask_b32 v1, v3, v1
	v_cmp_eq_u32_e64 s2, 1, v6
	s_delay_alu instid0(VALU_DEP_1) | instskip(NEXT) | instid1(SALU_CYCLE_1)
	s_and_b32 s2, s2, exec_lo
	s_or_b32 s3, s3, s2
; %bb.190:
	s_or_b32 exec_lo, exec_lo, s6
	v_mov_b32_dpp v6, v5 row_ror:8 row_mask:0xf bank_mask:0xf
	v_mov_b32_dpp v3, v1 row_ror:8 row_mask:0xf bank_mask:0xf
	;; [unrolled: 1-line block ×3, first 2 shown]
	s_mov_b32 s6, exec_lo
	s_delay_alu instid0(VALU_DEP_3) | instskip(NEXT) | instid1(VALU_DEP_1)
	v_and_b32_e32 v7, 1, v6
	v_cmpx_eq_u32_e32 1, v7
; %bb.191:
	v_cndmask_b32_e64 v5, v6, 1, s3
	v_cmp_lt_i64_e32 vcc_lo, v[1:2], v[3:4]
	s_delay_alu instid0(VALU_DEP_2)
	v_and_b32_e32 v6, 1, v5
	v_and_b32_e32 v5, 0xff, v5
	s_and_b32 vcc_lo, s3, vcc_lo
	s_and_not1_b32 s3, s3, exec_lo
	v_dual_cndmask_b32 v2, v4, v2 :: v_dual_cndmask_b32 v1, v3, v1
	v_cmp_eq_u32_e64 s2, 1, v6
	s_delay_alu instid0(VALU_DEP_1) | instskip(NEXT) | instid1(SALU_CYCLE_1)
	s_and_b32 s2, s2, exec_lo
	s_or_b32 s3, s3, s2
; %bb.192:
	s_or_b32 exec_lo, exec_lo, s6
	ds_swizzle_b32 v6, v5 offset:swizzle(BROADCAST,32,15)
	ds_swizzle_b32 v3, v1 offset:swizzle(BROADCAST,32,15)
	;; [unrolled: 1-line block ×3, first 2 shown]
	s_mov_b32 s2, exec_lo
	s_waitcnt lgkmcnt(2)
	v_and_b32_e32 v7, 1, v6
	s_delay_alu instid0(VALU_DEP_1)
	v_cmpx_eq_u32_e32 1, v7
	s_cbranch_execz .LBB751_194
; %bb.193:
	s_waitcnt lgkmcnt(0)
	v_cmp_lt_i64_e32 vcc_lo, v[1:2], v[3:4]
	v_and_b32_e32 v5, 0xff, v6
	s_delay_alu instid0(VALU_DEP_1)
	v_cndmask_b32_e64 v5, v5, 1, s3
	s_and_b32 vcc_lo, s3, vcc_lo
	v_dual_cndmask_b32 v1, v3, v1 :: v_dual_cndmask_b32 v2, v4, v2
.LBB751_194:
	s_or_b32 exec_lo, exec_lo, s2
	s_waitcnt lgkmcnt(1)
	v_mov_b32_e32 v3, 0
	s_mov_b32 s2, exec_lo
	ds_bpermute_b32 v6, v3, v5 offset:124
	ds_bpermute_b32 v1, v3, v1 offset:124
	;; [unrolled: 1-line block ×3, first 2 shown]
	v_mbcnt_lo_u32_b32 v3, -1, 0
	s_delay_alu instid0(VALU_DEP_1)
	v_cmpx_eq_u32_e32 0, v3
	s_cbranch_execz .LBB751_196
; %bb.195:
	s_waitcnt lgkmcnt(3)
	v_lshrrev_b32_e32 v4, 1, v0
	s_delay_alu instid0(VALU_DEP_1)
	v_and_b32_e32 v4, 0x70, v4
	s_waitcnt lgkmcnt(2)
	ds_store_b8 v4, v6
	s_waitcnt lgkmcnt(1)
	ds_store_b64 v4, v[1:2] offset:8
.LBB751_196:
	s_or_b32 exec_lo, exec_lo, s2
	s_delay_alu instid0(SALU_CYCLE_1)
	s_mov_b32 s6, exec_lo
	s_waitcnt lgkmcnt(0)
	s_barrier
	buffer_gl0_inv
	v_cmpx_gt_u32_e32 32, v0
	s_cbranch_execz .LBB751_198
; %bb.197:
	v_and_b32_e32 v6, 7, v3
	s_delay_alu instid0(VALU_DEP_1)
	v_lshlrev_b32_e32 v1, 4, v6
	v_cmp_ne_u32_e32 vcc_lo, 7, v6
	ds_load_u8 v7, v1
	ds_load_b64 v[1:2], v1 offset:8
	v_add_co_ci_u32_e32 v4, vcc_lo, 0, v3, vcc_lo
	v_cmp_gt_u32_e32 vcc_lo, 6, v6
	s_delay_alu instid0(VALU_DEP_2)
	v_lshlrev_b32_e32 v5, 2, v4
	v_cndmask_b32_e64 v10, 0, 1, vcc_lo
	s_waitcnt lgkmcnt(1)
	v_and_b32_e32 v4, 0xff, v7
	v_and_b32_e32 v11, 1, v7
	ds_bpermute_b32 v8, v5, v4
	s_waitcnt lgkmcnt(1)
	ds_bpermute_b32 v4, v5, v1
	ds_bpermute_b32 v5, v5, v2
	v_cmp_eq_u32_e64 s3, 1, v11
	s_waitcnt lgkmcnt(2)
	v_and_b32_e32 v9, 1, v8
	s_waitcnt lgkmcnt(0)
	v_cmp_lt_i64_e64 s2, v[4:5], v[1:2]
	s_delay_alu instid0(VALU_DEP_2) | instskip(SKIP_2) | instid1(VALU_DEP_4)
	v_cmp_eq_u32_e32 vcc_lo, 1, v9
	v_lshlrev_b32_e32 v9, 1, v10
	v_cndmask_b32_e64 v7, v7, 1, vcc_lo
	s_and_b32 vcc_lo, vcc_lo, s2
	v_dual_cndmask_b32 v1, v1, v4 :: v_dual_cndmask_b32 v2, v2, v5
	s_delay_alu instid0(VALU_DEP_2) | instskip(SKIP_2) | instid1(VALU_DEP_4)
	v_cndmask_b32_e64 v7, v8, v7, s3
	v_add_lshl_u32 v8, v9, v3, 2
	v_cmp_gt_u32_e32 vcc_lo, 4, v6
	v_cndmask_b32_e64 v1, v4, v1, s3
	v_cndmask_b32_e64 v2, v5, v2, s3
	v_and_b32_e32 v9, 0xff, v7
	v_and_b32_e32 v10, 1, v7
	v_cndmask_b32_e64 v6, 0, 1, vcc_lo
	ds_bpermute_b32 v4, v8, v1
	ds_bpermute_b32 v5, v8, v2
	;; [unrolled: 1-line block ×3, first 2 shown]
	v_cmp_eq_u32_e64 s3, 1, v10
	s_waitcnt lgkmcnt(1)
	v_cmp_lt_i64_e64 s2, v[4:5], v[1:2]
	s_waitcnt lgkmcnt(0)
	v_and_b32_e32 v8, 1, v9
	s_delay_alu instid0(VALU_DEP_1) | instskip(SKIP_1) | instid1(VALU_DEP_4)
	v_cmp_eq_u32_e32 vcc_lo, 1, v8
	v_cndmask_b32_e64 v7, v7, 1, vcc_lo
	s_and_b32 vcc_lo, vcc_lo, s2
	v_dual_cndmask_b32 v1, v1, v4 :: v_dual_cndmask_b32 v2, v2, v5
	s_delay_alu instid0(VALU_DEP_2) | instskip(NEXT) | instid1(VALU_DEP_2)
	v_cndmask_b32_e64 v7, v9, v7, s3
	v_cndmask_b32_e64 v1, v4, v1, s3
	v_lshlrev_b32_e32 v6, 2, v6
	s_delay_alu instid0(VALU_DEP_4) | instskip(NEXT) | instid1(VALU_DEP_2)
	v_cndmask_b32_e64 v2, v5, v2, s3
	v_add_lshl_u32 v6, v6, v3, 2
	v_and_b32_e32 v3, 0xff, v7
	ds_bpermute_b32 v4, v6, v2
	ds_bpermute_b32 v5, v6, v3
	;; [unrolled: 1-line block ×3, first 2 shown]
	s_waitcnt lgkmcnt(1)
	v_and_b32_e32 v6, 1, v5
	s_waitcnt lgkmcnt(0)
	v_cmp_lt_i64_e32 vcc_lo, v[3:4], v[1:2]
	s_delay_alu instid0(VALU_DEP_2) | instskip(SKIP_1) | instid1(VALU_DEP_2)
	v_cmp_eq_u32_e64 s2, 1, v6
	v_and_b32_e32 v6, 1, v7
	v_cndmask_b32_e64 v7, v7, 1, s2
	s_and_b32 vcc_lo, s2, vcc_lo
	s_delay_alu instid0(VALU_DEP_2) | instskip(SKIP_1) | instid1(VALU_DEP_2)
	v_cmp_eq_u32_e64 s2, 1, v6
	v_dual_cndmask_b32 v1, v1, v3 :: v_dual_cndmask_b32 v2, v2, v4
	v_cndmask_b32_e64 v5, v5, v7, s2
	s_delay_alu instid0(VALU_DEP_2) | instskip(NEXT) | instid1(VALU_DEP_3)
	v_cndmask_b32_e64 v1, v3, v1, s2
	v_cndmask_b32_e64 v2, v4, v2, s2
	s_delay_alu instid0(VALU_DEP_3)
	v_and_b32_e32 v6, 0xff, v5
.LBB751_198:
	s_or_b32 exec_lo, exec_lo, s6
	s_branch .LBB751_227
.LBB751_199:
                                        ; implicit-def: $vgpr3_vgpr4
                                        ; implicit-def: $vgpr5
                                        ; implicit-def: $sgpr10_sgpr11
.LBB751_200:
	s_and_saveexec_b32 s2, s26
	s_cbranch_execz .LBB751_202
.LBB751_201:
	s_load_b64 s[0:1], s[0:1], 0x38
	s_lshl_b64 s[2:3], s[10:11], 4
	v_mov_b32_e32 v0, 0
	s_waitcnt lgkmcnt(0)
	s_add_u32 s0, s0, s2
	s_addc_u32 s1, s1, s3
	s_clause 0x1
	global_store_b8 v0, v5, s[0:1]
	global_store_b64 v0, v[3:4], s[0:1] offset:8
.LBB751_202:
	s_nop 0
	s_sendmsg sendmsg(MSG_DEALLOC_VGPRS)
	s_endpgm
.LBB751_203:
                                        ; implicit-def: $vgpr1_vgpr2
                                        ; implicit-def: $vgpr6
	s_cbranch_execz .LBB751_227
; %bb.204:
	v_mov_b32_e32 v1, 0
	v_dual_mov_b32 v2, 0 :: v_dual_mov_b32 v7, 0
	s_sub_i32 s2, s14, s4
	s_mov_b32 s3, exec_lo
	v_cmpx_gt_u32_e64 s2, v0
	s_cbranch_execz .LBB751_206
; %bb.205:
	s_lshl_b64 s[6:7], s[4:5], 9
	v_lshlrev_b32_e32 v1, 9, v0
	s_add_u32 s8, s18, s6
	s_addc_u32 s9, s19, s7
	s_add_u32 s6, s16, s6
	s_addc_u32 s7, s17, s7
	s_add_u32 s4, s12, s4
	s_waitcnt lgkmcnt(1)
	global_load_u8 v3, v1, s[6:7]
	s_waitcnt lgkmcnt(0)
	global_load_u8 v4, v1, s[8:9]
	s_addc_u32 s5, s13, 0
	v_add_co_u32 v1, s4, s4, v0
	s_delay_alu instid0(VALU_DEP_1)
	v_add_co_ci_u32_e64 v2, null, s5, 0, s4
	s_waitcnt vmcnt(0)
	v_cmp_ne_u16_e32 vcc_lo, v3, v4
	v_cndmask_b32_e64 v7, 0, 1, vcc_lo
.LBB751_206:
	s_or_b32 exec_lo, exec_lo, s3
	s_waitcnt lgkmcnt(2)
	v_mbcnt_lo_u32_b32 v5, -1, 0
	s_delay_alu instid0(VALU_DEP_2)
	v_and_b32_e32 v6, 0xffff, v7
	v_and_b32_e32 v8, 0xe0, v0
	s_min_u32 s3, s2, 0x100
	s_mov_b32 s4, exec_lo
	v_cmp_ne_u32_e32 vcc_lo, 31, v5
	v_add_nc_u32_e32 v10, 1, v5
	v_sub_nc_u32_e64 v8, s3, v8 clamp
	s_waitcnt lgkmcnt(1)
	v_add_co_ci_u32_e32 v3, vcc_lo, 0, v5, vcc_lo
	s_waitcnt lgkmcnt(0)
	s_delay_alu instid0(VALU_DEP_1)
	v_lshlrev_b32_e32 v4, 2, v3
	ds_bpermute_b32 v9, v4, v6
	ds_bpermute_b32 v3, v4, v1
	ds_bpermute_b32 v4, v4, v2
	v_cmpx_lt_u32_e64 v10, v8
	s_cbranch_execz .LBB751_208
; %bb.207:
	s_waitcnt lgkmcnt(2)
	v_and_b32_e32 v6, 1, v9
	s_waitcnt lgkmcnt(0)
	v_cmp_lt_i64_e32 vcc_lo, v[3:4], v[1:2]
	s_delay_alu instid0(VALU_DEP_2) | instskip(SKIP_1) | instid1(VALU_DEP_2)
	v_cmp_eq_u32_e64 s2, 1, v6
	v_and_b32_e32 v6, 1, v7
	v_cndmask_b32_e64 v7, v7, 1, s2
	s_and_b32 vcc_lo, s2, vcc_lo
	s_delay_alu instid0(VALU_DEP_2) | instskip(SKIP_1) | instid1(VALU_DEP_2)
	v_cmp_eq_u32_e64 s2, 1, v6
	v_dual_cndmask_b32 v1, v1, v3 :: v_dual_cndmask_b32 v2, v2, v4
	v_cndmask_b32_e64 v7, v9, v7, s2
	s_delay_alu instid0(VALU_DEP_2) | instskip(NEXT) | instid1(VALU_DEP_3)
	v_cndmask_b32_e64 v1, v3, v1, s2
	v_cndmask_b32_e64 v2, v4, v2, s2
	s_delay_alu instid0(VALU_DEP_3)
	v_and_b32_e32 v6, 0xff, v7
.LBB751_208:
	s_or_b32 exec_lo, exec_lo, s4
	v_cmp_gt_u32_e32 vcc_lo, 30, v5
	v_add_nc_u32_e32 v10, 2, v5
	s_mov_b32 s4, exec_lo
	s_waitcnt lgkmcnt(1)
	v_cndmask_b32_e64 v3, 0, 1, vcc_lo
	s_delay_alu instid0(VALU_DEP_1) | instskip(SKIP_1) | instid1(VALU_DEP_1)
	v_lshlrev_b32_e32 v3, 1, v3
	s_waitcnt lgkmcnt(0)
	v_add_lshl_u32 v4, v3, v5, 2
	ds_bpermute_b32 v9, v4, v6
	ds_bpermute_b32 v3, v4, v1
	ds_bpermute_b32 v4, v4, v2
	v_cmpx_lt_u32_e64 v10, v8
	s_cbranch_execz .LBB751_210
; %bb.209:
	s_waitcnt lgkmcnt(2)
	v_and_b32_e32 v6, 1, v9
	s_waitcnt lgkmcnt(0)
	v_cmp_lt_i64_e32 vcc_lo, v[3:4], v[1:2]
	s_delay_alu instid0(VALU_DEP_2) | instskip(SKIP_1) | instid1(VALU_DEP_2)
	v_cmp_eq_u32_e64 s2, 1, v6
	v_and_b32_e32 v6, 1, v7
	v_cndmask_b32_e64 v7, v7, 1, s2
	s_and_b32 vcc_lo, s2, vcc_lo
	s_delay_alu instid0(VALU_DEP_2) | instskip(SKIP_1) | instid1(VALU_DEP_2)
	v_cmp_eq_u32_e64 s2, 1, v6
	v_dual_cndmask_b32 v1, v1, v3 :: v_dual_cndmask_b32 v2, v2, v4
	v_cndmask_b32_e64 v7, v9, v7, s2
	s_delay_alu instid0(VALU_DEP_2) | instskip(NEXT) | instid1(VALU_DEP_3)
	v_cndmask_b32_e64 v1, v3, v1, s2
	v_cndmask_b32_e64 v2, v4, v2, s2
	s_delay_alu instid0(VALU_DEP_3)
	v_and_b32_e32 v6, 0xff, v7
.LBB751_210:
	s_or_b32 exec_lo, exec_lo, s4
	v_cmp_gt_u32_e32 vcc_lo, 28, v5
	v_add_nc_u32_e32 v10, 4, v5
	s_mov_b32 s4, exec_lo
	s_waitcnt lgkmcnt(1)
	v_cndmask_b32_e64 v3, 0, 1, vcc_lo
	s_delay_alu instid0(VALU_DEP_1) | instskip(SKIP_1) | instid1(VALU_DEP_1)
	v_lshlrev_b32_e32 v3, 2, v3
	s_waitcnt lgkmcnt(0)
	v_add_lshl_u32 v4, v3, v5, 2
	;; [unrolled: 35-line block ×4, first 2 shown]
	ds_bpermute_b32 v9, v4, v6
	ds_bpermute_b32 v3, v4, v1
	;; [unrolled: 1-line block ×3, first 2 shown]
	v_cmpx_lt_u32_e64 v10, v8
	s_cbranch_execz .LBB751_216
; %bb.215:
	s_waitcnt lgkmcnt(2)
	v_and_b32_e32 v6, 1, v9
	s_waitcnt lgkmcnt(0)
	v_cmp_lt_i64_e32 vcc_lo, v[3:4], v[1:2]
	s_delay_alu instid0(VALU_DEP_2) | instskip(SKIP_1) | instid1(VALU_DEP_2)
	v_cmp_eq_u32_e64 s2, 1, v6
	v_and_b32_e32 v6, 1, v7
	v_cndmask_b32_e64 v7, v7, 1, s2
	s_and_b32 vcc_lo, s2, vcc_lo
	s_delay_alu instid0(VALU_DEP_2) | instskip(SKIP_1) | instid1(VALU_DEP_2)
	v_cmp_eq_u32_e64 s2, 1, v6
	v_dual_cndmask_b32 v1, v1, v3 :: v_dual_cndmask_b32 v2, v2, v4
	v_cndmask_b32_e64 v7, v9, v7, s2
	s_delay_alu instid0(VALU_DEP_2) | instskip(NEXT) | instid1(VALU_DEP_3)
	v_cndmask_b32_e64 v1, v3, v1, s2
	v_cndmask_b32_e64 v2, v4, v2, s2
	s_delay_alu instid0(VALU_DEP_3)
	v_and_b32_e32 v6, 0xff, v7
.LBB751_216:
	s_or_b32 exec_lo, exec_lo, s4
	s_delay_alu instid0(SALU_CYCLE_1)
	s_mov_b32 s2, exec_lo
	v_cmpx_eq_u32_e32 0, v5
	s_cbranch_execz .LBB751_218
; %bb.217:
	s_waitcnt lgkmcnt(1)
	v_lshrrev_b32_e32 v3, 1, v0
	s_delay_alu instid0(VALU_DEP_1)
	v_and_b32_e32 v3, 0x70, v3
	ds_store_b8 v3, v7 offset:512
	ds_store_b64 v3, v[1:2] offset:520
.LBB751_218:
	s_or_b32 exec_lo, exec_lo, s2
	s_delay_alu instid0(SALU_CYCLE_1)
	s_mov_b32 s4, exec_lo
	s_waitcnt lgkmcnt(0)
	s_barrier
	buffer_gl0_inv
	v_cmpx_gt_u32_e32 8, v0
	s_cbranch_execz .LBB751_226
; %bb.219:
	v_lshlrev_b32_e32 v1, 4, v5
	v_and_b32_e32 v8, 7, v5
	s_add_i32 s3, s3, 31
	s_mov_b32 s5, exec_lo
	s_lshr_b32 s3, s3, 5
	ds_load_u8 v7, v1 offset:512
	ds_load_b64 v[1:2], v1 offset:520
	v_cmp_ne_u32_e32 vcc_lo, 7, v8
	v_add_nc_u32_e32 v10, 1, v8
	v_add_co_ci_u32_e32 v3, vcc_lo, 0, v5, vcc_lo
	s_delay_alu instid0(VALU_DEP_1)
	v_lshlrev_b32_e32 v4, 2, v3
	s_waitcnt lgkmcnt(1)
	v_and_b32_e32 v6, 0xff, v7
	s_waitcnt lgkmcnt(0)
	ds_bpermute_b32 v3, v4, v1
	ds_bpermute_b32 v9, v4, v6
	;; [unrolled: 1-line block ×3, first 2 shown]
	v_cmpx_gt_u32_e64 s3, v10
	s_cbranch_execz .LBB751_221
; %bb.220:
	s_waitcnt lgkmcnt(1)
	v_and_b32_e32 v6, 1, v9
	s_waitcnt lgkmcnt(0)
	v_cmp_lt_i64_e32 vcc_lo, v[3:4], v[1:2]
	s_delay_alu instid0(VALU_DEP_2) | instskip(SKIP_1) | instid1(VALU_DEP_2)
	v_cmp_eq_u32_e64 s2, 1, v6
	v_and_b32_e32 v6, 1, v7
	v_cndmask_b32_e64 v7, v7, 1, s2
	s_and_b32 vcc_lo, s2, vcc_lo
	s_delay_alu instid0(VALU_DEP_2) | instskip(SKIP_1) | instid1(VALU_DEP_2)
	v_cmp_eq_u32_e64 s2, 1, v6
	v_dual_cndmask_b32 v1, v1, v3 :: v_dual_cndmask_b32 v2, v2, v4
	v_cndmask_b32_e64 v7, v9, v7, s2
	s_delay_alu instid0(VALU_DEP_2) | instskip(NEXT) | instid1(VALU_DEP_3)
	v_cndmask_b32_e64 v1, v3, v1, s2
	v_cndmask_b32_e64 v2, v4, v2, s2
	s_delay_alu instid0(VALU_DEP_3)
	v_and_b32_e32 v6, 0xff, v7
.LBB751_221:
	s_or_b32 exec_lo, exec_lo, s5
	v_cmp_gt_u32_e32 vcc_lo, 6, v8
	v_add_nc_u32_e32 v10, 2, v8
	s_mov_b32 s5, exec_lo
	s_waitcnt lgkmcnt(2)
	v_cndmask_b32_e64 v3, 0, 1, vcc_lo
	s_delay_alu instid0(VALU_DEP_1) | instskip(SKIP_1) | instid1(VALU_DEP_1)
	v_lshlrev_b32_e32 v3, 1, v3
	s_waitcnt lgkmcnt(0)
	v_add_lshl_u32 v4, v3, v5, 2
	ds_bpermute_b32 v9, v4, v6
	ds_bpermute_b32 v3, v4, v1
	;; [unrolled: 1-line block ×3, first 2 shown]
	v_cmpx_gt_u32_e64 s3, v10
	s_cbranch_execz .LBB751_223
; %bb.222:
	s_waitcnt lgkmcnt(2)
	v_and_b32_e32 v6, 1, v9
	s_waitcnt lgkmcnt(0)
	v_cmp_lt_i64_e32 vcc_lo, v[3:4], v[1:2]
	s_delay_alu instid0(VALU_DEP_2) | instskip(SKIP_1) | instid1(VALU_DEP_2)
	v_cmp_eq_u32_e64 s2, 1, v6
	v_and_b32_e32 v6, 1, v7
	v_cndmask_b32_e64 v7, v7, 1, s2
	s_and_b32 vcc_lo, s2, vcc_lo
	s_delay_alu instid0(VALU_DEP_2) | instskip(SKIP_1) | instid1(VALU_DEP_2)
	v_cmp_eq_u32_e64 s2, 1, v6
	v_dual_cndmask_b32 v1, v1, v3 :: v_dual_cndmask_b32 v2, v2, v4
	v_cndmask_b32_e64 v7, v9, v7, s2
	s_delay_alu instid0(VALU_DEP_2) | instskip(NEXT) | instid1(VALU_DEP_3)
	v_cndmask_b32_e64 v1, v3, v1, s2
	v_cndmask_b32_e64 v2, v4, v2, s2
	s_delay_alu instid0(VALU_DEP_3)
	v_and_b32_e32 v6, 0xff, v7
.LBB751_223:
	s_or_b32 exec_lo, exec_lo, s5
	v_cmp_gt_u32_e32 vcc_lo, 4, v8
	v_add_nc_u32_e32 v8, 4, v8
	s_waitcnt lgkmcnt(1)
	v_cndmask_b32_e64 v3, 0, 1, vcc_lo
	s_delay_alu instid0(VALU_DEP_2) | instskip(NEXT) | instid1(VALU_DEP_2)
	v_cmp_gt_u32_e32 vcc_lo, s3, v8
	v_lshlrev_b32_e32 v3, 2, v3
	s_waitcnt lgkmcnt(0)
	s_delay_alu instid0(VALU_DEP_1)
	v_add_lshl_u32 v4, v3, v5, 2
	ds_bpermute_b32 v5, v4, v6
	ds_bpermute_b32 v3, v4, v1
	;; [unrolled: 1-line block ×3, first 2 shown]
	s_and_saveexec_b32 s3, vcc_lo
	s_cbranch_execz .LBB751_225
; %bb.224:
	s_waitcnt lgkmcnt(2)
	v_and_b32_e32 v6, 1, v5
	s_waitcnt lgkmcnt(0)
	v_cmp_lt_i64_e32 vcc_lo, v[3:4], v[1:2]
	s_delay_alu instid0(VALU_DEP_2) | instskip(SKIP_1) | instid1(VALU_DEP_2)
	v_cmp_eq_u32_e64 s2, 1, v6
	v_and_b32_e32 v6, 1, v7
	v_cndmask_b32_e64 v7, v7, 1, s2
	s_and_b32 vcc_lo, s2, vcc_lo
	s_delay_alu instid0(VALU_DEP_2) | instskip(SKIP_1) | instid1(VALU_DEP_2)
	v_cmp_eq_u32_e64 s2, 1, v6
	v_dual_cndmask_b32 v1, v1, v3 :: v_dual_cndmask_b32 v2, v2, v4
	v_cndmask_b32_e64 v5, v5, v7, s2
	s_delay_alu instid0(VALU_DEP_2) | instskip(NEXT) | instid1(VALU_DEP_3)
	v_cndmask_b32_e64 v1, v3, v1, s2
	v_cndmask_b32_e64 v2, v4, v2, s2
	s_delay_alu instid0(VALU_DEP_3)
	v_and_b32_e32 v6, 0xff, v5
.LBB751_225:
	s_or_b32 exec_lo, exec_lo, s3
.LBB751_226:
	s_delay_alu instid0(SALU_CYCLE_1)
	s_or_b32 exec_lo, exec_lo, s4
.LBB751_227:
	s_delay_alu instid0(SALU_CYCLE_1)
	s_mov_b32 s4, exec_lo
                                        ; implicit-def: $vgpr3_vgpr4
                                        ; implicit-def: $vgpr5
	v_cmpx_eq_u32_e32 0, v0
	s_cbranch_execz .LBB751_231
; %bb.228:
	s_waitcnt lgkmcnt(0)
	v_dual_mov_b32 v3, s20 :: v_dual_mov_b32 v4, s21
	v_mov_b32_e32 v5, s24
	s_cmp_eq_u64 s[14:15], 0
	s_cbranch_scc1 .LBB751_230
; %bb.229:
	v_and_b32_e32 v0, 1, v6
	v_cmp_gt_i64_e32 vcc_lo, s[20:21], v[1:2]
	s_bitcmp1_b32 s24, 0
	s_cselect_b32 s3, -1, 0
	s_delay_alu instid0(VALU_DEP_2) | instskip(NEXT) | instid1(VALU_DEP_1)
	v_cmp_eq_u32_e64 s2, 1, v0
	s_and_b32 vcc_lo, s2, vcc_lo
	v_cndmask_b32_e64 v0, s24, 1, s2
	v_cndmask_b32_e32 v3, s20, v1, vcc_lo
	v_cndmask_b32_e32 v4, s21, v2, vcc_lo
	s_delay_alu instid0(VALU_DEP_3) | instskip(NEXT) | instid1(VALU_DEP_3)
	v_cndmask_b32_e64 v5, v6, v0, s3
	v_cndmask_b32_e64 v3, v1, v3, s3
	s_delay_alu instid0(VALU_DEP_3)
	v_cndmask_b32_e64 v4, v2, v4, s3
.LBB751_230:
	s_or_b32 s26, s26, exec_lo
.LBB751_231:
	s_or_b32 exec_lo, exec_lo, s4
	s_and_saveexec_b32 s2, s26
	s_cbranch_execnz .LBB751_201
	s_branch .LBB751_202
.LBB751_232:
	v_lshlrev_b32_e32 v3, 9, v25
	s_clause 0x1
	global_load_u8 v18, v3, s[8:9]
	global_load_u8 v26, v3, s[22:23]
	v_add_co_u32 v3, s8, s26, v25
	s_delay_alu instid0(VALU_DEP_1) | instskip(SKIP_2) | instid1(VALU_DEP_1)
	v_add_co_ci_u32_e64 v4, null, s28, 0, s8
	s_waitcnt vmcnt(0)
	v_cmp_ne_u16_e64 s8, v18, v26
	v_cndmask_b32_e64 v18, 0, 1, s8
	s_or_b32 exec_lo, exec_lo, s30
	s_and_saveexec_b32 s9, s7
	s_cbranch_execz .LBB751_57
.LBB751_233:
	v_and_b32_e32 v25, 1, v21
	v_cmp_lt_i64_e64 s7, v[9:10], v[1:2]
	s_delay_alu instid0(VALU_DEP_2) | instskip(SKIP_1) | instid1(VALU_DEP_2)
	v_cmp_eq_u32_e64 s8, 1, v25
	v_and_b32_e32 v25, 1, v17
	s_and_b32 s7, s8, s7
	v_cndmask_b32_e64 v17, v17, 1, s8
	v_cndmask_b32_e64 v1, v1, v9, s7
	;; [unrolled: 1-line block ×3, first 2 shown]
	v_cmp_eq_u32_e64 s7, 1, v25
	s_delay_alu instid0(VALU_DEP_1) | instskip(NEXT) | instid1(VALU_DEP_3)
	v_cndmask_b32_e64 v17, v21, v17, s7
	v_cndmask_b32_e64 v2, v10, v2, s7
	;; [unrolled: 1-line block ×3, first 2 shown]
	s_or_b32 exec_lo, exec_lo, s9
	s_and_saveexec_b32 s8, s6
	s_cbranch_execz .LBB751_58
.LBB751_234:
	v_and_b32_e32 v9, 1, v24
	v_cmp_lt_i64_e64 s6, v[15:16], v[1:2]
	s_delay_alu instid0(VALU_DEP_2) | instskip(SKIP_1) | instid1(VALU_DEP_2)
	v_cmp_eq_u32_e64 s7, 1, v9
	v_and_b32_e32 v9, 1, v17
	s_and_b32 s6, s7, s6
	v_cndmask_b32_e64 v10, v17, 1, s7
	v_cndmask_b32_e64 v1, v1, v15, s6
	;; [unrolled: 1-line block ×3, first 2 shown]
	v_cmp_eq_u32_e64 s6, 1, v9
	s_delay_alu instid0(VALU_DEP_1) | instskip(NEXT) | instid1(VALU_DEP_3)
	v_cndmask_b32_e64 v17, v24, v10, s6
	v_cndmask_b32_e64 v2, v16, v2, s6
	;; [unrolled: 1-line block ×3, first 2 shown]
	s_or_b32 exec_lo, exec_lo, s8
	s_and_saveexec_b32 s7, s5
	s_cbranch_execz .LBB751_59
.LBB751_235:
	v_and_b32_e32 v9, 1, v20
	v_cmp_lt_i64_e64 s5, v[7:8], v[1:2]
	s_delay_alu instid0(VALU_DEP_2) | instskip(SKIP_1) | instid1(VALU_DEP_2)
	v_cmp_eq_u32_e64 s6, 1, v9
	v_and_b32_e32 v9, 1, v17
	s_and_b32 s5, s6, s5
	v_cndmask_b32_e64 v10, v17, 1, s6
	v_cndmask_b32_e64 v1, v1, v7, s5
	;; [unrolled: 1-line block ×3, first 2 shown]
	v_cmp_eq_u32_e64 s5, 1, v9
	s_delay_alu instid0(VALU_DEP_1) | instskip(NEXT) | instid1(VALU_DEP_3)
	v_cndmask_b32_e64 v17, v20, v10, s5
	v_cndmask_b32_e64 v2, v8, v2, s5
	;; [unrolled: 1-line block ×3, first 2 shown]
	s_or_b32 exec_lo, exec_lo, s7
	s_and_saveexec_b32 s6, s4
	s_cbranch_execz .LBB751_60
.LBB751_236:
	v_and_b32_e32 v7, 1, v23
	v_cmp_lt_i64_e64 s4, v[13:14], v[1:2]
	s_delay_alu instid0(VALU_DEP_2) | instskip(SKIP_1) | instid1(VALU_DEP_2)
	v_cmp_eq_u32_e64 s5, 1, v7
	v_and_b32_e32 v7, 1, v17
	s_and_b32 s4, s5, s4
	v_cndmask_b32_e64 v8, v17, 1, s5
	v_cndmask_b32_e64 v1, v1, v13, s4
	;; [unrolled: 1-line block ×3, first 2 shown]
	v_cmp_eq_u32_e64 s4, 1, v7
	s_delay_alu instid0(VALU_DEP_1) | instskip(NEXT) | instid1(VALU_DEP_3)
	v_cndmask_b32_e64 v17, v23, v8, s4
	v_cndmask_b32_e64 v2, v14, v2, s4
	;; [unrolled: 1-line block ×3, first 2 shown]
	s_or_b32 exec_lo, exec_lo, s6
	s_and_saveexec_b32 s5, s3
	s_cbranch_execz .LBB751_61
.LBB751_237:
	v_and_b32_e32 v7, 1, v19
	v_cmp_lt_i64_e64 s3, v[5:6], v[1:2]
	s_delay_alu instid0(VALU_DEP_2) | instskip(SKIP_1) | instid1(VALU_DEP_2)
	v_cmp_eq_u32_e64 s4, 1, v7
	v_and_b32_e32 v7, 1, v17
	s_and_b32 s3, s4, s3
	v_cndmask_b32_e64 v8, v17, 1, s4
	v_cndmask_b32_e64 v1, v1, v5, s3
	;; [unrolled: 1-line block ×3, first 2 shown]
	v_cmp_eq_u32_e64 s3, 1, v7
	s_delay_alu instid0(VALU_DEP_1) | instskip(NEXT) | instid1(VALU_DEP_3)
	v_cndmask_b32_e64 v17, v19, v8, s3
	v_cndmask_b32_e64 v2, v6, v2, s3
	;; [unrolled: 1-line block ×3, first 2 shown]
	s_or_b32 exec_lo, exec_lo, s5
	s_and_saveexec_b32 s4, s2
	s_cbranch_execz .LBB751_62
.LBB751_238:
	v_and_b32_e32 v5, 1, v22
	v_cmp_lt_i64_e64 s2, v[11:12], v[1:2]
	s_delay_alu instid0(VALU_DEP_2) | instskip(SKIP_1) | instid1(VALU_DEP_2)
	v_cmp_eq_u32_e64 s3, 1, v5
	v_and_b32_e32 v5, 1, v17
	s_and_b32 s2, s3, s2
	v_cndmask_b32_e64 v6, v17, 1, s3
	v_cndmask_b32_e64 v1, v1, v11, s2
	;; [unrolled: 1-line block ×3, first 2 shown]
	v_cmp_eq_u32_e64 s2, 1, v5
	s_delay_alu instid0(VALU_DEP_1) | instskip(NEXT) | instid1(VALU_DEP_3)
	v_cndmask_b32_e64 v17, v22, v6, s2
	v_cndmask_b32_e64 v2, v12, v2, s2
	;; [unrolled: 1-line block ×3, first 2 shown]
	s_or_b32 exec_lo, exec_lo, s4
	s_and_saveexec_b32 s3, vcc_lo
	s_cbranch_execnz .LBB751_63
	s_branch .LBB751_64
.LBB751_239:
	v_lshlrev_b32_e32 v3, 9, v13
	s_clause 0x1
	global_load_u8 v10, v3, s[6:7]
	global_load_u8 v14, v3, s[8:9]
	v_add_co_u32 v3, s4, s5, v13
	s_delay_alu instid0(VALU_DEP_1) | instskip(SKIP_2) | instid1(VALU_DEP_1)
	v_add_co_ci_u32_e64 v4, null, s23, 0, s4
	s_waitcnt vmcnt(0)
	v_cmp_ne_u16_e64 s4, v10, v14
	v_cndmask_b32_e64 v10, 0, 1, s4
	s_or_b32 exec_lo, exec_lo, s27
	s_and_saveexec_b32 s5, s3
	s_cbranch_execz .LBB751_100
.LBB751_240:
	v_and_b32_e32 v13, 1, v11
	v_cmp_lt_i64_e64 s3, v[5:6], v[1:2]
	s_delay_alu instid0(VALU_DEP_2) | instskip(SKIP_1) | instid1(VALU_DEP_2)
	v_cmp_eq_u32_e64 s4, 1, v13
	v_and_b32_e32 v13, 1, v9
	s_and_b32 s3, s4, s3
	v_cndmask_b32_e64 v9, v9, 1, s4
	v_cndmask_b32_e64 v1, v1, v5, s3
	;; [unrolled: 1-line block ×3, first 2 shown]
	v_cmp_eq_u32_e64 s3, 1, v13
	s_delay_alu instid0(VALU_DEP_1) | instskip(NEXT) | instid1(VALU_DEP_3)
	v_cndmask_b32_e64 v9, v11, v9, s3
	v_cndmask_b32_e64 v2, v6, v2, s3
	;; [unrolled: 1-line block ×3, first 2 shown]
	s_or_b32 exec_lo, exec_lo, s5
	s_and_saveexec_b32 s4, s2
	s_cbranch_execz .LBB751_101
.LBB751_241:
	v_and_b32_e32 v5, 1, v12
	v_cmp_lt_i64_e64 s2, v[7:8], v[1:2]
	s_delay_alu instid0(VALU_DEP_2) | instskip(SKIP_1) | instid1(VALU_DEP_2)
	v_cmp_eq_u32_e64 s3, 1, v5
	v_and_b32_e32 v5, 1, v9
	s_and_b32 s2, s3, s2
	v_cndmask_b32_e64 v6, v9, 1, s3
	v_cndmask_b32_e64 v1, v1, v7, s2
	;; [unrolled: 1-line block ×3, first 2 shown]
	v_cmp_eq_u32_e64 s2, 1, v5
	s_delay_alu instid0(VALU_DEP_1) | instskip(NEXT) | instid1(VALU_DEP_3)
	v_cndmask_b32_e64 v9, v12, v6, s2
	v_cndmask_b32_e64 v2, v8, v2, s2
	;; [unrolled: 1-line block ×3, first 2 shown]
	s_or_b32 exec_lo, exec_lo, s4
	s_and_saveexec_b32 s3, vcc_lo
	s_cbranch_execnz .LBB751_102
	s_branch .LBB751_103
	.section	.rodata,"a",@progbits
	.p2align	6, 0x0
	.amdhsa_kernel _ZN7rocprim17ROCPRIM_400000_NS6detail17trampoline_kernelINS0_14default_configENS1_22reduce_config_selectorIN6thrust23THRUST_200600_302600_NS5tupleIblNS6_9null_typeES8_S8_S8_S8_S8_S8_S8_EEEEZNS1_11reduce_implILb1ES3_NS6_12zip_iteratorINS7_INS6_11hip_rocprim26transform_input_iterator_tIbNSD_35transform_pair_of_input_iterators_tIbNS6_6detail15normal_iteratorINS6_10device_ptrIK10large_dataEEEESM_NS6_8equal_toISJ_EEEENSG_9not_fun_tINSD_8identityEEEEENSD_19counting_iterator_tIlEES8_S8_S8_S8_S8_S8_S8_S8_EEEEPS9_S9_NSD_9__find_if7functorIS9_EEEE10hipError_tPvRmT1_T2_T3_mT4_P12ihipStream_tbEUlT_E1_NS1_11comp_targetILNS1_3genE9ELNS1_11target_archE1100ELNS1_3gpuE3ELNS1_3repE0EEENS1_30default_config_static_selectorELNS0_4arch9wavefront6targetE0EEEvS15_
		.amdhsa_group_segment_fixed_size 640
		.amdhsa_private_segment_fixed_size 0
		.amdhsa_kernarg_size 88
		.amdhsa_user_sgpr_count 15
		.amdhsa_user_sgpr_dispatch_ptr 0
		.amdhsa_user_sgpr_queue_ptr 0
		.amdhsa_user_sgpr_kernarg_segment_ptr 1
		.amdhsa_user_sgpr_dispatch_id 0
		.amdhsa_user_sgpr_private_segment_size 0
		.amdhsa_wavefront_size32 1
		.amdhsa_uses_dynamic_stack 0
		.amdhsa_enable_private_segment 0
		.amdhsa_system_sgpr_workgroup_id_x 1
		.amdhsa_system_sgpr_workgroup_id_y 0
		.amdhsa_system_sgpr_workgroup_id_z 0
		.amdhsa_system_sgpr_workgroup_info 0
		.amdhsa_system_vgpr_workitem_id 0
		.amdhsa_next_free_vgpr 27
		.amdhsa_next_free_sgpr 32
		.amdhsa_reserve_vcc 1
		.amdhsa_float_round_mode_32 0
		.amdhsa_float_round_mode_16_64 0
		.amdhsa_float_denorm_mode_32 3
		.amdhsa_float_denorm_mode_16_64 3
		.amdhsa_dx10_clamp 1
		.amdhsa_ieee_mode 1
		.amdhsa_fp16_overflow 0
		.amdhsa_workgroup_processor_mode 1
		.amdhsa_memory_ordered 1
		.amdhsa_forward_progress 0
		.amdhsa_shared_vgpr_count 0
		.amdhsa_exception_fp_ieee_invalid_op 0
		.amdhsa_exception_fp_denorm_src 0
		.amdhsa_exception_fp_ieee_div_zero 0
		.amdhsa_exception_fp_ieee_overflow 0
		.amdhsa_exception_fp_ieee_underflow 0
		.amdhsa_exception_fp_ieee_inexact 0
		.amdhsa_exception_int_div_zero 0
	.end_amdhsa_kernel
	.section	.text._ZN7rocprim17ROCPRIM_400000_NS6detail17trampoline_kernelINS0_14default_configENS1_22reduce_config_selectorIN6thrust23THRUST_200600_302600_NS5tupleIblNS6_9null_typeES8_S8_S8_S8_S8_S8_S8_EEEEZNS1_11reduce_implILb1ES3_NS6_12zip_iteratorINS7_INS6_11hip_rocprim26transform_input_iterator_tIbNSD_35transform_pair_of_input_iterators_tIbNS6_6detail15normal_iteratorINS6_10device_ptrIK10large_dataEEEESM_NS6_8equal_toISJ_EEEENSG_9not_fun_tINSD_8identityEEEEENSD_19counting_iterator_tIlEES8_S8_S8_S8_S8_S8_S8_S8_EEEEPS9_S9_NSD_9__find_if7functorIS9_EEEE10hipError_tPvRmT1_T2_T3_mT4_P12ihipStream_tbEUlT_E1_NS1_11comp_targetILNS1_3genE9ELNS1_11target_archE1100ELNS1_3gpuE3ELNS1_3repE0EEENS1_30default_config_static_selectorELNS0_4arch9wavefront6targetE0EEEvS15_,"axG",@progbits,_ZN7rocprim17ROCPRIM_400000_NS6detail17trampoline_kernelINS0_14default_configENS1_22reduce_config_selectorIN6thrust23THRUST_200600_302600_NS5tupleIblNS6_9null_typeES8_S8_S8_S8_S8_S8_S8_EEEEZNS1_11reduce_implILb1ES3_NS6_12zip_iteratorINS7_INS6_11hip_rocprim26transform_input_iterator_tIbNSD_35transform_pair_of_input_iterators_tIbNS6_6detail15normal_iteratorINS6_10device_ptrIK10large_dataEEEESM_NS6_8equal_toISJ_EEEENSG_9not_fun_tINSD_8identityEEEEENSD_19counting_iterator_tIlEES8_S8_S8_S8_S8_S8_S8_S8_EEEEPS9_S9_NSD_9__find_if7functorIS9_EEEE10hipError_tPvRmT1_T2_T3_mT4_P12ihipStream_tbEUlT_E1_NS1_11comp_targetILNS1_3genE9ELNS1_11target_archE1100ELNS1_3gpuE3ELNS1_3repE0EEENS1_30default_config_static_selectorELNS0_4arch9wavefront6targetE0EEEvS15_,comdat
.Lfunc_end751:
	.size	_ZN7rocprim17ROCPRIM_400000_NS6detail17trampoline_kernelINS0_14default_configENS1_22reduce_config_selectorIN6thrust23THRUST_200600_302600_NS5tupleIblNS6_9null_typeES8_S8_S8_S8_S8_S8_S8_EEEEZNS1_11reduce_implILb1ES3_NS6_12zip_iteratorINS7_INS6_11hip_rocprim26transform_input_iterator_tIbNSD_35transform_pair_of_input_iterators_tIbNS6_6detail15normal_iteratorINS6_10device_ptrIK10large_dataEEEESM_NS6_8equal_toISJ_EEEENSG_9not_fun_tINSD_8identityEEEEENSD_19counting_iterator_tIlEES8_S8_S8_S8_S8_S8_S8_S8_EEEEPS9_S9_NSD_9__find_if7functorIS9_EEEE10hipError_tPvRmT1_T2_T3_mT4_P12ihipStream_tbEUlT_E1_NS1_11comp_targetILNS1_3genE9ELNS1_11target_archE1100ELNS1_3gpuE3ELNS1_3repE0EEENS1_30default_config_static_selectorELNS0_4arch9wavefront6targetE0EEEvS15_, .Lfunc_end751-_ZN7rocprim17ROCPRIM_400000_NS6detail17trampoline_kernelINS0_14default_configENS1_22reduce_config_selectorIN6thrust23THRUST_200600_302600_NS5tupleIblNS6_9null_typeES8_S8_S8_S8_S8_S8_S8_EEEEZNS1_11reduce_implILb1ES3_NS6_12zip_iteratorINS7_INS6_11hip_rocprim26transform_input_iterator_tIbNSD_35transform_pair_of_input_iterators_tIbNS6_6detail15normal_iteratorINS6_10device_ptrIK10large_dataEEEESM_NS6_8equal_toISJ_EEEENSG_9not_fun_tINSD_8identityEEEEENSD_19counting_iterator_tIlEES8_S8_S8_S8_S8_S8_S8_S8_EEEEPS9_S9_NSD_9__find_if7functorIS9_EEEE10hipError_tPvRmT1_T2_T3_mT4_P12ihipStream_tbEUlT_E1_NS1_11comp_targetILNS1_3genE9ELNS1_11target_archE1100ELNS1_3gpuE3ELNS1_3repE0EEENS1_30default_config_static_selectorELNS0_4arch9wavefront6targetE0EEEvS15_
                                        ; -- End function
	.section	.AMDGPU.csdata,"",@progbits
; Kernel info:
; codeLenInByte = 16508
; NumSgprs: 34
; NumVgprs: 27
; ScratchSize: 0
; MemoryBound: 0
; FloatMode: 240
; IeeeMode: 1
; LDSByteSize: 640 bytes/workgroup (compile time only)
; SGPRBlocks: 4
; VGPRBlocks: 3
; NumSGPRsForWavesPerEU: 34
; NumVGPRsForWavesPerEU: 27
; Occupancy: 16
; WaveLimiterHint : 0
; COMPUTE_PGM_RSRC2:SCRATCH_EN: 0
; COMPUTE_PGM_RSRC2:USER_SGPR: 15
; COMPUTE_PGM_RSRC2:TRAP_HANDLER: 0
; COMPUTE_PGM_RSRC2:TGID_X_EN: 1
; COMPUTE_PGM_RSRC2:TGID_Y_EN: 0
; COMPUTE_PGM_RSRC2:TGID_Z_EN: 0
; COMPUTE_PGM_RSRC2:TIDIG_COMP_CNT: 0
	.section	.text._ZN7rocprim17ROCPRIM_400000_NS6detail17trampoline_kernelINS0_14default_configENS1_22reduce_config_selectorIN6thrust23THRUST_200600_302600_NS5tupleIblNS6_9null_typeES8_S8_S8_S8_S8_S8_S8_EEEEZNS1_11reduce_implILb1ES3_NS6_12zip_iteratorINS7_INS6_11hip_rocprim26transform_input_iterator_tIbNSD_35transform_pair_of_input_iterators_tIbNS6_6detail15normal_iteratorINS6_10device_ptrIK10large_dataEEEESM_NS6_8equal_toISJ_EEEENSG_9not_fun_tINSD_8identityEEEEENSD_19counting_iterator_tIlEES8_S8_S8_S8_S8_S8_S8_S8_EEEEPS9_S9_NSD_9__find_if7functorIS9_EEEE10hipError_tPvRmT1_T2_T3_mT4_P12ihipStream_tbEUlT_E1_NS1_11comp_targetILNS1_3genE8ELNS1_11target_archE1030ELNS1_3gpuE2ELNS1_3repE0EEENS1_30default_config_static_selectorELNS0_4arch9wavefront6targetE0EEEvS15_,"axG",@progbits,_ZN7rocprim17ROCPRIM_400000_NS6detail17trampoline_kernelINS0_14default_configENS1_22reduce_config_selectorIN6thrust23THRUST_200600_302600_NS5tupleIblNS6_9null_typeES8_S8_S8_S8_S8_S8_S8_EEEEZNS1_11reduce_implILb1ES3_NS6_12zip_iteratorINS7_INS6_11hip_rocprim26transform_input_iterator_tIbNSD_35transform_pair_of_input_iterators_tIbNS6_6detail15normal_iteratorINS6_10device_ptrIK10large_dataEEEESM_NS6_8equal_toISJ_EEEENSG_9not_fun_tINSD_8identityEEEEENSD_19counting_iterator_tIlEES8_S8_S8_S8_S8_S8_S8_S8_EEEEPS9_S9_NSD_9__find_if7functorIS9_EEEE10hipError_tPvRmT1_T2_T3_mT4_P12ihipStream_tbEUlT_E1_NS1_11comp_targetILNS1_3genE8ELNS1_11target_archE1030ELNS1_3gpuE2ELNS1_3repE0EEENS1_30default_config_static_selectorELNS0_4arch9wavefront6targetE0EEEvS15_,comdat
	.protected	_ZN7rocprim17ROCPRIM_400000_NS6detail17trampoline_kernelINS0_14default_configENS1_22reduce_config_selectorIN6thrust23THRUST_200600_302600_NS5tupleIblNS6_9null_typeES8_S8_S8_S8_S8_S8_S8_EEEEZNS1_11reduce_implILb1ES3_NS6_12zip_iteratorINS7_INS6_11hip_rocprim26transform_input_iterator_tIbNSD_35transform_pair_of_input_iterators_tIbNS6_6detail15normal_iteratorINS6_10device_ptrIK10large_dataEEEESM_NS6_8equal_toISJ_EEEENSG_9not_fun_tINSD_8identityEEEEENSD_19counting_iterator_tIlEES8_S8_S8_S8_S8_S8_S8_S8_EEEEPS9_S9_NSD_9__find_if7functorIS9_EEEE10hipError_tPvRmT1_T2_T3_mT4_P12ihipStream_tbEUlT_E1_NS1_11comp_targetILNS1_3genE8ELNS1_11target_archE1030ELNS1_3gpuE2ELNS1_3repE0EEENS1_30default_config_static_selectorELNS0_4arch9wavefront6targetE0EEEvS15_ ; -- Begin function _ZN7rocprim17ROCPRIM_400000_NS6detail17trampoline_kernelINS0_14default_configENS1_22reduce_config_selectorIN6thrust23THRUST_200600_302600_NS5tupleIblNS6_9null_typeES8_S8_S8_S8_S8_S8_S8_EEEEZNS1_11reduce_implILb1ES3_NS6_12zip_iteratorINS7_INS6_11hip_rocprim26transform_input_iterator_tIbNSD_35transform_pair_of_input_iterators_tIbNS6_6detail15normal_iteratorINS6_10device_ptrIK10large_dataEEEESM_NS6_8equal_toISJ_EEEENSG_9not_fun_tINSD_8identityEEEEENSD_19counting_iterator_tIlEES8_S8_S8_S8_S8_S8_S8_S8_EEEEPS9_S9_NSD_9__find_if7functorIS9_EEEE10hipError_tPvRmT1_T2_T3_mT4_P12ihipStream_tbEUlT_E1_NS1_11comp_targetILNS1_3genE8ELNS1_11target_archE1030ELNS1_3gpuE2ELNS1_3repE0EEENS1_30default_config_static_selectorELNS0_4arch9wavefront6targetE0EEEvS15_
	.globl	_ZN7rocprim17ROCPRIM_400000_NS6detail17trampoline_kernelINS0_14default_configENS1_22reduce_config_selectorIN6thrust23THRUST_200600_302600_NS5tupleIblNS6_9null_typeES8_S8_S8_S8_S8_S8_S8_EEEEZNS1_11reduce_implILb1ES3_NS6_12zip_iteratorINS7_INS6_11hip_rocprim26transform_input_iterator_tIbNSD_35transform_pair_of_input_iterators_tIbNS6_6detail15normal_iteratorINS6_10device_ptrIK10large_dataEEEESM_NS6_8equal_toISJ_EEEENSG_9not_fun_tINSD_8identityEEEEENSD_19counting_iterator_tIlEES8_S8_S8_S8_S8_S8_S8_S8_EEEEPS9_S9_NSD_9__find_if7functorIS9_EEEE10hipError_tPvRmT1_T2_T3_mT4_P12ihipStream_tbEUlT_E1_NS1_11comp_targetILNS1_3genE8ELNS1_11target_archE1030ELNS1_3gpuE2ELNS1_3repE0EEENS1_30default_config_static_selectorELNS0_4arch9wavefront6targetE0EEEvS15_
	.p2align	8
	.type	_ZN7rocprim17ROCPRIM_400000_NS6detail17trampoline_kernelINS0_14default_configENS1_22reduce_config_selectorIN6thrust23THRUST_200600_302600_NS5tupleIblNS6_9null_typeES8_S8_S8_S8_S8_S8_S8_EEEEZNS1_11reduce_implILb1ES3_NS6_12zip_iteratorINS7_INS6_11hip_rocprim26transform_input_iterator_tIbNSD_35transform_pair_of_input_iterators_tIbNS6_6detail15normal_iteratorINS6_10device_ptrIK10large_dataEEEESM_NS6_8equal_toISJ_EEEENSG_9not_fun_tINSD_8identityEEEEENSD_19counting_iterator_tIlEES8_S8_S8_S8_S8_S8_S8_S8_EEEEPS9_S9_NSD_9__find_if7functorIS9_EEEE10hipError_tPvRmT1_T2_T3_mT4_P12ihipStream_tbEUlT_E1_NS1_11comp_targetILNS1_3genE8ELNS1_11target_archE1030ELNS1_3gpuE2ELNS1_3repE0EEENS1_30default_config_static_selectorELNS0_4arch9wavefront6targetE0EEEvS15_,@function
_ZN7rocprim17ROCPRIM_400000_NS6detail17trampoline_kernelINS0_14default_configENS1_22reduce_config_selectorIN6thrust23THRUST_200600_302600_NS5tupleIblNS6_9null_typeES8_S8_S8_S8_S8_S8_S8_EEEEZNS1_11reduce_implILb1ES3_NS6_12zip_iteratorINS7_INS6_11hip_rocprim26transform_input_iterator_tIbNSD_35transform_pair_of_input_iterators_tIbNS6_6detail15normal_iteratorINS6_10device_ptrIK10large_dataEEEESM_NS6_8equal_toISJ_EEEENSG_9not_fun_tINSD_8identityEEEEENSD_19counting_iterator_tIlEES8_S8_S8_S8_S8_S8_S8_S8_EEEEPS9_S9_NSD_9__find_if7functorIS9_EEEE10hipError_tPvRmT1_T2_T3_mT4_P12ihipStream_tbEUlT_E1_NS1_11comp_targetILNS1_3genE8ELNS1_11target_archE1030ELNS1_3gpuE2ELNS1_3repE0EEENS1_30default_config_static_selectorELNS0_4arch9wavefront6targetE0EEEvS15_: ; @_ZN7rocprim17ROCPRIM_400000_NS6detail17trampoline_kernelINS0_14default_configENS1_22reduce_config_selectorIN6thrust23THRUST_200600_302600_NS5tupleIblNS6_9null_typeES8_S8_S8_S8_S8_S8_S8_EEEEZNS1_11reduce_implILb1ES3_NS6_12zip_iteratorINS7_INS6_11hip_rocprim26transform_input_iterator_tIbNSD_35transform_pair_of_input_iterators_tIbNS6_6detail15normal_iteratorINS6_10device_ptrIK10large_dataEEEESM_NS6_8equal_toISJ_EEEENSG_9not_fun_tINSD_8identityEEEEENSD_19counting_iterator_tIlEES8_S8_S8_S8_S8_S8_S8_S8_EEEEPS9_S9_NSD_9__find_if7functorIS9_EEEE10hipError_tPvRmT1_T2_T3_mT4_P12ihipStream_tbEUlT_E1_NS1_11comp_targetILNS1_3genE8ELNS1_11target_archE1030ELNS1_3gpuE2ELNS1_3repE0EEENS1_30default_config_static_selectorELNS0_4arch9wavefront6targetE0EEEvS15_
; %bb.0:
	.section	.rodata,"a",@progbits
	.p2align	6, 0x0
	.amdhsa_kernel _ZN7rocprim17ROCPRIM_400000_NS6detail17trampoline_kernelINS0_14default_configENS1_22reduce_config_selectorIN6thrust23THRUST_200600_302600_NS5tupleIblNS6_9null_typeES8_S8_S8_S8_S8_S8_S8_EEEEZNS1_11reduce_implILb1ES3_NS6_12zip_iteratorINS7_INS6_11hip_rocprim26transform_input_iterator_tIbNSD_35transform_pair_of_input_iterators_tIbNS6_6detail15normal_iteratorINS6_10device_ptrIK10large_dataEEEESM_NS6_8equal_toISJ_EEEENSG_9not_fun_tINSD_8identityEEEEENSD_19counting_iterator_tIlEES8_S8_S8_S8_S8_S8_S8_S8_EEEEPS9_S9_NSD_9__find_if7functorIS9_EEEE10hipError_tPvRmT1_T2_T3_mT4_P12ihipStream_tbEUlT_E1_NS1_11comp_targetILNS1_3genE8ELNS1_11target_archE1030ELNS1_3gpuE2ELNS1_3repE0EEENS1_30default_config_static_selectorELNS0_4arch9wavefront6targetE0EEEvS15_
		.amdhsa_group_segment_fixed_size 0
		.amdhsa_private_segment_fixed_size 0
		.amdhsa_kernarg_size 88
		.amdhsa_user_sgpr_count 15
		.amdhsa_user_sgpr_dispatch_ptr 0
		.amdhsa_user_sgpr_queue_ptr 0
		.amdhsa_user_sgpr_kernarg_segment_ptr 1
		.amdhsa_user_sgpr_dispatch_id 0
		.amdhsa_user_sgpr_private_segment_size 0
		.amdhsa_wavefront_size32 1
		.amdhsa_uses_dynamic_stack 0
		.amdhsa_enable_private_segment 0
		.amdhsa_system_sgpr_workgroup_id_x 1
		.amdhsa_system_sgpr_workgroup_id_y 0
		.amdhsa_system_sgpr_workgroup_id_z 0
		.amdhsa_system_sgpr_workgroup_info 0
		.amdhsa_system_vgpr_workitem_id 0
		.amdhsa_next_free_vgpr 1
		.amdhsa_next_free_sgpr 1
		.amdhsa_reserve_vcc 0
		.amdhsa_float_round_mode_32 0
		.amdhsa_float_round_mode_16_64 0
		.amdhsa_float_denorm_mode_32 3
		.amdhsa_float_denorm_mode_16_64 3
		.amdhsa_dx10_clamp 1
		.amdhsa_ieee_mode 1
		.amdhsa_fp16_overflow 0
		.amdhsa_workgroup_processor_mode 1
		.amdhsa_memory_ordered 1
		.amdhsa_forward_progress 0
		.amdhsa_shared_vgpr_count 0
		.amdhsa_exception_fp_ieee_invalid_op 0
		.amdhsa_exception_fp_denorm_src 0
		.amdhsa_exception_fp_ieee_div_zero 0
		.amdhsa_exception_fp_ieee_overflow 0
		.amdhsa_exception_fp_ieee_underflow 0
		.amdhsa_exception_fp_ieee_inexact 0
		.amdhsa_exception_int_div_zero 0
	.end_amdhsa_kernel
	.section	.text._ZN7rocprim17ROCPRIM_400000_NS6detail17trampoline_kernelINS0_14default_configENS1_22reduce_config_selectorIN6thrust23THRUST_200600_302600_NS5tupleIblNS6_9null_typeES8_S8_S8_S8_S8_S8_S8_EEEEZNS1_11reduce_implILb1ES3_NS6_12zip_iteratorINS7_INS6_11hip_rocprim26transform_input_iterator_tIbNSD_35transform_pair_of_input_iterators_tIbNS6_6detail15normal_iteratorINS6_10device_ptrIK10large_dataEEEESM_NS6_8equal_toISJ_EEEENSG_9not_fun_tINSD_8identityEEEEENSD_19counting_iterator_tIlEES8_S8_S8_S8_S8_S8_S8_S8_EEEEPS9_S9_NSD_9__find_if7functorIS9_EEEE10hipError_tPvRmT1_T2_T3_mT4_P12ihipStream_tbEUlT_E1_NS1_11comp_targetILNS1_3genE8ELNS1_11target_archE1030ELNS1_3gpuE2ELNS1_3repE0EEENS1_30default_config_static_selectorELNS0_4arch9wavefront6targetE0EEEvS15_,"axG",@progbits,_ZN7rocprim17ROCPRIM_400000_NS6detail17trampoline_kernelINS0_14default_configENS1_22reduce_config_selectorIN6thrust23THRUST_200600_302600_NS5tupleIblNS6_9null_typeES8_S8_S8_S8_S8_S8_S8_EEEEZNS1_11reduce_implILb1ES3_NS6_12zip_iteratorINS7_INS6_11hip_rocprim26transform_input_iterator_tIbNSD_35transform_pair_of_input_iterators_tIbNS6_6detail15normal_iteratorINS6_10device_ptrIK10large_dataEEEESM_NS6_8equal_toISJ_EEEENSG_9not_fun_tINSD_8identityEEEEENSD_19counting_iterator_tIlEES8_S8_S8_S8_S8_S8_S8_S8_EEEEPS9_S9_NSD_9__find_if7functorIS9_EEEE10hipError_tPvRmT1_T2_T3_mT4_P12ihipStream_tbEUlT_E1_NS1_11comp_targetILNS1_3genE8ELNS1_11target_archE1030ELNS1_3gpuE2ELNS1_3repE0EEENS1_30default_config_static_selectorELNS0_4arch9wavefront6targetE0EEEvS15_,comdat
.Lfunc_end752:
	.size	_ZN7rocprim17ROCPRIM_400000_NS6detail17trampoline_kernelINS0_14default_configENS1_22reduce_config_selectorIN6thrust23THRUST_200600_302600_NS5tupleIblNS6_9null_typeES8_S8_S8_S8_S8_S8_S8_EEEEZNS1_11reduce_implILb1ES3_NS6_12zip_iteratorINS7_INS6_11hip_rocprim26transform_input_iterator_tIbNSD_35transform_pair_of_input_iterators_tIbNS6_6detail15normal_iteratorINS6_10device_ptrIK10large_dataEEEESM_NS6_8equal_toISJ_EEEENSG_9not_fun_tINSD_8identityEEEEENSD_19counting_iterator_tIlEES8_S8_S8_S8_S8_S8_S8_S8_EEEEPS9_S9_NSD_9__find_if7functorIS9_EEEE10hipError_tPvRmT1_T2_T3_mT4_P12ihipStream_tbEUlT_E1_NS1_11comp_targetILNS1_3genE8ELNS1_11target_archE1030ELNS1_3gpuE2ELNS1_3repE0EEENS1_30default_config_static_selectorELNS0_4arch9wavefront6targetE0EEEvS15_, .Lfunc_end752-_ZN7rocprim17ROCPRIM_400000_NS6detail17trampoline_kernelINS0_14default_configENS1_22reduce_config_selectorIN6thrust23THRUST_200600_302600_NS5tupleIblNS6_9null_typeES8_S8_S8_S8_S8_S8_S8_EEEEZNS1_11reduce_implILb1ES3_NS6_12zip_iteratorINS7_INS6_11hip_rocprim26transform_input_iterator_tIbNSD_35transform_pair_of_input_iterators_tIbNS6_6detail15normal_iteratorINS6_10device_ptrIK10large_dataEEEESM_NS6_8equal_toISJ_EEEENSG_9not_fun_tINSD_8identityEEEEENSD_19counting_iterator_tIlEES8_S8_S8_S8_S8_S8_S8_S8_EEEEPS9_S9_NSD_9__find_if7functorIS9_EEEE10hipError_tPvRmT1_T2_T3_mT4_P12ihipStream_tbEUlT_E1_NS1_11comp_targetILNS1_3genE8ELNS1_11target_archE1030ELNS1_3gpuE2ELNS1_3repE0EEENS1_30default_config_static_selectorELNS0_4arch9wavefront6targetE0EEEvS15_
                                        ; -- End function
	.section	.AMDGPU.csdata,"",@progbits
; Kernel info:
; codeLenInByte = 0
; NumSgprs: 0
; NumVgprs: 0
; ScratchSize: 0
; MemoryBound: 0
; FloatMode: 240
; IeeeMode: 1
; LDSByteSize: 0 bytes/workgroup (compile time only)
; SGPRBlocks: 0
; VGPRBlocks: 0
; NumSGPRsForWavesPerEU: 1
; NumVGPRsForWavesPerEU: 1
; Occupancy: 16
; WaveLimiterHint : 0
; COMPUTE_PGM_RSRC2:SCRATCH_EN: 0
; COMPUTE_PGM_RSRC2:USER_SGPR: 15
; COMPUTE_PGM_RSRC2:TRAP_HANDLER: 0
; COMPUTE_PGM_RSRC2:TGID_X_EN: 1
; COMPUTE_PGM_RSRC2:TGID_Y_EN: 0
; COMPUTE_PGM_RSRC2:TGID_Z_EN: 0
; COMPUTE_PGM_RSRC2:TIDIG_COMP_CNT: 0
	.section	.text._ZN6thrust23THRUST_200600_302600_NS11hip_rocprim14__parallel_for6kernelILj256ENS1_11__transform17unary_transform_fINS0_12zip_iteratorINS0_5tupleINS0_6detail15normal_iteratorINS0_10device_ptrIdEEEESC_NS0_9null_typeESD_SD_SD_SD_SD_SD_SD_EEEESF_NS4_14no_stencil_tagENS0_8identityINS7_IddSD_SD_SD_SD_SD_SD_SD_SD_EEEENS4_21always_true_predicateEEElLj1EEEvT0_T1_SN_,"axG",@progbits,_ZN6thrust23THRUST_200600_302600_NS11hip_rocprim14__parallel_for6kernelILj256ENS1_11__transform17unary_transform_fINS0_12zip_iteratorINS0_5tupleINS0_6detail15normal_iteratorINS0_10device_ptrIdEEEESC_NS0_9null_typeESD_SD_SD_SD_SD_SD_SD_EEEESF_NS4_14no_stencil_tagENS0_8identityINS7_IddSD_SD_SD_SD_SD_SD_SD_SD_EEEENS4_21always_true_predicateEEElLj1EEEvT0_T1_SN_,comdat
	.protected	_ZN6thrust23THRUST_200600_302600_NS11hip_rocprim14__parallel_for6kernelILj256ENS1_11__transform17unary_transform_fINS0_12zip_iteratorINS0_5tupleINS0_6detail15normal_iteratorINS0_10device_ptrIdEEEESC_NS0_9null_typeESD_SD_SD_SD_SD_SD_SD_EEEESF_NS4_14no_stencil_tagENS0_8identityINS7_IddSD_SD_SD_SD_SD_SD_SD_SD_EEEENS4_21always_true_predicateEEElLj1EEEvT0_T1_SN_ ; -- Begin function _ZN6thrust23THRUST_200600_302600_NS11hip_rocprim14__parallel_for6kernelILj256ENS1_11__transform17unary_transform_fINS0_12zip_iteratorINS0_5tupleINS0_6detail15normal_iteratorINS0_10device_ptrIdEEEESC_NS0_9null_typeESD_SD_SD_SD_SD_SD_SD_EEEESF_NS4_14no_stencil_tagENS0_8identityINS7_IddSD_SD_SD_SD_SD_SD_SD_SD_EEEENS4_21always_true_predicateEEElLj1EEEvT0_T1_SN_
	.globl	_ZN6thrust23THRUST_200600_302600_NS11hip_rocprim14__parallel_for6kernelILj256ENS1_11__transform17unary_transform_fINS0_12zip_iteratorINS0_5tupleINS0_6detail15normal_iteratorINS0_10device_ptrIdEEEESC_NS0_9null_typeESD_SD_SD_SD_SD_SD_SD_EEEESF_NS4_14no_stencil_tagENS0_8identityINS7_IddSD_SD_SD_SD_SD_SD_SD_SD_EEEENS4_21always_true_predicateEEElLj1EEEvT0_T1_SN_
	.p2align	8
	.type	_ZN6thrust23THRUST_200600_302600_NS11hip_rocprim14__parallel_for6kernelILj256ENS1_11__transform17unary_transform_fINS0_12zip_iteratorINS0_5tupleINS0_6detail15normal_iteratorINS0_10device_ptrIdEEEESC_NS0_9null_typeESD_SD_SD_SD_SD_SD_SD_EEEESF_NS4_14no_stencil_tagENS0_8identityINS7_IddSD_SD_SD_SD_SD_SD_SD_SD_EEEENS4_21always_true_predicateEEElLj1EEEvT0_T1_SN_,@function
_ZN6thrust23THRUST_200600_302600_NS11hip_rocprim14__parallel_for6kernelILj256ENS1_11__transform17unary_transform_fINS0_12zip_iteratorINS0_5tupleINS0_6detail15normal_iteratorINS0_10device_ptrIdEEEESC_NS0_9null_typeESD_SD_SD_SD_SD_SD_SD_EEEESF_NS4_14no_stencil_tagENS0_8identityINS7_IddSD_SD_SD_SD_SD_SD_SD_SD_EEEENS4_21always_true_predicateEEElLj1EEEvT0_T1_SN_: ; @_ZN6thrust23THRUST_200600_302600_NS11hip_rocprim14__parallel_for6kernelILj256ENS1_11__transform17unary_transform_fINS0_12zip_iteratorINS0_5tupleINS0_6detail15normal_iteratorINS0_10device_ptrIdEEEESC_NS0_9null_typeESD_SD_SD_SD_SD_SD_SD_EEEESF_NS4_14no_stencil_tagENS0_8identityINS7_IddSD_SD_SD_SD_SD_SD_SD_SD_EEEENS4_21always_true_predicateEEElLj1EEEvT0_T1_SN_
; %bb.0:
	s_clause 0x1
	s_load_b128 s[16:19], s[0:1], 0x28
	s_load_b256 s[0:7], s[0:1], 0x0
	s_lshl_b32 s8, s15, 8
	s_waitcnt lgkmcnt(0)
	s_add_u32 s8, s8, s18
	s_addc_u32 s9, 0, s19
	s_sub_u32 s10, s16, s8
	s_subb_u32 s11, s17, s9
	s_delay_alu instid0(SALU_CYCLE_1) | instskip(NEXT) | instid1(VALU_DEP_1)
	v_cmp_gt_i64_e64 s11, 0x100, s[10:11]
	s_and_b32 s11, s11, exec_lo
	s_cselect_b32 s11, s10, 0x100
	s_mov_b32 s10, -1
	s_cmpk_lg_i32 s11, 0x100
	s_cbranch_scc1 .LBB753_3
; %bb.1:
	s_and_not1_b32 vcc_lo, exec_lo, s10
	s_cbranch_vccz .LBB753_6
.LBB753_2:
	s_nop 0
	s_sendmsg sendmsg(MSG_DEALLOC_VGPRS)
	s_endpgm
.LBB753_3:
	s_mov_b32 s10, exec_lo
	v_cmpx_gt_u32_e64 s11, v0
	s_cbranch_execz .LBB753_5
; %bb.4:
	v_add_co_u32 v1, s11, s8, v0
	s_delay_alu instid0(VALU_DEP_1) | instskip(NEXT) | instid1(VALU_DEP_1)
	v_add_co_ci_u32_e64 v2, null, s9, 0, s11
	v_lshlrev_b64 v[1:2], 3, v[1:2]
	s_delay_alu instid0(VALU_DEP_1) | instskip(NEXT) | instid1(VALU_DEP_2)
	v_add_co_u32 v3, vcc_lo, s0, v1
	v_add_co_ci_u32_e32 v4, vcc_lo, s1, v2, vcc_lo
	v_add_co_u32 v5, vcc_lo, s2, v1
	v_add_co_ci_u32_e32 v6, vcc_lo, s3, v2, vcc_lo
	v_add_co_u32 v7, vcc_lo, s4, v1
	global_load_b64 v[3:4], v[3:4], off
	global_load_b64 v[5:6], v[5:6], off
	v_add_co_ci_u32_e32 v8, vcc_lo, s5, v2, vcc_lo
	v_add_co_u32 v1, vcc_lo, s6, v1
	v_add_co_ci_u32_e32 v2, vcc_lo, s7, v2, vcc_lo
	s_waitcnt vmcnt(1)
	global_store_b64 v[7:8], v[3:4], off
	s_waitcnt vmcnt(0)
	global_store_b64 v[1:2], v[5:6], off
.LBB753_5:
	s_or_b32 exec_lo, exec_lo, s10
	s_cbranch_execnz .LBB753_2
.LBB753_6:
	v_add_co_u32 v0, s8, s8, v0
	s_delay_alu instid0(VALU_DEP_1) | instskip(NEXT) | instid1(VALU_DEP_1)
	v_add_co_ci_u32_e64 v1, null, s9, 0, s8
	v_lshlrev_b64 v[0:1], 3, v[0:1]
	s_delay_alu instid0(VALU_DEP_1) | instskip(NEXT) | instid1(VALU_DEP_2)
	v_add_co_u32 v2, vcc_lo, s0, v0
	v_add_co_ci_u32_e32 v3, vcc_lo, s1, v1, vcc_lo
	v_add_co_u32 v4, vcc_lo, s2, v0
	v_add_co_ci_u32_e32 v5, vcc_lo, s3, v1, vcc_lo
	v_add_co_u32 v6, vcc_lo, s4, v0
	global_load_b64 v[2:3], v[2:3], off
	global_load_b64 v[4:5], v[4:5], off
	v_add_co_ci_u32_e32 v7, vcc_lo, s5, v1, vcc_lo
	v_add_co_u32 v0, vcc_lo, s6, v0
	v_add_co_ci_u32_e32 v1, vcc_lo, s7, v1, vcc_lo
	s_waitcnt vmcnt(1)
	global_store_b64 v[6:7], v[2:3], off
	s_waitcnt vmcnt(0)
	global_store_b64 v[0:1], v[4:5], off
	s_nop 0
	s_sendmsg sendmsg(MSG_DEALLOC_VGPRS)
	s_endpgm
	.section	.rodata,"a",@progbits
	.p2align	6, 0x0
	.amdhsa_kernel _ZN6thrust23THRUST_200600_302600_NS11hip_rocprim14__parallel_for6kernelILj256ENS1_11__transform17unary_transform_fINS0_12zip_iteratorINS0_5tupleINS0_6detail15normal_iteratorINS0_10device_ptrIdEEEESC_NS0_9null_typeESD_SD_SD_SD_SD_SD_SD_EEEESF_NS4_14no_stencil_tagENS0_8identityINS7_IddSD_SD_SD_SD_SD_SD_SD_SD_EEEENS4_21always_true_predicateEEElLj1EEEvT0_T1_SN_
		.amdhsa_group_segment_fixed_size 0
		.amdhsa_private_segment_fixed_size 0
		.amdhsa_kernarg_size 56
		.amdhsa_user_sgpr_count 15
		.amdhsa_user_sgpr_dispatch_ptr 0
		.amdhsa_user_sgpr_queue_ptr 0
		.amdhsa_user_sgpr_kernarg_segment_ptr 1
		.amdhsa_user_sgpr_dispatch_id 0
		.amdhsa_user_sgpr_private_segment_size 0
		.amdhsa_wavefront_size32 1
		.amdhsa_uses_dynamic_stack 0
		.amdhsa_enable_private_segment 0
		.amdhsa_system_sgpr_workgroup_id_x 1
		.amdhsa_system_sgpr_workgroup_id_y 0
		.amdhsa_system_sgpr_workgroup_id_z 0
		.amdhsa_system_sgpr_workgroup_info 0
		.amdhsa_system_vgpr_workitem_id 0
		.amdhsa_next_free_vgpr 9
		.amdhsa_next_free_sgpr 20
		.amdhsa_reserve_vcc 1
		.amdhsa_float_round_mode_32 0
		.amdhsa_float_round_mode_16_64 0
		.amdhsa_float_denorm_mode_32 3
		.amdhsa_float_denorm_mode_16_64 3
		.amdhsa_dx10_clamp 1
		.amdhsa_ieee_mode 1
		.amdhsa_fp16_overflow 0
		.amdhsa_workgroup_processor_mode 1
		.amdhsa_memory_ordered 1
		.amdhsa_forward_progress 0
		.amdhsa_shared_vgpr_count 0
		.amdhsa_exception_fp_ieee_invalid_op 0
		.amdhsa_exception_fp_denorm_src 0
		.amdhsa_exception_fp_ieee_div_zero 0
		.amdhsa_exception_fp_ieee_overflow 0
		.amdhsa_exception_fp_ieee_underflow 0
		.amdhsa_exception_fp_ieee_inexact 0
		.amdhsa_exception_int_div_zero 0
	.end_amdhsa_kernel
	.section	.text._ZN6thrust23THRUST_200600_302600_NS11hip_rocprim14__parallel_for6kernelILj256ENS1_11__transform17unary_transform_fINS0_12zip_iteratorINS0_5tupleINS0_6detail15normal_iteratorINS0_10device_ptrIdEEEESC_NS0_9null_typeESD_SD_SD_SD_SD_SD_SD_EEEESF_NS4_14no_stencil_tagENS0_8identityINS7_IddSD_SD_SD_SD_SD_SD_SD_SD_EEEENS4_21always_true_predicateEEElLj1EEEvT0_T1_SN_,"axG",@progbits,_ZN6thrust23THRUST_200600_302600_NS11hip_rocprim14__parallel_for6kernelILj256ENS1_11__transform17unary_transform_fINS0_12zip_iteratorINS0_5tupleINS0_6detail15normal_iteratorINS0_10device_ptrIdEEEESC_NS0_9null_typeESD_SD_SD_SD_SD_SD_SD_EEEESF_NS4_14no_stencil_tagENS0_8identityINS7_IddSD_SD_SD_SD_SD_SD_SD_SD_EEEENS4_21always_true_predicateEEElLj1EEEvT0_T1_SN_,comdat
.Lfunc_end753:
	.size	_ZN6thrust23THRUST_200600_302600_NS11hip_rocprim14__parallel_for6kernelILj256ENS1_11__transform17unary_transform_fINS0_12zip_iteratorINS0_5tupleINS0_6detail15normal_iteratorINS0_10device_ptrIdEEEESC_NS0_9null_typeESD_SD_SD_SD_SD_SD_SD_EEEESF_NS4_14no_stencil_tagENS0_8identityINS7_IddSD_SD_SD_SD_SD_SD_SD_SD_EEEENS4_21always_true_predicateEEElLj1EEEvT0_T1_SN_, .Lfunc_end753-_ZN6thrust23THRUST_200600_302600_NS11hip_rocprim14__parallel_for6kernelILj256ENS1_11__transform17unary_transform_fINS0_12zip_iteratorINS0_5tupleINS0_6detail15normal_iteratorINS0_10device_ptrIdEEEESC_NS0_9null_typeESD_SD_SD_SD_SD_SD_SD_EEEESF_NS4_14no_stencil_tagENS0_8identityINS7_IddSD_SD_SD_SD_SD_SD_SD_SD_EEEENS4_21always_true_predicateEEElLj1EEEvT0_T1_SN_
                                        ; -- End function
	.section	.AMDGPU.csdata,"",@progbits
; Kernel info:
; codeLenInByte = 380
; NumSgprs: 22
; NumVgprs: 9
; ScratchSize: 0
; MemoryBound: 0
; FloatMode: 240
; IeeeMode: 1
; LDSByteSize: 0 bytes/workgroup (compile time only)
; SGPRBlocks: 2
; VGPRBlocks: 1
; NumSGPRsForWavesPerEU: 22
; NumVGPRsForWavesPerEU: 9
; Occupancy: 16
; WaveLimiterHint : 0
; COMPUTE_PGM_RSRC2:SCRATCH_EN: 0
; COMPUTE_PGM_RSRC2:USER_SGPR: 15
; COMPUTE_PGM_RSRC2:TRAP_HANDLER: 0
; COMPUTE_PGM_RSRC2:TGID_X_EN: 1
; COMPUTE_PGM_RSRC2:TGID_Y_EN: 0
; COMPUTE_PGM_RSRC2:TGID_Z_EN: 0
; COMPUTE_PGM_RSRC2:TIDIG_COMP_CNT: 0
	.section	.text._ZN7rocprim17ROCPRIM_400000_NS6detail17trampoline_kernelINS0_14default_configENS1_22reduce_config_selectorIN6thrust23THRUST_200600_302600_NS5tupleIblNS6_9null_typeES8_S8_S8_S8_S8_S8_S8_EEEEZNS1_11reduce_implILb1ES3_NS6_12zip_iteratorINS7_INS6_11hip_rocprim26transform_input_iterator_tIbNSD_35transform_pair_of_input_iterators_tIbNS6_6detail15normal_iteratorINS6_10device_ptrIKdEEEESL_NS6_8equal_toIdEEEENSG_9not_fun_tINSD_8identityEEEEENSD_19counting_iterator_tIlEES8_S8_S8_S8_S8_S8_S8_S8_EEEEPS9_S9_NSD_9__find_if7functorIS9_EEEE10hipError_tPvRmT1_T2_T3_mT4_P12ihipStream_tbEUlT_E0_NS1_11comp_targetILNS1_3genE0ELNS1_11target_archE4294967295ELNS1_3gpuE0ELNS1_3repE0EEENS1_30default_config_static_selectorELNS0_4arch9wavefront6targetE0EEEvS14_,"axG",@progbits,_ZN7rocprim17ROCPRIM_400000_NS6detail17trampoline_kernelINS0_14default_configENS1_22reduce_config_selectorIN6thrust23THRUST_200600_302600_NS5tupleIblNS6_9null_typeES8_S8_S8_S8_S8_S8_S8_EEEEZNS1_11reduce_implILb1ES3_NS6_12zip_iteratorINS7_INS6_11hip_rocprim26transform_input_iterator_tIbNSD_35transform_pair_of_input_iterators_tIbNS6_6detail15normal_iteratorINS6_10device_ptrIKdEEEESL_NS6_8equal_toIdEEEENSG_9not_fun_tINSD_8identityEEEEENSD_19counting_iterator_tIlEES8_S8_S8_S8_S8_S8_S8_S8_EEEEPS9_S9_NSD_9__find_if7functorIS9_EEEE10hipError_tPvRmT1_T2_T3_mT4_P12ihipStream_tbEUlT_E0_NS1_11comp_targetILNS1_3genE0ELNS1_11target_archE4294967295ELNS1_3gpuE0ELNS1_3repE0EEENS1_30default_config_static_selectorELNS0_4arch9wavefront6targetE0EEEvS14_,comdat
	.protected	_ZN7rocprim17ROCPRIM_400000_NS6detail17trampoline_kernelINS0_14default_configENS1_22reduce_config_selectorIN6thrust23THRUST_200600_302600_NS5tupleIblNS6_9null_typeES8_S8_S8_S8_S8_S8_S8_EEEEZNS1_11reduce_implILb1ES3_NS6_12zip_iteratorINS7_INS6_11hip_rocprim26transform_input_iterator_tIbNSD_35transform_pair_of_input_iterators_tIbNS6_6detail15normal_iteratorINS6_10device_ptrIKdEEEESL_NS6_8equal_toIdEEEENSG_9not_fun_tINSD_8identityEEEEENSD_19counting_iterator_tIlEES8_S8_S8_S8_S8_S8_S8_S8_EEEEPS9_S9_NSD_9__find_if7functorIS9_EEEE10hipError_tPvRmT1_T2_T3_mT4_P12ihipStream_tbEUlT_E0_NS1_11comp_targetILNS1_3genE0ELNS1_11target_archE4294967295ELNS1_3gpuE0ELNS1_3repE0EEENS1_30default_config_static_selectorELNS0_4arch9wavefront6targetE0EEEvS14_ ; -- Begin function _ZN7rocprim17ROCPRIM_400000_NS6detail17trampoline_kernelINS0_14default_configENS1_22reduce_config_selectorIN6thrust23THRUST_200600_302600_NS5tupleIblNS6_9null_typeES8_S8_S8_S8_S8_S8_S8_EEEEZNS1_11reduce_implILb1ES3_NS6_12zip_iteratorINS7_INS6_11hip_rocprim26transform_input_iterator_tIbNSD_35transform_pair_of_input_iterators_tIbNS6_6detail15normal_iteratorINS6_10device_ptrIKdEEEESL_NS6_8equal_toIdEEEENSG_9not_fun_tINSD_8identityEEEEENSD_19counting_iterator_tIlEES8_S8_S8_S8_S8_S8_S8_S8_EEEEPS9_S9_NSD_9__find_if7functorIS9_EEEE10hipError_tPvRmT1_T2_T3_mT4_P12ihipStream_tbEUlT_E0_NS1_11comp_targetILNS1_3genE0ELNS1_11target_archE4294967295ELNS1_3gpuE0ELNS1_3repE0EEENS1_30default_config_static_selectorELNS0_4arch9wavefront6targetE0EEEvS14_
	.globl	_ZN7rocprim17ROCPRIM_400000_NS6detail17trampoline_kernelINS0_14default_configENS1_22reduce_config_selectorIN6thrust23THRUST_200600_302600_NS5tupleIblNS6_9null_typeES8_S8_S8_S8_S8_S8_S8_EEEEZNS1_11reduce_implILb1ES3_NS6_12zip_iteratorINS7_INS6_11hip_rocprim26transform_input_iterator_tIbNSD_35transform_pair_of_input_iterators_tIbNS6_6detail15normal_iteratorINS6_10device_ptrIKdEEEESL_NS6_8equal_toIdEEEENSG_9not_fun_tINSD_8identityEEEEENSD_19counting_iterator_tIlEES8_S8_S8_S8_S8_S8_S8_S8_EEEEPS9_S9_NSD_9__find_if7functorIS9_EEEE10hipError_tPvRmT1_T2_T3_mT4_P12ihipStream_tbEUlT_E0_NS1_11comp_targetILNS1_3genE0ELNS1_11target_archE4294967295ELNS1_3gpuE0ELNS1_3repE0EEENS1_30default_config_static_selectorELNS0_4arch9wavefront6targetE0EEEvS14_
	.p2align	8
	.type	_ZN7rocprim17ROCPRIM_400000_NS6detail17trampoline_kernelINS0_14default_configENS1_22reduce_config_selectorIN6thrust23THRUST_200600_302600_NS5tupleIblNS6_9null_typeES8_S8_S8_S8_S8_S8_S8_EEEEZNS1_11reduce_implILb1ES3_NS6_12zip_iteratorINS7_INS6_11hip_rocprim26transform_input_iterator_tIbNSD_35transform_pair_of_input_iterators_tIbNS6_6detail15normal_iteratorINS6_10device_ptrIKdEEEESL_NS6_8equal_toIdEEEENSG_9not_fun_tINSD_8identityEEEEENSD_19counting_iterator_tIlEES8_S8_S8_S8_S8_S8_S8_S8_EEEEPS9_S9_NSD_9__find_if7functorIS9_EEEE10hipError_tPvRmT1_T2_T3_mT4_P12ihipStream_tbEUlT_E0_NS1_11comp_targetILNS1_3genE0ELNS1_11target_archE4294967295ELNS1_3gpuE0ELNS1_3repE0EEENS1_30default_config_static_selectorELNS0_4arch9wavefront6targetE0EEEvS14_,@function
_ZN7rocprim17ROCPRIM_400000_NS6detail17trampoline_kernelINS0_14default_configENS1_22reduce_config_selectorIN6thrust23THRUST_200600_302600_NS5tupleIblNS6_9null_typeES8_S8_S8_S8_S8_S8_S8_EEEEZNS1_11reduce_implILb1ES3_NS6_12zip_iteratorINS7_INS6_11hip_rocprim26transform_input_iterator_tIbNSD_35transform_pair_of_input_iterators_tIbNS6_6detail15normal_iteratorINS6_10device_ptrIKdEEEESL_NS6_8equal_toIdEEEENSG_9not_fun_tINSD_8identityEEEEENSD_19counting_iterator_tIlEES8_S8_S8_S8_S8_S8_S8_S8_EEEEPS9_S9_NSD_9__find_if7functorIS9_EEEE10hipError_tPvRmT1_T2_T3_mT4_P12ihipStream_tbEUlT_E0_NS1_11comp_targetILNS1_3genE0ELNS1_11target_archE4294967295ELNS1_3gpuE0ELNS1_3repE0EEENS1_30default_config_static_selectorELNS0_4arch9wavefront6targetE0EEEvS14_: ; @_ZN7rocprim17ROCPRIM_400000_NS6detail17trampoline_kernelINS0_14default_configENS1_22reduce_config_selectorIN6thrust23THRUST_200600_302600_NS5tupleIblNS6_9null_typeES8_S8_S8_S8_S8_S8_S8_EEEEZNS1_11reduce_implILb1ES3_NS6_12zip_iteratorINS7_INS6_11hip_rocprim26transform_input_iterator_tIbNSD_35transform_pair_of_input_iterators_tIbNS6_6detail15normal_iteratorINS6_10device_ptrIKdEEEESL_NS6_8equal_toIdEEEENSG_9not_fun_tINSD_8identityEEEEENSD_19counting_iterator_tIlEES8_S8_S8_S8_S8_S8_S8_S8_EEEEPS9_S9_NSD_9__find_if7functorIS9_EEEE10hipError_tPvRmT1_T2_T3_mT4_P12ihipStream_tbEUlT_E0_NS1_11comp_targetILNS1_3genE0ELNS1_11target_archE4294967295ELNS1_3gpuE0ELNS1_3repE0EEENS1_30default_config_static_selectorELNS0_4arch9wavefront6targetE0EEEvS14_
; %bb.0:
	.section	.rodata,"a",@progbits
	.p2align	6, 0x0
	.amdhsa_kernel _ZN7rocprim17ROCPRIM_400000_NS6detail17trampoline_kernelINS0_14default_configENS1_22reduce_config_selectorIN6thrust23THRUST_200600_302600_NS5tupleIblNS6_9null_typeES8_S8_S8_S8_S8_S8_S8_EEEEZNS1_11reduce_implILb1ES3_NS6_12zip_iteratorINS7_INS6_11hip_rocprim26transform_input_iterator_tIbNSD_35transform_pair_of_input_iterators_tIbNS6_6detail15normal_iteratorINS6_10device_ptrIKdEEEESL_NS6_8equal_toIdEEEENSG_9not_fun_tINSD_8identityEEEEENSD_19counting_iterator_tIlEES8_S8_S8_S8_S8_S8_S8_S8_EEEEPS9_S9_NSD_9__find_if7functorIS9_EEEE10hipError_tPvRmT1_T2_T3_mT4_P12ihipStream_tbEUlT_E0_NS1_11comp_targetILNS1_3genE0ELNS1_11target_archE4294967295ELNS1_3gpuE0ELNS1_3repE0EEENS1_30default_config_static_selectorELNS0_4arch9wavefront6targetE0EEEvS14_
		.amdhsa_group_segment_fixed_size 0
		.amdhsa_private_segment_fixed_size 0
		.amdhsa_kernarg_size 104
		.amdhsa_user_sgpr_count 15
		.amdhsa_user_sgpr_dispatch_ptr 0
		.amdhsa_user_sgpr_queue_ptr 0
		.amdhsa_user_sgpr_kernarg_segment_ptr 1
		.amdhsa_user_sgpr_dispatch_id 0
		.amdhsa_user_sgpr_private_segment_size 0
		.amdhsa_wavefront_size32 1
		.amdhsa_uses_dynamic_stack 0
		.amdhsa_enable_private_segment 0
		.amdhsa_system_sgpr_workgroup_id_x 1
		.amdhsa_system_sgpr_workgroup_id_y 0
		.amdhsa_system_sgpr_workgroup_id_z 0
		.amdhsa_system_sgpr_workgroup_info 0
		.amdhsa_system_vgpr_workitem_id 0
		.amdhsa_next_free_vgpr 1
		.amdhsa_next_free_sgpr 1
		.amdhsa_reserve_vcc 0
		.amdhsa_float_round_mode_32 0
		.amdhsa_float_round_mode_16_64 0
		.amdhsa_float_denorm_mode_32 3
		.amdhsa_float_denorm_mode_16_64 3
		.amdhsa_dx10_clamp 1
		.amdhsa_ieee_mode 1
		.amdhsa_fp16_overflow 0
		.amdhsa_workgroup_processor_mode 1
		.amdhsa_memory_ordered 1
		.amdhsa_forward_progress 0
		.amdhsa_shared_vgpr_count 0
		.amdhsa_exception_fp_ieee_invalid_op 0
		.amdhsa_exception_fp_denorm_src 0
		.amdhsa_exception_fp_ieee_div_zero 0
		.amdhsa_exception_fp_ieee_overflow 0
		.amdhsa_exception_fp_ieee_underflow 0
		.amdhsa_exception_fp_ieee_inexact 0
		.amdhsa_exception_int_div_zero 0
	.end_amdhsa_kernel
	.section	.text._ZN7rocprim17ROCPRIM_400000_NS6detail17trampoline_kernelINS0_14default_configENS1_22reduce_config_selectorIN6thrust23THRUST_200600_302600_NS5tupleIblNS6_9null_typeES8_S8_S8_S8_S8_S8_S8_EEEEZNS1_11reduce_implILb1ES3_NS6_12zip_iteratorINS7_INS6_11hip_rocprim26transform_input_iterator_tIbNSD_35transform_pair_of_input_iterators_tIbNS6_6detail15normal_iteratorINS6_10device_ptrIKdEEEESL_NS6_8equal_toIdEEEENSG_9not_fun_tINSD_8identityEEEEENSD_19counting_iterator_tIlEES8_S8_S8_S8_S8_S8_S8_S8_EEEEPS9_S9_NSD_9__find_if7functorIS9_EEEE10hipError_tPvRmT1_T2_T3_mT4_P12ihipStream_tbEUlT_E0_NS1_11comp_targetILNS1_3genE0ELNS1_11target_archE4294967295ELNS1_3gpuE0ELNS1_3repE0EEENS1_30default_config_static_selectorELNS0_4arch9wavefront6targetE0EEEvS14_,"axG",@progbits,_ZN7rocprim17ROCPRIM_400000_NS6detail17trampoline_kernelINS0_14default_configENS1_22reduce_config_selectorIN6thrust23THRUST_200600_302600_NS5tupleIblNS6_9null_typeES8_S8_S8_S8_S8_S8_S8_EEEEZNS1_11reduce_implILb1ES3_NS6_12zip_iteratorINS7_INS6_11hip_rocprim26transform_input_iterator_tIbNSD_35transform_pair_of_input_iterators_tIbNS6_6detail15normal_iteratorINS6_10device_ptrIKdEEEESL_NS6_8equal_toIdEEEENSG_9not_fun_tINSD_8identityEEEEENSD_19counting_iterator_tIlEES8_S8_S8_S8_S8_S8_S8_S8_EEEEPS9_S9_NSD_9__find_if7functorIS9_EEEE10hipError_tPvRmT1_T2_T3_mT4_P12ihipStream_tbEUlT_E0_NS1_11comp_targetILNS1_3genE0ELNS1_11target_archE4294967295ELNS1_3gpuE0ELNS1_3repE0EEENS1_30default_config_static_selectorELNS0_4arch9wavefront6targetE0EEEvS14_,comdat
.Lfunc_end754:
	.size	_ZN7rocprim17ROCPRIM_400000_NS6detail17trampoline_kernelINS0_14default_configENS1_22reduce_config_selectorIN6thrust23THRUST_200600_302600_NS5tupleIblNS6_9null_typeES8_S8_S8_S8_S8_S8_S8_EEEEZNS1_11reduce_implILb1ES3_NS6_12zip_iteratorINS7_INS6_11hip_rocprim26transform_input_iterator_tIbNSD_35transform_pair_of_input_iterators_tIbNS6_6detail15normal_iteratorINS6_10device_ptrIKdEEEESL_NS6_8equal_toIdEEEENSG_9not_fun_tINSD_8identityEEEEENSD_19counting_iterator_tIlEES8_S8_S8_S8_S8_S8_S8_S8_EEEEPS9_S9_NSD_9__find_if7functorIS9_EEEE10hipError_tPvRmT1_T2_T3_mT4_P12ihipStream_tbEUlT_E0_NS1_11comp_targetILNS1_3genE0ELNS1_11target_archE4294967295ELNS1_3gpuE0ELNS1_3repE0EEENS1_30default_config_static_selectorELNS0_4arch9wavefront6targetE0EEEvS14_, .Lfunc_end754-_ZN7rocprim17ROCPRIM_400000_NS6detail17trampoline_kernelINS0_14default_configENS1_22reduce_config_selectorIN6thrust23THRUST_200600_302600_NS5tupleIblNS6_9null_typeES8_S8_S8_S8_S8_S8_S8_EEEEZNS1_11reduce_implILb1ES3_NS6_12zip_iteratorINS7_INS6_11hip_rocprim26transform_input_iterator_tIbNSD_35transform_pair_of_input_iterators_tIbNS6_6detail15normal_iteratorINS6_10device_ptrIKdEEEESL_NS6_8equal_toIdEEEENSG_9not_fun_tINSD_8identityEEEEENSD_19counting_iterator_tIlEES8_S8_S8_S8_S8_S8_S8_S8_EEEEPS9_S9_NSD_9__find_if7functorIS9_EEEE10hipError_tPvRmT1_T2_T3_mT4_P12ihipStream_tbEUlT_E0_NS1_11comp_targetILNS1_3genE0ELNS1_11target_archE4294967295ELNS1_3gpuE0ELNS1_3repE0EEENS1_30default_config_static_selectorELNS0_4arch9wavefront6targetE0EEEvS14_
                                        ; -- End function
	.section	.AMDGPU.csdata,"",@progbits
; Kernel info:
; codeLenInByte = 0
; NumSgprs: 0
; NumVgprs: 0
; ScratchSize: 0
; MemoryBound: 0
; FloatMode: 240
; IeeeMode: 1
; LDSByteSize: 0 bytes/workgroup (compile time only)
; SGPRBlocks: 0
; VGPRBlocks: 0
; NumSGPRsForWavesPerEU: 1
; NumVGPRsForWavesPerEU: 1
; Occupancy: 16
; WaveLimiterHint : 0
; COMPUTE_PGM_RSRC2:SCRATCH_EN: 0
; COMPUTE_PGM_RSRC2:USER_SGPR: 15
; COMPUTE_PGM_RSRC2:TRAP_HANDLER: 0
; COMPUTE_PGM_RSRC2:TGID_X_EN: 1
; COMPUTE_PGM_RSRC2:TGID_Y_EN: 0
; COMPUTE_PGM_RSRC2:TGID_Z_EN: 0
; COMPUTE_PGM_RSRC2:TIDIG_COMP_CNT: 0
	.section	.text._ZN7rocprim17ROCPRIM_400000_NS6detail17trampoline_kernelINS0_14default_configENS1_22reduce_config_selectorIN6thrust23THRUST_200600_302600_NS5tupleIblNS6_9null_typeES8_S8_S8_S8_S8_S8_S8_EEEEZNS1_11reduce_implILb1ES3_NS6_12zip_iteratorINS7_INS6_11hip_rocprim26transform_input_iterator_tIbNSD_35transform_pair_of_input_iterators_tIbNS6_6detail15normal_iteratorINS6_10device_ptrIKdEEEESL_NS6_8equal_toIdEEEENSG_9not_fun_tINSD_8identityEEEEENSD_19counting_iterator_tIlEES8_S8_S8_S8_S8_S8_S8_S8_EEEEPS9_S9_NSD_9__find_if7functorIS9_EEEE10hipError_tPvRmT1_T2_T3_mT4_P12ihipStream_tbEUlT_E0_NS1_11comp_targetILNS1_3genE5ELNS1_11target_archE942ELNS1_3gpuE9ELNS1_3repE0EEENS1_30default_config_static_selectorELNS0_4arch9wavefront6targetE0EEEvS14_,"axG",@progbits,_ZN7rocprim17ROCPRIM_400000_NS6detail17trampoline_kernelINS0_14default_configENS1_22reduce_config_selectorIN6thrust23THRUST_200600_302600_NS5tupleIblNS6_9null_typeES8_S8_S8_S8_S8_S8_S8_EEEEZNS1_11reduce_implILb1ES3_NS6_12zip_iteratorINS7_INS6_11hip_rocprim26transform_input_iterator_tIbNSD_35transform_pair_of_input_iterators_tIbNS6_6detail15normal_iteratorINS6_10device_ptrIKdEEEESL_NS6_8equal_toIdEEEENSG_9not_fun_tINSD_8identityEEEEENSD_19counting_iterator_tIlEES8_S8_S8_S8_S8_S8_S8_S8_EEEEPS9_S9_NSD_9__find_if7functorIS9_EEEE10hipError_tPvRmT1_T2_T3_mT4_P12ihipStream_tbEUlT_E0_NS1_11comp_targetILNS1_3genE5ELNS1_11target_archE942ELNS1_3gpuE9ELNS1_3repE0EEENS1_30default_config_static_selectorELNS0_4arch9wavefront6targetE0EEEvS14_,comdat
	.protected	_ZN7rocprim17ROCPRIM_400000_NS6detail17trampoline_kernelINS0_14default_configENS1_22reduce_config_selectorIN6thrust23THRUST_200600_302600_NS5tupleIblNS6_9null_typeES8_S8_S8_S8_S8_S8_S8_EEEEZNS1_11reduce_implILb1ES3_NS6_12zip_iteratorINS7_INS6_11hip_rocprim26transform_input_iterator_tIbNSD_35transform_pair_of_input_iterators_tIbNS6_6detail15normal_iteratorINS6_10device_ptrIKdEEEESL_NS6_8equal_toIdEEEENSG_9not_fun_tINSD_8identityEEEEENSD_19counting_iterator_tIlEES8_S8_S8_S8_S8_S8_S8_S8_EEEEPS9_S9_NSD_9__find_if7functorIS9_EEEE10hipError_tPvRmT1_T2_T3_mT4_P12ihipStream_tbEUlT_E0_NS1_11comp_targetILNS1_3genE5ELNS1_11target_archE942ELNS1_3gpuE9ELNS1_3repE0EEENS1_30default_config_static_selectorELNS0_4arch9wavefront6targetE0EEEvS14_ ; -- Begin function _ZN7rocprim17ROCPRIM_400000_NS6detail17trampoline_kernelINS0_14default_configENS1_22reduce_config_selectorIN6thrust23THRUST_200600_302600_NS5tupleIblNS6_9null_typeES8_S8_S8_S8_S8_S8_S8_EEEEZNS1_11reduce_implILb1ES3_NS6_12zip_iteratorINS7_INS6_11hip_rocprim26transform_input_iterator_tIbNSD_35transform_pair_of_input_iterators_tIbNS6_6detail15normal_iteratorINS6_10device_ptrIKdEEEESL_NS6_8equal_toIdEEEENSG_9not_fun_tINSD_8identityEEEEENSD_19counting_iterator_tIlEES8_S8_S8_S8_S8_S8_S8_S8_EEEEPS9_S9_NSD_9__find_if7functorIS9_EEEE10hipError_tPvRmT1_T2_T3_mT4_P12ihipStream_tbEUlT_E0_NS1_11comp_targetILNS1_3genE5ELNS1_11target_archE942ELNS1_3gpuE9ELNS1_3repE0EEENS1_30default_config_static_selectorELNS0_4arch9wavefront6targetE0EEEvS14_
	.globl	_ZN7rocprim17ROCPRIM_400000_NS6detail17trampoline_kernelINS0_14default_configENS1_22reduce_config_selectorIN6thrust23THRUST_200600_302600_NS5tupleIblNS6_9null_typeES8_S8_S8_S8_S8_S8_S8_EEEEZNS1_11reduce_implILb1ES3_NS6_12zip_iteratorINS7_INS6_11hip_rocprim26transform_input_iterator_tIbNSD_35transform_pair_of_input_iterators_tIbNS6_6detail15normal_iteratorINS6_10device_ptrIKdEEEESL_NS6_8equal_toIdEEEENSG_9not_fun_tINSD_8identityEEEEENSD_19counting_iterator_tIlEES8_S8_S8_S8_S8_S8_S8_S8_EEEEPS9_S9_NSD_9__find_if7functorIS9_EEEE10hipError_tPvRmT1_T2_T3_mT4_P12ihipStream_tbEUlT_E0_NS1_11comp_targetILNS1_3genE5ELNS1_11target_archE942ELNS1_3gpuE9ELNS1_3repE0EEENS1_30default_config_static_selectorELNS0_4arch9wavefront6targetE0EEEvS14_
	.p2align	8
	.type	_ZN7rocprim17ROCPRIM_400000_NS6detail17trampoline_kernelINS0_14default_configENS1_22reduce_config_selectorIN6thrust23THRUST_200600_302600_NS5tupleIblNS6_9null_typeES8_S8_S8_S8_S8_S8_S8_EEEEZNS1_11reduce_implILb1ES3_NS6_12zip_iteratorINS7_INS6_11hip_rocprim26transform_input_iterator_tIbNSD_35transform_pair_of_input_iterators_tIbNS6_6detail15normal_iteratorINS6_10device_ptrIKdEEEESL_NS6_8equal_toIdEEEENSG_9not_fun_tINSD_8identityEEEEENSD_19counting_iterator_tIlEES8_S8_S8_S8_S8_S8_S8_S8_EEEEPS9_S9_NSD_9__find_if7functorIS9_EEEE10hipError_tPvRmT1_T2_T3_mT4_P12ihipStream_tbEUlT_E0_NS1_11comp_targetILNS1_3genE5ELNS1_11target_archE942ELNS1_3gpuE9ELNS1_3repE0EEENS1_30default_config_static_selectorELNS0_4arch9wavefront6targetE0EEEvS14_,@function
_ZN7rocprim17ROCPRIM_400000_NS6detail17trampoline_kernelINS0_14default_configENS1_22reduce_config_selectorIN6thrust23THRUST_200600_302600_NS5tupleIblNS6_9null_typeES8_S8_S8_S8_S8_S8_S8_EEEEZNS1_11reduce_implILb1ES3_NS6_12zip_iteratorINS7_INS6_11hip_rocprim26transform_input_iterator_tIbNSD_35transform_pair_of_input_iterators_tIbNS6_6detail15normal_iteratorINS6_10device_ptrIKdEEEESL_NS6_8equal_toIdEEEENSG_9not_fun_tINSD_8identityEEEEENSD_19counting_iterator_tIlEES8_S8_S8_S8_S8_S8_S8_S8_EEEEPS9_S9_NSD_9__find_if7functorIS9_EEEE10hipError_tPvRmT1_T2_T3_mT4_P12ihipStream_tbEUlT_E0_NS1_11comp_targetILNS1_3genE5ELNS1_11target_archE942ELNS1_3gpuE9ELNS1_3repE0EEENS1_30default_config_static_selectorELNS0_4arch9wavefront6targetE0EEEvS14_: ; @_ZN7rocprim17ROCPRIM_400000_NS6detail17trampoline_kernelINS0_14default_configENS1_22reduce_config_selectorIN6thrust23THRUST_200600_302600_NS5tupleIblNS6_9null_typeES8_S8_S8_S8_S8_S8_S8_EEEEZNS1_11reduce_implILb1ES3_NS6_12zip_iteratorINS7_INS6_11hip_rocprim26transform_input_iterator_tIbNSD_35transform_pair_of_input_iterators_tIbNS6_6detail15normal_iteratorINS6_10device_ptrIKdEEEESL_NS6_8equal_toIdEEEENSG_9not_fun_tINSD_8identityEEEEENSD_19counting_iterator_tIlEES8_S8_S8_S8_S8_S8_S8_S8_EEEEPS9_S9_NSD_9__find_if7functorIS9_EEEE10hipError_tPvRmT1_T2_T3_mT4_P12ihipStream_tbEUlT_E0_NS1_11comp_targetILNS1_3genE5ELNS1_11target_archE942ELNS1_3gpuE9ELNS1_3repE0EEENS1_30default_config_static_selectorELNS0_4arch9wavefront6targetE0EEEvS14_
; %bb.0:
	.section	.rodata,"a",@progbits
	.p2align	6, 0x0
	.amdhsa_kernel _ZN7rocprim17ROCPRIM_400000_NS6detail17trampoline_kernelINS0_14default_configENS1_22reduce_config_selectorIN6thrust23THRUST_200600_302600_NS5tupleIblNS6_9null_typeES8_S8_S8_S8_S8_S8_S8_EEEEZNS1_11reduce_implILb1ES3_NS6_12zip_iteratorINS7_INS6_11hip_rocprim26transform_input_iterator_tIbNSD_35transform_pair_of_input_iterators_tIbNS6_6detail15normal_iteratorINS6_10device_ptrIKdEEEESL_NS6_8equal_toIdEEEENSG_9not_fun_tINSD_8identityEEEEENSD_19counting_iterator_tIlEES8_S8_S8_S8_S8_S8_S8_S8_EEEEPS9_S9_NSD_9__find_if7functorIS9_EEEE10hipError_tPvRmT1_T2_T3_mT4_P12ihipStream_tbEUlT_E0_NS1_11comp_targetILNS1_3genE5ELNS1_11target_archE942ELNS1_3gpuE9ELNS1_3repE0EEENS1_30default_config_static_selectorELNS0_4arch9wavefront6targetE0EEEvS14_
		.amdhsa_group_segment_fixed_size 0
		.amdhsa_private_segment_fixed_size 0
		.amdhsa_kernarg_size 104
		.amdhsa_user_sgpr_count 15
		.amdhsa_user_sgpr_dispatch_ptr 0
		.amdhsa_user_sgpr_queue_ptr 0
		.amdhsa_user_sgpr_kernarg_segment_ptr 1
		.amdhsa_user_sgpr_dispatch_id 0
		.amdhsa_user_sgpr_private_segment_size 0
		.amdhsa_wavefront_size32 1
		.amdhsa_uses_dynamic_stack 0
		.amdhsa_enable_private_segment 0
		.amdhsa_system_sgpr_workgroup_id_x 1
		.amdhsa_system_sgpr_workgroup_id_y 0
		.amdhsa_system_sgpr_workgroup_id_z 0
		.amdhsa_system_sgpr_workgroup_info 0
		.amdhsa_system_vgpr_workitem_id 0
		.amdhsa_next_free_vgpr 1
		.amdhsa_next_free_sgpr 1
		.amdhsa_reserve_vcc 0
		.amdhsa_float_round_mode_32 0
		.amdhsa_float_round_mode_16_64 0
		.amdhsa_float_denorm_mode_32 3
		.amdhsa_float_denorm_mode_16_64 3
		.amdhsa_dx10_clamp 1
		.amdhsa_ieee_mode 1
		.amdhsa_fp16_overflow 0
		.amdhsa_workgroup_processor_mode 1
		.amdhsa_memory_ordered 1
		.amdhsa_forward_progress 0
		.amdhsa_shared_vgpr_count 0
		.amdhsa_exception_fp_ieee_invalid_op 0
		.amdhsa_exception_fp_denorm_src 0
		.amdhsa_exception_fp_ieee_div_zero 0
		.amdhsa_exception_fp_ieee_overflow 0
		.amdhsa_exception_fp_ieee_underflow 0
		.amdhsa_exception_fp_ieee_inexact 0
		.amdhsa_exception_int_div_zero 0
	.end_amdhsa_kernel
	.section	.text._ZN7rocprim17ROCPRIM_400000_NS6detail17trampoline_kernelINS0_14default_configENS1_22reduce_config_selectorIN6thrust23THRUST_200600_302600_NS5tupleIblNS6_9null_typeES8_S8_S8_S8_S8_S8_S8_EEEEZNS1_11reduce_implILb1ES3_NS6_12zip_iteratorINS7_INS6_11hip_rocprim26transform_input_iterator_tIbNSD_35transform_pair_of_input_iterators_tIbNS6_6detail15normal_iteratorINS6_10device_ptrIKdEEEESL_NS6_8equal_toIdEEEENSG_9not_fun_tINSD_8identityEEEEENSD_19counting_iterator_tIlEES8_S8_S8_S8_S8_S8_S8_S8_EEEEPS9_S9_NSD_9__find_if7functorIS9_EEEE10hipError_tPvRmT1_T2_T3_mT4_P12ihipStream_tbEUlT_E0_NS1_11comp_targetILNS1_3genE5ELNS1_11target_archE942ELNS1_3gpuE9ELNS1_3repE0EEENS1_30default_config_static_selectorELNS0_4arch9wavefront6targetE0EEEvS14_,"axG",@progbits,_ZN7rocprim17ROCPRIM_400000_NS6detail17trampoline_kernelINS0_14default_configENS1_22reduce_config_selectorIN6thrust23THRUST_200600_302600_NS5tupleIblNS6_9null_typeES8_S8_S8_S8_S8_S8_S8_EEEEZNS1_11reduce_implILb1ES3_NS6_12zip_iteratorINS7_INS6_11hip_rocprim26transform_input_iterator_tIbNSD_35transform_pair_of_input_iterators_tIbNS6_6detail15normal_iteratorINS6_10device_ptrIKdEEEESL_NS6_8equal_toIdEEEENSG_9not_fun_tINSD_8identityEEEEENSD_19counting_iterator_tIlEES8_S8_S8_S8_S8_S8_S8_S8_EEEEPS9_S9_NSD_9__find_if7functorIS9_EEEE10hipError_tPvRmT1_T2_T3_mT4_P12ihipStream_tbEUlT_E0_NS1_11comp_targetILNS1_3genE5ELNS1_11target_archE942ELNS1_3gpuE9ELNS1_3repE0EEENS1_30default_config_static_selectorELNS0_4arch9wavefront6targetE0EEEvS14_,comdat
.Lfunc_end755:
	.size	_ZN7rocprim17ROCPRIM_400000_NS6detail17trampoline_kernelINS0_14default_configENS1_22reduce_config_selectorIN6thrust23THRUST_200600_302600_NS5tupleIblNS6_9null_typeES8_S8_S8_S8_S8_S8_S8_EEEEZNS1_11reduce_implILb1ES3_NS6_12zip_iteratorINS7_INS6_11hip_rocprim26transform_input_iterator_tIbNSD_35transform_pair_of_input_iterators_tIbNS6_6detail15normal_iteratorINS6_10device_ptrIKdEEEESL_NS6_8equal_toIdEEEENSG_9not_fun_tINSD_8identityEEEEENSD_19counting_iterator_tIlEES8_S8_S8_S8_S8_S8_S8_S8_EEEEPS9_S9_NSD_9__find_if7functorIS9_EEEE10hipError_tPvRmT1_T2_T3_mT4_P12ihipStream_tbEUlT_E0_NS1_11comp_targetILNS1_3genE5ELNS1_11target_archE942ELNS1_3gpuE9ELNS1_3repE0EEENS1_30default_config_static_selectorELNS0_4arch9wavefront6targetE0EEEvS14_, .Lfunc_end755-_ZN7rocprim17ROCPRIM_400000_NS6detail17trampoline_kernelINS0_14default_configENS1_22reduce_config_selectorIN6thrust23THRUST_200600_302600_NS5tupleIblNS6_9null_typeES8_S8_S8_S8_S8_S8_S8_EEEEZNS1_11reduce_implILb1ES3_NS6_12zip_iteratorINS7_INS6_11hip_rocprim26transform_input_iterator_tIbNSD_35transform_pair_of_input_iterators_tIbNS6_6detail15normal_iteratorINS6_10device_ptrIKdEEEESL_NS6_8equal_toIdEEEENSG_9not_fun_tINSD_8identityEEEEENSD_19counting_iterator_tIlEES8_S8_S8_S8_S8_S8_S8_S8_EEEEPS9_S9_NSD_9__find_if7functorIS9_EEEE10hipError_tPvRmT1_T2_T3_mT4_P12ihipStream_tbEUlT_E0_NS1_11comp_targetILNS1_3genE5ELNS1_11target_archE942ELNS1_3gpuE9ELNS1_3repE0EEENS1_30default_config_static_selectorELNS0_4arch9wavefront6targetE0EEEvS14_
                                        ; -- End function
	.section	.AMDGPU.csdata,"",@progbits
; Kernel info:
; codeLenInByte = 0
; NumSgprs: 0
; NumVgprs: 0
; ScratchSize: 0
; MemoryBound: 0
; FloatMode: 240
; IeeeMode: 1
; LDSByteSize: 0 bytes/workgroup (compile time only)
; SGPRBlocks: 0
; VGPRBlocks: 0
; NumSGPRsForWavesPerEU: 1
; NumVGPRsForWavesPerEU: 1
; Occupancy: 16
; WaveLimiterHint : 0
; COMPUTE_PGM_RSRC2:SCRATCH_EN: 0
; COMPUTE_PGM_RSRC2:USER_SGPR: 15
; COMPUTE_PGM_RSRC2:TRAP_HANDLER: 0
; COMPUTE_PGM_RSRC2:TGID_X_EN: 1
; COMPUTE_PGM_RSRC2:TGID_Y_EN: 0
; COMPUTE_PGM_RSRC2:TGID_Z_EN: 0
; COMPUTE_PGM_RSRC2:TIDIG_COMP_CNT: 0
	.section	.text._ZN7rocprim17ROCPRIM_400000_NS6detail17trampoline_kernelINS0_14default_configENS1_22reduce_config_selectorIN6thrust23THRUST_200600_302600_NS5tupleIblNS6_9null_typeES8_S8_S8_S8_S8_S8_S8_EEEEZNS1_11reduce_implILb1ES3_NS6_12zip_iteratorINS7_INS6_11hip_rocprim26transform_input_iterator_tIbNSD_35transform_pair_of_input_iterators_tIbNS6_6detail15normal_iteratorINS6_10device_ptrIKdEEEESL_NS6_8equal_toIdEEEENSG_9not_fun_tINSD_8identityEEEEENSD_19counting_iterator_tIlEES8_S8_S8_S8_S8_S8_S8_S8_EEEEPS9_S9_NSD_9__find_if7functorIS9_EEEE10hipError_tPvRmT1_T2_T3_mT4_P12ihipStream_tbEUlT_E0_NS1_11comp_targetILNS1_3genE4ELNS1_11target_archE910ELNS1_3gpuE8ELNS1_3repE0EEENS1_30default_config_static_selectorELNS0_4arch9wavefront6targetE0EEEvS14_,"axG",@progbits,_ZN7rocprim17ROCPRIM_400000_NS6detail17trampoline_kernelINS0_14default_configENS1_22reduce_config_selectorIN6thrust23THRUST_200600_302600_NS5tupleIblNS6_9null_typeES8_S8_S8_S8_S8_S8_S8_EEEEZNS1_11reduce_implILb1ES3_NS6_12zip_iteratorINS7_INS6_11hip_rocprim26transform_input_iterator_tIbNSD_35transform_pair_of_input_iterators_tIbNS6_6detail15normal_iteratorINS6_10device_ptrIKdEEEESL_NS6_8equal_toIdEEEENSG_9not_fun_tINSD_8identityEEEEENSD_19counting_iterator_tIlEES8_S8_S8_S8_S8_S8_S8_S8_EEEEPS9_S9_NSD_9__find_if7functorIS9_EEEE10hipError_tPvRmT1_T2_T3_mT4_P12ihipStream_tbEUlT_E0_NS1_11comp_targetILNS1_3genE4ELNS1_11target_archE910ELNS1_3gpuE8ELNS1_3repE0EEENS1_30default_config_static_selectorELNS0_4arch9wavefront6targetE0EEEvS14_,comdat
	.protected	_ZN7rocprim17ROCPRIM_400000_NS6detail17trampoline_kernelINS0_14default_configENS1_22reduce_config_selectorIN6thrust23THRUST_200600_302600_NS5tupleIblNS6_9null_typeES8_S8_S8_S8_S8_S8_S8_EEEEZNS1_11reduce_implILb1ES3_NS6_12zip_iteratorINS7_INS6_11hip_rocprim26transform_input_iterator_tIbNSD_35transform_pair_of_input_iterators_tIbNS6_6detail15normal_iteratorINS6_10device_ptrIKdEEEESL_NS6_8equal_toIdEEEENSG_9not_fun_tINSD_8identityEEEEENSD_19counting_iterator_tIlEES8_S8_S8_S8_S8_S8_S8_S8_EEEEPS9_S9_NSD_9__find_if7functorIS9_EEEE10hipError_tPvRmT1_T2_T3_mT4_P12ihipStream_tbEUlT_E0_NS1_11comp_targetILNS1_3genE4ELNS1_11target_archE910ELNS1_3gpuE8ELNS1_3repE0EEENS1_30default_config_static_selectorELNS0_4arch9wavefront6targetE0EEEvS14_ ; -- Begin function _ZN7rocprim17ROCPRIM_400000_NS6detail17trampoline_kernelINS0_14default_configENS1_22reduce_config_selectorIN6thrust23THRUST_200600_302600_NS5tupleIblNS6_9null_typeES8_S8_S8_S8_S8_S8_S8_EEEEZNS1_11reduce_implILb1ES3_NS6_12zip_iteratorINS7_INS6_11hip_rocprim26transform_input_iterator_tIbNSD_35transform_pair_of_input_iterators_tIbNS6_6detail15normal_iteratorINS6_10device_ptrIKdEEEESL_NS6_8equal_toIdEEEENSG_9not_fun_tINSD_8identityEEEEENSD_19counting_iterator_tIlEES8_S8_S8_S8_S8_S8_S8_S8_EEEEPS9_S9_NSD_9__find_if7functorIS9_EEEE10hipError_tPvRmT1_T2_T3_mT4_P12ihipStream_tbEUlT_E0_NS1_11comp_targetILNS1_3genE4ELNS1_11target_archE910ELNS1_3gpuE8ELNS1_3repE0EEENS1_30default_config_static_selectorELNS0_4arch9wavefront6targetE0EEEvS14_
	.globl	_ZN7rocprim17ROCPRIM_400000_NS6detail17trampoline_kernelINS0_14default_configENS1_22reduce_config_selectorIN6thrust23THRUST_200600_302600_NS5tupleIblNS6_9null_typeES8_S8_S8_S8_S8_S8_S8_EEEEZNS1_11reduce_implILb1ES3_NS6_12zip_iteratorINS7_INS6_11hip_rocprim26transform_input_iterator_tIbNSD_35transform_pair_of_input_iterators_tIbNS6_6detail15normal_iteratorINS6_10device_ptrIKdEEEESL_NS6_8equal_toIdEEEENSG_9not_fun_tINSD_8identityEEEEENSD_19counting_iterator_tIlEES8_S8_S8_S8_S8_S8_S8_S8_EEEEPS9_S9_NSD_9__find_if7functorIS9_EEEE10hipError_tPvRmT1_T2_T3_mT4_P12ihipStream_tbEUlT_E0_NS1_11comp_targetILNS1_3genE4ELNS1_11target_archE910ELNS1_3gpuE8ELNS1_3repE0EEENS1_30default_config_static_selectorELNS0_4arch9wavefront6targetE0EEEvS14_
	.p2align	8
	.type	_ZN7rocprim17ROCPRIM_400000_NS6detail17trampoline_kernelINS0_14default_configENS1_22reduce_config_selectorIN6thrust23THRUST_200600_302600_NS5tupleIblNS6_9null_typeES8_S8_S8_S8_S8_S8_S8_EEEEZNS1_11reduce_implILb1ES3_NS6_12zip_iteratorINS7_INS6_11hip_rocprim26transform_input_iterator_tIbNSD_35transform_pair_of_input_iterators_tIbNS6_6detail15normal_iteratorINS6_10device_ptrIKdEEEESL_NS6_8equal_toIdEEEENSG_9not_fun_tINSD_8identityEEEEENSD_19counting_iterator_tIlEES8_S8_S8_S8_S8_S8_S8_S8_EEEEPS9_S9_NSD_9__find_if7functorIS9_EEEE10hipError_tPvRmT1_T2_T3_mT4_P12ihipStream_tbEUlT_E0_NS1_11comp_targetILNS1_3genE4ELNS1_11target_archE910ELNS1_3gpuE8ELNS1_3repE0EEENS1_30default_config_static_selectorELNS0_4arch9wavefront6targetE0EEEvS14_,@function
_ZN7rocprim17ROCPRIM_400000_NS6detail17trampoline_kernelINS0_14default_configENS1_22reduce_config_selectorIN6thrust23THRUST_200600_302600_NS5tupleIblNS6_9null_typeES8_S8_S8_S8_S8_S8_S8_EEEEZNS1_11reduce_implILb1ES3_NS6_12zip_iteratorINS7_INS6_11hip_rocprim26transform_input_iterator_tIbNSD_35transform_pair_of_input_iterators_tIbNS6_6detail15normal_iteratorINS6_10device_ptrIKdEEEESL_NS6_8equal_toIdEEEENSG_9not_fun_tINSD_8identityEEEEENSD_19counting_iterator_tIlEES8_S8_S8_S8_S8_S8_S8_S8_EEEEPS9_S9_NSD_9__find_if7functorIS9_EEEE10hipError_tPvRmT1_T2_T3_mT4_P12ihipStream_tbEUlT_E0_NS1_11comp_targetILNS1_3genE4ELNS1_11target_archE910ELNS1_3gpuE8ELNS1_3repE0EEENS1_30default_config_static_selectorELNS0_4arch9wavefront6targetE0EEEvS14_: ; @_ZN7rocprim17ROCPRIM_400000_NS6detail17trampoline_kernelINS0_14default_configENS1_22reduce_config_selectorIN6thrust23THRUST_200600_302600_NS5tupleIblNS6_9null_typeES8_S8_S8_S8_S8_S8_S8_EEEEZNS1_11reduce_implILb1ES3_NS6_12zip_iteratorINS7_INS6_11hip_rocprim26transform_input_iterator_tIbNSD_35transform_pair_of_input_iterators_tIbNS6_6detail15normal_iteratorINS6_10device_ptrIKdEEEESL_NS6_8equal_toIdEEEENSG_9not_fun_tINSD_8identityEEEEENSD_19counting_iterator_tIlEES8_S8_S8_S8_S8_S8_S8_S8_EEEEPS9_S9_NSD_9__find_if7functorIS9_EEEE10hipError_tPvRmT1_T2_T3_mT4_P12ihipStream_tbEUlT_E0_NS1_11comp_targetILNS1_3genE4ELNS1_11target_archE910ELNS1_3gpuE8ELNS1_3repE0EEENS1_30default_config_static_selectorELNS0_4arch9wavefront6targetE0EEEvS14_
; %bb.0:
	.section	.rodata,"a",@progbits
	.p2align	6, 0x0
	.amdhsa_kernel _ZN7rocprim17ROCPRIM_400000_NS6detail17trampoline_kernelINS0_14default_configENS1_22reduce_config_selectorIN6thrust23THRUST_200600_302600_NS5tupleIblNS6_9null_typeES8_S8_S8_S8_S8_S8_S8_EEEEZNS1_11reduce_implILb1ES3_NS6_12zip_iteratorINS7_INS6_11hip_rocprim26transform_input_iterator_tIbNSD_35transform_pair_of_input_iterators_tIbNS6_6detail15normal_iteratorINS6_10device_ptrIKdEEEESL_NS6_8equal_toIdEEEENSG_9not_fun_tINSD_8identityEEEEENSD_19counting_iterator_tIlEES8_S8_S8_S8_S8_S8_S8_S8_EEEEPS9_S9_NSD_9__find_if7functorIS9_EEEE10hipError_tPvRmT1_T2_T3_mT4_P12ihipStream_tbEUlT_E0_NS1_11comp_targetILNS1_3genE4ELNS1_11target_archE910ELNS1_3gpuE8ELNS1_3repE0EEENS1_30default_config_static_selectorELNS0_4arch9wavefront6targetE0EEEvS14_
		.amdhsa_group_segment_fixed_size 0
		.amdhsa_private_segment_fixed_size 0
		.amdhsa_kernarg_size 104
		.amdhsa_user_sgpr_count 15
		.amdhsa_user_sgpr_dispatch_ptr 0
		.amdhsa_user_sgpr_queue_ptr 0
		.amdhsa_user_sgpr_kernarg_segment_ptr 1
		.amdhsa_user_sgpr_dispatch_id 0
		.amdhsa_user_sgpr_private_segment_size 0
		.amdhsa_wavefront_size32 1
		.amdhsa_uses_dynamic_stack 0
		.amdhsa_enable_private_segment 0
		.amdhsa_system_sgpr_workgroup_id_x 1
		.amdhsa_system_sgpr_workgroup_id_y 0
		.amdhsa_system_sgpr_workgroup_id_z 0
		.amdhsa_system_sgpr_workgroup_info 0
		.amdhsa_system_vgpr_workitem_id 0
		.amdhsa_next_free_vgpr 1
		.amdhsa_next_free_sgpr 1
		.amdhsa_reserve_vcc 0
		.amdhsa_float_round_mode_32 0
		.amdhsa_float_round_mode_16_64 0
		.amdhsa_float_denorm_mode_32 3
		.amdhsa_float_denorm_mode_16_64 3
		.amdhsa_dx10_clamp 1
		.amdhsa_ieee_mode 1
		.amdhsa_fp16_overflow 0
		.amdhsa_workgroup_processor_mode 1
		.amdhsa_memory_ordered 1
		.amdhsa_forward_progress 0
		.amdhsa_shared_vgpr_count 0
		.amdhsa_exception_fp_ieee_invalid_op 0
		.amdhsa_exception_fp_denorm_src 0
		.amdhsa_exception_fp_ieee_div_zero 0
		.amdhsa_exception_fp_ieee_overflow 0
		.amdhsa_exception_fp_ieee_underflow 0
		.amdhsa_exception_fp_ieee_inexact 0
		.amdhsa_exception_int_div_zero 0
	.end_amdhsa_kernel
	.section	.text._ZN7rocprim17ROCPRIM_400000_NS6detail17trampoline_kernelINS0_14default_configENS1_22reduce_config_selectorIN6thrust23THRUST_200600_302600_NS5tupleIblNS6_9null_typeES8_S8_S8_S8_S8_S8_S8_EEEEZNS1_11reduce_implILb1ES3_NS6_12zip_iteratorINS7_INS6_11hip_rocprim26transform_input_iterator_tIbNSD_35transform_pair_of_input_iterators_tIbNS6_6detail15normal_iteratorINS6_10device_ptrIKdEEEESL_NS6_8equal_toIdEEEENSG_9not_fun_tINSD_8identityEEEEENSD_19counting_iterator_tIlEES8_S8_S8_S8_S8_S8_S8_S8_EEEEPS9_S9_NSD_9__find_if7functorIS9_EEEE10hipError_tPvRmT1_T2_T3_mT4_P12ihipStream_tbEUlT_E0_NS1_11comp_targetILNS1_3genE4ELNS1_11target_archE910ELNS1_3gpuE8ELNS1_3repE0EEENS1_30default_config_static_selectorELNS0_4arch9wavefront6targetE0EEEvS14_,"axG",@progbits,_ZN7rocprim17ROCPRIM_400000_NS6detail17trampoline_kernelINS0_14default_configENS1_22reduce_config_selectorIN6thrust23THRUST_200600_302600_NS5tupleIblNS6_9null_typeES8_S8_S8_S8_S8_S8_S8_EEEEZNS1_11reduce_implILb1ES3_NS6_12zip_iteratorINS7_INS6_11hip_rocprim26transform_input_iterator_tIbNSD_35transform_pair_of_input_iterators_tIbNS6_6detail15normal_iteratorINS6_10device_ptrIKdEEEESL_NS6_8equal_toIdEEEENSG_9not_fun_tINSD_8identityEEEEENSD_19counting_iterator_tIlEES8_S8_S8_S8_S8_S8_S8_S8_EEEEPS9_S9_NSD_9__find_if7functorIS9_EEEE10hipError_tPvRmT1_T2_T3_mT4_P12ihipStream_tbEUlT_E0_NS1_11comp_targetILNS1_3genE4ELNS1_11target_archE910ELNS1_3gpuE8ELNS1_3repE0EEENS1_30default_config_static_selectorELNS0_4arch9wavefront6targetE0EEEvS14_,comdat
.Lfunc_end756:
	.size	_ZN7rocprim17ROCPRIM_400000_NS6detail17trampoline_kernelINS0_14default_configENS1_22reduce_config_selectorIN6thrust23THRUST_200600_302600_NS5tupleIblNS6_9null_typeES8_S8_S8_S8_S8_S8_S8_EEEEZNS1_11reduce_implILb1ES3_NS6_12zip_iteratorINS7_INS6_11hip_rocprim26transform_input_iterator_tIbNSD_35transform_pair_of_input_iterators_tIbNS6_6detail15normal_iteratorINS6_10device_ptrIKdEEEESL_NS6_8equal_toIdEEEENSG_9not_fun_tINSD_8identityEEEEENSD_19counting_iterator_tIlEES8_S8_S8_S8_S8_S8_S8_S8_EEEEPS9_S9_NSD_9__find_if7functorIS9_EEEE10hipError_tPvRmT1_T2_T3_mT4_P12ihipStream_tbEUlT_E0_NS1_11comp_targetILNS1_3genE4ELNS1_11target_archE910ELNS1_3gpuE8ELNS1_3repE0EEENS1_30default_config_static_selectorELNS0_4arch9wavefront6targetE0EEEvS14_, .Lfunc_end756-_ZN7rocprim17ROCPRIM_400000_NS6detail17trampoline_kernelINS0_14default_configENS1_22reduce_config_selectorIN6thrust23THRUST_200600_302600_NS5tupleIblNS6_9null_typeES8_S8_S8_S8_S8_S8_S8_EEEEZNS1_11reduce_implILb1ES3_NS6_12zip_iteratorINS7_INS6_11hip_rocprim26transform_input_iterator_tIbNSD_35transform_pair_of_input_iterators_tIbNS6_6detail15normal_iteratorINS6_10device_ptrIKdEEEESL_NS6_8equal_toIdEEEENSG_9not_fun_tINSD_8identityEEEEENSD_19counting_iterator_tIlEES8_S8_S8_S8_S8_S8_S8_S8_EEEEPS9_S9_NSD_9__find_if7functorIS9_EEEE10hipError_tPvRmT1_T2_T3_mT4_P12ihipStream_tbEUlT_E0_NS1_11comp_targetILNS1_3genE4ELNS1_11target_archE910ELNS1_3gpuE8ELNS1_3repE0EEENS1_30default_config_static_selectorELNS0_4arch9wavefront6targetE0EEEvS14_
                                        ; -- End function
	.section	.AMDGPU.csdata,"",@progbits
; Kernel info:
; codeLenInByte = 0
; NumSgprs: 0
; NumVgprs: 0
; ScratchSize: 0
; MemoryBound: 0
; FloatMode: 240
; IeeeMode: 1
; LDSByteSize: 0 bytes/workgroup (compile time only)
; SGPRBlocks: 0
; VGPRBlocks: 0
; NumSGPRsForWavesPerEU: 1
; NumVGPRsForWavesPerEU: 1
; Occupancy: 16
; WaveLimiterHint : 0
; COMPUTE_PGM_RSRC2:SCRATCH_EN: 0
; COMPUTE_PGM_RSRC2:USER_SGPR: 15
; COMPUTE_PGM_RSRC2:TRAP_HANDLER: 0
; COMPUTE_PGM_RSRC2:TGID_X_EN: 1
; COMPUTE_PGM_RSRC2:TGID_Y_EN: 0
; COMPUTE_PGM_RSRC2:TGID_Z_EN: 0
; COMPUTE_PGM_RSRC2:TIDIG_COMP_CNT: 0
	.section	.text._ZN7rocprim17ROCPRIM_400000_NS6detail17trampoline_kernelINS0_14default_configENS1_22reduce_config_selectorIN6thrust23THRUST_200600_302600_NS5tupleIblNS6_9null_typeES8_S8_S8_S8_S8_S8_S8_EEEEZNS1_11reduce_implILb1ES3_NS6_12zip_iteratorINS7_INS6_11hip_rocprim26transform_input_iterator_tIbNSD_35transform_pair_of_input_iterators_tIbNS6_6detail15normal_iteratorINS6_10device_ptrIKdEEEESL_NS6_8equal_toIdEEEENSG_9not_fun_tINSD_8identityEEEEENSD_19counting_iterator_tIlEES8_S8_S8_S8_S8_S8_S8_S8_EEEEPS9_S9_NSD_9__find_if7functorIS9_EEEE10hipError_tPvRmT1_T2_T3_mT4_P12ihipStream_tbEUlT_E0_NS1_11comp_targetILNS1_3genE3ELNS1_11target_archE908ELNS1_3gpuE7ELNS1_3repE0EEENS1_30default_config_static_selectorELNS0_4arch9wavefront6targetE0EEEvS14_,"axG",@progbits,_ZN7rocprim17ROCPRIM_400000_NS6detail17trampoline_kernelINS0_14default_configENS1_22reduce_config_selectorIN6thrust23THRUST_200600_302600_NS5tupleIblNS6_9null_typeES8_S8_S8_S8_S8_S8_S8_EEEEZNS1_11reduce_implILb1ES3_NS6_12zip_iteratorINS7_INS6_11hip_rocprim26transform_input_iterator_tIbNSD_35transform_pair_of_input_iterators_tIbNS6_6detail15normal_iteratorINS6_10device_ptrIKdEEEESL_NS6_8equal_toIdEEEENSG_9not_fun_tINSD_8identityEEEEENSD_19counting_iterator_tIlEES8_S8_S8_S8_S8_S8_S8_S8_EEEEPS9_S9_NSD_9__find_if7functorIS9_EEEE10hipError_tPvRmT1_T2_T3_mT4_P12ihipStream_tbEUlT_E0_NS1_11comp_targetILNS1_3genE3ELNS1_11target_archE908ELNS1_3gpuE7ELNS1_3repE0EEENS1_30default_config_static_selectorELNS0_4arch9wavefront6targetE0EEEvS14_,comdat
	.protected	_ZN7rocprim17ROCPRIM_400000_NS6detail17trampoline_kernelINS0_14default_configENS1_22reduce_config_selectorIN6thrust23THRUST_200600_302600_NS5tupleIblNS6_9null_typeES8_S8_S8_S8_S8_S8_S8_EEEEZNS1_11reduce_implILb1ES3_NS6_12zip_iteratorINS7_INS6_11hip_rocprim26transform_input_iterator_tIbNSD_35transform_pair_of_input_iterators_tIbNS6_6detail15normal_iteratorINS6_10device_ptrIKdEEEESL_NS6_8equal_toIdEEEENSG_9not_fun_tINSD_8identityEEEEENSD_19counting_iterator_tIlEES8_S8_S8_S8_S8_S8_S8_S8_EEEEPS9_S9_NSD_9__find_if7functorIS9_EEEE10hipError_tPvRmT1_T2_T3_mT4_P12ihipStream_tbEUlT_E0_NS1_11comp_targetILNS1_3genE3ELNS1_11target_archE908ELNS1_3gpuE7ELNS1_3repE0EEENS1_30default_config_static_selectorELNS0_4arch9wavefront6targetE0EEEvS14_ ; -- Begin function _ZN7rocprim17ROCPRIM_400000_NS6detail17trampoline_kernelINS0_14default_configENS1_22reduce_config_selectorIN6thrust23THRUST_200600_302600_NS5tupleIblNS6_9null_typeES8_S8_S8_S8_S8_S8_S8_EEEEZNS1_11reduce_implILb1ES3_NS6_12zip_iteratorINS7_INS6_11hip_rocprim26transform_input_iterator_tIbNSD_35transform_pair_of_input_iterators_tIbNS6_6detail15normal_iteratorINS6_10device_ptrIKdEEEESL_NS6_8equal_toIdEEEENSG_9not_fun_tINSD_8identityEEEEENSD_19counting_iterator_tIlEES8_S8_S8_S8_S8_S8_S8_S8_EEEEPS9_S9_NSD_9__find_if7functorIS9_EEEE10hipError_tPvRmT1_T2_T3_mT4_P12ihipStream_tbEUlT_E0_NS1_11comp_targetILNS1_3genE3ELNS1_11target_archE908ELNS1_3gpuE7ELNS1_3repE0EEENS1_30default_config_static_selectorELNS0_4arch9wavefront6targetE0EEEvS14_
	.globl	_ZN7rocprim17ROCPRIM_400000_NS6detail17trampoline_kernelINS0_14default_configENS1_22reduce_config_selectorIN6thrust23THRUST_200600_302600_NS5tupleIblNS6_9null_typeES8_S8_S8_S8_S8_S8_S8_EEEEZNS1_11reduce_implILb1ES3_NS6_12zip_iteratorINS7_INS6_11hip_rocprim26transform_input_iterator_tIbNSD_35transform_pair_of_input_iterators_tIbNS6_6detail15normal_iteratorINS6_10device_ptrIKdEEEESL_NS6_8equal_toIdEEEENSG_9not_fun_tINSD_8identityEEEEENSD_19counting_iterator_tIlEES8_S8_S8_S8_S8_S8_S8_S8_EEEEPS9_S9_NSD_9__find_if7functorIS9_EEEE10hipError_tPvRmT1_T2_T3_mT4_P12ihipStream_tbEUlT_E0_NS1_11comp_targetILNS1_3genE3ELNS1_11target_archE908ELNS1_3gpuE7ELNS1_3repE0EEENS1_30default_config_static_selectorELNS0_4arch9wavefront6targetE0EEEvS14_
	.p2align	8
	.type	_ZN7rocprim17ROCPRIM_400000_NS6detail17trampoline_kernelINS0_14default_configENS1_22reduce_config_selectorIN6thrust23THRUST_200600_302600_NS5tupleIblNS6_9null_typeES8_S8_S8_S8_S8_S8_S8_EEEEZNS1_11reduce_implILb1ES3_NS6_12zip_iteratorINS7_INS6_11hip_rocprim26transform_input_iterator_tIbNSD_35transform_pair_of_input_iterators_tIbNS6_6detail15normal_iteratorINS6_10device_ptrIKdEEEESL_NS6_8equal_toIdEEEENSG_9not_fun_tINSD_8identityEEEEENSD_19counting_iterator_tIlEES8_S8_S8_S8_S8_S8_S8_S8_EEEEPS9_S9_NSD_9__find_if7functorIS9_EEEE10hipError_tPvRmT1_T2_T3_mT4_P12ihipStream_tbEUlT_E0_NS1_11comp_targetILNS1_3genE3ELNS1_11target_archE908ELNS1_3gpuE7ELNS1_3repE0EEENS1_30default_config_static_selectorELNS0_4arch9wavefront6targetE0EEEvS14_,@function
_ZN7rocprim17ROCPRIM_400000_NS6detail17trampoline_kernelINS0_14default_configENS1_22reduce_config_selectorIN6thrust23THRUST_200600_302600_NS5tupleIblNS6_9null_typeES8_S8_S8_S8_S8_S8_S8_EEEEZNS1_11reduce_implILb1ES3_NS6_12zip_iteratorINS7_INS6_11hip_rocprim26transform_input_iterator_tIbNSD_35transform_pair_of_input_iterators_tIbNS6_6detail15normal_iteratorINS6_10device_ptrIKdEEEESL_NS6_8equal_toIdEEEENSG_9not_fun_tINSD_8identityEEEEENSD_19counting_iterator_tIlEES8_S8_S8_S8_S8_S8_S8_S8_EEEEPS9_S9_NSD_9__find_if7functorIS9_EEEE10hipError_tPvRmT1_T2_T3_mT4_P12ihipStream_tbEUlT_E0_NS1_11comp_targetILNS1_3genE3ELNS1_11target_archE908ELNS1_3gpuE7ELNS1_3repE0EEENS1_30default_config_static_selectorELNS0_4arch9wavefront6targetE0EEEvS14_: ; @_ZN7rocprim17ROCPRIM_400000_NS6detail17trampoline_kernelINS0_14default_configENS1_22reduce_config_selectorIN6thrust23THRUST_200600_302600_NS5tupleIblNS6_9null_typeES8_S8_S8_S8_S8_S8_S8_EEEEZNS1_11reduce_implILb1ES3_NS6_12zip_iteratorINS7_INS6_11hip_rocprim26transform_input_iterator_tIbNSD_35transform_pair_of_input_iterators_tIbNS6_6detail15normal_iteratorINS6_10device_ptrIKdEEEESL_NS6_8equal_toIdEEEENSG_9not_fun_tINSD_8identityEEEEENSD_19counting_iterator_tIlEES8_S8_S8_S8_S8_S8_S8_S8_EEEEPS9_S9_NSD_9__find_if7functorIS9_EEEE10hipError_tPvRmT1_T2_T3_mT4_P12ihipStream_tbEUlT_E0_NS1_11comp_targetILNS1_3genE3ELNS1_11target_archE908ELNS1_3gpuE7ELNS1_3repE0EEENS1_30default_config_static_selectorELNS0_4arch9wavefront6targetE0EEEvS14_
; %bb.0:
	.section	.rodata,"a",@progbits
	.p2align	6, 0x0
	.amdhsa_kernel _ZN7rocprim17ROCPRIM_400000_NS6detail17trampoline_kernelINS0_14default_configENS1_22reduce_config_selectorIN6thrust23THRUST_200600_302600_NS5tupleIblNS6_9null_typeES8_S8_S8_S8_S8_S8_S8_EEEEZNS1_11reduce_implILb1ES3_NS6_12zip_iteratorINS7_INS6_11hip_rocprim26transform_input_iterator_tIbNSD_35transform_pair_of_input_iterators_tIbNS6_6detail15normal_iteratorINS6_10device_ptrIKdEEEESL_NS6_8equal_toIdEEEENSG_9not_fun_tINSD_8identityEEEEENSD_19counting_iterator_tIlEES8_S8_S8_S8_S8_S8_S8_S8_EEEEPS9_S9_NSD_9__find_if7functorIS9_EEEE10hipError_tPvRmT1_T2_T3_mT4_P12ihipStream_tbEUlT_E0_NS1_11comp_targetILNS1_3genE3ELNS1_11target_archE908ELNS1_3gpuE7ELNS1_3repE0EEENS1_30default_config_static_selectorELNS0_4arch9wavefront6targetE0EEEvS14_
		.amdhsa_group_segment_fixed_size 0
		.amdhsa_private_segment_fixed_size 0
		.amdhsa_kernarg_size 104
		.amdhsa_user_sgpr_count 15
		.amdhsa_user_sgpr_dispatch_ptr 0
		.amdhsa_user_sgpr_queue_ptr 0
		.amdhsa_user_sgpr_kernarg_segment_ptr 1
		.amdhsa_user_sgpr_dispatch_id 0
		.amdhsa_user_sgpr_private_segment_size 0
		.amdhsa_wavefront_size32 1
		.amdhsa_uses_dynamic_stack 0
		.amdhsa_enable_private_segment 0
		.amdhsa_system_sgpr_workgroup_id_x 1
		.amdhsa_system_sgpr_workgroup_id_y 0
		.amdhsa_system_sgpr_workgroup_id_z 0
		.amdhsa_system_sgpr_workgroup_info 0
		.amdhsa_system_vgpr_workitem_id 0
		.amdhsa_next_free_vgpr 1
		.amdhsa_next_free_sgpr 1
		.amdhsa_reserve_vcc 0
		.amdhsa_float_round_mode_32 0
		.amdhsa_float_round_mode_16_64 0
		.amdhsa_float_denorm_mode_32 3
		.amdhsa_float_denorm_mode_16_64 3
		.amdhsa_dx10_clamp 1
		.amdhsa_ieee_mode 1
		.amdhsa_fp16_overflow 0
		.amdhsa_workgroup_processor_mode 1
		.amdhsa_memory_ordered 1
		.amdhsa_forward_progress 0
		.amdhsa_shared_vgpr_count 0
		.amdhsa_exception_fp_ieee_invalid_op 0
		.amdhsa_exception_fp_denorm_src 0
		.amdhsa_exception_fp_ieee_div_zero 0
		.amdhsa_exception_fp_ieee_overflow 0
		.amdhsa_exception_fp_ieee_underflow 0
		.amdhsa_exception_fp_ieee_inexact 0
		.amdhsa_exception_int_div_zero 0
	.end_amdhsa_kernel
	.section	.text._ZN7rocprim17ROCPRIM_400000_NS6detail17trampoline_kernelINS0_14default_configENS1_22reduce_config_selectorIN6thrust23THRUST_200600_302600_NS5tupleIblNS6_9null_typeES8_S8_S8_S8_S8_S8_S8_EEEEZNS1_11reduce_implILb1ES3_NS6_12zip_iteratorINS7_INS6_11hip_rocprim26transform_input_iterator_tIbNSD_35transform_pair_of_input_iterators_tIbNS6_6detail15normal_iteratorINS6_10device_ptrIKdEEEESL_NS6_8equal_toIdEEEENSG_9not_fun_tINSD_8identityEEEEENSD_19counting_iterator_tIlEES8_S8_S8_S8_S8_S8_S8_S8_EEEEPS9_S9_NSD_9__find_if7functorIS9_EEEE10hipError_tPvRmT1_T2_T3_mT4_P12ihipStream_tbEUlT_E0_NS1_11comp_targetILNS1_3genE3ELNS1_11target_archE908ELNS1_3gpuE7ELNS1_3repE0EEENS1_30default_config_static_selectorELNS0_4arch9wavefront6targetE0EEEvS14_,"axG",@progbits,_ZN7rocprim17ROCPRIM_400000_NS6detail17trampoline_kernelINS0_14default_configENS1_22reduce_config_selectorIN6thrust23THRUST_200600_302600_NS5tupleIblNS6_9null_typeES8_S8_S8_S8_S8_S8_S8_EEEEZNS1_11reduce_implILb1ES3_NS6_12zip_iteratorINS7_INS6_11hip_rocprim26transform_input_iterator_tIbNSD_35transform_pair_of_input_iterators_tIbNS6_6detail15normal_iteratorINS6_10device_ptrIKdEEEESL_NS6_8equal_toIdEEEENSG_9not_fun_tINSD_8identityEEEEENSD_19counting_iterator_tIlEES8_S8_S8_S8_S8_S8_S8_S8_EEEEPS9_S9_NSD_9__find_if7functorIS9_EEEE10hipError_tPvRmT1_T2_T3_mT4_P12ihipStream_tbEUlT_E0_NS1_11comp_targetILNS1_3genE3ELNS1_11target_archE908ELNS1_3gpuE7ELNS1_3repE0EEENS1_30default_config_static_selectorELNS0_4arch9wavefront6targetE0EEEvS14_,comdat
.Lfunc_end757:
	.size	_ZN7rocprim17ROCPRIM_400000_NS6detail17trampoline_kernelINS0_14default_configENS1_22reduce_config_selectorIN6thrust23THRUST_200600_302600_NS5tupleIblNS6_9null_typeES8_S8_S8_S8_S8_S8_S8_EEEEZNS1_11reduce_implILb1ES3_NS6_12zip_iteratorINS7_INS6_11hip_rocprim26transform_input_iterator_tIbNSD_35transform_pair_of_input_iterators_tIbNS6_6detail15normal_iteratorINS6_10device_ptrIKdEEEESL_NS6_8equal_toIdEEEENSG_9not_fun_tINSD_8identityEEEEENSD_19counting_iterator_tIlEES8_S8_S8_S8_S8_S8_S8_S8_EEEEPS9_S9_NSD_9__find_if7functorIS9_EEEE10hipError_tPvRmT1_T2_T3_mT4_P12ihipStream_tbEUlT_E0_NS1_11comp_targetILNS1_3genE3ELNS1_11target_archE908ELNS1_3gpuE7ELNS1_3repE0EEENS1_30default_config_static_selectorELNS0_4arch9wavefront6targetE0EEEvS14_, .Lfunc_end757-_ZN7rocprim17ROCPRIM_400000_NS6detail17trampoline_kernelINS0_14default_configENS1_22reduce_config_selectorIN6thrust23THRUST_200600_302600_NS5tupleIblNS6_9null_typeES8_S8_S8_S8_S8_S8_S8_EEEEZNS1_11reduce_implILb1ES3_NS6_12zip_iteratorINS7_INS6_11hip_rocprim26transform_input_iterator_tIbNSD_35transform_pair_of_input_iterators_tIbNS6_6detail15normal_iteratorINS6_10device_ptrIKdEEEESL_NS6_8equal_toIdEEEENSG_9not_fun_tINSD_8identityEEEEENSD_19counting_iterator_tIlEES8_S8_S8_S8_S8_S8_S8_S8_EEEEPS9_S9_NSD_9__find_if7functorIS9_EEEE10hipError_tPvRmT1_T2_T3_mT4_P12ihipStream_tbEUlT_E0_NS1_11comp_targetILNS1_3genE3ELNS1_11target_archE908ELNS1_3gpuE7ELNS1_3repE0EEENS1_30default_config_static_selectorELNS0_4arch9wavefront6targetE0EEEvS14_
                                        ; -- End function
	.section	.AMDGPU.csdata,"",@progbits
; Kernel info:
; codeLenInByte = 0
; NumSgprs: 0
; NumVgprs: 0
; ScratchSize: 0
; MemoryBound: 0
; FloatMode: 240
; IeeeMode: 1
; LDSByteSize: 0 bytes/workgroup (compile time only)
; SGPRBlocks: 0
; VGPRBlocks: 0
; NumSGPRsForWavesPerEU: 1
; NumVGPRsForWavesPerEU: 1
; Occupancy: 16
; WaveLimiterHint : 0
; COMPUTE_PGM_RSRC2:SCRATCH_EN: 0
; COMPUTE_PGM_RSRC2:USER_SGPR: 15
; COMPUTE_PGM_RSRC2:TRAP_HANDLER: 0
; COMPUTE_PGM_RSRC2:TGID_X_EN: 1
; COMPUTE_PGM_RSRC2:TGID_Y_EN: 0
; COMPUTE_PGM_RSRC2:TGID_Z_EN: 0
; COMPUTE_PGM_RSRC2:TIDIG_COMP_CNT: 0
	.section	.text._ZN7rocprim17ROCPRIM_400000_NS6detail17trampoline_kernelINS0_14default_configENS1_22reduce_config_selectorIN6thrust23THRUST_200600_302600_NS5tupleIblNS6_9null_typeES8_S8_S8_S8_S8_S8_S8_EEEEZNS1_11reduce_implILb1ES3_NS6_12zip_iteratorINS7_INS6_11hip_rocprim26transform_input_iterator_tIbNSD_35transform_pair_of_input_iterators_tIbNS6_6detail15normal_iteratorINS6_10device_ptrIKdEEEESL_NS6_8equal_toIdEEEENSG_9not_fun_tINSD_8identityEEEEENSD_19counting_iterator_tIlEES8_S8_S8_S8_S8_S8_S8_S8_EEEEPS9_S9_NSD_9__find_if7functorIS9_EEEE10hipError_tPvRmT1_T2_T3_mT4_P12ihipStream_tbEUlT_E0_NS1_11comp_targetILNS1_3genE2ELNS1_11target_archE906ELNS1_3gpuE6ELNS1_3repE0EEENS1_30default_config_static_selectorELNS0_4arch9wavefront6targetE0EEEvS14_,"axG",@progbits,_ZN7rocprim17ROCPRIM_400000_NS6detail17trampoline_kernelINS0_14default_configENS1_22reduce_config_selectorIN6thrust23THRUST_200600_302600_NS5tupleIblNS6_9null_typeES8_S8_S8_S8_S8_S8_S8_EEEEZNS1_11reduce_implILb1ES3_NS6_12zip_iteratorINS7_INS6_11hip_rocprim26transform_input_iterator_tIbNSD_35transform_pair_of_input_iterators_tIbNS6_6detail15normal_iteratorINS6_10device_ptrIKdEEEESL_NS6_8equal_toIdEEEENSG_9not_fun_tINSD_8identityEEEEENSD_19counting_iterator_tIlEES8_S8_S8_S8_S8_S8_S8_S8_EEEEPS9_S9_NSD_9__find_if7functorIS9_EEEE10hipError_tPvRmT1_T2_T3_mT4_P12ihipStream_tbEUlT_E0_NS1_11comp_targetILNS1_3genE2ELNS1_11target_archE906ELNS1_3gpuE6ELNS1_3repE0EEENS1_30default_config_static_selectorELNS0_4arch9wavefront6targetE0EEEvS14_,comdat
	.protected	_ZN7rocprim17ROCPRIM_400000_NS6detail17trampoline_kernelINS0_14default_configENS1_22reduce_config_selectorIN6thrust23THRUST_200600_302600_NS5tupleIblNS6_9null_typeES8_S8_S8_S8_S8_S8_S8_EEEEZNS1_11reduce_implILb1ES3_NS6_12zip_iteratorINS7_INS6_11hip_rocprim26transform_input_iterator_tIbNSD_35transform_pair_of_input_iterators_tIbNS6_6detail15normal_iteratorINS6_10device_ptrIKdEEEESL_NS6_8equal_toIdEEEENSG_9not_fun_tINSD_8identityEEEEENSD_19counting_iterator_tIlEES8_S8_S8_S8_S8_S8_S8_S8_EEEEPS9_S9_NSD_9__find_if7functorIS9_EEEE10hipError_tPvRmT1_T2_T3_mT4_P12ihipStream_tbEUlT_E0_NS1_11comp_targetILNS1_3genE2ELNS1_11target_archE906ELNS1_3gpuE6ELNS1_3repE0EEENS1_30default_config_static_selectorELNS0_4arch9wavefront6targetE0EEEvS14_ ; -- Begin function _ZN7rocprim17ROCPRIM_400000_NS6detail17trampoline_kernelINS0_14default_configENS1_22reduce_config_selectorIN6thrust23THRUST_200600_302600_NS5tupleIblNS6_9null_typeES8_S8_S8_S8_S8_S8_S8_EEEEZNS1_11reduce_implILb1ES3_NS6_12zip_iteratorINS7_INS6_11hip_rocprim26transform_input_iterator_tIbNSD_35transform_pair_of_input_iterators_tIbNS6_6detail15normal_iteratorINS6_10device_ptrIKdEEEESL_NS6_8equal_toIdEEEENSG_9not_fun_tINSD_8identityEEEEENSD_19counting_iterator_tIlEES8_S8_S8_S8_S8_S8_S8_S8_EEEEPS9_S9_NSD_9__find_if7functorIS9_EEEE10hipError_tPvRmT1_T2_T3_mT4_P12ihipStream_tbEUlT_E0_NS1_11comp_targetILNS1_3genE2ELNS1_11target_archE906ELNS1_3gpuE6ELNS1_3repE0EEENS1_30default_config_static_selectorELNS0_4arch9wavefront6targetE0EEEvS14_
	.globl	_ZN7rocprim17ROCPRIM_400000_NS6detail17trampoline_kernelINS0_14default_configENS1_22reduce_config_selectorIN6thrust23THRUST_200600_302600_NS5tupleIblNS6_9null_typeES8_S8_S8_S8_S8_S8_S8_EEEEZNS1_11reduce_implILb1ES3_NS6_12zip_iteratorINS7_INS6_11hip_rocprim26transform_input_iterator_tIbNSD_35transform_pair_of_input_iterators_tIbNS6_6detail15normal_iteratorINS6_10device_ptrIKdEEEESL_NS6_8equal_toIdEEEENSG_9not_fun_tINSD_8identityEEEEENSD_19counting_iterator_tIlEES8_S8_S8_S8_S8_S8_S8_S8_EEEEPS9_S9_NSD_9__find_if7functorIS9_EEEE10hipError_tPvRmT1_T2_T3_mT4_P12ihipStream_tbEUlT_E0_NS1_11comp_targetILNS1_3genE2ELNS1_11target_archE906ELNS1_3gpuE6ELNS1_3repE0EEENS1_30default_config_static_selectorELNS0_4arch9wavefront6targetE0EEEvS14_
	.p2align	8
	.type	_ZN7rocprim17ROCPRIM_400000_NS6detail17trampoline_kernelINS0_14default_configENS1_22reduce_config_selectorIN6thrust23THRUST_200600_302600_NS5tupleIblNS6_9null_typeES8_S8_S8_S8_S8_S8_S8_EEEEZNS1_11reduce_implILb1ES3_NS6_12zip_iteratorINS7_INS6_11hip_rocprim26transform_input_iterator_tIbNSD_35transform_pair_of_input_iterators_tIbNS6_6detail15normal_iteratorINS6_10device_ptrIKdEEEESL_NS6_8equal_toIdEEEENSG_9not_fun_tINSD_8identityEEEEENSD_19counting_iterator_tIlEES8_S8_S8_S8_S8_S8_S8_S8_EEEEPS9_S9_NSD_9__find_if7functorIS9_EEEE10hipError_tPvRmT1_T2_T3_mT4_P12ihipStream_tbEUlT_E0_NS1_11comp_targetILNS1_3genE2ELNS1_11target_archE906ELNS1_3gpuE6ELNS1_3repE0EEENS1_30default_config_static_selectorELNS0_4arch9wavefront6targetE0EEEvS14_,@function
_ZN7rocprim17ROCPRIM_400000_NS6detail17trampoline_kernelINS0_14default_configENS1_22reduce_config_selectorIN6thrust23THRUST_200600_302600_NS5tupleIblNS6_9null_typeES8_S8_S8_S8_S8_S8_S8_EEEEZNS1_11reduce_implILb1ES3_NS6_12zip_iteratorINS7_INS6_11hip_rocprim26transform_input_iterator_tIbNSD_35transform_pair_of_input_iterators_tIbNS6_6detail15normal_iteratorINS6_10device_ptrIKdEEEESL_NS6_8equal_toIdEEEENSG_9not_fun_tINSD_8identityEEEEENSD_19counting_iterator_tIlEES8_S8_S8_S8_S8_S8_S8_S8_EEEEPS9_S9_NSD_9__find_if7functorIS9_EEEE10hipError_tPvRmT1_T2_T3_mT4_P12ihipStream_tbEUlT_E0_NS1_11comp_targetILNS1_3genE2ELNS1_11target_archE906ELNS1_3gpuE6ELNS1_3repE0EEENS1_30default_config_static_selectorELNS0_4arch9wavefront6targetE0EEEvS14_: ; @_ZN7rocprim17ROCPRIM_400000_NS6detail17trampoline_kernelINS0_14default_configENS1_22reduce_config_selectorIN6thrust23THRUST_200600_302600_NS5tupleIblNS6_9null_typeES8_S8_S8_S8_S8_S8_S8_EEEEZNS1_11reduce_implILb1ES3_NS6_12zip_iteratorINS7_INS6_11hip_rocprim26transform_input_iterator_tIbNSD_35transform_pair_of_input_iterators_tIbNS6_6detail15normal_iteratorINS6_10device_ptrIKdEEEESL_NS6_8equal_toIdEEEENSG_9not_fun_tINSD_8identityEEEEENSD_19counting_iterator_tIlEES8_S8_S8_S8_S8_S8_S8_S8_EEEEPS9_S9_NSD_9__find_if7functorIS9_EEEE10hipError_tPvRmT1_T2_T3_mT4_P12ihipStream_tbEUlT_E0_NS1_11comp_targetILNS1_3genE2ELNS1_11target_archE906ELNS1_3gpuE6ELNS1_3repE0EEENS1_30default_config_static_selectorELNS0_4arch9wavefront6targetE0EEEvS14_
; %bb.0:
	.section	.rodata,"a",@progbits
	.p2align	6, 0x0
	.amdhsa_kernel _ZN7rocprim17ROCPRIM_400000_NS6detail17trampoline_kernelINS0_14default_configENS1_22reduce_config_selectorIN6thrust23THRUST_200600_302600_NS5tupleIblNS6_9null_typeES8_S8_S8_S8_S8_S8_S8_EEEEZNS1_11reduce_implILb1ES3_NS6_12zip_iteratorINS7_INS6_11hip_rocprim26transform_input_iterator_tIbNSD_35transform_pair_of_input_iterators_tIbNS6_6detail15normal_iteratorINS6_10device_ptrIKdEEEESL_NS6_8equal_toIdEEEENSG_9not_fun_tINSD_8identityEEEEENSD_19counting_iterator_tIlEES8_S8_S8_S8_S8_S8_S8_S8_EEEEPS9_S9_NSD_9__find_if7functorIS9_EEEE10hipError_tPvRmT1_T2_T3_mT4_P12ihipStream_tbEUlT_E0_NS1_11comp_targetILNS1_3genE2ELNS1_11target_archE906ELNS1_3gpuE6ELNS1_3repE0EEENS1_30default_config_static_selectorELNS0_4arch9wavefront6targetE0EEEvS14_
		.amdhsa_group_segment_fixed_size 0
		.amdhsa_private_segment_fixed_size 0
		.amdhsa_kernarg_size 104
		.amdhsa_user_sgpr_count 15
		.amdhsa_user_sgpr_dispatch_ptr 0
		.amdhsa_user_sgpr_queue_ptr 0
		.amdhsa_user_sgpr_kernarg_segment_ptr 1
		.amdhsa_user_sgpr_dispatch_id 0
		.amdhsa_user_sgpr_private_segment_size 0
		.amdhsa_wavefront_size32 1
		.amdhsa_uses_dynamic_stack 0
		.amdhsa_enable_private_segment 0
		.amdhsa_system_sgpr_workgroup_id_x 1
		.amdhsa_system_sgpr_workgroup_id_y 0
		.amdhsa_system_sgpr_workgroup_id_z 0
		.amdhsa_system_sgpr_workgroup_info 0
		.amdhsa_system_vgpr_workitem_id 0
		.amdhsa_next_free_vgpr 1
		.amdhsa_next_free_sgpr 1
		.amdhsa_reserve_vcc 0
		.amdhsa_float_round_mode_32 0
		.amdhsa_float_round_mode_16_64 0
		.amdhsa_float_denorm_mode_32 3
		.amdhsa_float_denorm_mode_16_64 3
		.amdhsa_dx10_clamp 1
		.amdhsa_ieee_mode 1
		.amdhsa_fp16_overflow 0
		.amdhsa_workgroup_processor_mode 1
		.amdhsa_memory_ordered 1
		.amdhsa_forward_progress 0
		.amdhsa_shared_vgpr_count 0
		.amdhsa_exception_fp_ieee_invalid_op 0
		.amdhsa_exception_fp_denorm_src 0
		.amdhsa_exception_fp_ieee_div_zero 0
		.amdhsa_exception_fp_ieee_overflow 0
		.amdhsa_exception_fp_ieee_underflow 0
		.amdhsa_exception_fp_ieee_inexact 0
		.amdhsa_exception_int_div_zero 0
	.end_amdhsa_kernel
	.section	.text._ZN7rocprim17ROCPRIM_400000_NS6detail17trampoline_kernelINS0_14default_configENS1_22reduce_config_selectorIN6thrust23THRUST_200600_302600_NS5tupleIblNS6_9null_typeES8_S8_S8_S8_S8_S8_S8_EEEEZNS1_11reduce_implILb1ES3_NS6_12zip_iteratorINS7_INS6_11hip_rocprim26transform_input_iterator_tIbNSD_35transform_pair_of_input_iterators_tIbNS6_6detail15normal_iteratorINS6_10device_ptrIKdEEEESL_NS6_8equal_toIdEEEENSG_9not_fun_tINSD_8identityEEEEENSD_19counting_iterator_tIlEES8_S8_S8_S8_S8_S8_S8_S8_EEEEPS9_S9_NSD_9__find_if7functorIS9_EEEE10hipError_tPvRmT1_T2_T3_mT4_P12ihipStream_tbEUlT_E0_NS1_11comp_targetILNS1_3genE2ELNS1_11target_archE906ELNS1_3gpuE6ELNS1_3repE0EEENS1_30default_config_static_selectorELNS0_4arch9wavefront6targetE0EEEvS14_,"axG",@progbits,_ZN7rocprim17ROCPRIM_400000_NS6detail17trampoline_kernelINS0_14default_configENS1_22reduce_config_selectorIN6thrust23THRUST_200600_302600_NS5tupleIblNS6_9null_typeES8_S8_S8_S8_S8_S8_S8_EEEEZNS1_11reduce_implILb1ES3_NS6_12zip_iteratorINS7_INS6_11hip_rocprim26transform_input_iterator_tIbNSD_35transform_pair_of_input_iterators_tIbNS6_6detail15normal_iteratorINS6_10device_ptrIKdEEEESL_NS6_8equal_toIdEEEENSG_9not_fun_tINSD_8identityEEEEENSD_19counting_iterator_tIlEES8_S8_S8_S8_S8_S8_S8_S8_EEEEPS9_S9_NSD_9__find_if7functorIS9_EEEE10hipError_tPvRmT1_T2_T3_mT4_P12ihipStream_tbEUlT_E0_NS1_11comp_targetILNS1_3genE2ELNS1_11target_archE906ELNS1_3gpuE6ELNS1_3repE0EEENS1_30default_config_static_selectorELNS0_4arch9wavefront6targetE0EEEvS14_,comdat
.Lfunc_end758:
	.size	_ZN7rocprim17ROCPRIM_400000_NS6detail17trampoline_kernelINS0_14default_configENS1_22reduce_config_selectorIN6thrust23THRUST_200600_302600_NS5tupleIblNS6_9null_typeES8_S8_S8_S8_S8_S8_S8_EEEEZNS1_11reduce_implILb1ES3_NS6_12zip_iteratorINS7_INS6_11hip_rocprim26transform_input_iterator_tIbNSD_35transform_pair_of_input_iterators_tIbNS6_6detail15normal_iteratorINS6_10device_ptrIKdEEEESL_NS6_8equal_toIdEEEENSG_9not_fun_tINSD_8identityEEEEENSD_19counting_iterator_tIlEES8_S8_S8_S8_S8_S8_S8_S8_EEEEPS9_S9_NSD_9__find_if7functorIS9_EEEE10hipError_tPvRmT1_T2_T3_mT4_P12ihipStream_tbEUlT_E0_NS1_11comp_targetILNS1_3genE2ELNS1_11target_archE906ELNS1_3gpuE6ELNS1_3repE0EEENS1_30default_config_static_selectorELNS0_4arch9wavefront6targetE0EEEvS14_, .Lfunc_end758-_ZN7rocprim17ROCPRIM_400000_NS6detail17trampoline_kernelINS0_14default_configENS1_22reduce_config_selectorIN6thrust23THRUST_200600_302600_NS5tupleIblNS6_9null_typeES8_S8_S8_S8_S8_S8_S8_EEEEZNS1_11reduce_implILb1ES3_NS6_12zip_iteratorINS7_INS6_11hip_rocprim26transform_input_iterator_tIbNSD_35transform_pair_of_input_iterators_tIbNS6_6detail15normal_iteratorINS6_10device_ptrIKdEEEESL_NS6_8equal_toIdEEEENSG_9not_fun_tINSD_8identityEEEEENSD_19counting_iterator_tIlEES8_S8_S8_S8_S8_S8_S8_S8_EEEEPS9_S9_NSD_9__find_if7functorIS9_EEEE10hipError_tPvRmT1_T2_T3_mT4_P12ihipStream_tbEUlT_E0_NS1_11comp_targetILNS1_3genE2ELNS1_11target_archE906ELNS1_3gpuE6ELNS1_3repE0EEENS1_30default_config_static_selectorELNS0_4arch9wavefront6targetE0EEEvS14_
                                        ; -- End function
	.section	.AMDGPU.csdata,"",@progbits
; Kernel info:
; codeLenInByte = 0
; NumSgprs: 0
; NumVgprs: 0
; ScratchSize: 0
; MemoryBound: 0
; FloatMode: 240
; IeeeMode: 1
; LDSByteSize: 0 bytes/workgroup (compile time only)
; SGPRBlocks: 0
; VGPRBlocks: 0
; NumSGPRsForWavesPerEU: 1
; NumVGPRsForWavesPerEU: 1
; Occupancy: 16
; WaveLimiterHint : 0
; COMPUTE_PGM_RSRC2:SCRATCH_EN: 0
; COMPUTE_PGM_RSRC2:USER_SGPR: 15
; COMPUTE_PGM_RSRC2:TRAP_HANDLER: 0
; COMPUTE_PGM_RSRC2:TGID_X_EN: 1
; COMPUTE_PGM_RSRC2:TGID_Y_EN: 0
; COMPUTE_PGM_RSRC2:TGID_Z_EN: 0
; COMPUTE_PGM_RSRC2:TIDIG_COMP_CNT: 0
	.section	.text._ZN7rocprim17ROCPRIM_400000_NS6detail17trampoline_kernelINS0_14default_configENS1_22reduce_config_selectorIN6thrust23THRUST_200600_302600_NS5tupleIblNS6_9null_typeES8_S8_S8_S8_S8_S8_S8_EEEEZNS1_11reduce_implILb1ES3_NS6_12zip_iteratorINS7_INS6_11hip_rocprim26transform_input_iterator_tIbNSD_35transform_pair_of_input_iterators_tIbNS6_6detail15normal_iteratorINS6_10device_ptrIKdEEEESL_NS6_8equal_toIdEEEENSG_9not_fun_tINSD_8identityEEEEENSD_19counting_iterator_tIlEES8_S8_S8_S8_S8_S8_S8_S8_EEEEPS9_S9_NSD_9__find_if7functorIS9_EEEE10hipError_tPvRmT1_T2_T3_mT4_P12ihipStream_tbEUlT_E0_NS1_11comp_targetILNS1_3genE10ELNS1_11target_archE1201ELNS1_3gpuE5ELNS1_3repE0EEENS1_30default_config_static_selectorELNS0_4arch9wavefront6targetE0EEEvS14_,"axG",@progbits,_ZN7rocprim17ROCPRIM_400000_NS6detail17trampoline_kernelINS0_14default_configENS1_22reduce_config_selectorIN6thrust23THRUST_200600_302600_NS5tupleIblNS6_9null_typeES8_S8_S8_S8_S8_S8_S8_EEEEZNS1_11reduce_implILb1ES3_NS6_12zip_iteratorINS7_INS6_11hip_rocprim26transform_input_iterator_tIbNSD_35transform_pair_of_input_iterators_tIbNS6_6detail15normal_iteratorINS6_10device_ptrIKdEEEESL_NS6_8equal_toIdEEEENSG_9not_fun_tINSD_8identityEEEEENSD_19counting_iterator_tIlEES8_S8_S8_S8_S8_S8_S8_S8_EEEEPS9_S9_NSD_9__find_if7functorIS9_EEEE10hipError_tPvRmT1_T2_T3_mT4_P12ihipStream_tbEUlT_E0_NS1_11comp_targetILNS1_3genE10ELNS1_11target_archE1201ELNS1_3gpuE5ELNS1_3repE0EEENS1_30default_config_static_selectorELNS0_4arch9wavefront6targetE0EEEvS14_,comdat
	.protected	_ZN7rocprim17ROCPRIM_400000_NS6detail17trampoline_kernelINS0_14default_configENS1_22reduce_config_selectorIN6thrust23THRUST_200600_302600_NS5tupleIblNS6_9null_typeES8_S8_S8_S8_S8_S8_S8_EEEEZNS1_11reduce_implILb1ES3_NS6_12zip_iteratorINS7_INS6_11hip_rocprim26transform_input_iterator_tIbNSD_35transform_pair_of_input_iterators_tIbNS6_6detail15normal_iteratorINS6_10device_ptrIKdEEEESL_NS6_8equal_toIdEEEENSG_9not_fun_tINSD_8identityEEEEENSD_19counting_iterator_tIlEES8_S8_S8_S8_S8_S8_S8_S8_EEEEPS9_S9_NSD_9__find_if7functorIS9_EEEE10hipError_tPvRmT1_T2_T3_mT4_P12ihipStream_tbEUlT_E0_NS1_11comp_targetILNS1_3genE10ELNS1_11target_archE1201ELNS1_3gpuE5ELNS1_3repE0EEENS1_30default_config_static_selectorELNS0_4arch9wavefront6targetE0EEEvS14_ ; -- Begin function _ZN7rocprim17ROCPRIM_400000_NS6detail17trampoline_kernelINS0_14default_configENS1_22reduce_config_selectorIN6thrust23THRUST_200600_302600_NS5tupleIblNS6_9null_typeES8_S8_S8_S8_S8_S8_S8_EEEEZNS1_11reduce_implILb1ES3_NS6_12zip_iteratorINS7_INS6_11hip_rocprim26transform_input_iterator_tIbNSD_35transform_pair_of_input_iterators_tIbNS6_6detail15normal_iteratorINS6_10device_ptrIKdEEEESL_NS6_8equal_toIdEEEENSG_9not_fun_tINSD_8identityEEEEENSD_19counting_iterator_tIlEES8_S8_S8_S8_S8_S8_S8_S8_EEEEPS9_S9_NSD_9__find_if7functorIS9_EEEE10hipError_tPvRmT1_T2_T3_mT4_P12ihipStream_tbEUlT_E0_NS1_11comp_targetILNS1_3genE10ELNS1_11target_archE1201ELNS1_3gpuE5ELNS1_3repE0EEENS1_30default_config_static_selectorELNS0_4arch9wavefront6targetE0EEEvS14_
	.globl	_ZN7rocprim17ROCPRIM_400000_NS6detail17trampoline_kernelINS0_14default_configENS1_22reduce_config_selectorIN6thrust23THRUST_200600_302600_NS5tupleIblNS6_9null_typeES8_S8_S8_S8_S8_S8_S8_EEEEZNS1_11reduce_implILb1ES3_NS6_12zip_iteratorINS7_INS6_11hip_rocprim26transform_input_iterator_tIbNSD_35transform_pair_of_input_iterators_tIbNS6_6detail15normal_iteratorINS6_10device_ptrIKdEEEESL_NS6_8equal_toIdEEEENSG_9not_fun_tINSD_8identityEEEEENSD_19counting_iterator_tIlEES8_S8_S8_S8_S8_S8_S8_S8_EEEEPS9_S9_NSD_9__find_if7functorIS9_EEEE10hipError_tPvRmT1_T2_T3_mT4_P12ihipStream_tbEUlT_E0_NS1_11comp_targetILNS1_3genE10ELNS1_11target_archE1201ELNS1_3gpuE5ELNS1_3repE0EEENS1_30default_config_static_selectorELNS0_4arch9wavefront6targetE0EEEvS14_
	.p2align	8
	.type	_ZN7rocprim17ROCPRIM_400000_NS6detail17trampoline_kernelINS0_14default_configENS1_22reduce_config_selectorIN6thrust23THRUST_200600_302600_NS5tupleIblNS6_9null_typeES8_S8_S8_S8_S8_S8_S8_EEEEZNS1_11reduce_implILb1ES3_NS6_12zip_iteratorINS7_INS6_11hip_rocprim26transform_input_iterator_tIbNSD_35transform_pair_of_input_iterators_tIbNS6_6detail15normal_iteratorINS6_10device_ptrIKdEEEESL_NS6_8equal_toIdEEEENSG_9not_fun_tINSD_8identityEEEEENSD_19counting_iterator_tIlEES8_S8_S8_S8_S8_S8_S8_S8_EEEEPS9_S9_NSD_9__find_if7functorIS9_EEEE10hipError_tPvRmT1_T2_T3_mT4_P12ihipStream_tbEUlT_E0_NS1_11comp_targetILNS1_3genE10ELNS1_11target_archE1201ELNS1_3gpuE5ELNS1_3repE0EEENS1_30default_config_static_selectorELNS0_4arch9wavefront6targetE0EEEvS14_,@function
_ZN7rocprim17ROCPRIM_400000_NS6detail17trampoline_kernelINS0_14default_configENS1_22reduce_config_selectorIN6thrust23THRUST_200600_302600_NS5tupleIblNS6_9null_typeES8_S8_S8_S8_S8_S8_S8_EEEEZNS1_11reduce_implILb1ES3_NS6_12zip_iteratorINS7_INS6_11hip_rocprim26transform_input_iterator_tIbNSD_35transform_pair_of_input_iterators_tIbNS6_6detail15normal_iteratorINS6_10device_ptrIKdEEEESL_NS6_8equal_toIdEEEENSG_9not_fun_tINSD_8identityEEEEENSD_19counting_iterator_tIlEES8_S8_S8_S8_S8_S8_S8_S8_EEEEPS9_S9_NSD_9__find_if7functorIS9_EEEE10hipError_tPvRmT1_T2_T3_mT4_P12ihipStream_tbEUlT_E0_NS1_11comp_targetILNS1_3genE10ELNS1_11target_archE1201ELNS1_3gpuE5ELNS1_3repE0EEENS1_30default_config_static_selectorELNS0_4arch9wavefront6targetE0EEEvS14_: ; @_ZN7rocprim17ROCPRIM_400000_NS6detail17trampoline_kernelINS0_14default_configENS1_22reduce_config_selectorIN6thrust23THRUST_200600_302600_NS5tupleIblNS6_9null_typeES8_S8_S8_S8_S8_S8_S8_EEEEZNS1_11reduce_implILb1ES3_NS6_12zip_iteratorINS7_INS6_11hip_rocprim26transform_input_iterator_tIbNSD_35transform_pair_of_input_iterators_tIbNS6_6detail15normal_iteratorINS6_10device_ptrIKdEEEESL_NS6_8equal_toIdEEEENSG_9not_fun_tINSD_8identityEEEEENSD_19counting_iterator_tIlEES8_S8_S8_S8_S8_S8_S8_S8_EEEEPS9_S9_NSD_9__find_if7functorIS9_EEEE10hipError_tPvRmT1_T2_T3_mT4_P12ihipStream_tbEUlT_E0_NS1_11comp_targetILNS1_3genE10ELNS1_11target_archE1201ELNS1_3gpuE5ELNS1_3repE0EEENS1_30default_config_static_selectorELNS0_4arch9wavefront6targetE0EEEvS14_
; %bb.0:
	.section	.rodata,"a",@progbits
	.p2align	6, 0x0
	.amdhsa_kernel _ZN7rocprim17ROCPRIM_400000_NS6detail17trampoline_kernelINS0_14default_configENS1_22reduce_config_selectorIN6thrust23THRUST_200600_302600_NS5tupleIblNS6_9null_typeES8_S8_S8_S8_S8_S8_S8_EEEEZNS1_11reduce_implILb1ES3_NS6_12zip_iteratorINS7_INS6_11hip_rocprim26transform_input_iterator_tIbNSD_35transform_pair_of_input_iterators_tIbNS6_6detail15normal_iteratorINS6_10device_ptrIKdEEEESL_NS6_8equal_toIdEEEENSG_9not_fun_tINSD_8identityEEEEENSD_19counting_iterator_tIlEES8_S8_S8_S8_S8_S8_S8_S8_EEEEPS9_S9_NSD_9__find_if7functorIS9_EEEE10hipError_tPvRmT1_T2_T3_mT4_P12ihipStream_tbEUlT_E0_NS1_11comp_targetILNS1_3genE10ELNS1_11target_archE1201ELNS1_3gpuE5ELNS1_3repE0EEENS1_30default_config_static_selectorELNS0_4arch9wavefront6targetE0EEEvS14_
		.amdhsa_group_segment_fixed_size 0
		.amdhsa_private_segment_fixed_size 0
		.amdhsa_kernarg_size 104
		.amdhsa_user_sgpr_count 15
		.amdhsa_user_sgpr_dispatch_ptr 0
		.amdhsa_user_sgpr_queue_ptr 0
		.amdhsa_user_sgpr_kernarg_segment_ptr 1
		.amdhsa_user_sgpr_dispatch_id 0
		.amdhsa_user_sgpr_private_segment_size 0
		.amdhsa_wavefront_size32 1
		.amdhsa_uses_dynamic_stack 0
		.amdhsa_enable_private_segment 0
		.amdhsa_system_sgpr_workgroup_id_x 1
		.amdhsa_system_sgpr_workgroup_id_y 0
		.amdhsa_system_sgpr_workgroup_id_z 0
		.amdhsa_system_sgpr_workgroup_info 0
		.amdhsa_system_vgpr_workitem_id 0
		.amdhsa_next_free_vgpr 1
		.amdhsa_next_free_sgpr 1
		.amdhsa_reserve_vcc 0
		.amdhsa_float_round_mode_32 0
		.amdhsa_float_round_mode_16_64 0
		.amdhsa_float_denorm_mode_32 3
		.amdhsa_float_denorm_mode_16_64 3
		.amdhsa_dx10_clamp 1
		.amdhsa_ieee_mode 1
		.amdhsa_fp16_overflow 0
		.amdhsa_workgroup_processor_mode 1
		.amdhsa_memory_ordered 1
		.amdhsa_forward_progress 0
		.amdhsa_shared_vgpr_count 0
		.amdhsa_exception_fp_ieee_invalid_op 0
		.amdhsa_exception_fp_denorm_src 0
		.amdhsa_exception_fp_ieee_div_zero 0
		.amdhsa_exception_fp_ieee_overflow 0
		.amdhsa_exception_fp_ieee_underflow 0
		.amdhsa_exception_fp_ieee_inexact 0
		.amdhsa_exception_int_div_zero 0
	.end_amdhsa_kernel
	.section	.text._ZN7rocprim17ROCPRIM_400000_NS6detail17trampoline_kernelINS0_14default_configENS1_22reduce_config_selectorIN6thrust23THRUST_200600_302600_NS5tupleIblNS6_9null_typeES8_S8_S8_S8_S8_S8_S8_EEEEZNS1_11reduce_implILb1ES3_NS6_12zip_iteratorINS7_INS6_11hip_rocprim26transform_input_iterator_tIbNSD_35transform_pair_of_input_iterators_tIbNS6_6detail15normal_iteratorINS6_10device_ptrIKdEEEESL_NS6_8equal_toIdEEEENSG_9not_fun_tINSD_8identityEEEEENSD_19counting_iterator_tIlEES8_S8_S8_S8_S8_S8_S8_S8_EEEEPS9_S9_NSD_9__find_if7functorIS9_EEEE10hipError_tPvRmT1_T2_T3_mT4_P12ihipStream_tbEUlT_E0_NS1_11comp_targetILNS1_3genE10ELNS1_11target_archE1201ELNS1_3gpuE5ELNS1_3repE0EEENS1_30default_config_static_selectorELNS0_4arch9wavefront6targetE0EEEvS14_,"axG",@progbits,_ZN7rocprim17ROCPRIM_400000_NS6detail17trampoline_kernelINS0_14default_configENS1_22reduce_config_selectorIN6thrust23THRUST_200600_302600_NS5tupleIblNS6_9null_typeES8_S8_S8_S8_S8_S8_S8_EEEEZNS1_11reduce_implILb1ES3_NS6_12zip_iteratorINS7_INS6_11hip_rocprim26transform_input_iterator_tIbNSD_35transform_pair_of_input_iterators_tIbNS6_6detail15normal_iteratorINS6_10device_ptrIKdEEEESL_NS6_8equal_toIdEEEENSG_9not_fun_tINSD_8identityEEEEENSD_19counting_iterator_tIlEES8_S8_S8_S8_S8_S8_S8_S8_EEEEPS9_S9_NSD_9__find_if7functorIS9_EEEE10hipError_tPvRmT1_T2_T3_mT4_P12ihipStream_tbEUlT_E0_NS1_11comp_targetILNS1_3genE10ELNS1_11target_archE1201ELNS1_3gpuE5ELNS1_3repE0EEENS1_30default_config_static_selectorELNS0_4arch9wavefront6targetE0EEEvS14_,comdat
.Lfunc_end759:
	.size	_ZN7rocprim17ROCPRIM_400000_NS6detail17trampoline_kernelINS0_14default_configENS1_22reduce_config_selectorIN6thrust23THRUST_200600_302600_NS5tupleIblNS6_9null_typeES8_S8_S8_S8_S8_S8_S8_EEEEZNS1_11reduce_implILb1ES3_NS6_12zip_iteratorINS7_INS6_11hip_rocprim26transform_input_iterator_tIbNSD_35transform_pair_of_input_iterators_tIbNS6_6detail15normal_iteratorINS6_10device_ptrIKdEEEESL_NS6_8equal_toIdEEEENSG_9not_fun_tINSD_8identityEEEEENSD_19counting_iterator_tIlEES8_S8_S8_S8_S8_S8_S8_S8_EEEEPS9_S9_NSD_9__find_if7functorIS9_EEEE10hipError_tPvRmT1_T2_T3_mT4_P12ihipStream_tbEUlT_E0_NS1_11comp_targetILNS1_3genE10ELNS1_11target_archE1201ELNS1_3gpuE5ELNS1_3repE0EEENS1_30default_config_static_selectorELNS0_4arch9wavefront6targetE0EEEvS14_, .Lfunc_end759-_ZN7rocprim17ROCPRIM_400000_NS6detail17trampoline_kernelINS0_14default_configENS1_22reduce_config_selectorIN6thrust23THRUST_200600_302600_NS5tupleIblNS6_9null_typeES8_S8_S8_S8_S8_S8_S8_EEEEZNS1_11reduce_implILb1ES3_NS6_12zip_iteratorINS7_INS6_11hip_rocprim26transform_input_iterator_tIbNSD_35transform_pair_of_input_iterators_tIbNS6_6detail15normal_iteratorINS6_10device_ptrIKdEEEESL_NS6_8equal_toIdEEEENSG_9not_fun_tINSD_8identityEEEEENSD_19counting_iterator_tIlEES8_S8_S8_S8_S8_S8_S8_S8_EEEEPS9_S9_NSD_9__find_if7functorIS9_EEEE10hipError_tPvRmT1_T2_T3_mT4_P12ihipStream_tbEUlT_E0_NS1_11comp_targetILNS1_3genE10ELNS1_11target_archE1201ELNS1_3gpuE5ELNS1_3repE0EEENS1_30default_config_static_selectorELNS0_4arch9wavefront6targetE0EEEvS14_
                                        ; -- End function
	.section	.AMDGPU.csdata,"",@progbits
; Kernel info:
; codeLenInByte = 0
; NumSgprs: 0
; NumVgprs: 0
; ScratchSize: 0
; MemoryBound: 0
; FloatMode: 240
; IeeeMode: 1
; LDSByteSize: 0 bytes/workgroup (compile time only)
; SGPRBlocks: 0
; VGPRBlocks: 0
; NumSGPRsForWavesPerEU: 1
; NumVGPRsForWavesPerEU: 1
; Occupancy: 16
; WaveLimiterHint : 0
; COMPUTE_PGM_RSRC2:SCRATCH_EN: 0
; COMPUTE_PGM_RSRC2:USER_SGPR: 15
; COMPUTE_PGM_RSRC2:TRAP_HANDLER: 0
; COMPUTE_PGM_RSRC2:TGID_X_EN: 1
; COMPUTE_PGM_RSRC2:TGID_Y_EN: 0
; COMPUTE_PGM_RSRC2:TGID_Z_EN: 0
; COMPUTE_PGM_RSRC2:TIDIG_COMP_CNT: 0
	.section	.text._ZN7rocprim17ROCPRIM_400000_NS6detail17trampoline_kernelINS0_14default_configENS1_22reduce_config_selectorIN6thrust23THRUST_200600_302600_NS5tupleIblNS6_9null_typeES8_S8_S8_S8_S8_S8_S8_EEEEZNS1_11reduce_implILb1ES3_NS6_12zip_iteratorINS7_INS6_11hip_rocprim26transform_input_iterator_tIbNSD_35transform_pair_of_input_iterators_tIbNS6_6detail15normal_iteratorINS6_10device_ptrIKdEEEESL_NS6_8equal_toIdEEEENSG_9not_fun_tINSD_8identityEEEEENSD_19counting_iterator_tIlEES8_S8_S8_S8_S8_S8_S8_S8_EEEEPS9_S9_NSD_9__find_if7functorIS9_EEEE10hipError_tPvRmT1_T2_T3_mT4_P12ihipStream_tbEUlT_E0_NS1_11comp_targetILNS1_3genE10ELNS1_11target_archE1200ELNS1_3gpuE4ELNS1_3repE0EEENS1_30default_config_static_selectorELNS0_4arch9wavefront6targetE0EEEvS14_,"axG",@progbits,_ZN7rocprim17ROCPRIM_400000_NS6detail17trampoline_kernelINS0_14default_configENS1_22reduce_config_selectorIN6thrust23THRUST_200600_302600_NS5tupleIblNS6_9null_typeES8_S8_S8_S8_S8_S8_S8_EEEEZNS1_11reduce_implILb1ES3_NS6_12zip_iteratorINS7_INS6_11hip_rocprim26transform_input_iterator_tIbNSD_35transform_pair_of_input_iterators_tIbNS6_6detail15normal_iteratorINS6_10device_ptrIKdEEEESL_NS6_8equal_toIdEEEENSG_9not_fun_tINSD_8identityEEEEENSD_19counting_iterator_tIlEES8_S8_S8_S8_S8_S8_S8_S8_EEEEPS9_S9_NSD_9__find_if7functorIS9_EEEE10hipError_tPvRmT1_T2_T3_mT4_P12ihipStream_tbEUlT_E0_NS1_11comp_targetILNS1_3genE10ELNS1_11target_archE1200ELNS1_3gpuE4ELNS1_3repE0EEENS1_30default_config_static_selectorELNS0_4arch9wavefront6targetE0EEEvS14_,comdat
	.protected	_ZN7rocprim17ROCPRIM_400000_NS6detail17trampoline_kernelINS0_14default_configENS1_22reduce_config_selectorIN6thrust23THRUST_200600_302600_NS5tupleIblNS6_9null_typeES8_S8_S8_S8_S8_S8_S8_EEEEZNS1_11reduce_implILb1ES3_NS6_12zip_iteratorINS7_INS6_11hip_rocprim26transform_input_iterator_tIbNSD_35transform_pair_of_input_iterators_tIbNS6_6detail15normal_iteratorINS6_10device_ptrIKdEEEESL_NS6_8equal_toIdEEEENSG_9not_fun_tINSD_8identityEEEEENSD_19counting_iterator_tIlEES8_S8_S8_S8_S8_S8_S8_S8_EEEEPS9_S9_NSD_9__find_if7functorIS9_EEEE10hipError_tPvRmT1_T2_T3_mT4_P12ihipStream_tbEUlT_E0_NS1_11comp_targetILNS1_3genE10ELNS1_11target_archE1200ELNS1_3gpuE4ELNS1_3repE0EEENS1_30default_config_static_selectorELNS0_4arch9wavefront6targetE0EEEvS14_ ; -- Begin function _ZN7rocprim17ROCPRIM_400000_NS6detail17trampoline_kernelINS0_14default_configENS1_22reduce_config_selectorIN6thrust23THRUST_200600_302600_NS5tupleIblNS6_9null_typeES8_S8_S8_S8_S8_S8_S8_EEEEZNS1_11reduce_implILb1ES3_NS6_12zip_iteratorINS7_INS6_11hip_rocprim26transform_input_iterator_tIbNSD_35transform_pair_of_input_iterators_tIbNS6_6detail15normal_iteratorINS6_10device_ptrIKdEEEESL_NS6_8equal_toIdEEEENSG_9not_fun_tINSD_8identityEEEEENSD_19counting_iterator_tIlEES8_S8_S8_S8_S8_S8_S8_S8_EEEEPS9_S9_NSD_9__find_if7functorIS9_EEEE10hipError_tPvRmT1_T2_T3_mT4_P12ihipStream_tbEUlT_E0_NS1_11comp_targetILNS1_3genE10ELNS1_11target_archE1200ELNS1_3gpuE4ELNS1_3repE0EEENS1_30default_config_static_selectorELNS0_4arch9wavefront6targetE0EEEvS14_
	.globl	_ZN7rocprim17ROCPRIM_400000_NS6detail17trampoline_kernelINS0_14default_configENS1_22reduce_config_selectorIN6thrust23THRUST_200600_302600_NS5tupleIblNS6_9null_typeES8_S8_S8_S8_S8_S8_S8_EEEEZNS1_11reduce_implILb1ES3_NS6_12zip_iteratorINS7_INS6_11hip_rocprim26transform_input_iterator_tIbNSD_35transform_pair_of_input_iterators_tIbNS6_6detail15normal_iteratorINS6_10device_ptrIKdEEEESL_NS6_8equal_toIdEEEENSG_9not_fun_tINSD_8identityEEEEENSD_19counting_iterator_tIlEES8_S8_S8_S8_S8_S8_S8_S8_EEEEPS9_S9_NSD_9__find_if7functorIS9_EEEE10hipError_tPvRmT1_T2_T3_mT4_P12ihipStream_tbEUlT_E0_NS1_11comp_targetILNS1_3genE10ELNS1_11target_archE1200ELNS1_3gpuE4ELNS1_3repE0EEENS1_30default_config_static_selectorELNS0_4arch9wavefront6targetE0EEEvS14_
	.p2align	8
	.type	_ZN7rocprim17ROCPRIM_400000_NS6detail17trampoline_kernelINS0_14default_configENS1_22reduce_config_selectorIN6thrust23THRUST_200600_302600_NS5tupleIblNS6_9null_typeES8_S8_S8_S8_S8_S8_S8_EEEEZNS1_11reduce_implILb1ES3_NS6_12zip_iteratorINS7_INS6_11hip_rocprim26transform_input_iterator_tIbNSD_35transform_pair_of_input_iterators_tIbNS6_6detail15normal_iteratorINS6_10device_ptrIKdEEEESL_NS6_8equal_toIdEEEENSG_9not_fun_tINSD_8identityEEEEENSD_19counting_iterator_tIlEES8_S8_S8_S8_S8_S8_S8_S8_EEEEPS9_S9_NSD_9__find_if7functorIS9_EEEE10hipError_tPvRmT1_T2_T3_mT4_P12ihipStream_tbEUlT_E0_NS1_11comp_targetILNS1_3genE10ELNS1_11target_archE1200ELNS1_3gpuE4ELNS1_3repE0EEENS1_30default_config_static_selectorELNS0_4arch9wavefront6targetE0EEEvS14_,@function
_ZN7rocprim17ROCPRIM_400000_NS6detail17trampoline_kernelINS0_14default_configENS1_22reduce_config_selectorIN6thrust23THRUST_200600_302600_NS5tupleIblNS6_9null_typeES8_S8_S8_S8_S8_S8_S8_EEEEZNS1_11reduce_implILb1ES3_NS6_12zip_iteratorINS7_INS6_11hip_rocprim26transform_input_iterator_tIbNSD_35transform_pair_of_input_iterators_tIbNS6_6detail15normal_iteratorINS6_10device_ptrIKdEEEESL_NS6_8equal_toIdEEEENSG_9not_fun_tINSD_8identityEEEEENSD_19counting_iterator_tIlEES8_S8_S8_S8_S8_S8_S8_S8_EEEEPS9_S9_NSD_9__find_if7functorIS9_EEEE10hipError_tPvRmT1_T2_T3_mT4_P12ihipStream_tbEUlT_E0_NS1_11comp_targetILNS1_3genE10ELNS1_11target_archE1200ELNS1_3gpuE4ELNS1_3repE0EEENS1_30default_config_static_selectorELNS0_4arch9wavefront6targetE0EEEvS14_: ; @_ZN7rocprim17ROCPRIM_400000_NS6detail17trampoline_kernelINS0_14default_configENS1_22reduce_config_selectorIN6thrust23THRUST_200600_302600_NS5tupleIblNS6_9null_typeES8_S8_S8_S8_S8_S8_S8_EEEEZNS1_11reduce_implILb1ES3_NS6_12zip_iteratorINS7_INS6_11hip_rocprim26transform_input_iterator_tIbNSD_35transform_pair_of_input_iterators_tIbNS6_6detail15normal_iteratorINS6_10device_ptrIKdEEEESL_NS6_8equal_toIdEEEENSG_9not_fun_tINSD_8identityEEEEENSD_19counting_iterator_tIlEES8_S8_S8_S8_S8_S8_S8_S8_EEEEPS9_S9_NSD_9__find_if7functorIS9_EEEE10hipError_tPvRmT1_T2_T3_mT4_P12ihipStream_tbEUlT_E0_NS1_11comp_targetILNS1_3genE10ELNS1_11target_archE1200ELNS1_3gpuE4ELNS1_3repE0EEENS1_30default_config_static_selectorELNS0_4arch9wavefront6targetE0EEEvS14_
; %bb.0:
	.section	.rodata,"a",@progbits
	.p2align	6, 0x0
	.amdhsa_kernel _ZN7rocprim17ROCPRIM_400000_NS6detail17trampoline_kernelINS0_14default_configENS1_22reduce_config_selectorIN6thrust23THRUST_200600_302600_NS5tupleIblNS6_9null_typeES8_S8_S8_S8_S8_S8_S8_EEEEZNS1_11reduce_implILb1ES3_NS6_12zip_iteratorINS7_INS6_11hip_rocprim26transform_input_iterator_tIbNSD_35transform_pair_of_input_iterators_tIbNS6_6detail15normal_iteratorINS6_10device_ptrIKdEEEESL_NS6_8equal_toIdEEEENSG_9not_fun_tINSD_8identityEEEEENSD_19counting_iterator_tIlEES8_S8_S8_S8_S8_S8_S8_S8_EEEEPS9_S9_NSD_9__find_if7functorIS9_EEEE10hipError_tPvRmT1_T2_T3_mT4_P12ihipStream_tbEUlT_E0_NS1_11comp_targetILNS1_3genE10ELNS1_11target_archE1200ELNS1_3gpuE4ELNS1_3repE0EEENS1_30default_config_static_selectorELNS0_4arch9wavefront6targetE0EEEvS14_
		.amdhsa_group_segment_fixed_size 0
		.amdhsa_private_segment_fixed_size 0
		.amdhsa_kernarg_size 104
		.amdhsa_user_sgpr_count 15
		.amdhsa_user_sgpr_dispatch_ptr 0
		.amdhsa_user_sgpr_queue_ptr 0
		.amdhsa_user_sgpr_kernarg_segment_ptr 1
		.amdhsa_user_sgpr_dispatch_id 0
		.amdhsa_user_sgpr_private_segment_size 0
		.amdhsa_wavefront_size32 1
		.amdhsa_uses_dynamic_stack 0
		.amdhsa_enable_private_segment 0
		.amdhsa_system_sgpr_workgroup_id_x 1
		.amdhsa_system_sgpr_workgroup_id_y 0
		.amdhsa_system_sgpr_workgroup_id_z 0
		.amdhsa_system_sgpr_workgroup_info 0
		.amdhsa_system_vgpr_workitem_id 0
		.amdhsa_next_free_vgpr 1
		.amdhsa_next_free_sgpr 1
		.amdhsa_reserve_vcc 0
		.amdhsa_float_round_mode_32 0
		.amdhsa_float_round_mode_16_64 0
		.amdhsa_float_denorm_mode_32 3
		.amdhsa_float_denorm_mode_16_64 3
		.amdhsa_dx10_clamp 1
		.amdhsa_ieee_mode 1
		.amdhsa_fp16_overflow 0
		.amdhsa_workgroup_processor_mode 1
		.amdhsa_memory_ordered 1
		.amdhsa_forward_progress 0
		.amdhsa_shared_vgpr_count 0
		.amdhsa_exception_fp_ieee_invalid_op 0
		.amdhsa_exception_fp_denorm_src 0
		.amdhsa_exception_fp_ieee_div_zero 0
		.amdhsa_exception_fp_ieee_overflow 0
		.amdhsa_exception_fp_ieee_underflow 0
		.amdhsa_exception_fp_ieee_inexact 0
		.amdhsa_exception_int_div_zero 0
	.end_amdhsa_kernel
	.section	.text._ZN7rocprim17ROCPRIM_400000_NS6detail17trampoline_kernelINS0_14default_configENS1_22reduce_config_selectorIN6thrust23THRUST_200600_302600_NS5tupleIblNS6_9null_typeES8_S8_S8_S8_S8_S8_S8_EEEEZNS1_11reduce_implILb1ES3_NS6_12zip_iteratorINS7_INS6_11hip_rocprim26transform_input_iterator_tIbNSD_35transform_pair_of_input_iterators_tIbNS6_6detail15normal_iteratorINS6_10device_ptrIKdEEEESL_NS6_8equal_toIdEEEENSG_9not_fun_tINSD_8identityEEEEENSD_19counting_iterator_tIlEES8_S8_S8_S8_S8_S8_S8_S8_EEEEPS9_S9_NSD_9__find_if7functorIS9_EEEE10hipError_tPvRmT1_T2_T3_mT4_P12ihipStream_tbEUlT_E0_NS1_11comp_targetILNS1_3genE10ELNS1_11target_archE1200ELNS1_3gpuE4ELNS1_3repE0EEENS1_30default_config_static_selectorELNS0_4arch9wavefront6targetE0EEEvS14_,"axG",@progbits,_ZN7rocprim17ROCPRIM_400000_NS6detail17trampoline_kernelINS0_14default_configENS1_22reduce_config_selectorIN6thrust23THRUST_200600_302600_NS5tupleIblNS6_9null_typeES8_S8_S8_S8_S8_S8_S8_EEEEZNS1_11reduce_implILb1ES3_NS6_12zip_iteratorINS7_INS6_11hip_rocprim26transform_input_iterator_tIbNSD_35transform_pair_of_input_iterators_tIbNS6_6detail15normal_iteratorINS6_10device_ptrIKdEEEESL_NS6_8equal_toIdEEEENSG_9not_fun_tINSD_8identityEEEEENSD_19counting_iterator_tIlEES8_S8_S8_S8_S8_S8_S8_S8_EEEEPS9_S9_NSD_9__find_if7functorIS9_EEEE10hipError_tPvRmT1_T2_T3_mT4_P12ihipStream_tbEUlT_E0_NS1_11comp_targetILNS1_3genE10ELNS1_11target_archE1200ELNS1_3gpuE4ELNS1_3repE0EEENS1_30default_config_static_selectorELNS0_4arch9wavefront6targetE0EEEvS14_,comdat
.Lfunc_end760:
	.size	_ZN7rocprim17ROCPRIM_400000_NS6detail17trampoline_kernelINS0_14default_configENS1_22reduce_config_selectorIN6thrust23THRUST_200600_302600_NS5tupleIblNS6_9null_typeES8_S8_S8_S8_S8_S8_S8_EEEEZNS1_11reduce_implILb1ES3_NS6_12zip_iteratorINS7_INS6_11hip_rocprim26transform_input_iterator_tIbNSD_35transform_pair_of_input_iterators_tIbNS6_6detail15normal_iteratorINS6_10device_ptrIKdEEEESL_NS6_8equal_toIdEEEENSG_9not_fun_tINSD_8identityEEEEENSD_19counting_iterator_tIlEES8_S8_S8_S8_S8_S8_S8_S8_EEEEPS9_S9_NSD_9__find_if7functorIS9_EEEE10hipError_tPvRmT1_T2_T3_mT4_P12ihipStream_tbEUlT_E0_NS1_11comp_targetILNS1_3genE10ELNS1_11target_archE1200ELNS1_3gpuE4ELNS1_3repE0EEENS1_30default_config_static_selectorELNS0_4arch9wavefront6targetE0EEEvS14_, .Lfunc_end760-_ZN7rocprim17ROCPRIM_400000_NS6detail17trampoline_kernelINS0_14default_configENS1_22reduce_config_selectorIN6thrust23THRUST_200600_302600_NS5tupleIblNS6_9null_typeES8_S8_S8_S8_S8_S8_S8_EEEEZNS1_11reduce_implILb1ES3_NS6_12zip_iteratorINS7_INS6_11hip_rocprim26transform_input_iterator_tIbNSD_35transform_pair_of_input_iterators_tIbNS6_6detail15normal_iteratorINS6_10device_ptrIKdEEEESL_NS6_8equal_toIdEEEENSG_9not_fun_tINSD_8identityEEEEENSD_19counting_iterator_tIlEES8_S8_S8_S8_S8_S8_S8_S8_EEEEPS9_S9_NSD_9__find_if7functorIS9_EEEE10hipError_tPvRmT1_T2_T3_mT4_P12ihipStream_tbEUlT_E0_NS1_11comp_targetILNS1_3genE10ELNS1_11target_archE1200ELNS1_3gpuE4ELNS1_3repE0EEENS1_30default_config_static_selectorELNS0_4arch9wavefront6targetE0EEEvS14_
                                        ; -- End function
	.section	.AMDGPU.csdata,"",@progbits
; Kernel info:
; codeLenInByte = 0
; NumSgprs: 0
; NumVgprs: 0
; ScratchSize: 0
; MemoryBound: 0
; FloatMode: 240
; IeeeMode: 1
; LDSByteSize: 0 bytes/workgroup (compile time only)
; SGPRBlocks: 0
; VGPRBlocks: 0
; NumSGPRsForWavesPerEU: 1
; NumVGPRsForWavesPerEU: 1
; Occupancy: 16
; WaveLimiterHint : 0
; COMPUTE_PGM_RSRC2:SCRATCH_EN: 0
; COMPUTE_PGM_RSRC2:USER_SGPR: 15
; COMPUTE_PGM_RSRC2:TRAP_HANDLER: 0
; COMPUTE_PGM_RSRC2:TGID_X_EN: 1
; COMPUTE_PGM_RSRC2:TGID_Y_EN: 0
; COMPUTE_PGM_RSRC2:TGID_Z_EN: 0
; COMPUTE_PGM_RSRC2:TIDIG_COMP_CNT: 0
	.section	.text._ZN7rocprim17ROCPRIM_400000_NS6detail17trampoline_kernelINS0_14default_configENS1_22reduce_config_selectorIN6thrust23THRUST_200600_302600_NS5tupleIblNS6_9null_typeES8_S8_S8_S8_S8_S8_S8_EEEEZNS1_11reduce_implILb1ES3_NS6_12zip_iteratorINS7_INS6_11hip_rocprim26transform_input_iterator_tIbNSD_35transform_pair_of_input_iterators_tIbNS6_6detail15normal_iteratorINS6_10device_ptrIKdEEEESL_NS6_8equal_toIdEEEENSG_9not_fun_tINSD_8identityEEEEENSD_19counting_iterator_tIlEES8_S8_S8_S8_S8_S8_S8_S8_EEEEPS9_S9_NSD_9__find_if7functorIS9_EEEE10hipError_tPvRmT1_T2_T3_mT4_P12ihipStream_tbEUlT_E0_NS1_11comp_targetILNS1_3genE9ELNS1_11target_archE1100ELNS1_3gpuE3ELNS1_3repE0EEENS1_30default_config_static_selectorELNS0_4arch9wavefront6targetE0EEEvS14_,"axG",@progbits,_ZN7rocprim17ROCPRIM_400000_NS6detail17trampoline_kernelINS0_14default_configENS1_22reduce_config_selectorIN6thrust23THRUST_200600_302600_NS5tupleIblNS6_9null_typeES8_S8_S8_S8_S8_S8_S8_EEEEZNS1_11reduce_implILb1ES3_NS6_12zip_iteratorINS7_INS6_11hip_rocprim26transform_input_iterator_tIbNSD_35transform_pair_of_input_iterators_tIbNS6_6detail15normal_iteratorINS6_10device_ptrIKdEEEESL_NS6_8equal_toIdEEEENSG_9not_fun_tINSD_8identityEEEEENSD_19counting_iterator_tIlEES8_S8_S8_S8_S8_S8_S8_S8_EEEEPS9_S9_NSD_9__find_if7functorIS9_EEEE10hipError_tPvRmT1_T2_T3_mT4_P12ihipStream_tbEUlT_E0_NS1_11comp_targetILNS1_3genE9ELNS1_11target_archE1100ELNS1_3gpuE3ELNS1_3repE0EEENS1_30default_config_static_selectorELNS0_4arch9wavefront6targetE0EEEvS14_,comdat
	.protected	_ZN7rocprim17ROCPRIM_400000_NS6detail17trampoline_kernelINS0_14default_configENS1_22reduce_config_selectorIN6thrust23THRUST_200600_302600_NS5tupleIblNS6_9null_typeES8_S8_S8_S8_S8_S8_S8_EEEEZNS1_11reduce_implILb1ES3_NS6_12zip_iteratorINS7_INS6_11hip_rocprim26transform_input_iterator_tIbNSD_35transform_pair_of_input_iterators_tIbNS6_6detail15normal_iteratorINS6_10device_ptrIKdEEEESL_NS6_8equal_toIdEEEENSG_9not_fun_tINSD_8identityEEEEENSD_19counting_iterator_tIlEES8_S8_S8_S8_S8_S8_S8_S8_EEEEPS9_S9_NSD_9__find_if7functorIS9_EEEE10hipError_tPvRmT1_T2_T3_mT4_P12ihipStream_tbEUlT_E0_NS1_11comp_targetILNS1_3genE9ELNS1_11target_archE1100ELNS1_3gpuE3ELNS1_3repE0EEENS1_30default_config_static_selectorELNS0_4arch9wavefront6targetE0EEEvS14_ ; -- Begin function _ZN7rocprim17ROCPRIM_400000_NS6detail17trampoline_kernelINS0_14default_configENS1_22reduce_config_selectorIN6thrust23THRUST_200600_302600_NS5tupleIblNS6_9null_typeES8_S8_S8_S8_S8_S8_S8_EEEEZNS1_11reduce_implILb1ES3_NS6_12zip_iteratorINS7_INS6_11hip_rocprim26transform_input_iterator_tIbNSD_35transform_pair_of_input_iterators_tIbNS6_6detail15normal_iteratorINS6_10device_ptrIKdEEEESL_NS6_8equal_toIdEEEENSG_9not_fun_tINSD_8identityEEEEENSD_19counting_iterator_tIlEES8_S8_S8_S8_S8_S8_S8_S8_EEEEPS9_S9_NSD_9__find_if7functorIS9_EEEE10hipError_tPvRmT1_T2_T3_mT4_P12ihipStream_tbEUlT_E0_NS1_11comp_targetILNS1_3genE9ELNS1_11target_archE1100ELNS1_3gpuE3ELNS1_3repE0EEENS1_30default_config_static_selectorELNS0_4arch9wavefront6targetE0EEEvS14_
	.globl	_ZN7rocprim17ROCPRIM_400000_NS6detail17trampoline_kernelINS0_14default_configENS1_22reduce_config_selectorIN6thrust23THRUST_200600_302600_NS5tupleIblNS6_9null_typeES8_S8_S8_S8_S8_S8_S8_EEEEZNS1_11reduce_implILb1ES3_NS6_12zip_iteratorINS7_INS6_11hip_rocprim26transform_input_iterator_tIbNSD_35transform_pair_of_input_iterators_tIbNS6_6detail15normal_iteratorINS6_10device_ptrIKdEEEESL_NS6_8equal_toIdEEEENSG_9not_fun_tINSD_8identityEEEEENSD_19counting_iterator_tIlEES8_S8_S8_S8_S8_S8_S8_S8_EEEEPS9_S9_NSD_9__find_if7functorIS9_EEEE10hipError_tPvRmT1_T2_T3_mT4_P12ihipStream_tbEUlT_E0_NS1_11comp_targetILNS1_3genE9ELNS1_11target_archE1100ELNS1_3gpuE3ELNS1_3repE0EEENS1_30default_config_static_selectorELNS0_4arch9wavefront6targetE0EEEvS14_
	.p2align	8
	.type	_ZN7rocprim17ROCPRIM_400000_NS6detail17trampoline_kernelINS0_14default_configENS1_22reduce_config_selectorIN6thrust23THRUST_200600_302600_NS5tupleIblNS6_9null_typeES8_S8_S8_S8_S8_S8_S8_EEEEZNS1_11reduce_implILb1ES3_NS6_12zip_iteratorINS7_INS6_11hip_rocprim26transform_input_iterator_tIbNSD_35transform_pair_of_input_iterators_tIbNS6_6detail15normal_iteratorINS6_10device_ptrIKdEEEESL_NS6_8equal_toIdEEEENSG_9not_fun_tINSD_8identityEEEEENSD_19counting_iterator_tIlEES8_S8_S8_S8_S8_S8_S8_S8_EEEEPS9_S9_NSD_9__find_if7functorIS9_EEEE10hipError_tPvRmT1_T2_T3_mT4_P12ihipStream_tbEUlT_E0_NS1_11comp_targetILNS1_3genE9ELNS1_11target_archE1100ELNS1_3gpuE3ELNS1_3repE0EEENS1_30default_config_static_selectorELNS0_4arch9wavefront6targetE0EEEvS14_,@function
_ZN7rocprim17ROCPRIM_400000_NS6detail17trampoline_kernelINS0_14default_configENS1_22reduce_config_selectorIN6thrust23THRUST_200600_302600_NS5tupleIblNS6_9null_typeES8_S8_S8_S8_S8_S8_S8_EEEEZNS1_11reduce_implILb1ES3_NS6_12zip_iteratorINS7_INS6_11hip_rocprim26transform_input_iterator_tIbNSD_35transform_pair_of_input_iterators_tIbNS6_6detail15normal_iteratorINS6_10device_ptrIKdEEEESL_NS6_8equal_toIdEEEENSG_9not_fun_tINSD_8identityEEEEENSD_19counting_iterator_tIlEES8_S8_S8_S8_S8_S8_S8_S8_EEEEPS9_S9_NSD_9__find_if7functorIS9_EEEE10hipError_tPvRmT1_T2_T3_mT4_P12ihipStream_tbEUlT_E0_NS1_11comp_targetILNS1_3genE9ELNS1_11target_archE1100ELNS1_3gpuE3ELNS1_3repE0EEENS1_30default_config_static_selectorELNS0_4arch9wavefront6targetE0EEEvS14_: ; @_ZN7rocprim17ROCPRIM_400000_NS6detail17trampoline_kernelINS0_14default_configENS1_22reduce_config_selectorIN6thrust23THRUST_200600_302600_NS5tupleIblNS6_9null_typeES8_S8_S8_S8_S8_S8_S8_EEEEZNS1_11reduce_implILb1ES3_NS6_12zip_iteratorINS7_INS6_11hip_rocprim26transform_input_iterator_tIbNSD_35transform_pair_of_input_iterators_tIbNS6_6detail15normal_iteratorINS6_10device_ptrIKdEEEESL_NS6_8equal_toIdEEEENSG_9not_fun_tINSD_8identityEEEEENSD_19counting_iterator_tIlEES8_S8_S8_S8_S8_S8_S8_S8_EEEEPS9_S9_NSD_9__find_if7functorIS9_EEEE10hipError_tPvRmT1_T2_T3_mT4_P12ihipStream_tbEUlT_E0_NS1_11comp_targetILNS1_3genE9ELNS1_11target_archE1100ELNS1_3gpuE3ELNS1_3repE0EEENS1_30default_config_static_selectorELNS0_4arch9wavefront6targetE0EEEvS14_
; %bb.0:
	s_clause 0x1
	s_load_b256 s[4:11], s[0:1], 0x20
	s_load_b128 s[24:27], s[0:1], 0x0
	s_mov_b32 s16, s15
	s_load_b128 s[12:15], s[0:1], 0x40
	s_mov_b32 s23, 0
	v_lshlrev_b32_e32 v7, 3, v0
	s_mov_b32 s17, s23
	s_waitcnt lgkmcnt(0)
	s_lshl_b64 s[2:3], s[6:7], 3
	s_delay_alu instid0(SALU_CYCLE_1)
	s_add_u32 s18, s24, s2
	s_addc_u32 s19, s25, s3
	s_add_u32 s20, s26, s2
	s_addc_u32 s21, s27, s3
	s_lshl_b32 s22, s16, 10
	s_lshr_b64 s[24:25], s[8:9], 10
	s_lshl_b64 s[2:3], s[22:23], 3
	s_delay_alu instid0(SALU_CYCLE_1)
	s_add_u32 s18, s18, s2
	s_addc_u32 s19, s19, s3
	s_add_u32 s20, s20, s2
	s_addc_u32 s21, s21, s3
	;; [unrolled: 2-line block ×4, first 2 shown]
	s_cmp_lg_u64 s[24:25], s[16:17]
	s_cbranch_scc0 .LBB761_16
; %bb.1:
	v_add_co_u32 v5, s2, s18, v7
	s_delay_alu instid0(VALU_DEP_1) | instskip(SKIP_1) | instid1(VALU_DEP_1)
	v_add_co_ci_u32_e64 v6, null, s19, 0, s2
	v_add_co_u32 v3, s2, s20, v7
	v_add_co_ci_u32_e64 v4, null, s21, 0, s2
	global_load_b64 v[1:2], v7, s[20:21] offset:2048
	v_add_co_u32 v3, vcc_lo, 0x1000, v3
	v_add_co_ci_u32_e32 v4, vcc_lo, 0, v4, vcc_lo
	v_add_co_u32 v5, vcc_lo, 0x1000, v5
	v_add_co_ci_u32_e32 v6, vcc_lo, 0, v6, vcc_lo
	s_clause 0x2
	global_load_b64 v[8:9], v7, s[18:19] offset:2048
	global_load_b64 v[10:11], v7, s[20:21]
	global_load_b64 v[12:13], v7, s[18:19]
	global_load_b64 v[14:15], v[3:4], off
	s_clause 0x1
	global_load_b64 v[16:17], v[5:6], off
	global_load_b64 v[5:6], v[5:6], off offset:2048
	global_load_b64 v[3:4], v[3:4], off offset:2048
	v_mov_b32_e32 v18, 0x100
	s_waitcnt vmcnt(6)
	v_cmp_neq_f64_e32 vcc_lo, v[8:9], v[1:2]
	s_waitcnt vmcnt(4)
	v_cmp_neq_f64_e64 s2, v[12:13], v[10:11]
	s_waitcnt vmcnt(2)
	v_cmp_neq_f64_e64 s3, v[16:17], v[14:15]
	;; [unrolled: 2-line block ×3, first 2 shown]
	v_cndmask_b32_e32 v1, 0x200, v18, vcc_lo
	s_delay_alu instid0(VALU_DEP_1)
	v_cndmask_b32_e64 v1, v1, 0, s2
	s_or_b32 s2, s2, vcc_lo
	s_delay_alu instid0(VALU_DEP_4) | instid1(SALU_CYCLE_1)
	s_or_b32 vcc_lo, s2, s3
	v_add_co_u32 v2, s2, s5, v0
	s_delay_alu instid0(VALU_DEP_4) | instskip(SKIP_3) | instid1(VALU_DEP_1)
	s_or_b32 s3, vcc_lo, s4
	v_add_co_ci_u32_e64 v3, null, s23, 0, s2
	v_cndmask_b32_e64 v5, 0, 1, s3
	s_mov_b32 s4, exec_lo
	v_mov_b32_dpp v6, v5 quad_perm:[1,0,3,2] row_mask:0xf bank_mask:0xf
	s_delay_alu instid0(VALU_DEP_1) | instskip(NEXT) | instid1(VALU_DEP_1)
	v_dual_cndmask_b32 v1, 0x300, v1 :: v_dual_and_b32 v8, 1, v6
	v_add_co_u32 v1, vcc_lo, v2, v1
	v_add_co_ci_u32_e32 v2, vcc_lo, 0, v3, vcc_lo
	s_delay_alu instid0(VALU_DEP_2) | instskip(NEXT) | instid1(VALU_DEP_2)
	v_mov_b32_dpp v3, v1 quad_perm:[1,0,3,2] row_mask:0xf bank_mask:0xf
	v_mov_b32_dpp v4, v2 quad_perm:[1,0,3,2] row_mask:0xf bank_mask:0xf
	v_cmpx_eq_u32_e32 1, v8
; %bb.2:
	v_cndmask_b32_e64 v5, v6, 1, s3
	s_delay_alu instid0(VALU_DEP_3) | instskip(NEXT) | instid1(VALU_DEP_2)
	v_cmp_lt_i64_e32 vcc_lo, v[1:2], v[3:4]
	v_and_b32_e32 v6, 1, v5
	v_and_b32_e32 v5, 0xff, v5
	s_and_b32 vcc_lo, s3, vcc_lo
	s_and_not1_b32 s3, s3, exec_lo
	v_dual_cndmask_b32 v2, v4, v2 :: v_dual_cndmask_b32 v1, v3, v1
	v_cmp_eq_u32_e64 s2, 1, v6
	s_delay_alu instid0(VALU_DEP_1) | instskip(NEXT) | instid1(SALU_CYCLE_1)
	s_and_b32 s2, s2, exec_lo
	s_or_b32 s3, s3, s2
; %bb.3:
	s_or_b32 exec_lo, exec_lo, s4
	v_mov_b32_dpp v6, v5 quad_perm:[2,3,0,1] row_mask:0xf bank_mask:0xf
	v_mov_b32_dpp v3, v1 quad_perm:[2,3,0,1] row_mask:0xf bank_mask:0xf
	;; [unrolled: 1-line block ×3, first 2 shown]
	s_mov_b32 s4, exec_lo
	s_delay_alu instid0(VALU_DEP_3) | instskip(NEXT) | instid1(VALU_DEP_1)
	v_and_b32_e32 v8, 1, v6
	v_cmpx_eq_u32_e32 1, v8
; %bb.4:
	v_cndmask_b32_e64 v5, v6, 1, s3
	v_cmp_lt_i64_e32 vcc_lo, v[1:2], v[3:4]
	s_delay_alu instid0(VALU_DEP_2)
	v_and_b32_e32 v6, 1, v5
	v_and_b32_e32 v5, 0xff, v5
	s_and_b32 vcc_lo, s3, vcc_lo
	s_and_not1_b32 s3, s3, exec_lo
	v_dual_cndmask_b32 v2, v4, v2 :: v_dual_cndmask_b32 v1, v3, v1
	v_cmp_eq_u32_e64 s2, 1, v6
	s_delay_alu instid0(VALU_DEP_1) | instskip(NEXT) | instid1(SALU_CYCLE_1)
	s_and_b32 s2, s2, exec_lo
	s_or_b32 s3, s3, s2
; %bb.5:
	s_or_b32 exec_lo, exec_lo, s4
	v_mov_b32_dpp v6, v5 row_ror:4 row_mask:0xf bank_mask:0xf
	v_mov_b32_dpp v3, v1 row_ror:4 row_mask:0xf bank_mask:0xf
	;; [unrolled: 1-line block ×3, first 2 shown]
	s_mov_b32 s4, exec_lo
	s_delay_alu instid0(VALU_DEP_3) | instskip(NEXT) | instid1(VALU_DEP_1)
	v_and_b32_e32 v8, 1, v6
	v_cmpx_eq_u32_e32 1, v8
; %bb.6:
	v_cndmask_b32_e64 v5, v6, 1, s3
	v_cmp_lt_i64_e32 vcc_lo, v[1:2], v[3:4]
	s_delay_alu instid0(VALU_DEP_2)
	v_and_b32_e32 v6, 1, v5
	v_and_b32_e32 v5, 0xff, v5
	s_and_b32 vcc_lo, s3, vcc_lo
	s_and_not1_b32 s3, s3, exec_lo
	v_dual_cndmask_b32 v2, v4, v2 :: v_dual_cndmask_b32 v1, v3, v1
	v_cmp_eq_u32_e64 s2, 1, v6
	s_delay_alu instid0(VALU_DEP_1) | instskip(NEXT) | instid1(SALU_CYCLE_1)
	s_and_b32 s2, s2, exec_lo
	s_or_b32 s3, s3, s2
; %bb.7:
	s_or_b32 exec_lo, exec_lo, s4
	v_mov_b32_dpp v6, v5 row_ror:8 row_mask:0xf bank_mask:0xf
	v_mov_b32_dpp v3, v1 row_ror:8 row_mask:0xf bank_mask:0xf
	;; [unrolled: 1-line block ×3, first 2 shown]
	s_mov_b32 s4, exec_lo
	s_delay_alu instid0(VALU_DEP_3) | instskip(NEXT) | instid1(VALU_DEP_1)
	v_and_b32_e32 v8, 1, v6
	v_cmpx_eq_u32_e32 1, v8
; %bb.8:
	v_cndmask_b32_e64 v5, v6, 1, s3
	v_cmp_lt_i64_e32 vcc_lo, v[1:2], v[3:4]
	s_delay_alu instid0(VALU_DEP_2)
	v_and_b32_e32 v6, 1, v5
	v_and_b32_e32 v5, 0xff, v5
	s_and_b32 vcc_lo, s3, vcc_lo
	s_and_not1_b32 s3, s3, exec_lo
	v_dual_cndmask_b32 v2, v4, v2 :: v_dual_cndmask_b32 v1, v3, v1
	v_cmp_eq_u32_e64 s2, 1, v6
	s_delay_alu instid0(VALU_DEP_1) | instskip(NEXT) | instid1(SALU_CYCLE_1)
	s_and_b32 s2, s2, exec_lo
	s_or_b32 s3, s3, s2
; %bb.9:
	s_or_b32 exec_lo, exec_lo, s4
	ds_swizzle_b32 v6, v5 offset:swizzle(BROADCAST,32,15)
	ds_swizzle_b32 v3, v1 offset:swizzle(BROADCAST,32,15)
	;; [unrolled: 1-line block ×3, first 2 shown]
	s_mov_b32 s2, exec_lo
	s_waitcnt lgkmcnt(2)
	v_and_b32_e32 v8, 1, v6
	s_delay_alu instid0(VALU_DEP_1)
	v_cmpx_eq_u32_e32 1, v8
	s_cbranch_execz .LBB761_11
; %bb.10:
	s_waitcnt lgkmcnt(0)
	v_cmp_lt_i64_e32 vcc_lo, v[1:2], v[3:4]
	v_and_b32_e32 v5, 0xff, v6
	s_delay_alu instid0(VALU_DEP_1)
	v_cndmask_b32_e64 v5, v5, 1, s3
	s_and_b32 vcc_lo, s3, vcc_lo
	v_dual_cndmask_b32 v1, v3, v1 :: v_dual_cndmask_b32 v2, v4, v2
.LBB761_11:
	s_or_b32 exec_lo, exec_lo, s2
	s_waitcnt lgkmcnt(1)
	v_mov_b32_e32 v3, 0
	s_mov_b32 s2, exec_lo
	ds_bpermute_b32 v6, v3, v5 offset:124
	ds_bpermute_b32 v1, v3, v1 offset:124
	;; [unrolled: 1-line block ×3, first 2 shown]
	v_mbcnt_lo_u32_b32 v3, -1, 0
	s_delay_alu instid0(VALU_DEP_1)
	v_cmpx_eq_u32_e32 0, v3
	s_cbranch_execz .LBB761_13
; %bb.12:
	s_waitcnt lgkmcnt(3)
	v_lshrrev_b32_e32 v4, 1, v0
	s_delay_alu instid0(VALU_DEP_1)
	v_and_b32_e32 v4, 0x70, v4
	s_waitcnt lgkmcnt(2)
	ds_store_b8 v4, v6
	s_waitcnt lgkmcnt(1)
	ds_store_b64 v4, v[1:2] offset:8
.LBB761_13:
	s_or_b32 exec_lo, exec_lo, s2
	s_delay_alu instid0(SALU_CYCLE_1)
	s_mov_b32 s4, exec_lo
	s_waitcnt lgkmcnt(0)
	s_barrier
	buffer_gl0_inv
	v_cmpx_gt_u32_e32 32, v0
	s_cbranch_execz .LBB761_15
; %bb.14:
	v_and_b32_e32 v6, 7, v3
	s_delay_alu instid0(VALU_DEP_1)
	v_lshlrev_b32_e32 v1, 4, v6
	v_cmp_ne_u32_e32 vcc_lo, 7, v6
	ds_load_u8 v8, v1
	ds_load_b64 v[1:2], v1 offset:8
	v_add_co_ci_u32_e32 v4, vcc_lo, 0, v3, vcc_lo
	v_cmp_gt_u32_e32 vcc_lo, 6, v6
	s_delay_alu instid0(VALU_DEP_2)
	v_lshlrev_b32_e32 v5, 2, v4
	v_cndmask_b32_e64 v11, 0, 1, vcc_lo
	s_waitcnt lgkmcnt(1)
	v_and_b32_e32 v4, 0xff, v8
	v_and_b32_e32 v12, 1, v8
	ds_bpermute_b32 v9, v5, v4
	s_waitcnt lgkmcnt(1)
	ds_bpermute_b32 v4, v5, v1
	ds_bpermute_b32 v5, v5, v2
	v_cmp_eq_u32_e64 s3, 1, v12
	s_waitcnt lgkmcnt(2)
	v_and_b32_e32 v10, 1, v9
	s_waitcnt lgkmcnt(0)
	v_cmp_lt_i64_e64 s2, v[4:5], v[1:2]
	s_delay_alu instid0(VALU_DEP_2) | instskip(SKIP_2) | instid1(VALU_DEP_4)
	v_cmp_eq_u32_e32 vcc_lo, 1, v10
	v_lshlrev_b32_e32 v10, 1, v11
	v_cndmask_b32_e64 v8, v8, 1, vcc_lo
	s_and_b32 vcc_lo, vcc_lo, s2
	v_dual_cndmask_b32 v1, v1, v4 :: v_dual_cndmask_b32 v2, v2, v5
	s_delay_alu instid0(VALU_DEP_2) | instskip(SKIP_2) | instid1(VALU_DEP_4)
	v_cndmask_b32_e64 v8, v9, v8, s3
	v_add_lshl_u32 v9, v10, v3, 2
	v_cmp_gt_u32_e32 vcc_lo, 4, v6
	v_cndmask_b32_e64 v1, v4, v1, s3
	v_cndmask_b32_e64 v2, v5, v2, s3
	v_and_b32_e32 v10, 0xff, v8
	v_and_b32_e32 v11, 1, v8
	v_cndmask_b32_e64 v6, 0, 1, vcc_lo
	ds_bpermute_b32 v4, v9, v1
	ds_bpermute_b32 v5, v9, v2
	ds_bpermute_b32 v10, v9, v10
	v_cmp_eq_u32_e64 s3, 1, v11
	v_lshlrev_b32_e32 v6, 2, v6
	s_delay_alu instid0(VALU_DEP_1) | instskip(SKIP_4) | instid1(VALU_DEP_1)
	v_add_lshl_u32 v6, v6, v3, 2
	s_waitcnt lgkmcnt(1)
	v_cmp_lt_i64_e64 s2, v[4:5], v[1:2]
	s_waitcnt lgkmcnt(0)
	v_and_b32_e32 v9, 1, v10
	v_cmp_eq_u32_e32 vcc_lo, 1, v9
	v_cndmask_b32_e64 v8, v8, 1, vcc_lo
	s_delay_alu instid0(VALU_DEP_4) | instskip(SKIP_1) | instid1(VALU_DEP_2)
	s_and_b32 vcc_lo, vcc_lo, s2
	v_dual_cndmask_b32 v2, v2, v5 :: v_dual_cndmask_b32 v1, v1, v4
	v_cndmask_b32_e64 v8, v10, v8, s3
	s_delay_alu instid0(VALU_DEP_2) | instskip(NEXT) | instid1(VALU_DEP_3)
	v_cndmask_b32_e64 v2, v5, v2, s3
	v_cndmask_b32_e64 v1, v4, v1, s3
	s_delay_alu instid0(VALU_DEP_3)
	v_and_b32_e32 v3, 0xff, v8
	ds_bpermute_b32 v4, v6, v2
	ds_bpermute_b32 v5, v6, v3
	;; [unrolled: 1-line block ×3, first 2 shown]
	s_waitcnt lgkmcnt(1)
	v_and_b32_e32 v6, 1, v5
	s_waitcnt lgkmcnt(0)
	v_cmp_lt_i64_e32 vcc_lo, v[3:4], v[1:2]
	s_delay_alu instid0(VALU_DEP_2) | instskip(SKIP_1) | instid1(VALU_DEP_2)
	v_cmp_eq_u32_e64 s2, 1, v6
	v_and_b32_e32 v6, 1, v8
	v_cndmask_b32_e64 v8, v8, 1, s2
	s_and_b32 vcc_lo, s2, vcc_lo
	s_delay_alu instid0(VALU_DEP_2) | instskip(SKIP_1) | instid1(VALU_DEP_2)
	v_cmp_eq_u32_e64 s2, 1, v6
	v_dual_cndmask_b32 v1, v1, v3 :: v_dual_cndmask_b32 v2, v2, v4
	v_cndmask_b32_e64 v5, v5, v8, s2
	s_delay_alu instid0(VALU_DEP_2) | instskip(NEXT) | instid1(VALU_DEP_3)
	v_cndmask_b32_e64 v1, v3, v1, s2
	v_cndmask_b32_e64 v2, v4, v2, s2
	s_delay_alu instid0(VALU_DEP_3)
	v_and_b32_e32 v6, 0xff, v5
.LBB761_15:
	s_or_b32 exec_lo, exec_lo, s4
	s_load_b64 s[6:7], s[0:1], 0x58
	s_branch .LBB761_49
.LBB761_16:
                                        ; implicit-def: $vgpr1_vgpr2
                                        ; implicit-def: $vgpr6
	s_load_b64 s[6:7], s[0:1], 0x58
	s_cbranch_execz .LBB761_49
; %bb.17:
	v_mov_b32_e32 v5, 0
	v_dual_mov_b32 v6, 0 :: v_dual_mov_b32 v11, 0
	s_delay_alu instid0(VALU_DEP_2) | instskip(SKIP_2) | instid1(VALU_DEP_3)
	v_mov_b32_e32 v1, v5
	v_mov_b32_e32 v9, 0
	s_sub_i32 s22, s8, s22
	v_mov_b32_e32 v2, v6
	s_mov_b32 s2, exec_lo
	v_cmpx_gt_u32_e64 s22, v0
	s_cbranch_execz .LBB761_19
; %bb.18:
	s_clause 0x1
	global_load_b64 v[3:4], v7, s[18:19]
	global_load_b64 v[8:9], v7, s[20:21]
	v_add_co_u32 v1, s3, s5, v0
	s_delay_alu instid0(VALU_DEP_1)
	v_add_co_ci_u32_e64 v2, null, s23, 0, s3
	s_waitcnt vmcnt(0)
	v_cmp_neq_f64_e32 vcc_lo, v[3:4], v[8:9]
	v_cndmask_b32_e64 v9, 0, 1, vcc_lo
.LBB761_19:
	s_or_b32 exec_lo, exec_lo, s2
	v_or_b32_e32 v3, 0x100, v0
	s_delay_alu instid0(VALU_DEP_1) | instskip(NEXT) | instid1(VALU_DEP_1)
	v_cmp_gt_u32_e64 s3, s22, v3
	s_and_saveexec_b32 s2, s3
	s_cbranch_execz .LBB761_21
; %bb.20:
	s_clause 0x1
	global_load_b64 v[10:11], v7, s[18:19] offset:2048
	global_load_b64 v[7:8], v7, s[20:21] offset:2048
	v_add_co_u32 v5, s4, s5, v3
	s_delay_alu instid0(VALU_DEP_1)
	v_add_co_ci_u32_e64 v6, null, s23, 0, s4
	s_waitcnt vmcnt(0)
	v_cmp_neq_f64_e32 vcc_lo, v[10:11], v[7:8]
	v_cndmask_b32_e64 v11, 0, 1, vcc_lo
.LBB761_21:
	s_or_b32 exec_lo, exec_lo, s2
	v_dual_mov_b32 v3, 0 :: v_dual_mov_b32 v10, 0
	v_mov_b32_e32 v4, 0
	v_or_b32_e32 v13, 0x200, v0
	v_mov_b32_e32 v12, 0
	s_delay_alu instid0(VALU_DEP_3) | instskip(NEXT) | instid1(VALU_DEP_3)
	v_dual_mov_b32 v8, v4 :: v_dual_mov_b32 v7, v3
	v_cmp_gt_u32_e64 s2, s22, v13
	s_delay_alu instid0(VALU_DEP_1)
	s_and_saveexec_b32 s4, s2
	s_cbranch_execz .LBB761_23
; %bb.22:
	v_lshlrev_b32_e32 v7, 3, v13
	s_clause 0x1
	global_load_b64 v[14:15], v7, s[18:19]
	global_load_b64 v[16:17], v7, s[20:21]
	v_add_co_u32 v7, s24, s5, v13
	s_delay_alu instid0(VALU_DEP_1)
	v_add_co_ci_u32_e64 v8, null, s23, 0, s24
	s_waitcnt vmcnt(0)
	v_cmp_neq_f64_e32 vcc_lo, v[14:15], v[16:17]
	v_cndmask_b32_e64 v12, 0, 1, vcc_lo
.LBB761_23:
	s_or_b32 exec_lo, exec_lo, s4
	v_or_b32_e32 v13, 0x300, v0
	s_delay_alu instid0(VALU_DEP_1)
	v_cmp_gt_u32_e32 vcc_lo, s22, v13
	s_and_saveexec_b32 s24, vcc_lo
	s_cbranch_execnz .LBB761_52
; %bb.24:
	s_or_b32 exec_lo, exec_lo, s24
	s_and_saveexec_b32 s5, s3
	s_cbranch_execnz .LBB761_53
.LBB761_25:
	s_or_b32 exec_lo, exec_lo, s5
	s_and_saveexec_b32 s4, s2
	s_cbranch_execnz .LBB761_54
.LBB761_26:
	s_or_b32 exec_lo, exec_lo, s4
	s_and_saveexec_b32 s3, vcc_lo
.LBB761_27:
	v_and_b32_e32 v5, 1, v10
	v_cmp_lt_i64_e32 vcc_lo, v[3:4], v[1:2]
	s_delay_alu instid0(VALU_DEP_2) | instskip(NEXT) | instid1(VALU_DEP_1)
	v_cmp_eq_u32_e64 s2, 1, v5
	s_and_b32 vcc_lo, s2, vcc_lo
	v_cndmask_b32_e64 v6, v9, 1, s2
	v_dual_cndmask_b32 v2, v2, v4 :: v_dual_and_b32 v5, 1, v9
	v_cndmask_b32_e32 v1, v1, v3, vcc_lo
	s_delay_alu instid0(VALU_DEP_2) | instskip(NEXT) | instid1(VALU_DEP_3)
	v_cmp_eq_u32_e32 vcc_lo, 1, v5
	v_cndmask_b32_e32 v2, v4, v2, vcc_lo
	v_cndmask_b32_e32 v9, v10, v6, vcc_lo
	s_delay_alu instid0(VALU_DEP_4)
	v_cndmask_b32_e32 v1, v3, v1, vcc_lo
.LBB761_28:
	s_or_b32 exec_lo, exec_lo, s3
	v_mbcnt_lo_u32_b32 v5, -1, 0
	v_and_b32_e32 v7, 0xe0, v0
	s_min_u32 s3, s22, 0x100
	v_and_b32_e32 v6, 0xffff, v9
	s_delay_alu instid0(VALU_DEP_3) | instskip(NEXT) | instid1(VALU_DEP_3)
	v_cmp_ne_u32_e32 vcc_lo, 31, v5
	v_sub_nc_u32_e64 v8, s3, v7 clamp
	v_add_nc_u32_e32 v7, 1, v5
	v_add_co_ci_u32_e32 v3, vcc_lo, 0, v5, vcc_lo
	s_delay_alu instid0(VALU_DEP_2) | instskip(NEXT) | instid1(VALU_DEP_2)
	v_cmp_lt_u32_e32 vcc_lo, v7, v8
	v_dual_mov_b32 v7, v6 :: v_dual_lshlrev_b32 v4, 2, v3
	ds_bpermute_b32 v10, v4, v6
	ds_bpermute_b32 v3, v4, v1
	;; [unrolled: 1-line block ×3, first 2 shown]
	s_and_saveexec_b32 s2, vcc_lo
	s_delay_alu instid0(SALU_CYCLE_1)
	s_xor_b32 s4, exec_lo, s2
	s_cbranch_execz .LBB761_30
; %bb.29:
	s_waitcnt lgkmcnt(0)
	v_and_b32_e32 v7, 1, v10
	v_cmp_lt_i64_e32 vcc_lo, v[3:4], v[1:2]
	s_delay_alu instid0(VALU_DEP_2) | instskip(SKIP_1) | instid1(VALU_DEP_2)
	v_cmp_eq_u32_e64 s2, 1, v7
	v_and_b32_e32 v7, 1, v9
	v_cndmask_b32_e64 v6, v6, 1, s2
	s_and_b32 vcc_lo, s2, vcc_lo
	s_delay_alu instid0(VALU_DEP_2) | instskip(SKIP_1) | instid1(VALU_DEP_2)
	v_cmp_eq_u32_e64 s2, 1, v7
	v_dual_cndmask_b32 v2, v2, v4 :: v_dual_cndmask_b32 v1, v1, v3
	v_cndmask_b32_e64 v7, v10, v6, s2
	s_delay_alu instid0(VALU_DEP_2) | instskip(NEXT) | instid1(VALU_DEP_3)
	v_cndmask_b32_e64 v2, v4, v2, s2
	v_cndmask_b32_e64 v1, v3, v1, s2
	s_delay_alu instid0(VALU_DEP_3)
	v_and_b32_e32 v6, 0xff, v7
.LBB761_30:
	s_or_b32 exec_lo, exec_lo, s4
	v_cmp_gt_u32_e32 vcc_lo, 30, v5
	s_waitcnt lgkmcnt(0)
	v_add_nc_u32_e32 v10, 2, v5
	s_mov_b32 s4, exec_lo
	v_cndmask_b32_e64 v3, 0, 1, vcc_lo
	s_delay_alu instid0(VALU_DEP_1) | instskip(NEXT) | instid1(VALU_DEP_1)
	v_lshlrev_b32_e32 v3, 1, v3
	v_add_lshl_u32 v4, v3, v5, 2
	ds_bpermute_b32 v9, v4, v6
	ds_bpermute_b32 v3, v4, v1
	ds_bpermute_b32 v4, v4, v2
	v_cmpx_lt_u32_e64 v10, v8
	s_cbranch_execz .LBB761_32
; %bb.31:
	s_waitcnt lgkmcnt(2)
	v_and_b32_e32 v6, 1, v9
	s_waitcnt lgkmcnt(0)
	v_cmp_lt_i64_e32 vcc_lo, v[3:4], v[1:2]
	s_delay_alu instid0(VALU_DEP_2) | instskip(SKIP_1) | instid1(VALU_DEP_2)
	v_cmp_eq_u32_e64 s2, 1, v6
	v_and_b32_e32 v6, 1, v7
	v_cndmask_b32_e64 v7, v7, 1, s2
	s_and_b32 vcc_lo, s2, vcc_lo
	s_delay_alu instid0(VALU_DEP_2) | instskip(SKIP_1) | instid1(VALU_DEP_2)
	v_cmp_eq_u32_e64 s2, 1, v6
	v_dual_cndmask_b32 v1, v1, v3 :: v_dual_cndmask_b32 v2, v2, v4
	v_cndmask_b32_e64 v7, v9, v7, s2
	s_delay_alu instid0(VALU_DEP_2) | instskip(NEXT) | instid1(VALU_DEP_3)
	v_cndmask_b32_e64 v1, v3, v1, s2
	v_cndmask_b32_e64 v2, v4, v2, s2
	s_delay_alu instid0(VALU_DEP_3)
	v_and_b32_e32 v6, 0xff, v7
.LBB761_32:
	s_or_b32 exec_lo, exec_lo, s4
	v_cmp_gt_u32_e32 vcc_lo, 28, v5
	v_add_nc_u32_e32 v10, 4, v5
	s_mov_b32 s4, exec_lo
	s_waitcnt lgkmcnt(1)
	v_cndmask_b32_e64 v3, 0, 1, vcc_lo
	s_delay_alu instid0(VALU_DEP_1) | instskip(SKIP_1) | instid1(VALU_DEP_1)
	v_lshlrev_b32_e32 v3, 2, v3
	s_waitcnt lgkmcnt(0)
	v_add_lshl_u32 v4, v3, v5, 2
	ds_bpermute_b32 v9, v4, v6
	ds_bpermute_b32 v3, v4, v1
	ds_bpermute_b32 v4, v4, v2
	v_cmpx_lt_u32_e64 v10, v8
	s_cbranch_execz .LBB761_34
; %bb.33:
	s_waitcnt lgkmcnt(2)
	v_and_b32_e32 v6, 1, v9
	s_waitcnt lgkmcnt(0)
	v_cmp_lt_i64_e32 vcc_lo, v[3:4], v[1:2]
	s_delay_alu instid0(VALU_DEP_2) | instskip(SKIP_1) | instid1(VALU_DEP_2)
	v_cmp_eq_u32_e64 s2, 1, v6
	v_and_b32_e32 v6, 1, v7
	v_cndmask_b32_e64 v7, v7, 1, s2
	s_and_b32 vcc_lo, s2, vcc_lo
	s_delay_alu instid0(VALU_DEP_2) | instskip(SKIP_1) | instid1(VALU_DEP_2)
	v_cmp_eq_u32_e64 s2, 1, v6
	v_dual_cndmask_b32 v1, v1, v3 :: v_dual_cndmask_b32 v2, v2, v4
	v_cndmask_b32_e64 v7, v9, v7, s2
	s_delay_alu instid0(VALU_DEP_2) | instskip(NEXT) | instid1(VALU_DEP_3)
	v_cndmask_b32_e64 v1, v3, v1, s2
	v_cndmask_b32_e64 v2, v4, v2, s2
	s_delay_alu instid0(VALU_DEP_3)
	v_and_b32_e32 v6, 0xff, v7
.LBB761_34:
	s_or_b32 exec_lo, exec_lo, s4
	v_cmp_gt_u32_e32 vcc_lo, 24, v5
	v_add_nc_u32_e32 v10, 8, v5
	s_mov_b32 s4, exec_lo
	s_waitcnt lgkmcnt(1)
	v_cndmask_b32_e64 v3, 0, 1, vcc_lo
	s_delay_alu instid0(VALU_DEP_1) | instskip(SKIP_1) | instid1(VALU_DEP_1)
	v_lshlrev_b32_e32 v3, 3, v3
	s_waitcnt lgkmcnt(0)
	v_add_lshl_u32 v4, v3, v5, 2
	ds_bpermute_b32 v9, v4, v6
	ds_bpermute_b32 v3, v4, v1
	ds_bpermute_b32 v4, v4, v2
	v_cmpx_lt_u32_e64 v10, v8
	s_cbranch_execz .LBB761_36
; %bb.35:
	s_waitcnt lgkmcnt(2)
	v_and_b32_e32 v6, 1, v9
	s_waitcnt lgkmcnt(0)
	v_cmp_lt_i64_e32 vcc_lo, v[3:4], v[1:2]
	s_delay_alu instid0(VALU_DEP_2) | instskip(SKIP_1) | instid1(VALU_DEP_2)
	v_cmp_eq_u32_e64 s2, 1, v6
	v_and_b32_e32 v6, 1, v7
	v_cndmask_b32_e64 v7, v7, 1, s2
	s_and_b32 vcc_lo, s2, vcc_lo
	s_delay_alu instid0(VALU_DEP_2) | instskip(SKIP_1) | instid1(VALU_DEP_2)
	v_cmp_eq_u32_e64 s2, 1, v6
	v_dual_cndmask_b32 v1, v1, v3 :: v_dual_cndmask_b32 v2, v2, v4
	v_cndmask_b32_e64 v7, v9, v7, s2
	s_delay_alu instid0(VALU_DEP_2) | instskip(NEXT) | instid1(VALU_DEP_3)
	v_cndmask_b32_e64 v1, v3, v1, s2
	v_cndmask_b32_e64 v2, v4, v2, s2
	s_delay_alu instid0(VALU_DEP_3)
	v_and_b32_e32 v6, 0xff, v7
.LBB761_36:
	s_or_b32 exec_lo, exec_lo, s4
	v_cmp_gt_u32_e32 vcc_lo, 16, v5
	v_add_nc_u32_e32 v10, 16, v5
	s_mov_b32 s4, exec_lo
	s_waitcnt lgkmcnt(1)
	v_cndmask_b32_e64 v3, 0, 1, vcc_lo
	s_delay_alu instid0(VALU_DEP_1) | instskip(SKIP_1) | instid1(VALU_DEP_1)
	v_lshlrev_b32_e32 v3, 4, v3
	s_waitcnt lgkmcnt(0)
	v_add_lshl_u32 v4, v3, v5, 2
	ds_bpermute_b32 v9, v4, v6
	ds_bpermute_b32 v3, v4, v1
	;; [unrolled: 1-line block ×3, first 2 shown]
	v_cmpx_lt_u32_e64 v10, v8
	s_cbranch_execz .LBB761_38
; %bb.37:
	s_waitcnt lgkmcnt(2)
	v_and_b32_e32 v6, 1, v9
	s_waitcnt lgkmcnt(0)
	v_cmp_lt_i64_e32 vcc_lo, v[3:4], v[1:2]
	s_delay_alu instid0(VALU_DEP_2) | instskip(SKIP_1) | instid1(VALU_DEP_2)
	v_cmp_eq_u32_e64 s2, 1, v6
	v_and_b32_e32 v6, 1, v7
	v_cndmask_b32_e64 v7, v7, 1, s2
	s_and_b32 vcc_lo, s2, vcc_lo
	s_delay_alu instid0(VALU_DEP_2) | instskip(SKIP_1) | instid1(VALU_DEP_2)
	v_cmp_eq_u32_e64 s2, 1, v6
	v_dual_cndmask_b32 v1, v1, v3 :: v_dual_cndmask_b32 v2, v2, v4
	v_cndmask_b32_e64 v7, v9, v7, s2
	s_delay_alu instid0(VALU_DEP_2) | instskip(NEXT) | instid1(VALU_DEP_3)
	v_cndmask_b32_e64 v1, v3, v1, s2
	v_cndmask_b32_e64 v2, v4, v2, s2
	s_delay_alu instid0(VALU_DEP_3)
	v_and_b32_e32 v6, 0xff, v7
.LBB761_38:
	s_or_b32 exec_lo, exec_lo, s4
	s_delay_alu instid0(SALU_CYCLE_1)
	s_mov_b32 s2, exec_lo
	v_cmpx_eq_u32_e32 0, v5
	s_cbranch_execz .LBB761_40
; %bb.39:
	s_waitcnt lgkmcnt(1)
	v_lshrrev_b32_e32 v3, 1, v0
	s_delay_alu instid0(VALU_DEP_1)
	v_and_b32_e32 v3, 0x70, v3
	ds_store_b8 v3, v7 offset:128
	ds_store_b64 v3, v[1:2] offset:136
.LBB761_40:
	s_or_b32 exec_lo, exec_lo, s2
	s_delay_alu instid0(SALU_CYCLE_1)
	s_mov_b32 s4, exec_lo
	s_waitcnt lgkmcnt(0)
	s_barrier
	buffer_gl0_inv
	v_cmpx_gt_u32_e32 8, v0
	s_cbranch_execz .LBB761_48
; %bb.41:
	v_lshlrev_b32_e32 v1, 4, v5
	v_and_b32_e32 v8, 7, v5
	s_add_i32 s3, s3, 31
	s_mov_b32 s5, exec_lo
	s_lshr_b32 s3, s3, 5
	ds_load_u8 v7, v1 offset:128
	ds_load_b64 v[1:2], v1 offset:136
	v_cmp_ne_u32_e32 vcc_lo, 7, v8
	v_add_nc_u32_e32 v10, 1, v8
	v_add_co_ci_u32_e32 v3, vcc_lo, 0, v5, vcc_lo
	s_delay_alu instid0(VALU_DEP_1)
	v_lshlrev_b32_e32 v4, 2, v3
	s_waitcnt lgkmcnt(1)
	v_and_b32_e32 v6, 0xff, v7
	s_waitcnt lgkmcnt(0)
	ds_bpermute_b32 v3, v4, v1
	ds_bpermute_b32 v9, v4, v6
	;; [unrolled: 1-line block ×3, first 2 shown]
	v_cmpx_gt_u32_e64 s3, v10
	s_cbranch_execz .LBB761_43
; %bb.42:
	s_waitcnt lgkmcnt(1)
	v_and_b32_e32 v6, 1, v9
	s_waitcnt lgkmcnt(0)
	v_cmp_lt_i64_e32 vcc_lo, v[3:4], v[1:2]
	s_delay_alu instid0(VALU_DEP_2) | instskip(SKIP_1) | instid1(VALU_DEP_2)
	v_cmp_eq_u32_e64 s2, 1, v6
	v_and_b32_e32 v6, 1, v7
	v_cndmask_b32_e64 v7, v7, 1, s2
	s_and_b32 vcc_lo, s2, vcc_lo
	s_delay_alu instid0(VALU_DEP_2) | instskip(SKIP_1) | instid1(VALU_DEP_2)
	v_cmp_eq_u32_e64 s2, 1, v6
	v_dual_cndmask_b32 v1, v1, v3 :: v_dual_cndmask_b32 v2, v2, v4
	v_cndmask_b32_e64 v7, v9, v7, s2
	s_delay_alu instid0(VALU_DEP_2) | instskip(NEXT) | instid1(VALU_DEP_3)
	v_cndmask_b32_e64 v1, v3, v1, s2
	v_cndmask_b32_e64 v2, v4, v2, s2
	s_delay_alu instid0(VALU_DEP_3)
	v_and_b32_e32 v6, 0xff, v7
.LBB761_43:
	s_or_b32 exec_lo, exec_lo, s5
	v_cmp_gt_u32_e32 vcc_lo, 6, v8
	v_add_nc_u32_e32 v10, 2, v8
	s_mov_b32 s5, exec_lo
	s_waitcnt lgkmcnt(2)
	v_cndmask_b32_e64 v3, 0, 1, vcc_lo
	s_delay_alu instid0(VALU_DEP_1) | instskip(SKIP_1) | instid1(VALU_DEP_1)
	v_lshlrev_b32_e32 v3, 1, v3
	s_waitcnt lgkmcnt(0)
	v_add_lshl_u32 v4, v3, v5, 2
	ds_bpermute_b32 v9, v4, v6
	ds_bpermute_b32 v3, v4, v1
	ds_bpermute_b32 v4, v4, v2
	v_cmpx_gt_u32_e64 s3, v10
	s_cbranch_execz .LBB761_45
; %bb.44:
	s_waitcnt lgkmcnt(2)
	v_and_b32_e32 v6, 1, v9
	s_waitcnt lgkmcnt(0)
	v_cmp_lt_i64_e32 vcc_lo, v[3:4], v[1:2]
	s_delay_alu instid0(VALU_DEP_2) | instskip(SKIP_1) | instid1(VALU_DEP_2)
	v_cmp_eq_u32_e64 s2, 1, v6
	v_and_b32_e32 v6, 1, v7
	v_cndmask_b32_e64 v7, v7, 1, s2
	s_and_b32 vcc_lo, s2, vcc_lo
	s_delay_alu instid0(VALU_DEP_2) | instskip(SKIP_1) | instid1(VALU_DEP_2)
	v_cmp_eq_u32_e64 s2, 1, v6
	v_dual_cndmask_b32 v1, v1, v3 :: v_dual_cndmask_b32 v2, v2, v4
	v_cndmask_b32_e64 v7, v9, v7, s2
	s_delay_alu instid0(VALU_DEP_2) | instskip(NEXT) | instid1(VALU_DEP_3)
	v_cndmask_b32_e64 v1, v3, v1, s2
	v_cndmask_b32_e64 v2, v4, v2, s2
	s_delay_alu instid0(VALU_DEP_3)
	v_and_b32_e32 v6, 0xff, v7
.LBB761_45:
	s_or_b32 exec_lo, exec_lo, s5
	v_cmp_gt_u32_e32 vcc_lo, 4, v8
	v_add_nc_u32_e32 v8, 4, v8
	s_waitcnt lgkmcnt(1)
	v_cndmask_b32_e64 v3, 0, 1, vcc_lo
	s_delay_alu instid0(VALU_DEP_2) | instskip(NEXT) | instid1(VALU_DEP_2)
	v_cmp_gt_u32_e32 vcc_lo, s3, v8
	v_lshlrev_b32_e32 v3, 2, v3
	s_waitcnt lgkmcnt(0)
	s_delay_alu instid0(VALU_DEP_1)
	v_add_lshl_u32 v4, v3, v5, 2
	ds_bpermute_b32 v5, v4, v6
	ds_bpermute_b32 v3, v4, v1
	;; [unrolled: 1-line block ×3, first 2 shown]
	s_and_saveexec_b32 s3, vcc_lo
	s_cbranch_execz .LBB761_47
; %bb.46:
	s_waitcnt lgkmcnt(2)
	v_and_b32_e32 v6, 1, v5
	s_waitcnt lgkmcnt(0)
	v_cmp_lt_i64_e32 vcc_lo, v[3:4], v[1:2]
	s_delay_alu instid0(VALU_DEP_2) | instskip(SKIP_1) | instid1(VALU_DEP_2)
	v_cmp_eq_u32_e64 s2, 1, v6
	v_and_b32_e32 v6, 1, v7
	v_cndmask_b32_e64 v7, v7, 1, s2
	s_and_b32 vcc_lo, s2, vcc_lo
	s_delay_alu instid0(VALU_DEP_2) | instskip(SKIP_1) | instid1(VALU_DEP_2)
	v_cmp_eq_u32_e64 s2, 1, v6
	v_dual_cndmask_b32 v1, v1, v3 :: v_dual_cndmask_b32 v2, v2, v4
	v_cndmask_b32_e64 v5, v5, v7, s2
	s_delay_alu instid0(VALU_DEP_2) | instskip(NEXT) | instid1(VALU_DEP_3)
	v_cndmask_b32_e64 v1, v3, v1, s2
	v_cndmask_b32_e64 v2, v4, v2, s2
	s_delay_alu instid0(VALU_DEP_3)
	v_and_b32_e32 v6, 0xff, v5
.LBB761_47:
	s_or_b32 exec_lo, exec_lo, s3
.LBB761_48:
	s_delay_alu instid0(SALU_CYCLE_1)
	s_or_b32 exec_lo, exec_lo, s4
.LBB761_49:
	s_load_b32 s0, s[0:1], 0x50
	s_mov_b32 s1, exec_lo
	v_cmpx_eq_u32_e32 0, v0
	s_cbranch_execz .LBB761_51
; %bb.50:
	s_mul_i32 s1, s14, s13
	s_mul_hi_u32 s2, s14, s12
	s_mul_i32 s3, s15, s12
	s_add_i32 s1, s2, s1
	s_mul_i32 s2, s14, s12
	s_add_i32 s3, s1, s3
	v_mov_b32_e32 v0, 0
	s_lshl_b64 s[2:3], s[2:3], 4
	s_delay_alu instid0(SALU_CYCLE_1)
	s_add_u32 s1, s10, s2
	s_addc_u32 s4, s11, s3
	s_cmp_eq_u64 s[8:9], 0
	s_cselect_b32 s5, -1, 0
	s_lshl_b64 s[2:3], s[16:17], 4
	s_waitcnt lgkmcnt(0)
	v_cndmask_b32_e64 v3, v6, s0, s5
	v_cndmask_b32_e64 v2, v2, s7, s5
	;; [unrolled: 1-line block ×3, first 2 shown]
	s_add_u32 s0, s1, s2
	s_addc_u32 s1, s4, s3
	s_clause 0x1
	global_store_b8 v0, v3, s[0:1]
	global_store_b64 v0, v[1:2], s[0:1] offset:8
.LBB761_51:
	s_nop 0
	s_sendmsg sendmsg(MSG_DEALLOC_VGPRS)
	s_endpgm
.LBB761_52:
	v_lshlrev_b32_e32 v3, 3, v13
	s_clause 0x1
	global_load_b64 v[14:15], v3, s[18:19]
	global_load_b64 v[16:17], v3, s[20:21]
	v_add_co_u32 v3, s4, s5, v13
	s_delay_alu instid0(VALU_DEP_1) | instskip(SKIP_2) | instid1(VALU_DEP_1)
	v_add_co_ci_u32_e64 v4, null, s23, 0, s4
	s_waitcnt vmcnt(0)
	v_cmp_neq_f64_e64 s4, v[14:15], v[16:17]
	v_cndmask_b32_e64 v10, 0, 1, s4
	s_or_b32 exec_lo, exec_lo, s24
	s_and_saveexec_b32 s5, s3
	s_cbranch_execz .LBB761_25
.LBB761_53:
	v_and_b32_e32 v13, 1, v11
	v_cmp_lt_i64_e64 s3, v[5:6], v[1:2]
	s_delay_alu instid0(VALU_DEP_2) | instskip(SKIP_1) | instid1(VALU_DEP_2)
	v_cmp_eq_u32_e64 s4, 1, v13
	v_and_b32_e32 v13, 1, v9
	s_and_b32 s3, s4, s3
	v_cndmask_b32_e64 v9, v9, 1, s4
	v_cndmask_b32_e64 v1, v1, v5, s3
	;; [unrolled: 1-line block ×3, first 2 shown]
	v_cmp_eq_u32_e64 s3, 1, v13
	s_delay_alu instid0(VALU_DEP_1) | instskip(NEXT) | instid1(VALU_DEP_3)
	v_cndmask_b32_e64 v9, v11, v9, s3
	v_cndmask_b32_e64 v2, v6, v2, s3
	;; [unrolled: 1-line block ×3, first 2 shown]
	s_or_b32 exec_lo, exec_lo, s5
	s_and_saveexec_b32 s4, s2
	s_cbranch_execz .LBB761_26
.LBB761_54:
	v_and_b32_e32 v5, 1, v12
	v_cmp_lt_i64_e64 s2, v[7:8], v[1:2]
	s_delay_alu instid0(VALU_DEP_2) | instskip(SKIP_1) | instid1(VALU_DEP_2)
	v_cmp_eq_u32_e64 s3, 1, v5
	v_and_b32_e32 v5, 1, v9
	s_and_b32 s2, s3, s2
	v_cndmask_b32_e64 v6, v9, 1, s3
	v_cndmask_b32_e64 v1, v1, v7, s2
	;; [unrolled: 1-line block ×3, first 2 shown]
	v_cmp_eq_u32_e64 s2, 1, v5
	s_delay_alu instid0(VALU_DEP_1) | instskip(NEXT) | instid1(VALU_DEP_3)
	v_cndmask_b32_e64 v9, v12, v6, s2
	v_cndmask_b32_e64 v2, v8, v2, s2
	;; [unrolled: 1-line block ×3, first 2 shown]
	s_or_b32 exec_lo, exec_lo, s4
	s_and_saveexec_b32 s3, vcc_lo
	s_cbranch_execnz .LBB761_27
	s_branch .LBB761_28
	.section	.rodata,"a",@progbits
	.p2align	6, 0x0
	.amdhsa_kernel _ZN7rocprim17ROCPRIM_400000_NS6detail17trampoline_kernelINS0_14default_configENS1_22reduce_config_selectorIN6thrust23THRUST_200600_302600_NS5tupleIblNS6_9null_typeES8_S8_S8_S8_S8_S8_S8_EEEEZNS1_11reduce_implILb1ES3_NS6_12zip_iteratorINS7_INS6_11hip_rocprim26transform_input_iterator_tIbNSD_35transform_pair_of_input_iterators_tIbNS6_6detail15normal_iteratorINS6_10device_ptrIKdEEEESL_NS6_8equal_toIdEEEENSG_9not_fun_tINSD_8identityEEEEENSD_19counting_iterator_tIlEES8_S8_S8_S8_S8_S8_S8_S8_EEEEPS9_S9_NSD_9__find_if7functorIS9_EEEE10hipError_tPvRmT1_T2_T3_mT4_P12ihipStream_tbEUlT_E0_NS1_11comp_targetILNS1_3genE9ELNS1_11target_archE1100ELNS1_3gpuE3ELNS1_3repE0EEENS1_30default_config_static_selectorELNS0_4arch9wavefront6targetE0EEEvS14_
		.amdhsa_group_segment_fixed_size 256
		.amdhsa_private_segment_fixed_size 0
		.amdhsa_kernarg_size 104
		.amdhsa_user_sgpr_count 15
		.amdhsa_user_sgpr_dispatch_ptr 0
		.amdhsa_user_sgpr_queue_ptr 0
		.amdhsa_user_sgpr_kernarg_segment_ptr 1
		.amdhsa_user_sgpr_dispatch_id 0
		.amdhsa_user_sgpr_private_segment_size 0
		.amdhsa_wavefront_size32 1
		.amdhsa_uses_dynamic_stack 0
		.amdhsa_enable_private_segment 0
		.amdhsa_system_sgpr_workgroup_id_x 1
		.amdhsa_system_sgpr_workgroup_id_y 0
		.amdhsa_system_sgpr_workgroup_id_z 0
		.amdhsa_system_sgpr_workgroup_info 0
		.amdhsa_system_vgpr_workitem_id 0
		.amdhsa_next_free_vgpr 19
		.amdhsa_next_free_sgpr 28
		.amdhsa_reserve_vcc 1
		.amdhsa_float_round_mode_32 0
		.amdhsa_float_round_mode_16_64 0
		.amdhsa_float_denorm_mode_32 3
		.amdhsa_float_denorm_mode_16_64 3
		.amdhsa_dx10_clamp 1
		.amdhsa_ieee_mode 1
		.amdhsa_fp16_overflow 0
		.amdhsa_workgroup_processor_mode 1
		.amdhsa_memory_ordered 1
		.amdhsa_forward_progress 0
		.amdhsa_shared_vgpr_count 0
		.amdhsa_exception_fp_ieee_invalid_op 0
		.amdhsa_exception_fp_denorm_src 0
		.amdhsa_exception_fp_ieee_div_zero 0
		.amdhsa_exception_fp_ieee_overflow 0
		.amdhsa_exception_fp_ieee_underflow 0
		.amdhsa_exception_fp_ieee_inexact 0
		.amdhsa_exception_int_div_zero 0
	.end_amdhsa_kernel
	.section	.text._ZN7rocprim17ROCPRIM_400000_NS6detail17trampoline_kernelINS0_14default_configENS1_22reduce_config_selectorIN6thrust23THRUST_200600_302600_NS5tupleIblNS6_9null_typeES8_S8_S8_S8_S8_S8_S8_EEEEZNS1_11reduce_implILb1ES3_NS6_12zip_iteratorINS7_INS6_11hip_rocprim26transform_input_iterator_tIbNSD_35transform_pair_of_input_iterators_tIbNS6_6detail15normal_iteratorINS6_10device_ptrIKdEEEESL_NS6_8equal_toIdEEEENSG_9not_fun_tINSD_8identityEEEEENSD_19counting_iterator_tIlEES8_S8_S8_S8_S8_S8_S8_S8_EEEEPS9_S9_NSD_9__find_if7functorIS9_EEEE10hipError_tPvRmT1_T2_T3_mT4_P12ihipStream_tbEUlT_E0_NS1_11comp_targetILNS1_3genE9ELNS1_11target_archE1100ELNS1_3gpuE3ELNS1_3repE0EEENS1_30default_config_static_selectorELNS0_4arch9wavefront6targetE0EEEvS14_,"axG",@progbits,_ZN7rocprim17ROCPRIM_400000_NS6detail17trampoline_kernelINS0_14default_configENS1_22reduce_config_selectorIN6thrust23THRUST_200600_302600_NS5tupleIblNS6_9null_typeES8_S8_S8_S8_S8_S8_S8_EEEEZNS1_11reduce_implILb1ES3_NS6_12zip_iteratorINS7_INS6_11hip_rocprim26transform_input_iterator_tIbNSD_35transform_pair_of_input_iterators_tIbNS6_6detail15normal_iteratorINS6_10device_ptrIKdEEEESL_NS6_8equal_toIdEEEENSG_9not_fun_tINSD_8identityEEEEENSD_19counting_iterator_tIlEES8_S8_S8_S8_S8_S8_S8_S8_EEEEPS9_S9_NSD_9__find_if7functorIS9_EEEE10hipError_tPvRmT1_T2_T3_mT4_P12ihipStream_tbEUlT_E0_NS1_11comp_targetILNS1_3genE9ELNS1_11target_archE1100ELNS1_3gpuE3ELNS1_3repE0EEENS1_30default_config_static_selectorELNS0_4arch9wavefront6targetE0EEEvS14_,comdat
.Lfunc_end761:
	.size	_ZN7rocprim17ROCPRIM_400000_NS6detail17trampoline_kernelINS0_14default_configENS1_22reduce_config_selectorIN6thrust23THRUST_200600_302600_NS5tupleIblNS6_9null_typeES8_S8_S8_S8_S8_S8_S8_EEEEZNS1_11reduce_implILb1ES3_NS6_12zip_iteratorINS7_INS6_11hip_rocprim26transform_input_iterator_tIbNSD_35transform_pair_of_input_iterators_tIbNS6_6detail15normal_iteratorINS6_10device_ptrIKdEEEESL_NS6_8equal_toIdEEEENSG_9not_fun_tINSD_8identityEEEEENSD_19counting_iterator_tIlEES8_S8_S8_S8_S8_S8_S8_S8_EEEEPS9_S9_NSD_9__find_if7functorIS9_EEEE10hipError_tPvRmT1_T2_T3_mT4_P12ihipStream_tbEUlT_E0_NS1_11comp_targetILNS1_3genE9ELNS1_11target_archE1100ELNS1_3gpuE3ELNS1_3repE0EEENS1_30default_config_static_selectorELNS0_4arch9wavefront6targetE0EEEvS14_, .Lfunc_end761-_ZN7rocprim17ROCPRIM_400000_NS6detail17trampoline_kernelINS0_14default_configENS1_22reduce_config_selectorIN6thrust23THRUST_200600_302600_NS5tupleIblNS6_9null_typeES8_S8_S8_S8_S8_S8_S8_EEEEZNS1_11reduce_implILb1ES3_NS6_12zip_iteratorINS7_INS6_11hip_rocprim26transform_input_iterator_tIbNSD_35transform_pair_of_input_iterators_tIbNS6_6detail15normal_iteratorINS6_10device_ptrIKdEEEESL_NS6_8equal_toIdEEEENSG_9not_fun_tINSD_8identityEEEEENSD_19counting_iterator_tIlEES8_S8_S8_S8_S8_S8_S8_S8_EEEEPS9_S9_NSD_9__find_if7functorIS9_EEEE10hipError_tPvRmT1_T2_T3_mT4_P12ihipStream_tbEUlT_E0_NS1_11comp_targetILNS1_3genE9ELNS1_11target_archE1100ELNS1_3gpuE3ELNS1_3repE0EEENS1_30default_config_static_selectorELNS0_4arch9wavefront6targetE0EEEvS14_
                                        ; -- End function
	.section	.AMDGPU.csdata,"",@progbits
; Kernel info:
; codeLenInByte = 4108
; NumSgprs: 30
; NumVgprs: 19
; ScratchSize: 0
; MemoryBound: 0
; FloatMode: 240
; IeeeMode: 1
; LDSByteSize: 256 bytes/workgroup (compile time only)
; SGPRBlocks: 3
; VGPRBlocks: 2
; NumSGPRsForWavesPerEU: 30
; NumVGPRsForWavesPerEU: 19
; Occupancy: 16
; WaveLimiterHint : 0
; COMPUTE_PGM_RSRC2:SCRATCH_EN: 0
; COMPUTE_PGM_RSRC2:USER_SGPR: 15
; COMPUTE_PGM_RSRC2:TRAP_HANDLER: 0
; COMPUTE_PGM_RSRC2:TGID_X_EN: 1
; COMPUTE_PGM_RSRC2:TGID_Y_EN: 0
; COMPUTE_PGM_RSRC2:TGID_Z_EN: 0
; COMPUTE_PGM_RSRC2:TIDIG_COMP_CNT: 0
	.section	.text._ZN7rocprim17ROCPRIM_400000_NS6detail17trampoline_kernelINS0_14default_configENS1_22reduce_config_selectorIN6thrust23THRUST_200600_302600_NS5tupleIblNS6_9null_typeES8_S8_S8_S8_S8_S8_S8_EEEEZNS1_11reduce_implILb1ES3_NS6_12zip_iteratorINS7_INS6_11hip_rocprim26transform_input_iterator_tIbNSD_35transform_pair_of_input_iterators_tIbNS6_6detail15normal_iteratorINS6_10device_ptrIKdEEEESL_NS6_8equal_toIdEEEENSG_9not_fun_tINSD_8identityEEEEENSD_19counting_iterator_tIlEES8_S8_S8_S8_S8_S8_S8_S8_EEEEPS9_S9_NSD_9__find_if7functorIS9_EEEE10hipError_tPvRmT1_T2_T3_mT4_P12ihipStream_tbEUlT_E0_NS1_11comp_targetILNS1_3genE8ELNS1_11target_archE1030ELNS1_3gpuE2ELNS1_3repE0EEENS1_30default_config_static_selectorELNS0_4arch9wavefront6targetE0EEEvS14_,"axG",@progbits,_ZN7rocprim17ROCPRIM_400000_NS6detail17trampoline_kernelINS0_14default_configENS1_22reduce_config_selectorIN6thrust23THRUST_200600_302600_NS5tupleIblNS6_9null_typeES8_S8_S8_S8_S8_S8_S8_EEEEZNS1_11reduce_implILb1ES3_NS6_12zip_iteratorINS7_INS6_11hip_rocprim26transform_input_iterator_tIbNSD_35transform_pair_of_input_iterators_tIbNS6_6detail15normal_iteratorINS6_10device_ptrIKdEEEESL_NS6_8equal_toIdEEEENSG_9not_fun_tINSD_8identityEEEEENSD_19counting_iterator_tIlEES8_S8_S8_S8_S8_S8_S8_S8_EEEEPS9_S9_NSD_9__find_if7functorIS9_EEEE10hipError_tPvRmT1_T2_T3_mT4_P12ihipStream_tbEUlT_E0_NS1_11comp_targetILNS1_3genE8ELNS1_11target_archE1030ELNS1_3gpuE2ELNS1_3repE0EEENS1_30default_config_static_selectorELNS0_4arch9wavefront6targetE0EEEvS14_,comdat
	.protected	_ZN7rocprim17ROCPRIM_400000_NS6detail17trampoline_kernelINS0_14default_configENS1_22reduce_config_selectorIN6thrust23THRUST_200600_302600_NS5tupleIblNS6_9null_typeES8_S8_S8_S8_S8_S8_S8_EEEEZNS1_11reduce_implILb1ES3_NS6_12zip_iteratorINS7_INS6_11hip_rocprim26transform_input_iterator_tIbNSD_35transform_pair_of_input_iterators_tIbNS6_6detail15normal_iteratorINS6_10device_ptrIKdEEEESL_NS6_8equal_toIdEEEENSG_9not_fun_tINSD_8identityEEEEENSD_19counting_iterator_tIlEES8_S8_S8_S8_S8_S8_S8_S8_EEEEPS9_S9_NSD_9__find_if7functorIS9_EEEE10hipError_tPvRmT1_T2_T3_mT4_P12ihipStream_tbEUlT_E0_NS1_11comp_targetILNS1_3genE8ELNS1_11target_archE1030ELNS1_3gpuE2ELNS1_3repE0EEENS1_30default_config_static_selectorELNS0_4arch9wavefront6targetE0EEEvS14_ ; -- Begin function _ZN7rocprim17ROCPRIM_400000_NS6detail17trampoline_kernelINS0_14default_configENS1_22reduce_config_selectorIN6thrust23THRUST_200600_302600_NS5tupleIblNS6_9null_typeES8_S8_S8_S8_S8_S8_S8_EEEEZNS1_11reduce_implILb1ES3_NS6_12zip_iteratorINS7_INS6_11hip_rocprim26transform_input_iterator_tIbNSD_35transform_pair_of_input_iterators_tIbNS6_6detail15normal_iteratorINS6_10device_ptrIKdEEEESL_NS6_8equal_toIdEEEENSG_9not_fun_tINSD_8identityEEEEENSD_19counting_iterator_tIlEES8_S8_S8_S8_S8_S8_S8_S8_EEEEPS9_S9_NSD_9__find_if7functorIS9_EEEE10hipError_tPvRmT1_T2_T3_mT4_P12ihipStream_tbEUlT_E0_NS1_11comp_targetILNS1_3genE8ELNS1_11target_archE1030ELNS1_3gpuE2ELNS1_3repE0EEENS1_30default_config_static_selectorELNS0_4arch9wavefront6targetE0EEEvS14_
	.globl	_ZN7rocprim17ROCPRIM_400000_NS6detail17trampoline_kernelINS0_14default_configENS1_22reduce_config_selectorIN6thrust23THRUST_200600_302600_NS5tupleIblNS6_9null_typeES8_S8_S8_S8_S8_S8_S8_EEEEZNS1_11reduce_implILb1ES3_NS6_12zip_iteratorINS7_INS6_11hip_rocprim26transform_input_iterator_tIbNSD_35transform_pair_of_input_iterators_tIbNS6_6detail15normal_iteratorINS6_10device_ptrIKdEEEESL_NS6_8equal_toIdEEEENSG_9not_fun_tINSD_8identityEEEEENSD_19counting_iterator_tIlEES8_S8_S8_S8_S8_S8_S8_S8_EEEEPS9_S9_NSD_9__find_if7functorIS9_EEEE10hipError_tPvRmT1_T2_T3_mT4_P12ihipStream_tbEUlT_E0_NS1_11comp_targetILNS1_3genE8ELNS1_11target_archE1030ELNS1_3gpuE2ELNS1_3repE0EEENS1_30default_config_static_selectorELNS0_4arch9wavefront6targetE0EEEvS14_
	.p2align	8
	.type	_ZN7rocprim17ROCPRIM_400000_NS6detail17trampoline_kernelINS0_14default_configENS1_22reduce_config_selectorIN6thrust23THRUST_200600_302600_NS5tupleIblNS6_9null_typeES8_S8_S8_S8_S8_S8_S8_EEEEZNS1_11reduce_implILb1ES3_NS6_12zip_iteratorINS7_INS6_11hip_rocprim26transform_input_iterator_tIbNSD_35transform_pair_of_input_iterators_tIbNS6_6detail15normal_iteratorINS6_10device_ptrIKdEEEESL_NS6_8equal_toIdEEEENSG_9not_fun_tINSD_8identityEEEEENSD_19counting_iterator_tIlEES8_S8_S8_S8_S8_S8_S8_S8_EEEEPS9_S9_NSD_9__find_if7functorIS9_EEEE10hipError_tPvRmT1_T2_T3_mT4_P12ihipStream_tbEUlT_E0_NS1_11comp_targetILNS1_3genE8ELNS1_11target_archE1030ELNS1_3gpuE2ELNS1_3repE0EEENS1_30default_config_static_selectorELNS0_4arch9wavefront6targetE0EEEvS14_,@function
_ZN7rocprim17ROCPRIM_400000_NS6detail17trampoline_kernelINS0_14default_configENS1_22reduce_config_selectorIN6thrust23THRUST_200600_302600_NS5tupleIblNS6_9null_typeES8_S8_S8_S8_S8_S8_S8_EEEEZNS1_11reduce_implILb1ES3_NS6_12zip_iteratorINS7_INS6_11hip_rocprim26transform_input_iterator_tIbNSD_35transform_pair_of_input_iterators_tIbNS6_6detail15normal_iteratorINS6_10device_ptrIKdEEEESL_NS6_8equal_toIdEEEENSG_9not_fun_tINSD_8identityEEEEENSD_19counting_iterator_tIlEES8_S8_S8_S8_S8_S8_S8_S8_EEEEPS9_S9_NSD_9__find_if7functorIS9_EEEE10hipError_tPvRmT1_T2_T3_mT4_P12ihipStream_tbEUlT_E0_NS1_11comp_targetILNS1_3genE8ELNS1_11target_archE1030ELNS1_3gpuE2ELNS1_3repE0EEENS1_30default_config_static_selectorELNS0_4arch9wavefront6targetE0EEEvS14_: ; @_ZN7rocprim17ROCPRIM_400000_NS6detail17trampoline_kernelINS0_14default_configENS1_22reduce_config_selectorIN6thrust23THRUST_200600_302600_NS5tupleIblNS6_9null_typeES8_S8_S8_S8_S8_S8_S8_EEEEZNS1_11reduce_implILb1ES3_NS6_12zip_iteratorINS7_INS6_11hip_rocprim26transform_input_iterator_tIbNSD_35transform_pair_of_input_iterators_tIbNS6_6detail15normal_iteratorINS6_10device_ptrIKdEEEESL_NS6_8equal_toIdEEEENSG_9not_fun_tINSD_8identityEEEEENSD_19counting_iterator_tIlEES8_S8_S8_S8_S8_S8_S8_S8_EEEEPS9_S9_NSD_9__find_if7functorIS9_EEEE10hipError_tPvRmT1_T2_T3_mT4_P12ihipStream_tbEUlT_E0_NS1_11comp_targetILNS1_3genE8ELNS1_11target_archE1030ELNS1_3gpuE2ELNS1_3repE0EEENS1_30default_config_static_selectorELNS0_4arch9wavefront6targetE0EEEvS14_
; %bb.0:
	.section	.rodata,"a",@progbits
	.p2align	6, 0x0
	.amdhsa_kernel _ZN7rocprim17ROCPRIM_400000_NS6detail17trampoline_kernelINS0_14default_configENS1_22reduce_config_selectorIN6thrust23THRUST_200600_302600_NS5tupleIblNS6_9null_typeES8_S8_S8_S8_S8_S8_S8_EEEEZNS1_11reduce_implILb1ES3_NS6_12zip_iteratorINS7_INS6_11hip_rocprim26transform_input_iterator_tIbNSD_35transform_pair_of_input_iterators_tIbNS6_6detail15normal_iteratorINS6_10device_ptrIKdEEEESL_NS6_8equal_toIdEEEENSG_9not_fun_tINSD_8identityEEEEENSD_19counting_iterator_tIlEES8_S8_S8_S8_S8_S8_S8_S8_EEEEPS9_S9_NSD_9__find_if7functorIS9_EEEE10hipError_tPvRmT1_T2_T3_mT4_P12ihipStream_tbEUlT_E0_NS1_11comp_targetILNS1_3genE8ELNS1_11target_archE1030ELNS1_3gpuE2ELNS1_3repE0EEENS1_30default_config_static_selectorELNS0_4arch9wavefront6targetE0EEEvS14_
		.amdhsa_group_segment_fixed_size 0
		.amdhsa_private_segment_fixed_size 0
		.amdhsa_kernarg_size 104
		.amdhsa_user_sgpr_count 15
		.amdhsa_user_sgpr_dispatch_ptr 0
		.amdhsa_user_sgpr_queue_ptr 0
		.amdhsa_user_sgpr_kernarg_segment_ptr 1
		.amdhsa_user_sgpr_dispatch_id 0
		.amdhsa_user_sgpr_private_segment_size 0
		.amdhsa_wavefront_size32 1
		.amdhsa_uses_dynamic_stack 0
		.amdhsa_enable_private_segment 0
		.amdhsa_system_sgpr_workgroup_id_x 1
		.amdhsa_system_sgpr_workgroup_id_y 0
		.amdhsa_system_sgpr_workgroup_id_z 0
		.amdhsa_system_sgpr_workgroup_info 0
		.amdhsa_system_vgpr_workitem_id 0
		.amdhsa_next_free_vgpr 1
		.amdhsa_next_free_sgpr 1
		.amdhsa_reserve_vcc 0
		.amdhsa_float_round_mode_32 0
		.amdhsa_float_round_mode_16_64 0
		.amdhsa_float_denorm_mode_32 3
		.amdhsa_float_denorm_mode_16_64 3
		.amdhsa_dx10_clamp 1
		.amdhsa_ieee_mode 1
		.amdhsa_fp16_overflow 0
		.amdhsa_workgroup_processor_mode 1
		.amdhsa_memory_ordered 1
		.amdhsa_forward_progress 0
		.amdhsa_shared_vgpr_count 0
		.amdhsa_exception_fp_ieee_invalid_op 0
		.amdhsa_exception_fp_denorm_src 0
		.amdhsa_exception_fp_ieee_div_zero 0
		.amdhsa_exception_fp_ieee_overflow 0
		.amdhsa_exception_fp_ieee_underflow 0
		.amdhsa_exception_fp_ieee_inexact 0
		.amdhsa_exception_int_div_zero 0
	.end_amdhsa_kernel
	.section	.text._ZN7rocprim17ROCPRIM_400000_NS6detail17trampoline_kernelINS0_14default_configENS1_22reduce_config_selectorIN6thrust23THRUST_200600_302600_NS5tupleIblNS6_9null_typeES8_S8_S8_S8_S8_S8_S8_EEEEZNS1_11reduce_implILb1ES3_NS6_12zip_iteratorINS7_INS6_11hip_rocprim26transform_input_iterator_tIbNSD_35transform_pair_of_input_iterators_tIbNS6_6detail15normal_iteratorINS6_10device_ptrIKdEEEESL_NS6_8equal_toIdEEEENSG_9not_fun_tINSD_8identityEEEEENSD_19counting_iterator_tIlEES8_S8_S8_S8_S8_S8_S8_S8_EEEEPS9_S9_NSD_9__find_if7functorIS9_EEEE10hipError_tPvRmT1_T2_T3_mT4_P12ihipStream_tbEUlT_E0_NS1_11comp_targetILNS1_3genE8ELNS1_11target_archE1030ELNS1_3gpuE2ELNS1_3repE0EEENS1_30default_config_static_selectorELNS0_4arch9wavefront6targetE0EEEvS14_,"axG",@progbits,_ZN7rocprim17ROCPRIM_400000_NS6detail17trampoline_kernelINS0_14default_configENS1_22reduce_config_selectorIN6thrust23THRUST_200600_302600_NS5tupleIblNS6_9null_typeES8_S8_S8_S8_S8_S8_S8_EEEEZNS1_11reduce_implILb1ES3_NS6_12zip_iteratorINS7_INS6_11hip_rocprim26transform_input_iterator_tIbNSD_35transform_pair_of_input_iterators_tIbNS6_6detail15normal_iteratorINS6_10device_ptrIKdEEEESL_NS6_8equal_toIdEEEENSG_9not_fun_tINSD_8identityEEEEENSD_19counting_iterator_tIlEES8_S8_S8_S8_S8_S8_S8_S8_EEEEPS9_S9_NSD_9__find_if7functorIS9_EEEE10hipError_tPvRmT1_T2_T3_mT4_P12ihipStream_tbEUlT_E0_NS1_11comp_targetILNS1_3genE8ELNS1_11target_archE1030ELNS1_3gpuE2ELNS1_3repE0EEENS1_30default_config_static_selectorELNS0_4arch9wavefront6targetE0EEEvS14_,comdat
.Lfunc_end762:
	.size	_ZN7rocprim17ROCPRIM_400000_NS6detail17trampoline_kernelINS0_14default_configENS1_22reduce_config_selectorIN6thrust23THRUST_200600_302600_NS5tupleIblNS6_9null_typeES8_S8_S8_S8_S8_S8_S8_EEEEZNS1_11reduce_implILb1ES3_NS6_12zip_iteratorINS7_INS6_11hip_rocprim26transform_input_iterator_tIbNSD_35transform_pair_of_input_iterators_tIbNS6_6detail15normal_iteratorINS6_10device_ptrIKdEEEESL_NS6_8equal_toIdEEEENSG_9not_fun_tINSD_8identityEEEEENSD_19counting_iterator_tIlEES8_S8_S8_S8_S8_S8_S8_S8_EEEEPS9_S9_NSD_9__find_if7functorIS9_EEEE10hipError_tPvRmT1_T2_T3_mT4_P12ihipStream_tbEUlT_E0_NS1_11comp_targetILNS1_3genE8ELNS1_11target_archE1030ELNS1_3gpuE2ELNS1_3repE0EEENS1_30default_config_static_selectorELNS0_4arch9wavefront6targetE0EEEvS14_, .Lfunc_end762-_ZN7rocprim17ROCPRIM_400000_NS6detail17trampoline_kernelINS0_14default_configENS1_22reduce_config_selectorIN6thrust23THRUST_200600_302600_NS5tupleIblNS6_9null_typeES8_S8_S8_S8_S8_S8_S8_EEEEZNS1_11reduce_implILb1ES3_NS6_12zip_iteratorINS7_INS6_11hip_rocprim26transform_input_iterator_tIbNSD_35transform_pair_of_input_iterators_tIbNS6_6detail15normal_iteratorINS6_10device_ptrIKdEEEESL_NS6_8equal_toIdEEEENSG_9not_fun_tINSD_8identityEEEEENSD_19counting_iterator_tIlEES8_S8_S8_S8_S8_S8_S8_S8_EEEEPS9_S9_NSD_9__find_if7functorIS9_EEEE10hipError_tPvRmT1_T2_T3_mT4_P12ihipStream_tbEUlT_E0_NS1_11comp_targetILNS1_3genE8ELNS1_11target_archE1030ELNS1_3gpuE2ELNS1_3repE0EEENS1_30default_config_static_selectorELNS0_4arch9wavefront6targetE0EEEvS14_
                                        ; -- End function
	.section	.AMDGPU.csdata,"",@progbits
; Kernel info:
; codeLenInByte = 0
; NumSgprs: 0
; NumVgprs: 0
; ScratchSize: 0
; MemoryBound: 0
; FloatMode: 240
; IeeeMode: 1
; LDSByteSize: 0 bytes/workgroup (compile time only)
; SGPRBlocks: 0
; VGPRBlocks: 0
; NumSGPRsForWavesPerEU: 1
; NumVGPRsForWavesPerEU: 1
; Occupancy: 16
; WaveLimiterHint : 0
; COMPUTE_PGM_RSRC2:SCRATCH_EN: 0
; COMPUTE_PGM_RSRC2:USER_SGPR: 15
; COMPUTE_PGM_RSRC2:TRAP_HANDLER: 0
; COMPUTE_PGM_RSRC2:TGID_X_EN: 1
; COMPUTE_PGM_RSRC2:TGID_Y_EN: 0
; COMPUTE_PGM_RSRC2:TGID_Z_EN: 0
; COMPUTE_PGM_RSRC2:TIDIG_COMP_CNT: 0
	.section	.text._ZN7rocprim17ROCPRIM_400000_NS6detail17trampoline_kernelINS0_14default_configENS1_22reduce_config_selectorIN6thrust23THRUST_200600_302600_NS5tupleIblNS6_9null_typeES8_S8_S8_S8_S8_S8_S8_EEEEZNS1_11reduce_implILb1ES3_NS6_12zip_iteratorINS7_INS6_11hip_rocprim26transform_input_iterator_tIbNSD_35transform_pair_of_input_iterators_tIbNS6_6detail15normal_iteratorINS6_10device_ptrIKdEEEESL_NS6_8equal_toIdEEEENSG_9not_fun_tINSD_8identityEEEEENSD_19counting_iterator_tIlEES8_S8_S8_S8_S8_S8_S8_S8_EEEEPS9_S9_NSD_9__find_if7functorIS9_EEEE10hipError_tPvRmT1_T2_T3_mT4_P12ihipStream_tbEUlT_E1_NS1_11comp_targetILNS1_3genE0ELNS1_11target_archE4294967295ELNS1_3gpuE0ELNS1_3repE0EEENS1_30default_config_static_selectorELNS0_4arch9wavefront6targetE0EEEvS14_,"axG",@progbits,_ZN7rocprim17ROCPRIM_400000_NS6detail17trampoline_kernelINS0_14default_configENS1_22reduce_config_selectorIN6thrust23THRUST_200600_302600_NS5tupleIblNS6_9null_typeES8_S8_S8_S8_S8_S8_S8_EEEEZNS1_11reduce_implILb1ES3_NS6_12zip_iteratorINS7_INS6_11hip_rocprim26transform_input_iterator_tIbNSD_35transform_pair_of_input_iterators_tIbNS6_6detail15normal_iteratorINS6_10device_ptrIKdEEEESL_NS6_8equal_toIdEEEENSG_9not_fun_tINSD_8identityEEEEENSD_19counting_iterator_tIlEES8_S8_S8_S8_S8_S8_S8_S8_EEEEPS9_S9_NSD_9__find_if7functorIS9_EEEE10hipError_tPvRmT1_T2_T3_mT4_P12ihipStream_tbEUlT_E1_NS1_11comp_targetILNS1_3genE0ELNS1_11target_archE4294967295ELNS1_3gpuE0ELNS1_3repE0EEENS1_30default_config_static_selectorELNS0_4arch9wavefront6targetE0EEEvS14_,comdat
	.protected	_ZN7rocprim17ROCPRIM_400000_NS6detail17trampoline_kernelINS0_14default_configENS1_22reduce_config_selectorIN6thrust23THRUST_200600_302600_NS5tupleIblNS6_9null_typeES8_S8_S8_S8_S8_S8_S8_EEEEZNS1_11reduce_implILb1ES3_NS6_12zip_iteratorINS7_INS6_11hip_rocprim26transform_input_iterator_tIbNSD_35transform_pair_of_input_iterators_tIbNS6_6detail15normal_iteratorINS6_10device_ptrIKdEEEESL_NS6_8equal_toIdEEEENSG_9not_fun_tINSD_8identityEEEEENSD_19counting_iterator_tIlEES8_S8_S8_S8_S8_S8_S8_S8_EEEEPS9_S9_NSD_9__find_if7functorIS9_EEEE10hipError_tPvRmT1_T2_T3_mT4_P12ihipStream_tbEUlT_E1_NS1_11comp_targetILNS1_3genE0ELNS1_11target_archE4294967295ELNS1_3gpuE0ELNS1_3repE0EEENS1_30default_config_static_selectorELNS0_4arch9wavefront6targetE0EEEvS14_ ; -- Begin function _ZN7rocprim17ROCPRIM_400000_NS6detail17trampoline_kernelINS0_14default_configENS1_22reduce_config_selectorIN6thrust23THRUST_200600_302600_NS5tupleIblNS6_9null_typeES8_S8_S8_S8_S8_S8_S8_EEEEZNS1_11reduce_implILb1ES3_NS6_12zip_iteratorINS7_INS6_11hip_rocprim26transform_input_iterator_tIbNSD_35transform_pair_of_input_iterators_tIbNS6_6detail15normal_iteratorINS6_10device_ptrIKdEEEESL_NS6_8equal_toIdEEEENSG_9not_fun_tINSD_8identityEEEEENSD_19counting_iterator_tIlEES8_S8_S8_S8_S8_S8_S8_S8_EEEEPS9_S9_NSD_9__find_if7functorIS9_EEEE10hipError_tPvRmT1_T2_T3_mT4_P12ihipStream_tbEUlT_E1_NS1_11comp_targetILNS1_3genE0ELNS1_11target_archE4294967295ELNS1_3gpuE0ELNS1_3repE0EEENS1_30default_config_static_selectorELNS0_4arch9wavefront6targetE0EEEvS14_
	.globl	_ZN7rocprim17ROCPRIM_400000_NS6detail17trampoline_kernelINS0_14default_configENS1_22reduce_config_selectorIN6thrust23THRUST_200600_302600_NS5tupleIblNS6_9null_typeES8_S8_S8_S8_S8_S8_S8_EEEEZNS1_11reduce_implILb1ES3_NS6_12zip_iteratorINS7_INS6_11hip_rocprim26transform_input_iterator_tIbNSD_35transform_pair_of_input_iterators_tIbNS6_6detail15normal_iteratorINS6_10device_ptrIKdEEEESL_NS6_8equal_toIdEEEENSG_9not_fun_tINSD_8identityEEEEENSD_19counting_iterator_tIlEES8_S8_S8_S8_S8_S8_S8_S8_EEEEPS9_S9_NSD_9__find_if7functorIS9_EEEE10hipError_tPvRmT1_T2_T3_mT4_P12ihipStream_tbEUlT_E1_NS1_11comp_targetILNS1_3genE0ELNS1_11target_archE4294967295ELNS1_3gpuE0ELNS1_3repE0EEENS1_30default_config_static_selectorELNS0_4arch9wavefront6targetE0EEEvS14_
	.p2align	8
	.type	_ZN7rocprim17ROCPRIM_400000_NS6detail17trampoline_kernelINS0_14default_configENS1_22reduce_config_selectorIN6thrust23THRUST_200600_302600_NS5tupleIblNS6_9null_typeES8_S8_S8_S8_S8_S8_S8_EEEEZNS1_11reduce_implILb1ES3_NS6_12zip_iteratorINS7_INS6_11hip_rocprim26transform_input_iterator_tIbNSD_35transform_pair_of_input_iterators_tIbNS6_6detail15normal_iteratorINS6_10device_ptrIKdEEEESL_NS6_8equal_toIdEEEENSG_9not_fun_tINSD_8identityEEEEENSD_19counting_iterator_tIlEES8_S8_S8_S8_S8_S8_S8_S8_EEEEPS9_S9_NSD_9__find_if7functorIS9_EEEE10hipError_tPvRmT1_T2_T3_mT4_P12ihipStream_tbEUlT_E1_NS1_11comp_targetILNS1_3genE0ELNS1_11target_archE4294967295ELNS1_3gpuE0ELNS1_3repE0EEENS1_30default_config_static_selectorELNS0_4arch9wavefront6targetE0EEEvS14_,@function
_ZN7rocprim17ROCPRIM_400000_NS6detail17trampoline_kernelINS0_14default_configENS1_22reduce_config_selectorIN6thrust23THRUST_200600_302600_NS5tupleIblNS6_9null_typeES8_S8_S8_S8_S8_S8_S8_EEEEZNS1_11reduce_implILb1ES3_NS6_12zip_iteratorINS7_INS6_11hip_rocprim26transform_input_iterator_tIbNSD_35transform_pair_of_input_iterators_tIbNS6_6detail15normal_iteratorINS6_10device_ptrIKdEEEESL_NS6_8equal_toIdEEEENSG_9not_fun_tINSD_8identityEEEEENSD_19counting_iterator_tIlEES8_S8_S8_S8_S8_S8_S8_S8_EEEEPS9_S9_NSD_9__find_if7functorIS9_EEEE10hipError_tPvRmT1_T2_T3_mT4_P12ihipStream_tbEUlT_E1_NS1_11comp_targetILNS1_3genE0ELNS1_11target_archE4294967295ELNS1_3gpuE0ELNS1_3repE0EEENS1_30default_config_static_selectorELNS0_4arch9wavefront6targetE0EEEvS14_: ; @_ZN7rocprim17ROCPRIM_400000_NS6detail17trampoline_kernelINS0_14default_configENS1_22reduce_config_selectorIN6thrust23THRUST_200600_302600_NS5tupleIblNS6_9null_typeES8_S8_S8_S8_S8_S8_S8_EEEEZNS1_11reduce_implILb1ES3_NS6_12zip_iteratorINS7_INS6_11hip_rocprim26transform_input_iterator_tIbNSD_35transform_pair_of_input_iterators_tIbNS6_6detail15normal_iteratorINS6_10device_ptrIKdEEEESL_NS6_8equal_toIdEEEENSG_9not_fun_tINSD_8identityEEEEENSD_19counting_iterator_tIlEES8_S8_S8_S8_S8_S8_S8_S8_EEEEPS9_S9_NSD_9__find_if7functorIS9_EEEE10hipError_tPvRmT1_T2_T3_mT4_P12ihipStream_tbEUlT_E1_NS1_11comp_targetILNS1_3genE0ELNS1_11target_archE4294967295ELNS1_3gpuE0ELNS1_3repE0EEENS1_30default_config_static_selectorELNS0_4arch9wavefront6targetE0EEEvS14_
; %bb.0:
	.section	.rodata,"a",@progbits
	.p2align	6, 0x0
	.amdhsa_kernel _ZN7rocprim17ROCPRIM_400000_NS6detail17trampoline_kernelINS0_14default_configENS1_22reduce_config_selectorIN6thrust23THRUST_200600_302600_NS5tupleIblNS6_9null_typeES8_S8_S8_S8_S8_S8_S8_EEEEZNS1_11reduce_implILb1ES3_NS6_12zip_iteratorINS7_INS6_11hip_rocprim26transform_input_iterator_tIbNSD_35transform_pair_of_input_iterators_tIbNS6_6detail15normal_iteratorINS6_10device_ptrIKdEEEESL_NS6_8equal_toIdEEEENSG_9not_fun_tINSD_8identityEEEEENSD_19counting_iterator_tIlEES8_S8_S8_S8_S8_S8_S8_S8_EEEEPS9_S9_NSD_9__find_if7functorIS9_EEEE10hipError_tPvRmT1_T2_T3_mT4_P12ihipStream_tbEUlT_E1_NS1_11comp_targetILNS1_3genE0ELNS1_11target_archE4294967295ELNS1_3gpuE0ELNS1_3repE0EEENS1_30default_config_static_selectorELNS0_4arch9wavefront6targetE0EEEvS14_
		.amdhsa_group_segment_fixed_size 0
		.amdhsa_private_segment_fixed_size 0
		.amdhsa_kernarg_size 88
		.amdhsa_user_sgpr_count 15
		.amdhsa_user_sgpr_dispatch_ptr 0
		.amdhsa_user_sgpr_queue_ptr 0
		.amdhsa_user_sgpr_kernarg_segment_ptr 1
		.amdhsa_user_sgpr_dispatch_id 0
		.amdhsa_user_sgpr_private_segment_size 0
		.amdhsa_wavefront_size32 1
		.amdhsa_uses_dynamic_stack 0
		.amdhsa_enable_private_segment 0
		.amdhsa_system_sgpr_workgroup_id_x 1
		.amdhsa_system_sgpr_workgroup_id_y 0
		.amdhsa_system_sgpr_workgroup_id_z 0
		.amdhsa_system_sgpr_workgroup_info 0
		.amdhsa_system_vgpr_workitem_id 0
		.amdhsa_next_free_vgpr 1
		.amdhsa_next_free_sgpr 1
		.amdhsa_reserve_vcc 0
		.amdhsa_float_round_mode_32 0
		.amdhsa_float_round_mode_16_64 0
		.amdhsa_float_denorm_mode_32 3
		.amdhsa_float_denorm_mode_16_64 3
		.amdhsa_dx10_clamp 1
		.amdhsa_ieee_mode 1
		.amdhsa_fp16_overflow 0
		.amdhsa_workgroup_processor_mode 1
		.amdhsa_memory_ordered 1
		.amdhsa_forward_progress 0
		.amdhsa_shared_vgpr_count 0
		.amdhsa_exception_fp_ieee_invalid_op 0
		.amdhsa_exception_fp_denorm_src 0
		.amdhsa_exception_fp_ieee_div_zero 0
		.amdhsa_exception_fp_ieee_overflow 0
		.amdhsa_exception_fp_ieee_underflow 0
		.amdhsa_exception_fp_ieee_inexact 0
		.amdhsa_exception_int_div_zero 0
	.end_amdhsa_kernel
	.section	.text._ZN7rocprim17ROCPRIM_400000_NS6detail17trampoline_kernelINS0_14default_configENS1_22reduce_config_selectorIN6thrust23THRUST_200600_302600_NS5tupleIblNS6_9null_typeES8_S8_S8_S8_S8_S8_S8_EEEEZNS1_11reduce_implILb1ES3_NS6_12zip_iteratorINS7_INS6_11hip_rocprim26transform_input_iterator_tIbNSD_35transform_pair_of_input_iterators_tIbNS6_6detail15normal_iteratorINS6_10device_ptrIKdEEEESL_NS6_8equal_toIdEEEENSG_9not_fun_tINSD_8identityEEEEENSD_19counting_iterator_tIlEES8_S8_S8_S8_S8_S8_S8_S8_EEEEPS9_S9_NSD_9__find_if7functorIS9_EEEE10hipError_tPvRmT1_T2_T3_mT4_P12ihipStream_tbEUlT_E1_NS1_11comp_targetILNS1_3genE0ELNS1_11target_archE4294967295ELNS1_3gpuE0ELNS1_3repE0EEENS1_30default_config_static_selectorELNS0_4arch9wavefront6targetE0EEEvS14_,"axG",@progbits,_ZN7rocprim17ROCPRIM_400000_NS6detail17trampoline_kernelINS0_14default_configENS1_22reduce_config_selectorIN6thrust23THRUST_200600_302600_NS5tupleIblNS6_9null_typeES8_S8_S8_S8_S8_S8_S8_EEEEZNS1_11reduce_implILb1ES3_NS6_12zip_iteratorINS7_INS6_11hip_rocprim26transform_input_iterator_tIbNSD_35transform_pair_of_input_iterators_tIbNS6_6detail15normal_iteratorINS6_10device_ptrIKdEEEESL_NS6_8equal_toIdEEEENSG_9not_fun_tINSD_8identityEEEEENSD_19counting_iterator_tIlEES8_S8_S8_S8_S8_S8_S8_S8_EEEEPS9_S9_NSD_9__find_if7functorIS9_EEEE10hipError_tPvRmT1_T2_T3_mT4_P12ihipStream_tbEUlT_E1_NS1_11comp_targetILNS1_3genE0ELNS1_11target_archE4294967295ELNS1_3gpuE0ELNS1_3repE0EEENS1_30default_config_static_selectorELNS0_4arch9wavefront6targetE0EEEvS14_,comdat
.Lfunc_end763:
	.size	_ZN7rocprim17ROCPRIM_400000_NS6detail17trampoline_kernelINS0_14default_configENS1_22reduce_config_selectorIN6thrust23THRUST_200600_302600_NS5tupleIblNS6_9null_typeES8_S8_S8_S8_S8_S8_S8_EEEEZNS1_11reduce_implILb1ES3_NS6_12zip_iteratorINS7_INS6_11hip_rocprim26transform_input_iterator_tIbNSD_35transform_pair_of_input_iterators_tIbNS6_6detail15normal_iteratorINS6_10device_ptrIKdEEEESL_NS6_8equal_toIdEEEENSG_9not_fun_tINSD_8identityEEEEENSD_19counting_iterator_tIlEES8_S8_S8_S8_S8_S8_S8_S8_EEEEPS9_S9_NSD_9__find_if7functorIS9_EEEE10hipError_tPvRmT1_T2_T3_mT4_P12ihipStream_tbEUlT_E1_NS1_11comp_targetILNS1_3genE0ELNS1_11target_archE4294967295ELNS1_3gpuE0ELNS1_3repE0EEENS1_30default_config_static_selectorELNS0_4arch9wavefront6targetE0EEEvS14_, .Lfunc_end763-_ZN7rocprim17ROCPRIM_400000_NS6detail17trampoline_kernelINS0_14default_configENS1_22reduce_config_selectorIN6thrust23THRUST_200600_302600_NS5tupleIblNS6_9null_typeES8_S8_S8_S8_S8_S8_S8_EEEEZNS1_11reduce_implILb1ES3_NS6_12zip_iteratorINS7_INS6_11hip_rocprim26transform_input_iterator_tIbNSD_35transform_pair_of_input_iterators_tIbNS6_6detail15normal_iteratorINS6_10device_ptrIKdEEEESL_NS6_8equal_toIdEEEENSG_9not_fun_tINSD_8identityEEEEENSD_19counting_iterator_tIlEES8_S8_S8_S8_S8_S8_S8_S8_EEEEPS9_S9_NSD_9__find_if7functorIS9_EEEE10hipError_tPvRmT1_T2_T3_mT4_P12ihipStream_tbEUlT_E1_NS1_11comp_targetILNS1_3genE0ELNS1_11target_archE4294967295ELNS1_3gpuE0ELNS1_3repE0EEENS1_30default_config_static_selectorELNS0_4arch9wavefront6targetE0EEEvS14_
                                        ; -- End function
	.section	.AMDGPU.csdata,"",@progbits
; Kernel info:
; codeLenInByte = 0
; NumSgprs: 0
; NumVgprs: 0
; ScratchSize: 0
; MemoryBound: 0
; FloatMode: 240
; IeeeMode: 1
; LDSByteSize: 0 bytes/workgroup (compile time only)
; SGPRBlocks: 0
; VGPRBlocks: 0
; NumSGPRsForWavesPerEU: 1
; NumVGPRsForWavesPerEU: 1
; Occupancy: 16
; WaveLimiterHint : 0
; COMPUTE_PGM_RSRC2:SCRATCH_EN: 0
; COMPUTE_PGM_RSRC2:USER_SGPR: 15
; COMPUTE_PGM_RSRC2:TRAP_HANDLER: 0
; COMPUTE_PGM_RSRC2:TGID_X_EN: 1
; COMPUTE_PGM_RSRC2:TGID_Y_EN: 0
; COMPUTE_PGM_RSRC2:TGID_Z_EN: 0
; COMPUTE_PGM_RSRC2:TIDIG_COMP_CNT: 0
	.section	.text._ZN7rocprim17ROCPRIM_400000_NS6detail17trampoline_kernelINS0_14default_configENS1_22reduce_config_selectorIN6thrust23THRUST_200600_302600_NS5tupleIblNS6_9null_typeES8_S8_S8_S8_S8_S8_S8_EEEEZNS1_11reduce_implILb1ES3_NS6_12zip_iteratorINS7_INS6_11hip_rocprim26transform_input_iterator_tIbNSD_35transform_pair_of_input_iterators_tIbNS6_6detail15normal_iteratorINS6_10device_ptrIKdEEEESL_NS6_8equal_toIdEEEENSG_9not_fun_tINSD_8identityEEEEENSD_19counting_iterator_tIlEES8_S8_S8_S8_S8_S8_S8_S8_EEEEPS9_S9_NSD_9__find_if7functorIS9_EEEE10hipError_tPvRmT1_T2_T3_mT4_P12ihipStream_tbEUlT_E1_NS1_11comp_targetILNS1_3genE5ELNS1_11target_archE942ELNS1_3gpuE9ELNS1_3repE0EEENS1_30default_config_static_selectorELNS0_4arch9wavefront6targetE0EEEvS14_,"axG",@progbits,_ZN7rocprim17ROCPRIM_400000_NS6detail17trampoline_kernelINS0_14default_configENS1_22reduce_config_selectorIN6thrust23THRUST_200600_302600_NS5tupleIblNS6_9null_typeES8_S8_S8_S8_S8_S8_S8_EEEEZNS1_11reduce_implILb1ES3_NS6_12zip_iteratorINS7_INS6_11hip_rocprim26transform_input_iterator_tIbNSD_35transform_pair_of_input_iterators_tIbNS6_6detail15normal_iteratorINS6_10device_ptrIKdEEEESL_NS6_8equal_toIdEEEENSG_9not_fun_tINSD_8identityEEEEENSD_19counting_iterator_tIlEES8_S8_S8_S8_S8_S8_S8_S8_EEEEPS9_S9_NSD_9__find_if7functorIS9_EEEE10hipError_tPvRmT1_T2_T3_mT4_P12ihipStream_tbEUlT_E1_NS1_11comp_targetILNS1_3genE5ELNS1_11target_archE942ELNS1_3gpuE9ELNS1_3repE0EEENS1_30default_config_static_selectorELNS0_4arch9wavefront6targetE0EEEvS14_,comdat
	.protected	_ZN7rocprim17ROCPRIM_400000_NS6detail17trampoline_kernelINS0_14default_configENS1_22reduce_config_selectorIN6thrust23THRUST_200600_302600_NS5tupleIblNS6_9null_typeES8_S8_S8_S8_S8_S8_S8_EEEEZNS1_11reduce_implILb1ES3_NS6_12zip_iteratorINS7_INS6_11hip_rocprim26transform_input_iterator_tIbNSD_35transform_pair_of_input_iterators_tIbNS6_6detail15normal_iteratorINS6_10device_ptrIKdEEEESL_NS6_8equal_toIdEEEENSG_9not_fun_tINSD_8identityEEEEENSD_19counting_iterator_tIlEES8_S8_S8_S8_S8_S8_S8_S8_EEEEPS9_S9_NSD_9__find_if7functorIS9_EEEE10hipError_tPvRmT1_T2_T3_mT4_P12ihipStream_tbEUlT_E1_NS1_11comp_targetILNS1_3genE5ELNS1_11target_archE942ELNS1_3gpuE9ELNS1_3repE0EEENS1_30default_config_static_selectorELNS0_4arch9wavefront6targetE0EEEvS14_ ; -- Begin function _ZN7rocprim17ROCPRIM_400000_NS6detail17trampoline_kernelINS0_14default_configENS1_22reduce_config_selectorIN6thrust23THRUST_200600_302600_NS5tupleIblNS6_9null_typeES8_S8_S8_S8_S8_S8_S8_EEEEZNS1_11reduce_implILb1ES3_NS6_12zip_iteratorINS7_INS6_11hip_rocprim26transform_input_iterator_tIbNSD_35transform_pair_of_input_iterators_tIbNS6_6detail15normal_iteratorINS6_10device_ptrIKdEEEESL_NS6_8equal_toIdEEEENSG_9not_fun_tINSD_8identityEEEEENSD_19counting_iterator_tIlEES8_S8_S8_S8_S8_S8_S8_S8_EEEEPS9_S9_NSD_9__find_if7functorIS9_EEEE10hipError_tPvRmT1_T2_T3_mT4_P12ihipStream_tbEUlT_E1_NS1_11comp_targetILNS1_3genE5ELNS1_11target_archE942ELNS1_3gpuE9ELNS1_3repE0EEENS1_30default_config_static_selectorELNS0_4arch9wavefront6targetE0EEEvS14_
	.globl	_ZN7rocprim17ROCPRIM_400000_NS6detail17trampoline_kernelINS0_14default_configENS1_22reduce_config_selectorIN6thrust23THRUST_200600_302600_NS5tupleIblNS6_9null_typeES8_S8_S8_S8_S8_S8_S8_EEEEZNS1_11reduce_implILb1ES3_NS6_12zip_iteratorINS7_INS6_11hip_rocprim26transform_input_iterator_tIbNSD_35transform_pair_of_input_iterators_tIbNS6_6detail15normal_iteratorINS6_10device_ptrIKdEEEESL_NS6_8equal_toIdEEEENSG_9not_fun_tINSD_8identityEEEEENSD_19counting_iterator_tIlEES8_S8_S8_S8_S8_S8_S8_S8_EEEEPS9_S9_NSD_9__find_if7functorIS9_EEEE10hipError_tPvRmT1_T2_T3_mT4_P12ihipStream_tbEUlT_E1_NS1_11comp_targetILNS1_3genE5ELNS1_11target_archE942ELNS1_3gpuE9ELNS1_3repE0EEENS1_30default_config_static_selectorELNS0_4arch9wavefront6targetE0EEEvS14_
	.p2align	8
	.type	_ZN7rocprim17ROCPRIM_400000_NS6detail17trampoline_kernelINS0_14default_configENS1_22reduce_config_selectorIN6thrust23THRUST_200600_302600_NS5tupleIblNS6_9null_typeES8_S8_S8_S8_S8_S8_S8_EEEEZNS1_11reduce_implILb1ES3_NS6_12zip_iteratorINS7_INS6_11hip_rocprim26transform_input_iterator_tIbNSD_35transform_pair_of_input_iterators_tIbNS6_6detail15normal_iteratorINS6_10device_ptrIKdEEEESL_NS6_8equal_toIdEEEENSG_9not_fun_tINSD_8identityEEEEENSD_19counting_iterator_tIlEES8_S8_S8_S8_S8_S8_S8_S8_EEEEPS9_S9_NSD_9__find_if7functorIS9_EEEE10hipError_tPvRmT1_T2_T3_mT4_P12ihipStream_tbEUlT_E1_NS1_11comp_targetILNS1_3genE5ELNS1_11target_archE942ELNS1_3gpuE9ELNS1_3repE0EEENS1_30default_config_static_selectorELNS0_4arch9wavefront6targetE0EEEvS14_,@function
_ZN7rocprim17ROCPRIM_400000_NS6detail17trampoline_kernelINS0_14default_configENS1_22reduce_config_selectorIN6thrust23THRUST_200600_302600_NS5tupleIblNS6_9null_typeES8_S8_S8_S8_S8_S8_S8_EEEEZNS1_11reduce_implILb1ES3_NS6_12zip_iteratorINS7_INS6_11hip_rocprim26transform_input_iterator_tIbNSD_35transform_pair_of_input_iterators_tIbNS6_6detail15normal_iteratorINS6_10device_ptrIKdEEEESL_NS6_8equal_toIdEEEENSG_9not_fun_tINSD_8identityEEEEENSD_19counting_iterator_tIlEES8_S8_S8_S8_S8_S8_S8_S8_EEEEPS9_S9_NSD_9__find_if7functorIS9_EEEE10hipError_tPvRmT1_T2_T3_mT4_P12ihipStream_tbEUlT_E1_NS1_11comp_targetILNS1_3genE5ELNS1_11target_archE942ELNS1_3gpuE9ELNS1_3repE0EEENS1_30default_config_static_selectorELNS0_4arch9wavefront6targetE0EEEvS14_: ; @_ZN7rocprim17ROCPRIM_400000_NS6detail17trampoline_kernelINS0_14default_configENS1_22reduce_config_selectorIN6thrust23THRUST_200600_302600_NS5tupleIblNS6_9null_typeES8_S8_S8_S8_S8_S8_S8_EEEEZNS1_11reduce_implILb1ES3_NS6_12zip_iteratorINS7_INS6_11hip_rocprim26transform_input_iterator_tIbNSD_35transform_pair_of_input_iterators_tIbNS6_6detail15normal_iteratorINS6_10device_ptrIKdEEEESL_NS6_8equal_toIdEEEENSG_9not_fun_tINSD_8identityEEEEENSD_19counting_iterator_tIlEES8_S8_S8_S8_S8_S8_S8_S8_EEEEPS9_S9_NSD_9__find_if7functorIS9_EEEE10hipError_tPvRmT1_T2_T3_mT4_P12ihipStream_tbEUlT_E1_NS1_11comp_targetILNS1_3genE5ELNS1_11target_archE942ELNS1_3gpuE9ELNS1_3repE0EEENS1_30default_config_static_selectorELNS0_4arch9wavefront6targetE0EEEvS14_
; %bb.0:
	.section	.rodata,"a",@progbits
	.p2align	6, 0x0
	.amdhsa_kernel _ZN7rocprim17ROCPRIM_400000_NS6detail17trampoline_kernelINS0_14default_configENS1_22reduce_config_selectorIN6thrust23THRUST_200600_302600_NS5tupleIblNS6_9null_typeES8_S8_S8_S8_S8_S8_S8_EEEEZNS1_11reduce_implILb1ES3_NS6_12zip_iteratorINS7_INS6_11hip_rocprim26transform_input_iterator_tIbNSD_35transform_pair_of_input_iterators_tIbNS6_6detail15normal_iteratorINS6_10device_ptrIKdEEEESL_NS6_8equal_toIdEEEENSG_9not_fun_tINSD_8identityEEEEENSD_19counting_iterator_tIlEES8_S8_S8_S8_S8_S8_S8_S8_EEEEPS9_S9_NSD_9__find_if7functorIS9_EEEE10hipError_tPvRmT1_T2_T3_mT4_P12ihipStream_tbEUlT_E1_NS1_11comp_targetILNS1_3genE5ELNS1_11target_archE942ELNS1_3gpuE9ELNS1_3repE0EEENS1_30default_config_static_selectorELNS0_4arch9wavefront6targetE0EEEvS14_
		.amdhsa_group_segment_fixed_size 0
		.amdhsa_private_segment_fixed_size 0
		.amdhsa_kernarg_size 88
		.amdhsa_user_sgpr_count 15
		.amdhsa_user_sgpr_dispatch_ptr 0
		.amdhsa_user_sgpr_queue_ptr 0
		.amdhsa_user_sgpr_kernarg_segment_ptr 1
		.amdhsa_user_sgpr_dispatch_id 0
		.amdhsa_user_sgpr_private_segment_size 0
		.amdhsa_wavefront_size32 1
		.amdhsa_uses_dynamic_stack 0
		.amdhsa_enable_private_segment 0
		.amdhsa_system_sgpr_workgroup_id_x 1
		.amdhsa_system_sgpr_workgroup_id_y 0
		.amdhsa_system_sgpr_workgroup_id_z 0
		.amdhsa_system_sgpr_workgroup_info 0
		.amdhsa_system_vgpr_workitem_id 0
		.amdhsa_next_free_vgpr 1
		.amdhsa_next_free_sgpr 1
		.amdhsa_reserve_vcc 0
		.amdhsa_float_round_mode_32 0
		.amdhsa_float_round_mode_16_64 0
		.amdhsa_float_denorm_mode_32 3
		.amdhsa_float_denorm_mode_16_64 3
		.amdhsa_dx10_clamp 1
		.amdhsa_ieee_mode 1
		.amdhsa_fp16_overflow 0
		.amdhsa_workgroup_processor_mode 1
		.amdhsa_memory_ordered 1
		.amdhsa_forward_progress 0
		.amdhsa_shared_vgpr_count 0
		.amdhsa_exception_fp_ieee_invalid_op 0
		.amdhsa_exception_fp_denorm_src 0
		.amdhsa_exception_fp_ieee_div_zero 0
		.amdhsa_exception_fp_ieee_overflow 0
		.amdhsa_exception_fp_ieee_underflow 0
		.amdhsa_exception_fp_ieee_inexact 0
		.amdhsa_exception_int_div_zero 0
	.end_amdhsa_kernel
	.section	.text._ZN7rocprim17ROCPRIM_400000_NS6detail17trampoline_kernelINS0_14default_configENS1_22reduce_config_selectorIN6thrust23THRUST_200600_302600_NS5tupleIblNS6_9null_typeES8_S8_S8_S8_S8_S8_S8_EEEEZNS1_11reduce_implILb1ES3_NS6_12zip_iteratorINS7_INS6_11hip_rocprim26transform_input_iterator_tIbNSD_35transform_pair_of_input_iterators_tIbNS6_6detail15normal_iteratorINS6_10device_ptrIKdEEEESL_NS6_8equal_toIdEEEENSG_9not_fun_tINSD_8identityEEEEENSD_19counting_iterator_tIlEES8_S8_S8_S8_S8_S8_S8_S8_EEEEPS9_S9_NSD_9__find_if7functorIS9_EEEE10hipError_tPvRmT1_T2_T3_mT4_P12ihipStream_tbEUlT_E1_NS1_11comp_targetILNS1_3genE5ELNS1_11target_archE942ELNS1_3gpuE9ELNS1_3repE0EEENS1_30default_config_static_selectorELNS0_4arch9wavefront6targetE0EEEvS14_,"axG",@progbits,_ZN7rocprim17ROCPRIM_400000_NS6detail17trampoline_kernelINS0_14default_configENS1_22reduce_config_selectorIN6thrust23THRUST_200600_302600_NS5tupleIblNS6_9null_typeES8_S8_S8_S8_S8_S8_S8_EEEEZNS1_11reduce_implILb1ES3_NS6_12zip_iteratorINS7_INS6_11hip_rocprim26transform_input_iterator_tIbNSD_35transform_pair_of_input_iterators_tIbNS6_6detail15normal_iteratorINS6_10device_ptrIKdEEEESL_NS6_8equal_toIdEEEENSG_9not_fun_tINSD_8identityEEEEENSD_19counting_iterator_tIlEES8_S8_S8_S8_S8_S8_S8_S8_EEEEPS9_S9_NSD_9__find_if7functorIS9_EEEE10hipError_tPvRmT1_T2_T3_mT4_P12ihipStream_tbEUlT_E1_NS1_11comp_targetILNS1_3genE5ELNS1_11target_archE942ELNS1_3gpuE9ELNS1_3repE0EEENS1_30default_config_static_selectorELNS0_4arch9wavefront6targetE0EEEvS14_,comdat
.Lfunc_end764:
	.size	_ZN7rocprim17ROCPRIM_400000_NS6detail17trampoline_kernelINS0_14default_configENS1_22reduce_config_selectorIN6thrust23THRUST_200600_302600_NS5tupleIblNS6_9null_typeES8_S8_S8_S8_S8_S8_S8_EEEEZNS1_11reduce_implILb1ES3_NS6_12zip_iteratorINS7_INS6_11hip_rocprim26transform_input_iterator_tIbNSD_35transform_pair_of_input_iterators_tIbNS6_6detail15normal_iteratorINS6_10device_ptrIKdEEEESL_NS6_8equal_toIdEEEENSG_9not_fun_tINSD_8identityEEEEENSD_19counting_iterator_tIlEES8_S8_S8_S8_S8_S8_S8_S8_EEEEPS9_S9_NSD_9__find_if7functorIS9_EEEE10hipError_tPvRmT1_T2_T3_mT4_P12ihipStream_tbEUlT_E1_NS1_11comp_targetILNS1_3genE5ELNS1_11target_archE942ELNS1_3gpuE9ELNS1_3repE0EEENS1_30default_config_static_selectorELNS0_4arch9wavefront6targetE0EEEvS14_, .Lfunc_end764-_ZN7rocprim17ROCPRIM_400000_NS6detail17trampoline_kernelINS0_14default_configENS1_22reduce_config_selectorIN6thrust23THRUST_200600_302600_NS5tupleIblNS6_9null_typeES8_S8_S8_S8_S8_S8_S8_EEEEZNS1_11reduce_implILb1ES3_NS6_12zip_iteratorINS7_INS6_11hip_rocprim26transform_input_iterator_tIbNSD_35transform_pair_of_input_iterators_tIbNS6_6detail15normal_iteratorINS6_10device_ptrIKdEEEESL_NS6_8equal_toIdEEEENSG_9not_fun_tINSD_8identityEEEEENSD_19counting_iterator_tIlEES8_S8_S8_S8_S8_S8_S8_S8_EEEEPS9_S9_NSD_9__find_if7functorIS9_EEEE10hipError_tPvRmT1_T2_T3_mT4_P12ihipStream_tbEUlT_E1_NS1_11comp_targetILNS1_3genE5ELNS1_11target_archE942ELNS1_3gpuE9ELNS1_3repE0EEENS1_30default_config_static_selectorELNS0_4arch9wavefront6targetE0EEEvS14_
                                        ; -- End function
	.section	.AMDGPU.csdata,"",@progbits
; Kernel info:
; codeLenInByte = 0
; NumSgprs: 0
; NumVgprs: 0
; ScratchSize: 0
; MemoryBound: 0
; FloatMode: 240
; IeeeMode: 1
; LDSByteSize: 0 bytes/workgroup (compile time only)
; SGPRBlocks: 0
; VGPRBlocks: 0
; NumSGPRsForWavesPerEU: 1
; NumVGPRsForWavesPerEU: 1
; Occupancy: 16
; WaveLimiterHint : 0
; COMPUTE_PGM_RSRC2:SCRATCH_EN: 0
; COMPUTE_PGM_RSRC2:USER_SGPR: 15
; COMPUTE_PGM_RSRC2:TRAP_HANDLER: 0
; COMPUTE_PGM_RSRC2:TGID_X_EN: 1
; COMPUTE_PGM_RSRC2:TGID_Y_EN: 0
; COMPUTE_PGM_RSRC2:TGID_Z_EN: 0
; COMPUTE_PGM_RSRC2:TIDIG_COMP_CNT: 0
	.section	.text._ZN7rocprim17ROCPRIM_400000_NS6detail17trampoline_kernelINS0_14default_configENS1_22reduce_config_selectorIN6thrust23THRUST_200600_302600_NS5tupleIblNS6_9null_typeES8_S8_S8_S8_S8_S8_S8_EEEEZNS1_11reduce_implILb1ES3_NS6_12zip_iteratorINS7_INS6_11hip_rocprim26transform_input_iterator_tIbNSD_35transform_pair_of_input_iterators_tIbNS6_6detail15normal_iteratorINS6_10device_ptrIKdEEEESL_NS6_8equal_toIdEEEENSG_9not_fun_tINSD_8identityEEEEENSD_19counting_iterator_tIlEES8_S8_S8_S8_S8_S8_S8_S8_EEEEPS9_S9_NSD_9__find_if7functorIS9_EEEE10hipError_tPvRmT1_T2_T3_mT4_P12ihipStream_tbEUlT_E1_NS1_11comp_targetILNS1_3genE4ELNS1_11target_archE910ELNS1_3gpuE8ELNS1_3repE0EEENS1_30default_config_static_selectorELNS0_4arch9wavefront6targetE0EEEvS14_,"axG",@progbits,_ZN7rocprim17ROCPRIM_400000_NS6detail17trampoline_kernelINS0_14default_configENS1_22reduce_config_selectorIN6thrust23THRUST_200600_302600_NS5tupleIblNS6_9null_typeES8_S8_S8_S8_S8_S8_S8_EEEEZNS1_11reduce_implILb1ES3_NS6_12zip_iteratorINS7_INS6_11hip_rocprim26transform_input_iterator_tIbNSD_35transform_pair_of_input_iterators_tIbNS6_6detail15normal_iteratorINS6_10device_ptrIKdEEEESL_NS6_8equal_toIdEEEENSG_9not_fun_tINSD_8identityEEEEENSD_19counting_iterator_tIlEES8_S8_S8_S8_S8_S8_S8_S8_EEEEPS9_S9_NSD_9__find_if7functorIS9_EEEE10hipError_tPvRmT1_T2_T3_mT4_P12ihipStream_tbEUlT_E1_NS1_11comp_targetILNS1_3genE4ELNS1_11target_archE910ELNS1_3gpuE8ELNS1_3repE0EEENS1_30default_config_static_selectorELNS0_4arch9wavefront6targetE0EEEvS14_,comdat
	.protected	_ZN7rocprim17ROCPRIM_400000_NS6detail17trampoline_kernelINS0_14default_configENS1_22reduce_config_selectorIN6thrust23THRUST_200600_302600_NS5tupleIblNS6_9null_typeES8_S8_S8_S8_S8_S8_S8_EEEEZNS1_11reduce_implILb1ES3_NS6_12zip_iteratorINS7_INS6_11hip_rocprim26transform_input_iterator_tIbNSD_35transform_pair_of_input_iterators_tIbNS6_6detail15normal_iteratorINS6_10device_ptrIKdEEEESL_NS6_8equal_toIdEEEENSG_9not_fun_tINSD_8identityEEEEENSD_19counting_iterator_tIlEES8_S8_S8_S8_S8_S8_S8_S8_EEEEPS9_S9_NSD_9__find_if7functorIS9_EEEE10hipError_tPvRmT1_T2_T3_mT4_P12ihipStream_tbEUlT_E1_NS1_11comp_targetILNS1_3genE4ELNS1_11target_archE910ELNS1_3gpuE8ELNS1_3repE0EEENS1_30default_config_static_selectorELNS0_4arch9wavefront6targetE0EEEvS14_ ; -- Begin function _ZN7rocprim17ROCPRIM_400000_NS6detail17trampoline_kernelINS0_14default_configENS1_22reduce_config_selectorIN6thrust23THRUST_200600_302600_NS5tupleIblNS6_9null_typeES8_S8_S8_S8_S8_S8_S8_EEEEZNS1_11reduce_implILb1ES3_NS6_12zip_iteratorINS7_INS6_11hip_rocprim26transform_input_iterator_tIbNSD_35transform_pair_of_input_iterators_tIbNS6_6detail15normal_iteratorINS6_10device_ptrIKdEEEESL_NS6_8equal_toIdEEEENSG_9not_fun_tINSD_8identityEEEEENSD_19counting_iterator_tIlEES8_S8_S8_S8_S8_S8_S8_S8_EEEEPS9_S9_NSD_9__find_if7functorIS9_EEEE10hipError_tPvRmT1_T2_T3_mT4_P12ihipStream_tbEUlT_E1_NS1_11comp_targetILNS1_3genE4ELNS1_11target_archE910ELNS1_3gpuE8ELNS1_3repE0EEENS1_30default_config_static_selectorELNS0_4arch9wavefront6targetE0EEEvS14_
	.globl	_ZN7rocprim17ROCPRIM_400000_NS6detail17trampoline_kernelINS0_14default_configENS1_22reduce_config_selectorIN6thrust23THRUST_200600_302600_NS5tupleIblNS6_9null_typeES8_S8_S8_S8_S8_S8_S8_EEEEZNS1_11reduce_implILb1ES3_NS6_12zip_iteratorINS7_INS6_11hip_rocprim26transform_input_iterator_tIbNSD_35transform_pair_of_input_iterators_tIbNS6_6detail15normal_iteratorINS6_10device_ptrIKdEEEESL_NS6_8equal_toIdEEEENSG_9not_fun_tINSD_8identityEEEEENSD_19counting_iterator_tIlEES8_S8_S8_S8_S8_S8_S8_S8_EEEEPS9_S9_NSD_9__find_if7functorIS9_EEEE10hipError_tPvRmT1_T2_T3_mT4_P12ihipStream_tbEUlT_E1_NS1_11comp_targetILNS1_3genE4ELNS1_11target_archE910ELNS1_3gpuE8ELNS1_3repE0EEENS1_30default_config_static_selectorELNS0_4arch9wavefront6targetE0EEEvS14_
	.p2align	8
	.type	_ZN7rocprim17ROCPRIM_400000_NS6detail17trampoline_kernelINS0_14default_configENS1_22reduce_config_selectorIN6thrust23THRUST_200600_302600_NS5tupleIblNS6_9null_typeES8_S8_S8_S8_S8_S8_S8_EEEEZNS1_11reduce_implILb1ES3_NS6_12zip_iteratorINS7_INS6_11hip_rocprim26transform_input_iterator_tIbNSD_35transform_pair_of_input_iterators_tIbNS6_6detail15normal_iteratorINS6_10device_ptrIKdEEEESL_NS6_8equal_toIdEEEENSG_9not_fun_tINSD_8identityEEEEENSD_19counting_iterator_tIlEES8_S8_S8_S8_S8_S8_S8_S8_EEEEPS9_S9_NSD_9__find_if7functorIS9_EEEE10hipError_tPvRmT1_T2_T3_mT4_P12ihipStream_tbEUlT_E1_NS1_11comp_targetILNS1_3genE4ELNS1_11target_archE910ELNS1_3gpuE8ELNS1_3repE0EEENS1_30default_config_static_selectorELNS0_4arch9wavefront6targetE0EEEvS14_,@function
_ZN7rocprim17ROCPRIM_400000_NS6detail17trampoline_kernelINS0_14default_configENS1_22reduce_config_selectorIN6thrust23THRUST_200600_302600_NS5tupleIblNS6_9null_typeES8_S8_S8_S8_S8_S8_S8_EEEEZNS1_11reduce_implILb1ES3_NS6_12zip_iteratorINS7_INS6_11hip_rocprim26transform_input_iterator_tIbNSD_35transform_pair_of_input_iterators_tIbNS6_6detail15normal_iteratorINS6_10device_ptrIKdEEEESL_NS6_8equal_toIdEEEENSG_9not_fun_tINSD_8identityEEEEENSD_19counting_iterator_tIlEES8_S8_S8_S8_S8_S8_S8_S8_EEEEPS9_S9_NSD_9__find_if7functorIS9_EEEE10hipError_tPvRmT1_T2_T3_mT4_P12ihipStream_tbEUlT_E1_NS1_11comp_targetILNS1_3genE4ELNS1_11target_archE910ELNS1_3gpuE8ELNS1_3repE0EEENS1_30default_config_static_selectorELNS0_4arch9wavefront6targetE0EEEvS14_: ; @_ZN7rocprim17ROCPRIM_400000_NS6detail17trampoline_kernelINS0_14default_configENS1_22reduce_config_selectorIN6thrust23THRUST_200600_302600_NS5tupleIblNS6_9null_typeES8_S8_S8_S8_S8_S8_S8_EEEEZNS1_11reduce_implILb1ES3_NS6_12zip_iteratorINS7_INS6_11hip_rocprim26transform_input_iterator_tIbNSD_35transform_pair_of_input_iterators_tIbNS6_6detail15normal_iteratorINS6_10device_ptrIKdEEEESL_NS6_8equal_toIdEEEENSG_9not_fun_tINSD_8identityEEEEENSD_19counting_iterator_tIlEES8_S8_S8_S8_S8_S8_S8_S8_EEEEPS9_S9_NSD_9__find_if7functorIS9_EEEE10hipError_tPvRmT1_T2_T3_mT4_P12ihipStream_tbEUlT_E1_NS1_11comp_targetILNS1_3genE4ELNS1_11target_archE910ELNS1_3gpuE8ELNS1_3repE0EEENS1_30default_config_static_selectorELNS0_4arch9wavefront6targetE0EEEvS14_
; %bb.0:
	.section	.rodata,"a",@progbits
	.p2align	6, 0x0
	.amdhsa_kernel _ZN7rocprim17ROCPRIM_400000_NS6detail17trampoline_kernelINS0_14default_configENS1_22reduce_config_selectorIN6thrust23THRUST_200600_302600_NS5tupleIblNS6_9null_typeES8_S8_S8_S8_S8_S8_S8_EEEEZNS1_11reduce_implILb1ES3_NS6_12zip_iteratorINS7_INS6_11hip_rocprim26transform_input_iterator_tIbNSD_35transform_pair_of_input_iterators_tIbNS6_6detail15normal_iteratorINS6_10device_ptrIKdEEEESL_NS6_8equal_toIdEEEENSG_9not_fun_tINSD_8identityEEEEENSD_19counting_iterator_tIlEES8_S8_S8_S8_S8_S8_S8_S8_EEEEPS9_S9_NSD_9__find_if7functorIS9_EEEE10hipError_tPvRmT1_T2_T3_mT4_P12ihipStream_tbEUlT_E1_NS1_11comp_targetILNS1_3genE4ELNS1_11target_archE910ELNS1_3gpuE8ELNS1_3repE0EEENS1_30default_config_static_selectorELNS0_4arch9wavefront6targetE0EEEvS14_
		.amdhsa_group_segment_fixed_size 0
		.amdhsa_private_segment_fixed_size 0
		.amdhsa_kernarg_size 88
		.amdhsa_user_sgpr_count 15
		.amdhsa_user_sgpr_dispatch_ptr 0
		.amdhsa_user_sgpr_queue_ptr 0
		.amdhsa_user_sgpr_kernarg_segment_ptr 1
		.amdhsa_user_sgpr_dispatch_id 0
		.amdhsa_user_sgpr_private_segment_size 0
		.amdhsa_wavefront_size32 1
		.amdhsa_uses_dynamic_stack 0
		.amdhsa_enable_private_segment 0
		.amdhsa_system_sgpr_workgroup_id_x 1
		.amdhsa_system_sgpr_workgroup_id_y 0
		.amdhsa_system_sgpr_workgroup_id_z 0
		.amdhsa_system_sgpr_workgroup_info 0
		.amdhsa_system_vgpr_workitem_id 0
		.amdhsa_next_free_vgpr 1
		.amdhsa_next_free_sgpr 1
		.amdhsa_reserve_vcc 0
		.amdhsa_float_round_mode_32 0
		.amdhsa_float_round_mode_16_64 0
		.amdhsa_float_denorm_mode_32 3
		.amdhsa_float_denorm_mode_16_64 3
		.amdhsa_dx10_clamp 1
		.amdhsa_ieee_mode 1
		.amdhsa_fp16_overflow 0
		.amdhsa_workgroup_processor_mode 1
		.amdhsa_memory_ordered 1
		.amdhsa_forward_progress 0
		.amdhsa_shared_vgpr_count 0
		.amdhsa_exception_fp_ieee_invalid_op 0
		.amdhsa_exception_fp_denorm_src 0
		.amdhsa_exception_fp_ieee_div_zero 0
		.amdhsa_exception_fp_ieee_overflow 0
		.amdhsa_exception_fp_ieee_underflow 0
		.amdhsa_exception_fp_ieee_inexact 0
		.amdhsa_exception_int_div_zero 0
	.end_amdhsa_kernel
	.section	.text._ZN7rocprim17ROCPRIM_400000_NS6detail17trampoline_kernelINS0_14default_configENS1_22reduce_config_selectorIN6thrust23THRUST_200600_302600_NS5tupleIblNS6_9null_typeES8_S8_S8_S8_S8_S8_S8_EEEEZNS1_11reduce_implILb1ES3_NS6_12zip_iteratorINS7_INS6_11hip_rocprim26transform_input_iterator_tIbNSD_35transform_pair_of_input_iterators_tIbNS6_6detail15normal_iteratorINS6_10device_ptrIKdEEEESL_NS6_8equal_toIdEEEENSG_9not_fun_tINSD_8identityEEEEENSD_19counting_iterator_tIlEES8_S8_S8_S8_S8_S8_S8_S8_EEEEPS9_S9_NSD_9__find_if7functorIS9_EEEE10hipError_tPvRmT1_T2_T3_mT4_P12ihipStream_tbEUlT_E1_NS1_11comp_targetILNS1_3genE4ELNS1_11target_archE910ELNS1_3gpuE8ELNS1_3repE0EEENS1_30default_config_static_selectorELNS0_4arch9wavefront6targetE0EEEvS14_,"axG",@progbits,_ZN7rocprim17ROCPRIM_400000_NS6detail17trampoline_kernelINS0_14default_configENS1_22reduce_config_selectorIN6thrust23THRUST_200600_302600_NS5tupleIblNS6_9null_typeES8_S8_S8_S8_S8_S8_S8_EEEEZNS1_11reduce_implILb1ES3_NS6_12zip_iteratorINS7_INS6_11hip_rocprim26transform_input_iterator_tIbNSD_35transform_pair_of_input_iterators_tIbNS6_6detail15normal_iteratorINS6_10device_ptrIKdEEEESL_NS6_8equal_toIdEEEENSG_9not_fun_tINSD_8identityEEEEENSD_19counting_iterator_tIlEES8_S8_S8_S8_S8_S8_S8_S8_EEEEPS9_S9_NSD_9__find_if7functorIS9_EEEE10hipError_tPvRmT1_T2_T3_mT4_P12ihipStream_tbEUlT_E1_NS1_11comp_targetILNS1_3genE4ELNS1_11target_archE910ELNS1_3gpuE8ELNS1_3repE0EEENS1_30default_config_static_selectorELNS0_4arch9wavefront6targetE0EEEvS14_,comdat
.Lfunc_end765:
	.size	_ZN7rocprim17ROCPRIM_400000_NS6detail17trampoline_kernelINS0_14default_configENS1_22reduce_config_selectorIN6thrust23THRUST_200600_302600_NS5tupleIblNS6_9null_typeES8_S8_S8_S8_S8_S8_S8_EEEEZNS1_11reduce_implILb1ES3_NS6_12zip_iteratorINS7_INS6_11hip_rocprim26transform_input_iterator_tIbNSD_35transform_pair_of_input_iterators_tIbNS6_6detail15normal_iteratorINS6_10device_ptrIKdEEEESL_NS6_8equal_toIdEEEENSG_9not_fun_tINSD_8identityEEEEENSD_19counting_iterator_tIlEES8_S8_S8_S8_S8_S8_S8_S8_EEEEPS9_S9_NSD_9__find_if7functorIS9_EEEE10hipError_tPvRmT1_T2_T3_mT4_P12ihipStream_tbEUlT_E1_NS1_11comp_targetILNS1_3genE4ELNS1_11target_archE910ELNS1_3gpuE8ELNS1_3repE0EEENS1_30default_config_static_selectorELNS0_4arch9wavefront6targetE0EEEvS14_, .Lfunc_end765-_ZN7rocprim17ROCPRIM_400000_NS6detail17trampoline_kernelINS0_14default_configENS1_22reduce_config_selectorIN6thrust23THRUST_200600_302600_NS5tupleIblNS6_9null_typeES8_S8_S8_S8_S8_S8_S8_EEEEZNS1_11reduce_implILb1ES3_NS6_12zip_iteratorINS7_INS6_11hip_rocprim26transform_input_iterator_tIbNSD_35transform_pair_of_input_iterators_tIbNS6_6detail15normal_iteratorINS6_10device_ptrIKdEEEESL_NS6_8equal_toIdEEEENSG_9not_fun_tINSD_8identityEEEEENSD_19counting_iterator_tIlEES8_S8_S8_S8_S8_S8_S8_S8_EEEEPS9_S9_NSD_9__find_if7functorIS9_EEEE10hipError_tPvRmT1_T2_T3_mT4_P12ihipStream_tbEUlT_E1_NS1_11comp_targetILNS1_3genE4ELNS1_11target_archE910ELNS1_3gpuE8ELNS1_3repE0EEENS1_30default_config_static_selectorELNS0_4arch9wavefront6targetE0EEEvS14_
                                        ; -- End function
	.section	.AMDGPU.csdata,"",@progbits
; Kernel info:
; codeLenInByte = 0
; NumSgprs: 0
; NumVgprs: 0
; ScratchSize: 0
; MemoryBound: 0
; FloatMode: 240
; IeeeMode: 1
; LDSByteSize: 0 bytes/workgroup (compile time only)
; SGPRBlocks: 0
; VGPRBlocks: 0
; NumSGPRsForWavesPerEU: 1
; NumVGPRsForWavesPerEU: 1
; Occupancy: 16
; WaveLimiterHint : 0
; COMPUTE_PGM_RSRC2:SCRATCH_EN: 0
; COMPUTE_PGM_RSRC2:USER_SGPR: 15
; COMPUTE_PGM_RSRC2:TRAP_HANDLER: 0
; COMPUTE_PGM_RSRC2:TGID_X_EN: 1
; COMPUTE_PGM_RSRC2:TGID_Y_EN: 0
; COMPUTE_PGM_RSRC2:TGID_Z_EN: 0
; COMPUTE_PGM_RSRC2:TIDIG_COMP_CNT: 0
	.section	.text._ZN7rocprim17ROCPRIM_400000_NS6detail17trampoline_kernelINS0_14default_configENS1_22reduce_config_selectorIN6thrust23THRUST_200600_302600_NS5tupleIblNS6_9null_typeES8_S8_S8_S8_S8_S8_S8_EEEEZNS1_11reduce_implILb1ES3_NS6_12zip_iteratorINS7_INS6_11hip_rocprim26transform_input_iterator_tIbNSD_35transform_pair_of_input_iterators_tIbNS6_6detail15normal_iteratorINS6_10device_ptrIKdEEEESL_NS6_8equal_toIdEEEENSG_9not_fun_tINSD_8identityEEEEENSD_19counting_iterator_tIlEES8_S8_S8_S8_S8_S8_S8_S8_EEEEPS9_S9_NSD_9__find_if7functorIS9_EEEE10hipError_tPvRmT1_T2_T3_mT4_P12ihipStream_tbEUlT_E1_NS1_11comp_targetILNS1_3genE3ELNS1_11target_archE908ELNS1_3gpuE7ELNS1_3repE0EEENS1_30default_config_static_selectorELNS0_4arch9wavefront6targetE0EEEvS14_,"axG",@progbits,_ZN7rocprim17ROCPRIM_400000_NS6detail17trampoline_kernelINS0_14default_configENS1_22reduce_config_selectorIN6thrust23THRUST_200600_302600_NS5tupleIblNS6_9null_typeES8_S8_S8_S8_S8_S8_S8_EEEEZNS1_11reduce_implILb1ES3_NS6_12zip_iteratorINS7_INS6_11hip_rocprim26transform_input_iterator_tIbNSD_35transform_pair_of_input_iterators_tIbNS6_6detail15normal_iteratorINS6_10device_ptrIKdEEEESL_NS6_8equal_toIdEEEENSG_9not_fun_tINSD_8identityEEEEENSD_19counting_iterator_tIlEES8_S8_S8_S8_S8_S8_S8_S8_EEEEPS9_S9_NSD_9__find_if7functorIS9_EEEE10hipError_tPvRmT1_T2_T3_mT4_P12ihipStream_tbEUlT_E1_NS1_11comp_targetILNS1_3genE3ELNS1_11target_archE908ELNS1_3gpuE7ELNS1_3repE0EEENS1_30default_config_static_selectorELNS0_4arch9wavefront6targetE0EEEvS14_,comdat
	.protected	_ZN7rocprim17ROCPRIM_400000_NS6detail17trampoline_kernelINS0_14default_configENS1_22reduce_config_selectorIN6thrust23THRUST_200600_302600_NS5tupleIblNS6_9null_typeES8_S8_S8_S8_S8_S8_S8_EEEEZNS1_11reduce_implILb1ES3_NS6_12zip_iteratorINS7_INS6_11hip_rocprim26transform_input_iterator_tIbNSD_35transform_pair_of_input_iterators_tIbNS6_6detail15normal_iteratorINS6_10device_ptrIKdEEEESL_NS6_8equal_toIdEEEENSG_9not_fun_tINSD_8identityEEEEENSD_19counting_iterator_tIlEES8_S8_S8_S8_S8_S8_S8_S8_EEEEPS9_S9_NSD_9__find_if7functorIS9_EEEE10hipError_tPvRmT1_T2_T3_mT4_P12ihipStream_tbEUlT_E1_NS1_11comp_targetILNS1_3genE3ELNS1_11target_archE908ELNS1_3gpuE7ELNS1_3repE0EEENS1_30default_config_static_selectorELNS0_4arch9wavefront6targetE0EEEvS14_ ; -- Begin function _ZN7rocprim17ROCPRIM_400000_NS6detail17trampoline_kernelINS0_14default_configENS1_22reduce_config_selectorIN6thrust23THRUST_200600_302600_NS5tupleIblNS6_9null_typeES8_S8_S8_S8_S8_S8_S8_EEEEZNS1_11reduce_implILb1ES3_NS6_12zip_iteratorINS7_INS6_11hip_rocprim26transform_input_iterator_tIbNSD_35transform_pair_of_input_iterators_tIbNS6_6detail15normal_iteratorINS6_10device_ptrIKdEEEESL_NS6_8equal_toIdEEEENSG_9not_fun_tINSD_8identityEEEEENSD_19counting_iterator_tIlEES8_S8_S8_S8_S8_S8_S8_S8_EEEEPS9_S9_NSD_9__find_if7functorIS9_EEEE10hipError_tPvRmT1_T2_T3_mT4_P12ihipStream_tbEUlT_E1_NS1_11comp_targetILNS1_3genE3ELNS1_11target_archE908ELNS1_3gpuE7ELNS1_3repE0EEENS1_30default_config_static_selectorELNS0_4arch9wavefront6targetE0EEEvS14_
	.globl	_ZN7rocprim17ROCPRIM_400000_NS6detail17trampoline_kernelINS0_14default_configENS1_22reduce_config_selectorIN6thrust23THRUST_200600_302600_NS5tupleIblNS6_9null_typeES8_S8_S8_S8_S8_S8_S8_EEEEZNS1_11reduce_implILb1ES3_NS6_12zip_iteratorINS7_INS6_11hip_rocprim26transform_input_iterator_tIbNSD_35transform_pair_of_input_iterators_tIbNS6_6detail15normal_iteratorINS6_10device_ptrIKdEEEESL_NS6_8equal_toIdEEEENSG_9not_fun_tINSD_8identityEEEEENSD_19counting_iterator_tIlEES8_S8_S8_S8_S8_S8_S8_S8_EEEEPS9_S9_NSD_9__find_if7functorIS9_EEEE10hipError_tPvRmT1_T2_T3_mT4_P12ihipStream_tbEUlT_E1_NS1_11comp_targetILNS1_3genE3ELNS1_11target_archE908ELNS1_3gpuE7ELNS1_3repE0EEENS1_30default_config_static_selectorELNS0_4arch9wavefront6targetE0EEEvS14_
	.p2align	8
	.type	_ZN7rocprim17ROCPRIM_400000_NS6detail17trampoline_kernelINS0_14default_configENS1_22reduce_config_selectorIN6thrust23THRUST_200600_302600_NS5tupleIblNS6_9null_typeES8_S8_S8_S8_S8_S8_S8_EEEEZNS1_11reduce_implILb1ES3_NS6_12zip_iteratorINS7_INS6_11hip_rocprim26transform_input_iterator_tIbNSD_35transform_pair_of_input_iterators_tIbNS6_6detail15normal_iteratorINS6_10device_ptrIKdEEEESL_NS6_8equal_toIdEEEENSG_9not_fun_tINSD_8identityEEEEENSD_19counting_iterator_tIlEES8_S8_S8_S8_S8_S8_S8_S8_EEEEPS9_S9_NSD_9__find_if7functorIS9_EEEE10hipError_tPvRmT1_T2_T3_mT4_P12ihipStream_tbEUlT_E1_NS1_11comp_targetILNS1_3genE3ELNS1_11target_archE908ELNS1_3gpuE7ELNS1_3repE0EEENS1_30default_config_static_selectorELNS0_4arch9wavefront6targetE0EEEvS14_,@function
_ZN7rocprim17ROCPRIM_400000_NS6detail17trampoline_kernelINS0_14default_configENS1_22reduce_config_selectorIN6thrust23THRUST_200600_302600_NS5tupleIblNS6_9null_typeES8_S8_S8_S8_S8_S8_S8_EEEEZNS1_11reduce_implILb1ES3_NS6_12zip_iteratorINS7_INS6_11hip_rocprim26transform_input_iterator_tIbNSD_35transform_pair_of_input_iterators_tIbNS6_6detail15normal_iteratorINS6_10device_ptrIKdEEEESL_NS6_8equal_toIdEEEENSG_9not_fun_tINSD_8identityEEEEENSD_19counting_iterator_tIlEES8_S8_S8_S8_S8_S8_S8_S8_EEEEPS9_S9_NSD_9__find_if7functorIS9_EEEE10hipError_tPvRmT1_T2_T3_mT4_P12ihipStream_tbEUlT_E1_NS1_11comp_targetILNS1_3genE3ELNS1_11target_archE908ELNS1_3gpuE7ELNS1_3repE0EEENS1_30default_config_static_selectorELNS0_4arch9wavefront6targetE0EEEvS14_: ; @_ZN7rocprim17ROCPRIM_400000_NS6detail17trampoline_kernelINS0_14default_configENS1_22reduce_config_selectorIN6thrust23THRUST_200600_302600_NS5tupleIblNS6_9null_typeES8_S8_S8_S8_S8_S8_S8_EEEEZNS1_11reduce_implILb1ES3_NS6_12zip_iteratorINS7_INS6_11hip_rocprim26transform_input_iterator_tIbNSD_35transform_pair_of_input_iterators_tIbNS6_6detail15normal_iteratorINS6_10device_ptrIKdEEEESL_NS6_8equal_toIdEEEENSG_9not_fun_tINSD_8identityEEEEENSD_19counting_iterator_tIlEES8_S8_S8_S8_S8_S8_S8_S8_EEEEPS9_S9_NSD_9__find_if7functorIS9_EEEE10hipError_tPvRmT1_T2_T3_mT4_P12ihipStream_tbEUlT_E1_NS1_11comp_targetILNS1_3genE3ELNS1_11target_archE908ELNS1_3gpuE7ELNS1_3repE0EEENS1_30default_config_static_selectorELNS0_4arch9wavefront6targetE0EEEvS14_
; %bb.0:
	.section	.rodata,"a",@progbits
	.p2align	6, 0x0
	.amdhsa_kernel _ZN7rocprim17ROCPRIM_400000_NS6detail17trampoline_kernelINS0_14default_configENS1_22reduce_config_selectorIN6thrust23THRUST_200600_302600_NS5tupleIblNS6_9null_typeES8_S8_S8_S8_S8_S8_S8_EEEEZNS1_11reduce_implILb1ES3_NS6_12zip_iteratorINS7_INS6_11hip_rocprim26transform_input_iterator_tIbNSD_35transform_pair_of_input_iterators_tIbNS6_6detail15normal_iteratorINS6_10device_ptrIKdEEEESL_NS6_8equal_toIdEEEENSG_9not_fun_tINSD_8identityEEEEENSD_19counting_iterator_tIlEES8_S8_S8_S8_S8_S8_S8_S8_EEEEPS9_S9_NSD_9__find_if7functorIS9_EEEE10hipError_tPvRmT1_T2_T3_mT4_P12ihipStream_tbEUlT_E1_NS1_11comp_targetILNS1_3genE3ELNS1_11target_archE908ELNS1_3gpuE7ELNS1_3repE0EEENS1_30default_config_static_selectorELNS0_4arch9wavefront6targetE0EEEvS14_
		.amdhsa_group_segment_fixed_size 0
		.amdhsa_private_segment_fixed_size 0
		.amdhsa_kernarg_size 88
		.amdhsa_user_sgpr_count 15
		.amdhsa_user_sgpr_dispatch_ptr 0
		.amdhsa_user_sgpr_queue_ptr 0
		.amdhsa_user_sgpr_kernarg_segment_ptr 1
		.amdhsa_user_sgpr_dispatch_id 0
		.amdhsa_user_sgpr_private_segment_size 0
		.amdhsa_wavefront_size32 1
		.amdhsa_uses_dynamic_stack 0
		.amdhsa_enable_private_segment 0
		.amdhsa_system_sgpr_workgroup_id_x 1
		.amdhsa_system_sgpr_workgroup_id_y 0
		.amdhsa_system_sgpr_workgroup_id_z 0
		.amdhsa_system_sgpr_workgroup_info 0
		.amdhsa_system_vgpr_workitem_id 0
		.amdhsa_next_free_vgpr 1
		.amdhsa_next_free_sgpr 1
		.amdhsa_reserve_vcc 0
		.amdhsa_float_round_mode_32 0
		.amdhsa_float_round_mode_16_64 0
		.amdhsa_float_denorm_mode_32 3
		.amdhsa_float_denorm_mode_16_64 3
		.amdhsa_dx10_clamp 1
		.amdhsa_ieee_mode 1
		.amdhsa_fp16_overflow 0
		.amdhsa_workgroup_processor_mode 1
		.amdhsa_memory_ordered 1
		.amdhsa_forward_progress 0
		.amdhsa_shared_vgpr_count 0
		.amdhsa_exception_fp_ieee_invalid_op 0
		.amdhsa_exception_fp_denorm_src 0
		.amdhsa_exception_fp_ieee_div_zero 0
		.amdhsa_exception_fp_ieee_overflow 0
		.amdhsa_exception_fp_ieee_underflow 0
		.amdhsa_exception_fp_ieee_inexact 0
		.amdhsa_exception_int_div_zero 0
	.end_amdhsa_kernel
	.section	.text._ZN7rocprim17ROCPRIM_400000_NS6detail17trampoline_kernelINS0_14default_configENS1_22reduce_config_selectorIN6thrust23THRUST_200600_302600_NS5tupleIblNS6_9null_typeES8_S8_S8_S8_S8_S8_S8_EEEEZNS1_11reduce_implILb1ES3_NS6_12zip_iteratorINS7_INS6_11hip_rocprim26transform_input_iterator_tIbNSD_35transform_pair_of_input_iterators_tIbNS6_6detail15normal_iteratorINS6_10device_ptrIKdEEEESL_NS6_8equal_toIdEEEENSG_9not_fun_tINSD_8identityEEEEENSD_19counting_iterator_tIlEES8_S8_S8_S8_S8_S8_S8_S8_EEEEPS9_S9_NSD_9__find_if7functorIS9_EEEE10hipError_tPvRmT1_T2_T3_mT4_P12ihipStream_tbEUlT_E1_NS1_11comp_targetILNS1_3genE3ELNS1_11target_archE908ELNS1_3gpuE7ELNS1_3repE0EEENS1_30default_config_static_selectorELNS0_4arch9wavefront6targetE0EEEvS14_,"axG",@progbits,_ZN7rocprim17ROCPRIM_400000_NS6detail17trampoline_kernelINS0_14default_configENS1_22reduce_config_selectorIN6thrust23THRUST_200600_302600_NS5tupleIblNS6_9null_typeES8_S8_S8_S8_S8_S8_S8_EEEEZNS1_11reduce_implILb1ES3_NS6_12zip_iteratorINS7_INS6_11hip_rocprim26transform_input_iterator_tIbNSD_35transform_pair_of_input_iterators_tIbNS6_6detail15normal_iteratorINS6_10device_ptrIKdEEEESL_NS6_8equal_toIdEEEENSG_9not_fun_tINSD_8identityEEEEENSD_19counting_iterator_tIlEES8_S8_S8_S8_S8_S8_S8_S8_EEEEPS9_S9_NSD_9__find_if7functorIS9_EEEE10hipError_tPvRmT1_T2_T3_mT4_P12ihipStream_tbEUlT_E1_NS1_11comp_targetILNS1_3genE3ELNS1_11target_archE908ELNS1_3gpuE7ELNS1_3repE0EEENS1_30default_config_static_selectorELNS0_4arch9wavefront6targetE0EEEvS14_,comdat
.Lfunc_end766:
	.size	_ZN7rocprim17ROCPRIM_400000_NS6detail17trampoline_kernelINS0_14default_configENS1_22reduce_config_selectorIN6thrust23THRUST_200600_302600_NS5tupleIblNS6_9null_typeES8_S8_S8_S8_S8_S8_S8_EEEEZNS1_11reduce_implILb1ES3_NS6_12zip_iteratorINS7_INS6_11hip_rocprim26transform_input_iterator_tIbNSD_35transform_pair_of_input_iterators_tIbNS6_6detail15normal_iteratorINS6_10device_ptrIKdEEEESL_NS6_8equal_toIdEEEENSG_9not_fun_tINSD_8identityEEEEENSD_19counting_iterator_tIlEES8_S8_S8_S8_S8_S8_S8_S8_EEEEPS9_S9_NSD_9__find_if7functorIS9_EEEE10hipError_tPvRmT1_T2_T3_mT4_P12ihipStream_tbEUlT_E1_NS1_11comp_targetILNS1_3genE3ELNS1_11target_archE908ELNS1_3gpuE7ELNS1_3repE0EEENS1_30default_config_static_selectorELNS0_4arch9wavefront6targetE0EEEvS14_, .Lfunc_end766-_ZN7rocprim17ROCPRIM_400000_NS6detail17trampoline_kernelINS0_14default_configENS1_22reduce_config_selectorIN6thrust23THRUST_200600_302600_NS5tupleIblNS6_9null_typeES8_S8_S8_S8_S8_S8_S8_EEEEZNS1_11reduce_implILb1ES3_NS6_12zip_iteratorINS7_INS6_11hip_rocprim26transform_input_iterator_tIbNSD_35transform_pair_of_input_iterators_tIbNS6_6detail15normal_iteratorINS6_10device_ptrIKdEEEESL_NS6_8equal_toIdEEEENSG_9not_fun_tINSD_8identityEEEEENSD_19counting_iterator_tIlEES8_S8_S8_S8_S8_S8_S8_S8_EEEEPS9_S9_NSD_9__find_if7functorIS9_EEEE10hipError_tPvRmT1_T2_T3_mT4_P12ihipStream_tbEUlT_E1_NS1_11comp_targetILNS1_3genE3ELNS1_11target_archE908ELNS1_3gpuE7ELNS1_3repE0EEENS1_30default_config_static_selectorELNS0_4arch9wavefront6targetE0EEEvS14_
                                        ; -- End function
	.section	.AMDGPU.csdata,"",@progbits
; Kernel info:
; codeLenInByte = 0
; NumSgprs: 0
; NumVgprs: 0
; ScratchSize: 0
; MemoryBound: 0
; FloatMode: 240
; IeeeMode: 1
; LDSByteSize: 0 bytes/workgroup (compile time only)
; SGPRBlocks: 0
; VGPRBlocks: 0
; NumSGPRsForWavesPerEU: 1
; NumVGPRsForWavesPerEU: 1
; Occupancy: 16
; WaveLimiterHint : 0
; COMPUTE_PGM_RSRC2:SCRATCH_EN: 0
; COMPUTE_PGM_RSRC2:USER_SGPR: 15
; COMPUTE_PGM_RSRC2:TRAP_HANDLER: 0
; COMPUTE_PGM_RSRC2:TGID_X_EN: 1
; COMPUTE_PGM_RSRC2:TGID_Y_EN: 0
; COMPUTE_PGM_RSRC2:TGID_Z_EN: 0
; COMPUTE_PGM_RSRC2:TIDIG_COMP_CNT: 0
	.section	.text._ZN7rocprim17ROCPRIM_400000_NS6detail17trampoline_kernelINS0_14default_configENS1_22reduce_config_selectorIN6thrust23THRUST_200600_302600_NS5tupleIblNS6_9null_typeES8_S8_S8_S8_S8_S8_S8_EEEEZNS1_11reduce_implILb1ES3_NS6_12zip_iteratorINS7_INS6_11hip_rocprim26transform_input_iterator_tIbNSD_35transform_pair_of_input_iterators_tIbNS6_6detail15normal_iteratorINS6_10device_ptrIKdEEEESL_NS6_8equal_toIdEEEENSG_9not_fun_tINSD_8identityEEEEENSD_19counting_iterator_tIlEES8_S8_S8_S8_S8_S8_S8_S8_EEEEPS9_S9_NSD_9__find_if7functorIS9_EEEE10hipError_tPvRmT1_T2_T3_mT4_P12ihipStream_tbEUlT_E1_NS1_11comp_targetILNS1_3genE2ELNS1_11target_archE906ELNS1_3gpuE6ELNS1_3repE0EEENS1_30default_config_static_selectorELNS0_4arch9wavefront6targetE0EEEvS14_,"axG",@progbits,_ZN7rocprim17ROCPRIM_400000_NS6detail17trampoline_kernelINS0_14default_configENS1_22reduce_config_selectorIN6thrust23THRUST_200600_302600_NS5tupleIblNS6_9null_typeES8_S8_S8_S8_S8_S8_S8_EEEEZNS1_11reduce_implILb1ES3_NS6_12zip_iteratorINS7_INS6_11hip_rocprim26transform_input_iterator_tIbNSD_35transform_pair_of_input_iterators_tIbNS6_6detail15normal_iteratorINS6_10device_ptrIKdEEEESL_NS6_8equal_toIdEEEENSG_9not_fun_tINSD_8identityEEEEENSD_19counting_iterator_tIlEES8_S8_S8_S8_S8_S8_S8_S8_EEEEPS9_S9_NSD_9__find_if7functorIS9_EEEE10hipError_tPvRmT1_T2_T3_mT4_P12ihipStream_tbEUlT_E1_NS1_11comp_targetILNS1_3genE2ELNS1_11target_archE906ELNS1_3gpuE6ELNS1_3repE0EEENS1_30default_config_static_selectorELNS0_4arch9wavefront6targetE0EEEvS14_,comdat
	.protected	_ZN7rocprim17ROCPRIM_400000_NS6detail17trampoline_kernelINS0_14default_configENS1_22reduce_config_selectorIN6thrust23THRUST_200600_302600_NS5tupleIblNS6_9null_typeES8_S8_S8_S8_S8_S8_S8_EEEEZNS1_11reduce_implILb1ES3_NS6_12zip_iteratorINS7_INS6_11hip_rocprim26transform_input_iterator_tIbNSD_35transform_pair_of_input_iterators_tIbNS6_6detail15normal_iteratorINS6_10device_ptrIKdEEEESL_NS6_8equal_toIdEEEENSG_9not_fun_tINSD_8identityEEEEENSD_19counting_iterator_tIlEES8_S8_S8_S8_S8_S8_S8_S8_EEEEPS9_S9_NSD_9__find_if7functorIS9_EEEE10hipError_tPvRmT1_T2_T3_mT4_P12ihipStream_tbEUlT_E1_NS1_11comp_targetILNS1_3genE2ELNS1_11target_archE906ELNS1_3gpuE6ELNS1_3repE0EEENS1_30default_config_static_selectorELNS0_4arch9wavefront6targetE0EEEvS14_ ; -- Begin function _ZN7rocprim17ROCPRIM_400000_NS6detail17trampoline_kernelINS0_14default_configENS1_22reduce_config_selectorIN6thrust23THRUST_200600_302600_NS5tupleIblNS6_9null_typeES8_S8_S8_S8_S8_S8_S8_EEEEZNS1_11reduce_implILb1ES3_NS6_12zip_iteratorINS7_INS6_11hip_rocprim26transform_input_iterator_tIbNSD_35transform_pair_of_input_iterators_tIbNS6_6detail15normal_iteratorINS6_10device_ptrIKdEEEESL_NS6_8equal_toIdEEEENSG_9not_fun_tINSD_8identityEEEEENSD_19counting_iterator_tIlEES8_S8_S8_S8_S8_S8_S8_S8_EEEEPS9_S9_NSD_9__find_if7functorIS9_EEEE10hipError_tPvRmT1_T2_T3_mT4_P12ihipStream_tbEUlT_E1_NS1_11comp_targetILNS1_3genE2ELNS1_11target_archE906ELNS1_3gpuE6ELNS1_3repE0EEENS1_30default_config_static_selectorELNS0_4arch9wavefront6targetE0EEEvS14_
	.globl	_ZN7rocprim17ROCPRIM_400000_NS6detail17trampoline_kernelINS0_14default_configENS1_22reduce_config_selectorIN6thrust23THRUST_200600_302600_NS5tupleIblNS6_9null_typeES8_S8_S8_S8_S8_S8_S8_EEEEZNS1_11reduce_implILb1ES3_NS6_12zip_iteratorINS7_INS6_11hip_rocprim26transform_input_iterator_tIbNSD_35transform_pair_of_input_iterators_tIbNS6_6detail15normal_iteratorINS6_10device_ptrIKdEEEESL_NS6_8equal_toIdEEEENSG_9not_fun_tINSD_8identityEEEEENSD_19counting_iterator_tIlEES8_S8_S8_S8_S8_S8_S8_S8_EEEEPS9_S9_NSD_9__find_if7functorIS9_EEEE10hipError_tPvRmT1_T2_T3_mT4_P12ihipStream_tbEUlT_E1_NS1_11comp_targetILNS1_3genE2ELNS1_11target_archE906ELNS1_3gpuE6ELNS1_3repE0EEENS1_30default_config_static_selectorELNS0_4arch9wavefront6targetE0EEEvS14_
	.p2align	8
	.type	_ZN7rocprim17ROCPRIM_400000_NS6detail17trampoline_kernelINS0_14default_configENS1_22reduce_config_selectorIN6thrust23THRUST_200600_302600_NS5tupleIblNS6_9null_typeES8_S8_S8_S8_S8_S8_S8_EEEEZNS1_11reduce_implILb1ES3_NS6_12zip_iteratorINS7_INS6_11hip_rocprim26transform_input_iterator_tIbNSD_35transform_pair_of_input_iterators_tIbNS6_6detail15normal_iteratorINS6_10device_ptrIKdEEEESL_NS6_8equal_toIdEEEENSG_9not_fun_tINSD_8identityEEEEENSD_19counting_iterator_tIlEES8_S8_S8_S8_S8_S8_S8_S8_EEEEPS9_S9_NSD_9__find_if7functorIS9_EEEE10hipError_tPvRmT1_T2_T3_mT4_P12ihipStream_tbEUlT_E1_NS1_11comp_targetILNS1_3genE2ELNS1_11target_archE906ELNS1_3gpuE6ELNS1_3repE0EEENS1_30default_config_static_selectorELNS0_4arch9wavefront6targetE0EEEvS14_,@function
_ZN7rocprim17ROCPRIM_400000_NS6detail17trampoline_kernelINS0_14default_configENS1_22reduce_config_selectorIN6thrust23THRUST_200600_302600_NS5tupleIblNS6_9null_typeES8_S8_S8_S8_S8_S8_S8_EEEEZNS1_11reduce_implILb1ES3_NS6_12zip_iteratorINS7_INS6_11hip_rocprim26transform_input_iterator_tIbNSD_35transform_pair_of_input_iterators_tIbNS6_6detail15normal_iteratorINS6_10device_ptrIKdEEEESL_NS6_8equal_toIdEEEENSG_9not_fun_tINSD_8identityEEEEENSD_19counting_iterator_tIlEES8_S8_S8_S8_S8_S8_S8_S8_EEEEPS9_S9_NSD_9__find_if7functorIS9_EEEE10hipError_tPvRmT1_T2_T3_mT4_P12ihipStream_tbEUlT_E1_NS1_11comp_targetILNS1_3genE2ELNS1_11target_archE906ELNS1_3gpuE6ELNS1_3repE0EEENS1_30default_config_static_selectorELNS0_4arch9wavefront6targetE0EEEvS14_: ; @_ZN7rocprim17ROCPRIM_400000_NS6detail17trampoline_kernelINS0_14default_configENS1_22reduce_config_selectorIN6thrust23THRUST_200600_302600_NS5tupleIblNS6_9null_typeES8_S8_S8_S8_S8_S8_S8_EEEEZNS1_11reduce_implILb1ES3_NS6_12zip_iteratorINS7_INS6_11hip_rocprim26transform_input_iterator_tIbNSD_35transform_pair_of_input_iterators_tIbNS6_6detail15normal_iteratorINS6_10device_ptrIKdEEEESL_NS6_8equal_toIdEEEENSG_9not_fun_tINSD_8identityEEEEENSD_19counting_iterator_tIlEES8_S8_S8_S8_S8_S8_S8_S8_EEEEPS9_S9_NSD_9__find_if7functorIS9_EEEE10hipError_tPvRmT1_T2_T3_mT4_P12ihipStream_tbEUlT_E1_NS1_11comp_targetILNS1_3genE2ELNS1_11target_archE906ELNS1_3gpuE6ELNS1_3repE0EEENS1_30default_config_static_selectorELNS0_4arch9wavefront6targetE0EEEvS14_
; %bb.0:
	.section	.rodata,"a",@progbits
	.p2align	6, 0x0
	.amdhsa_kernel _ZN7rocprim17ROCPRIM_400000_NS6detail17trampoline_kernelINS0_14default_configENS1_22reduce_config_selectorIN6thrust23THRUST_200600_302600_NS5tupleIblNS6_9null_typeES8_S8_S8_S8_S8_S8_S8_EEEEZNS1_11reduce_implILb1ES3_NS6_12zip_iteratorINS7_INS6_11hip_rocprim26transform_input_iterator_tIbNSD_35transform_pair_of_input_iterators_tIbNS6_6detail15normal_iteratorINS6_10device_ptrIKdEEEESL_NS6_8equal_toIdEEEENSG_9not_fun_tINSD_8identityEEEEENSD_19counting_iterator_tIlEES8_S8_S8_S8_S8_S8_S8_S8_EEEEPS9_S9_NSD_9__find_if7functorIS9_EEEE10hipError_tPvRmT1_T2_T3_mT4_P12ihipStream_tbEUlT_E1_NS1_11comp_targetILNS1_3genE2ELNS1_11target_archE906ELNS1_3gpuE6ELNS1_3repE0EEENS1_30default_config_static_selectorELNS0_4arch9wavefront6targetE0EEEvS14_
		.amdhsa_group_segment_fixed_size 0
		.amdhsa_private_segment_fixed_size 0
		.amdhsa_kernarg_size 88
		.amdhsa_user_sgpr_count 15
		.amdhsa_user_sgpr_dispatch_ptr 0
		.amdhsa_user_sgpr_queue_ptr 0
		.amdhsa_user_sgpr_kernarg_segment_ptr 1
		.amdhsa_user_sgpr_dispatch_id 0
		.amdhsa_user_sgpr_private_segment_size 0
		.amdhsa_wavefront_size32 1
		.amdhsa_uses_dynamic_stack 0
		.amdhsa_enable_private_segment 0
		.amdhsa_system_sgpr_workgroup_id_x 1
		.amdhsa_system_sgpr_workgroup_id_y 0
		.amdhsa_system_sgpr_workgroup_id_z 0
		.amdhsa_system_sgpr_workgroup_info 0
		.amdhsa_system_vgpr_workitem_id 0
		.amdhsa_next_free_vgpr 1
		.amdhsa_next_free_sgpr 1
		.amdhsa_reserve_vcc 0
		.amdhsa_float_round_mode_32 0
		.amdhsa_float_round_mode_16_64 0
		.amdhsa_float_denorm_mode_32 3
		.amdhsa_float_denorm_mode_16_64 3
		.amdhsa_dx10_clamp 1
		.amdhsa_ieee_mode 1
		.amdhsa_fp16_overflow 0
		.amdhsa_workgroup_processor_mode 1
		.amdhsa_memory_ordered 1
		.amdhsa_forward_progress 0
		.amdhsa_shared_vgpr_count 0
		.amdhsa_exception_fp_ieee_invalid_op 0
		.amdhsa_exception_fp_denorm_src 0
		.amdhsa_exception_fp_ieee_div_zero 0
		.amdhsa_exception_fp_ieee_overflow 0
		.amdhsa_exception_fp_ieee_underflow 0
		.amdhsa_exception_fp_ieee_inexact 0
		.amdhsa_exception_int_div_zero 0
	.end_amdhsa_kernel
	.section	.text._ZN7rocprim17ROCPRIM_400000_NS6detail17trampoline_kernelINS0_14default_configENS1_22reduce_config_selectorIN6thrust23THRUST_200600_302600_NS5tupleIblNS6_9null_typeES8_S8_S8_S8_S8_S8_S8_EEEEZNS1_11reduce_implILb1ES3_NS6_12zip_iteratorINS7_INS6_11hip_rocprim26transform_input_iterator_tIbNSD_35transform_pair_of_input_iterators_tIbNS6_6detail15normal_iteratorINS6_10device_ptrIKdEEEESL_NS6_8equal_toIdEEEENSG_9not_fun_tINSD_8identityEEEEENSD_19counting_iterator_tIlEES8_S8_S8_S8_S8_S8_S8_S8_EEEEPS9_S9_NSD_9__find_if7functorIS9_EEEE10hipError_tPvRmT1_T2_T3_mT4_P12ihipStream_tbEUlT_E1_NS1_11comp_targetILNS1_3genE2ELNS1_11target_archE906ELNS1_3gpuE6ELNS1_3repE0EEENS1_30default_config_static_selectorELNS0_4arch9wavefront6targetE0EEEvS14_,"axG",@progbits,_ZN7rocprim17ROCPRIM_400000_NS6detail17trampoline_kernelINS0_14default_configENS1_22reduce_config_selectorIN6thrust23THRUST_200600_302600_NS5tupleIblNS6_9null_typeES8_S8_S8_S8_S8_S8_S8_EEEEZNS1_11reduce_implILb1ES3_NS6_12zip_iteratorINS7_INS6_11hip_rocprim26transform_input_iterator_tIbNSD_35transform_pair_of_input_iterators_tIbNS6_6detail15normal_iteratorINS6_10device_ptrIKdEEEESL_NS6_8equal_toIdEEEENSG_9not_fun_tINSD_8identityEEEEENSD_19counting_iterator_tIlEES8_S8_S8_S8_S8_S8_S8_S8_EEEEPS9_S9_NSD_9__find_if7functorIS9_EEEE10hipError_tPvRmT1_T2_T3_mT4_P12ihipStream_tbEUlT_E1_NS1_11comp_targetILNS1_3genE2ELNS1_11target_archE906ELNS1_3gpuE6ELNS1_3repE0EEENS1_30default_config_static_selectorELNS0_4arch9wavefront6targetE0EEEvS14_,comdat
.Lfunc_end767:
	.size	_ZN7rocprim17ROCPRIM_400000_NS6detail17trampoline_kernelINS0_14default_configENS1_22reduce_config_selectorIN6thrust23THRUST_200600_302600_NS5tupleIblNS6_9null_typeES8_S8_S8_S8_S8_S8_S8_EEEEZNS1_11reduce_implILb1ES3_NS6_12zip_iteratorINS7_INS6_11hip_rocprim26transform_input_iterator_tIbNSD_35transform_pair_of_input_iterators_tIbNS6_6detail15normal_iteratorINS6_10device_ptrIKdEEEESL_NS6_8equal_toIdEEEENSG_9not_fun_tINSD_8identityEEEEENSD_19counting_iterator_tIlEES8_S8_S8_S8_S8_S8_S8_S8_EEEEPS9_S9_NSD_9__find_if7functorIS9_EEEE10hipError_tPvRmT1_T2_T3_mT4_P12ihipStream_tbEUlT_E1_NS1_11comp_targetILNS1_3genE2ELNS1_11target_archE906ELNS1_3gpuE6ELNS1_3repE0EEENS1_30default_config_static_selectorELNS0_4arch9wavefront6targetE0EEEvS14_, .Lfunc_end767-_ZN7rocprim17ROCPRIM_400000_NS6detail17trampoline_kernelINS0_14default_configENS1_22reduce_config_selectorIN6thrust23THRUST_200600_302600_NS5tupleIblNS6_9null_typeES8_S8_S8_S8_S8_S8_S8_EEEEZNS1_11reduce_implILb1ES3_NS6_12zip_iteratorINS7_INS6_11hip_rocprim26transform_input_iterator_tIbNSD_35transform_pair_of_input_iterators_tIbNS6_6detail15normal_iteratorINS6_10device_ptrIKdEEEESL_NS6_8equal_toIdEEEENSG_9not_fun_tINSD_8identityEEEEENSD_19counting_iterator_tIlEES8_S8_S8_S8_S8_S8_S8_S8_EEEEPS9_S9_NSD_9__find_if7functorIS9_EEEE10hipError_tPvRmT1_T2_T3_mT4_P12ihipStream_tbEUlT_E1_NS1_11comp_targetILNS1_3genE2ELNS1_11target_archE906ELNS1_3gpuE6ELNS1_3repE0EEENS1_30default_config_static_selectorELNS0_4arch9wavefront6targetE0EEEvS14_
                                        ; -- End function
	.section	.AMDGPU.csdata,"",@progbits
; Kernel info:
; codeLenInByte = 0
; NumSgprs: 0
; NumVgprs: 0
; ScratchSize: 0
; MemoryBound: 0
; FloatMode: 240
; IeeeMode: 1
; LDSByteSize: 0 bytes/workgroup (compile time only)
; SGPRBlocks: 0
; VGPRBlocks: 0
; NumSGPRsForWavesPerEU: 1
; NumVGPRsForWavesPerEU: 1
; Occupancy: 16
; WaveLimiterHint : 0
; COMPUTE_PGM_RSRC2:SCRATCH_EN: 0
; COMPUTE_PGM_RSRC2:USER_SGPR: 15
; COMPUTE_PGM_RSRC2:TRAP_HANDLER: 0
; COMPUTE_PGM_RSRC2:TGID_X_EN: 1
; COMPUTE_PGM_RSRC2:TGID_Y_EN: 0
; COMPUTE_PGM_RSRC2:TGID_Z_EN: 0
; COMPUTE_PGM_RSRC2:TIDIG_COMP_CNT: 0
	.section	.text._ZN7rocprim17ROCPRIM_400000_NS6detail17trampoline_kernelINS0_14default_configENS1_22reduce_config_selectorIN6thrust23THRUST_200600_302600_NS5tupleIblNS6_9null_typeES8_S8_S8_S8_S8_S8_S8_EEEEZNS1_11reduce_implILb1ES3_NS6_12zip_iteratorINS7_INS6_11hip_rocprim26transform_input_iterator_tIbNSD_35transform_pair_of_input_iterators_tIbNS6_6detail15normal_iteratorINS6_10device_ptrIKdEEEESL_NS6_8equal_toIdEEEENSG_9not_fun_tINSD_8identityEEEEENSD_19counting_iterator_tIlEES8_S8_S8_S8_S8_S8_S8_S8_EEEEPS9_S9_NSD_9__find_if7functorIS9_EEEE10hipError_tPvRmT1_T2_T3_mT4_P12ihipStream_tbEUlT_E1_NS1_11comp_targetILNS1_3genE10ELNS1_11target_archE1201ELNS1_3gpuE5ELNS1_3repE0EEENS1_30default_config_static_selectorELNS0_4arch9wavefront6targetE0EEEvS14_,"axG",@progbits,_ZN7rocprim17ROCPRIM_400000_NS6detail17trampoline_kernelINS0_14default_configENS1_22reduce_config_selectorIN6thrust23THRUST_200600_302600_NS5tupleIblNS6_9null_typeES8_S8_S8_S8_S8_S8_S8_EEEEZNS1_11reduce_implILb1ES3_NS6_12zip_iteratorINS7_INS6_11hip_rocprim26transform_input_iterator_tIbNSD_35transform_pair_of_input_iterators_tIbNS6_6detail15normal_iteratorINS6_10device_ptrIKdEEEESL_NS6_8equal_toIdEEEENSG_9not_fun_tINSD_8identityEEEEENSD_19counting_iterator_tIlEES8_S8_S8_S8_S8_S8_S8_S8_EEEEPS9_S9_NSD_9__find_if7functorIS9_EEEE10hipError_tPvRmT1_T2_T3_mT4_P12ihipStream_tbEUlT_E1_NS1_11comp_targetILNS1_3genE10ELNS1_11target_archE1201ELNS1_3gpuE5ELNS1_3repE0EEENS1_30default_config_static_selectorELNS0_4arch9wavefront6targetE0EEEvS14_,comdat
	.protected	_ZN7rocprim17ROCPRIM_400000_NS6detail17trampoline_kernelINS0_14default_configENS1_22reduce_config_selectorIN6thrust23THRUST_200600_302600_NS5tupleIblNS6_9null_typeES8_S8_S8_S8_S8_S8_S8_EEEEZNS1_11reduce_implILb1ES3_NS6_12zip_iteratorINS7_INS6_11hip_rocprim26transform_input_iterator_tIbNSD_35transform_pair_of_input_iterators_tIbNS6_6detail15normal_iteratorINS6_10device_ptrIKdEEEESL_NS6_8equal_toIdEEEENSG_9not_fun_tINSD_8identityEEEEENSD_19counting_iterator_tIlEES8_S8_S8_S8_S8_S8_S8_S8_EEEEPS9_S9_NSD_9__find_if7functorIS9_EEEE10hipError_tPvRmT1_T2_T3_mT4_P12ihipStream_tbEUlT_E1_NS1_11comp_targetILNS1_3genE10ELNS1_11target_archE1201ELNS1_3gpuE5ELNS1_3repE0EEENS1_30default_config_static_selectorELNS0_4arch9wavefront6targetE0EEEvS14_ ; -- Begin function _ZN7rocprim17ROCPRIM_400000_NS6detail17trampoline_kernelINS0_14default_configENS1_22reduce_config_selectorIN6thrust23THRUST_200600_302600_NS5tupleIblNS6_9null_typeES8_S8_S8_S8_S8_S8_S8_EEEEZNS1_11reduce_implILb1ES3_NS6_12zip_iteratorINS7_INS6_11hip_rocprim26transform_input_iterator_tIbNSD_35transform_pair_of_input_iterators_tIbNS6_6detail15normal_iteratorINS6_10device_ptrIKdEEEESL_NS6_8equal_toIdEEEENSG_9not_fun_tINSD_8identityEEEEENSD_19counting_iterator_tIlEES8_S8_S8_S8_S8_S8_S8_S8_EEEEPS9_S9_NSD_9__find_if7functorIS9_EEEE10hipError_tPvRmT1_T2_T3_mT4_P12ihipStream_tbEUlT_E1_NS1_11comp_targetILNS1_3genE10ELNS1_11target_archE1201ELNS1_3gpuE5ELNS1_3repE0EEENS1_30default_config_static_selectorELNS0_4arch9wavefront6targetE0EEEvS14_
	.globl	_ZN7rocprim17ROCPRIM_400000_NS6detail17trampoline_kernelINS0_14default_configENS1_22reduce_config_selectorIN6thrust23THRUST_200600_302600_NS5tupleIblNS6_9null_typeES8_S8_S8_S8_S8_S8_S8_EEEEZNS1_11reduce_implILb1ES3_NS6_12zip_iteratorINS7_INS6_11hip_rocprim26transform_input_iterator_tIbNSD_35transform_pair_of_input_iterators_tIbNS6_6detail15normal_iteratorINS6_10device_ptrIKdEEEESL_NS6_8equal_toIdEEEENSG_9not_fun_tINSD_8identityEEEEENSD_19counting_iterator_tIlEES8_S8_S8_S8_S8_S8_S8_S8_EEEEPS9_S9_NSD_9__find_if7functorIS9_EEEE10hipError_tPvRmT1_T2_T3_mT4_P12ihipStream_tbEUlT_E1_NS1_11comp_targetILNS1_3genE10ELNS1_11target_archE1201ELNS1_3gpuE5ELNS1_3repE0EEENS1_30default_config_static_selectorELNS0_4arch9wavefront6targetE0EEEvS14_
	.p2align	8
	.type	_ZN7rocprim17ROCPRIM_400000_NS6detail17trampoline_kernelINS0_14default_configENS1_22reduce_config_selectorIN6thrust23THRUST_200600_302600_NS5tupleIblNS6_9null_typeES8_S8_S8_S8_S8_S8_S8_EEEEZNS1_11reduce_implILb1ES3_NS6_12zip_iteratorINS7_INS6_11hip_rocprim26transform_input_iterator_tIbNSD_35transform_pair_of_input_iterators_tIbNS6_6detail15normal_iteratorINS6_10device_ptrIKdEEEESL_NS6_8equal_toIdEEEENSG_9not_fun_tINSD_8identityEEEEENSD_19counting_iterator_tIlEES8_S8_S8_S8_S8_S8_S8_S8_EEEEPS9_S9_NSD_9__find_if7functorIS9_EEEE10hipError_tPvRmT1_T2_T3_mT4_P12ihipStream_tbEUlT_E1_NS1_11comp_targetILNS1_3genE10ELNS1_11target_archE1201ELNS1_3gpuE5ELNS1_3repE0EEENS1_30default_config_static_selectorELNS0_4arch9wavefront6targetE0EEEvS14_,@function
_ZN7rocprim17ROCPRIM_400000_NS6detail17trampoline_kernelINS0_14default_configENS1_22reduce_config_selectorIN6thrust23THRUST_200600_302600_NS5tupleIblNS6_9null_typeES8_S8_S8_S8_S8_S8_S8_EEEEZNS1_11reduce_implILb1ES3_NS6_12zip_iteratorINS7_INS6_11hip_rocprim26transform_input_iterator_tIbNSD_35transform_pair_of_input_iterators_tIbNS6_6detail15normal_iteratorINS6_10device_ptrIKdEEEESL_NS6_8equal_toIdEEEENSG_9not_fun_tINSD_8identityEEEEENSD_19counting_iterator_tIlEES8_S8_S8_S8_S8_S8_S8_S8_EEEEPS9_S9_NSD_9__find_if7functorIS9_EEEE10hipError_tPvRmT1_T2_T3_mT4_P12ihipStream_tbEUlT_E1_NS1_11comp_targetILNS1_3genE10ELNS1_11target_archE1201ELNS1_3gpuE5ELNS1_3repE0EEENS1_30default_config_static_selectorELNS0_4arch9wavefront6targetE0EEEvS14_: ; @_ZN7rocprim17ROCPRIM_400000_NS6detail17trampoline_kernelINS0_14default_configENS1_22reduce_config_selectorIN6thrust23THRUST_200600_302600_NS5tupleIblNS6_9null_typeES8_S8_S8_S8_S8_S8_S8_EEEEZNS1_11reduce_implILb1ES3_NS6_12zip_iteratorINS7_INS6_11hip_rocprim26transform_input_iterator_tIbNSD_35transform_pair_of_input_iterators_tIbNS6_6detail15normal_iteratorINS6_10device_ptrIKdEEEESL_NS6_8equal_toIdEEEENSG_9not_fun_tINSD_8identityEEEEENSD_19counting_iterator_tIlEES8_S8_S8_S8_S8_S8_S8_S8_EEEEPS9_S9_NSD_9__find_if7functorIS9_EEEE10hipError_tPvRmT1_T2_T3_mT4_P12ihipStream_tbEUlT_E1_NS1_11comp_targetILNS1_3genE10ELNS1_11target_archE1201ELNS1_3gpuE5ELNS1_3repE0EEENS1_30default_config_static_selectorELNS0_4arch9wavefront6targetE0EEEvS14_
; %bb.0:
	.section	.rodata,"a",@progbits
	.p2align	6, 0x0
	.amdhsa_kernel _ZN7rocprim17ROCPRIM_400000_NS6detail17trampoline_kernelINS0_14default_configENS1_22reduce_config_selectorIN6thrust23THRUST_200600_302600_NS5tupleIblNS6_9null_typeES8_S8_S8_S8_S8_S8_S8_EEEEZNS1_11reduce_implILb1ES3_NS6_12zip_iteratorINS7_INS6_11hip_rocprim26transform_input_iterator_tIbNSD_35transform_pair_of_input_iterators_tIbNS6_6detail15normal_iteratorINS6_10device_ptrIKdEEEESL_NS6_8equal_toIdEEEENSG_9not_fun_tINSD_8identityEEEEENSD_19counting_iterator_tIlEES8_S8_S8_S8_S8_S8_S8_S8_EEEEPS9_S9_NSD_9__find_if7functorIS9_EEEE10hipError_tPvRmT1_T2_T3_mT4_P12ihipStream_tbEUlT_E1_NS1_11comp_targetILNS1_3genE10ELNS1_11target_archE1201ELNS1_3gpuE5ELNS1_3repE0EEENS1_30default_config_static_selectorELNS0_4arch9wavefront6targetE0EEEvS14_
		.amdhsa_group_segment_fixed_size 0
		.amdhsa_private_segment_fixed_size 0
		.amdhsa_kernarg_size 88
		.amdhsa_user_sgpr_count 15
		.amdhsa_user_sgpr_dispatch_ptr 0
		.amdhsa_user_sgpr_queue_ptr 0
		.amdhsa_user_sgpr_kernarg_segment_ptr 1
		.amdhsa_user_sgpr_dispatch_id 0
		.amdhsa_user_sgpr_private_segment_size 0
		.amdhsa_wavefront_size32 1
		.amdhsa_uses_dynamic_stack 0
		.amdhsa_enable_private_segment 0
		.amdhsa_system_sgpr_workgroup_id_x 1
		.amdhsa_system_sgpr_workgroup_id_y 0
		.amdhsa_system_sgpr_workgroup_id_z 0
		.amdhsa_system_sgpr_workgroup_info 0
		.amdhsa_system_vgpr_workitem_id 0
		.amdhsa_next_free_vgpr 1
		.amdhsa_next_free_sgpr 1
		.amdhsa_reserve_vcc 0
		.amdhsa_float_round_mode_32 0
		.amdhsa_float_round_mode_16_64 0
		.amdhsa_float_denorm_mode_32 3
		.amdhsa_float_denorm_mode_16_64 3
		.amdhsa_dx10_clamp 1
		.amdhsa_ieee_mode 1
		.amdhsa_fp16_overflow 0
		.amdhsa_workgroup_processor_mode 1
		.amdhsa_memory_ordered 1
		.amdhsa_forward_progress 0
		.amdhsa_shared_vgpr_count 0
		.amdhsa_exception_fp_ieee_invalid_op 0
		.amdhsa_exception_fp_denorm_src 0
		.amdhsa_exception_fp_ieee_div_zero 0
		.amdhsa_exception_fp_ieee_overflow 0
		.amdhsa_exception_fp_ieee_underflow 0
		.amdhsa_exception_fp_ieee_inexact 0
		.amdhsa_exception_int_div_zero 0
	.end_amdhsa_kernel
	.section	.text._ZN7rocprim17ROCPRIM_400000_NS6detail17trampoline_kernelINS0_14default_configENS1_22reduce_config_selectorIN6thrust23THRUST_200600_302600_NS5tupleIblNS6_9null_typeES8_S8_S8_S8_S8_S8_S8_EEEEZNS1_11reduce_implILb1ES3_NS6_12zip_iteratorINS7_INS6_11hip_rocprim26transform_input_iterator_tIbNSD_35transform_pair_of_input_iterators_tIbNS6_6detail15normal_iteratorINS6_10device_ptrIKdEEEESL_NS6_8equal_toIdEEEENSG_9not_fun_tINSD_8identityEEEEENSD_19counting_iterator_tIlEES8_S8_S8_S8_S8_S8_S8_S8_EEEEPS9_S9_NSD_9__find_if7functorIS9_EEEE10hipError_tPvRmT1_T2_T3_mT4_P12ihipStream_tbEUlT_E1_NS1_11comp_targetILNS1_3genE10ELNS1_11target_archE1201ELNS1_3gpuE5ELNS1_3repE0EEENS1_30default_config_static_selectorELNS0_4arch9wavefront6targetE0EEEvS14_,"axG",@progbits,_ZN7rocprim17ROCPRIM_400000_NS6detail17trampoline_kernelINS0_14default_configENS1_22reduce_config_selectorIN6thrust23THRUST_200600_302600_NS5tupleIblNS6_9null_typeES8_S8_S8_S8_S8_S8_S8_EEEEZNS1_11reduce_implILb1ES3_NS6_12zip_iteratorINS7_INS6_11hip_rocprim26transform_input_iterator_tIbNSD_35transform_pair_of_input_iterators_tIbNS6_6detail15normal_iteratorINS6_10device_ptrIKdEEEESL_NS6_8equal_toIdEEEENSG_9not_fun_tINSD_8identityEEEEENSD_19counting_iterator_tIlEES8_S8_S8_S8_S8_S8_S8_S8_EEEEPS9_S9_NSD_9__find_if7functorIS9_EEEE10hipError_tPvRmT1_T2_T3_mT4_P12ihipStream_tbEUlT_E1_NS1_11comp_targetILNS1_3genE10ELNS1_11target_archE1201ELNS1_3gpuE5ELNS1_3repE0EEENS1_30default_config_static_selectorELNS0_4arch9wavefront6targetE0EEEvS14_,comdat
.Lfunc_end768:
	.size	_ZN7rocprim17ROCPRIM_400000_NS6detail17trampoline_kernelINS0_14default_configENS1_22reduce_config_selectorIN6thrust23THRUST_200600_302600_NS5tupleIblNS6_9null_typeES8_S8_S8_S8_S8_S8_S8_EEEEZNS1_11reduce_implILb1ES3_NS6_12zip_iteratorINS7_INS6_11hip_rocprim26transform_input_iterator_tIbNSD_35transform_pair_of_input_iterators_tIbNS6_6detail15normal_iteratorINS6_10device_ptrIKdEEEESL_NS6_8equal_toIdEEEENSG_9not_fun_tINSD_8identityEEEEENSD_19counting_iterator_tIlEES8_S8_S8_S8_S8_S8_S8_S8_EEEEPS9_S9_NSD_9__find_if7functorIS9_EEEE10hipError_tPvRmT1_T2_T3_mT4_P12ihipStream_tbEUlT_E1_NS1_11comp_targetILNS1_3genE10ELNS1_11target_archE1201ELNS1_3gpuE5ELNS1_3repE0EEENS1_30default_config_static_selectorELNS0_4arch9wavefront6targetE0EEEvS14_, .Lfunc_end768-_ZN7rocprim17ROCPRIM_400000_NS6detail17trampoline_kernelINS0_14default_configENS1_22reduce_config_selectorIN6thrust23THRUST_200600_302600_NS5tupleIblNS6_9null_typeES8_S8_S8_S8_S8_S8_S8_EEEEZNS1_11reduce_implILb1ES3_NS6_12zip_iteratorINS7_INS6_11hip_rocprim26transform_input_iterator_tIbNSD_35transform_pair_of_input_iterators_tIbNS6_6detail15normal_iteratorINS6_10device_ptrIKdEEEESL_NS6_8equal_toIdEEEENSG_9not_fun_tINSD_8identityEEEEENSD_19counting_iterator_tIlEES8_S8_S8_S8_S8_S8_S8_S8_EEEEPS9_S9_NSD_9__find_if7functorIS9_EEEE10hipError_tPvRmT1_T2_T3_mT4_P12ihipStream_tbEUlT_E1_NS1_11comp_targetILNS1_3genE10ELNS1_11target_archE1201ELNS1_3gpuE5ELNS1_3repE0EEENS1_30default_config_static_selectorELNS0_4arch9wavefront6targetE0EEEvS14_
                                        ; -- End function
	.section	.AMDGPU.csdata,"",@progbits
; Kernel info:
; codeLenInByte = 0
; NumSgprs: 0
; NumVgprs: 0
; ScratchSize: 0
; MemoryBound: 0
; FloatMode: 240
; IeeeMode: 1
; LDSByteSize: 0 bytes/workgroup (compile time only)
; SGPRBlocks: 0
; VGPRBlocks: 0
; NumSGPRsForWavesPerEU: 1
; NumVGPRsForWavesPerEU: 1
; Occupancy: 16
; WaveLimiterHint : 0
; COMPUTE_PGM_RSRC2:SCRATCH_EN: 0
; COMPUTE_PGM_RSRC2:USER_SGPR: 15
; COMPUTE_PGM_RSRC2:TRAP_HANDLER: 0
; COMPUTE_PGM_RSRC2:TGID_X_EN: 1
; COMPUTE_PGM_RSRC2:TGID_Y_EN: 0
; COMPUTE_PGM_RSRC2:TGID_Z_EN: 0
; COMPUTE_PGM_RSRC2:TIDIG_COMP_CNT: 0
	.section	.text._ZN7rocprim17ROCPRIM_400000_NS6detail17trampoline_kernelINS0_14default_configENS1_22reduce_config_selectorIN6thrust23THRUST_200600_302600_NS5tupleIblNS6_9null_typeES8_S8_S8_S8_S8_S8_S8_EEEEZNS1_11reduce_implILb1ES3_NS6_12zip_iteratorINS7_INS6_11hip_rocprim26transform_input_iterator_tIbNSD_35transform_pair_of_input_iterators_tIbNS6_6detail15normal_iteratorINS6_10device_ptrIKdEEEESL_NS6_8equal_toIdEEEENSG_9not_fun_tINSD_8identityEEEEENSD_19counting_iterator_tIlEES8_S8_S8_S8_S8_S8_S8_S8_EEEEPS9_S9_NSD_9__find_if7functorIS9_EEEE10hipError_tPvRmT1_T2_T3_mT4_P12ihipStream_tbEUlT_E1_NS1_11comp_targetILNS1_3genE10ELNS1_11target_archE1200ELNS1_3gpuE4ELNS1_3repE0EEENS1_30default_config_static_selectorELNS0_4arch9wavefront6targetE0EEEvS14_,"axG",@progbits,_ZN7rocprim17ROCPRIM_400000_NS6detail17trampoline_kernelINS0_14default_configENS1_22reduce_config_selectorIN6thrust23THRUST_200600_302600_NS5tupleIblNS6_9null_typeES8_S8_S8_S8_S8_S8_S8_EEEEZNS1_11reduce_implILb1ES3_NS6_12zip_iteratorINS7_INS6_11hip_rocprim26transform_input_iterator_tIbNSD_35transform_pair_of_input_iterators_tIbNS6_6detail15normal_iteratorINS6_10device_ptrIKdEEEESL_NS6_8equal_toIdEEEENSG_9not_fun_tINSD_8identityEEEEENSD_19counting_iterator_tIlEES8_S8_S8_S8_S8_S8_S8_S8_EEEEPS9_S9_NSD_9__find_if7functorIS9_EEEE10hipError_tPvRmT1_T2_T3_mT4_P12ihipStream_tbEUlT_E1_NS1_11comp_targetILNS1_3genE10ELNS1_11target_archE1200ELNS1_3gpuE4ELNS1_3repE0EEENS1_30default_config_static_selectorELNS0_4arch9wavefront6targetE0EEEvS14_,comdat
	.protected	_ZN7rocprim17ROCPRIM_400000_NS6detail17trampoline_kernelINS0_14default_configENS1_22reduce_config_selectorIN6thrust23THRUST_200600_302600_NS5tupleIblNS6_9null_typeES8_S8_S8_S8_S8_S8_S8_EEEEZNS1_11reduce_implILb1ES3_NS6_12zip_iteratorINS7_INS6_11hip_rocprim26transform_input_iterator_tIbNSD_35transform_pair_of_input_iterators_tIbNS6_6detail15normal_iteratorINS6_10device_ptrIKdEEEESL_NS6_8equal_toIdEEEENSG_9not_fun_tINSD_8identityEEEEENSD_19counting_iterator_tIlEES8_S8_S8_S8_S8_S8_S8_S8_EEEEPS9_S9_NSD_9__find_if7functorIS9_EEEE10hipError_tPvRmT1_T2_T3_mT4_P12ihipStream_tbEUlT_E1_NS1_11comp_targetILNS1_3genE10ELNS1_11target_archE1200ELNS1_3gpuE4ELNS1_3repE0EEENS1_30default_config_static_selectorELNS0_4arch9wavefront6targetE0EEEvS14_ ; -- Begin function _ZN7rocprim17ROCPRIM_400000_NS6detail17trampoline_kernelINS0_14default_configENS1_22reduce_config_selectorIN6thrust23THRUST_200600_302600_NS5tupleIblNS6_9null_typeES8_S8_S8_S8_S8_S8_S8_EEEEZNS1_11reduce_implILb1ES3_NS6_12zip_iteratorINS7_INS6_11hip_rocprim26transform_input_iterator_tIbNSD_35transform_pair_of_input_iterators_tIbNS6_6detail15normal_iteratorINS6_10device_ptrIKdEEEESL_NS6_8equal_toIdEEEENSG_9not_fun_tINSD_8identityEEEEENSD_19counting_iterator_tIlEES8_S8_S8_S8_S8_S8_S8_S8_EEEEPS9_S9_NSD_9__find_if7functorIS9_EEEE10hipError_tPvRmT1_T2_T3_mT4_P12ihipStream_tbEUlT_E1_NS1_11comp_targetILNS1_3genE10ELNS1_11target_archE1200ELNS1_3gpuE4ELNS1_3repE0EEENS1_30default_config_static_selectorELNS0_4arch9wavefront6targetE0EEEvS14_
	.globl	_ZN7rocprim17ROCPRIM_400000_NS6detail17trampoline_kernelINS0_14default_configENS1_22reduce_config_selectorIN6thrust23THRUST_200600_302600_NS5tupleIblNS6_9null_typeES8_S8_S8_S8_S8_S8_S8_EEEEZNS1_11reduce_implILb1ES3_NS6_12zip_iteratorINS7_INS6_11hip_rocprim26transform_input_iterator_tIbNSD_35transform_pair_of_input_iterators_tIbNS6_6detail15normal_iteratorINS6_10device_ptrIKdEEEESL_NS6_8equal_toIdEEEENSG_9not_fun_tINSD_8identityEEEEENSD_19counting_iterator_tIlEES8_S8_S8_S8_S8_S8_S8_S8_EEEEPS9_S9_NSD_9__find_if7functorIS9_EEEE10hipError_tPvRmT1_T2_T3_mT4_P12ihipStream_tbEUlT_E1_NS1_11comp_targetILNS1_3genE10ELNS1_11target_archE1200ELNS1_3gpuE4ELNS1_3repE0EEENS1_30default_config_static_selectorELNS0_4arch9wavefront6targetE0EEEvS14_
	.p2align	8
	.type	_ZN7rocprim17ROCPRIM_400000_NS6detail17trampoline_kernelINS0_14default_configENS1_22reduce_config_selectorIN6thrust23THRUST_200600_302600_NS5tupleIblNS6_9null_typeES8_S8_S8_S8_S8_S8_S8_EEEEZNS1_11reduce_implILb1ES3_NS6_12zip_iteratorINS7_INS6_11hip_rocprim26transform_input_iterator_tIbNSD_35transform_pair_of_input_iterators_tIbNS6_6detail15normal_iteratorINS6_10device_ptrIKdEEEESL_NS6_8equal_toIdEEEENSG_9not_fun_tINSD_8identityEEEEENSD_19counting_iterator_tIlEES8_S8_S8_S8_S8_S8_S8_S8_EEEEPS9_S9_NSD_9__find_if7functorIS9_EEEE10hipError_tPvRmT1_T2_T3_mT4_P12ihipStream_tbEUlT_E1_NS1_11comp_targetILNS1_3genE10ELNS1_11target_archE1200ELNS1_3gpuE4ELNS1_3repE0EEENS1_30default_config_static_selectorELNS0_4arch9wavefront6targetE0EEEvS14_,@function
_ZN7rocprim17ROCPRIM_400000_NS6detail17trampoline_kernelINS0_14default_configENS1_22reduce_config_selectorIN6thrust23THRUST_200600_302600_NS5tupleIblNS6_9null_typeES8_S8_S8_S8_S8_S8_S8_EEEEZNS1_11reduce_implILb1ES3_NS6_12zip_iteratorINS7_INS6_11hip_rocprim26transform_input_iterator_tIbNSD_35transform_pair_of_input_iterators_tIbNS6_6detail15normal_iteratorINS6_10device_ptrIKdEEEESL_NS6_8equal_toIdEEEENSG_9not_fun_tINSD_8identityEEEEENSD_19counting_iterator_tIlEES8_S8_S8_S8_S8_S8_S8_S8_EEEEPS9_S9_NSD_9__find_if7functorIS9_EEEE10hipError_tPvRmT1_T2_T3_mT4_P12ihipStream_tbEUlT_E1_NS1_11comp_targetILNS1_3genE10ELNS1_11target_archE1200ELNS1_3gpuE4ELNS1_3repE0EEENS1_30default_config_static_selectorELNS0_4arch9wavefront6targetE0EEEvS14_: ; @_ZN7rocprim17ROCPRIM_400000_NS6detail17trampoline_kernelINS0_14default_configENS1_22reduce_config_selectorIN6thrust23THRUST_200600_302600_NS5tupleIblNS6_9null_typeES8_S8_S8_S8_S8_S8_S8_EEEEZNS1_11reduce_implILb1ES3_NS6_12zip_iteratorINS7_INS6_11hip_rocprim26transform_input_iterator_tIbNSD_35transform_pair_of_input_iterators_tIbNS6_6detail15normal_iteratorINS6_10device_ptrIKdEEEESL_NS6_8equal_toIdEEEENSG_9not_fun_tINSD_8identityEEEEENSD_19counting_iterator_tIlEES8_S8_S8_S8_S8_S8_S8_S8_EEEEPS9_S9_NSD_9__find_if7functorIS9_EEEE10hipError_tPvRmT1_T2_T3_mT4_P12ihipStream_tbEUlT_E1_NS1_11comp_targetILNS1_3genE10ELNS1_11target_archE1200ELNS1_3gpuE4ELNS1_3repE0EEENS1_30default_config_static_selectorELNS0_4arch9wavefront6targetE0EEEvS14_
; %bb.0:
	.section	.rodata,"a",@progbits
	.p2align	6, 0x0
	.amdhsa_kernel _ZN7rocprim17ROCPRIM_400000_NS6detail17trampoline_kernelINS0_14default_configENS1_22reduce_config_selectorIN6thrust23THRUST_200600_302600_NS5tupleIblNS6_9null_typeES8_S8_S8_S8_S8_S8_S8_EEEEZNS1_11reduce_implILb1ES3_NS6_12zip_iteratorINS7_INS6_11hip_rocprim26transform_input_iterator_tIbNSD_35transform_pair_of_input_iterators_tIbNS6_6detail15normal_iteratorINS6_10device_ptrIKdEEEESL_NS6_8equal_toIdEEEENSG_9not_fun_tINSD_8identityEEEEENSD_19counting_iterator_tIlEES8_S8_S8_S8_S8_S8_S8_S8_EEEEPS9_S9_NSD_9__find_if7functorIS9_EEEE10hipError_tPvRmT1_T2_T3_mT4_P12ihipStream_tbEUlT_E1_NS1_11comp_targetILNS1_3genE10ELNS1_11target_archE1200ELNS1_3gpuE4ELNS1_3repE0EEENS1_30default_config_static_selectorELNS0_4arch9wavefront6targetE0EEEvS14_
		.amdhsa_group_segment_fixed_size 0
		.amdhsa_private_segment_fixed_size 0
		.amdhsa_kernarg_size 88
		.amdhsa_user_sgpr_count 15
		.amdhsa_user_sgpr_dispatch_ptr 0
		.amdhsa_user_sgpr_queue_ptr 0
		.amdhsa_user_sgpr_kernarg_segment_ptr 1
		.amdhsa_user_sgpr_dispatch_id 0
		.amdhsa_user_sgpr_private_segment_size 0
		.amdhsa_wavefront_size32 1
		.amdhsa_uses_dynamic_stack 0
		.amdhsa_enable_private_segment 0
		.amdhsa_system_sgpr_workgroup_id_x 1
		.amdhsa_system_sgpr_workgroup_id_y 0
		.amdhsa_system_sgpr_workgroup_id_z 0
		.amdhsa_system_sgpr_workgroup_info 0
		.amdhsa_system_vgpr_workitem_id 0
		.amdhsa_next_free_vgpr 1
		.amdhsa_next_free_sgpr 1
		.amdhsa_reserve_vcc 0
		.amdhsa_float_round_mode_32 0
		.amdhsa_float_round_mode_16_64 0
		.amdhsa_float_denorm_mode_32 3
		.amdhsa_float_denorm_mode_16_64 3
		.amdhsa_dx10_clamp 1
		.amdhsa_ieee_mode 1
		.amdhsa_fp16_overflow 0
		.amdhsa_workgroup_processor_mode 1
		.amdhsa_memory_ordered 1
		.amdhsa_forward_progress 0
		.amdhsa_shared_vgpr_count 0
		.amdhsa_exception_fp_ieee_invalid_op 0
		.amdhsa_exception_fp_denorm_src 0
		.amdhsa_exception_fp_ieee_div_zero 0
		.amdhsa_exception_fp_ieee_overflow 0
		.amdhsa_exception_fp_ieee_underflow 0
		.amdhsa_exception_fp_ieee_inexact 0
		.amdhsa_exception_int_div_zero 0
	.end_amdhsa_kernel
	.section	.text._ZN7rocprim17ROCPRIM_400000_NS6detail17trampoline_kernelINS0_14default_configENS1_22reduce_config_selectorIN6thrust23THRUST_200600_302600_NS5tupleIblNS6_9null_typeES8_S8_S8_S8_S8_S8_S8_EEEEZNS1_11reduce_implILb1ES3_NS6_12zip_iteratorINS7_INS6_11hip_rocprim26transform_input_iterator_tIbNSD_35transform_pair_of_input_iterators_tIbNS6_6detail15normal_iteratorINS6_10device_ptrIKdEEEESL_NS6_8equal_toIdEEEENSG_9not_fun_tINSD_8identityEEEEENSD_19counting_iterator_tIlEES8_S8_S8_S8_S8_S8_S8_S8_EEEEPS9_S9_NSD_9__find_if7functorIS9_EEEE10hipError_tPvRmT1_T2_T3_mT4_P12ihipStream_tbEUlT_E1_NS1_11comp_targetILNS1_3genE10ELNS1_11target_archE1200ELNS1_3gpuE4ELNS1_3repE0EEENS1_30default_config_static_selectorELNS0_4arch9wavefront6targetE0EEEvS14_,"axG",@progbits,_ZN7rocprim17ROCPRIM_400000_NS6detail17trampoline_kernelINS0_14default_configENS1_22reduce_config_selectorIN6thrust23THRUST_200600_302600_NS5tupleIblNS6_9null_typeES8_S8_S8_S8_S8_S8_S8_EEEEZNS1_11reduce_implILb1ES3_NS6_12zip_iteratorINS7_INS6_11hip_rocprim26transform_input_iterator_tIbNSD_35transform_pair_of_input_iterators_tIbNS6_6detail15normal_iteratorINS6_10device_ptrIKdEEEESL_NS6_8equal_toIdEEEENSG_9not_fun_tINSD_8identityEEEEENSD_19counting_iterator_tIlEES8_S8_S8_S8_S8_S8_S8_S8_EEEEPS9_S9_NSD_9__find_if7functorIS9_EEEE10hipError_tPvRmT1_T2_T3_mT4_P12ihipStream_tbEUlT_E1_NS1_11comp_targetILNS1_3genE10ELNS1_11target_archE1200ELNS1_3gpuE4ELNS1_3repE0EEENS1_30default_config_static_selectorELNS0_4arch9wavefront6targetE0EEEvS14_,comdat
.Lfunc_end769:
	.size	_ZN7rocprim17ROCPRIM_400000_NS6detail17trampoline_kernelINS0_14default_configENS1_22reduce_config_selectorIN6thrust23THRUST_200600_302600_NS5tupleIblNS6_9null_typeES8_S8_S8_S8_S8_S8_S8_EEEEZNS1_11reduce_implILb1ES3_NS6_12zip_iteratorINS7_INS6_11hip_rocprim26transform_input_iterator_tIbNSD_35transform_pair_of_input_iterators_tIbNS6_6detail15normal_iteratorINS6_10device_ptrIKdEEEESL_NS6_8equal_toIdEEEENSG_9not_fun_tINSD_8identityEEEEENSD_19counting_iterator_tIlEES8_S8_S8_S8_S8_S8_S8_S8_EEEEPS9_S9_NSD_9__find_if7functorIS9_EEEE10hipError_tPvRmT1_T2_T3_mT4_P12ihipStream_tbEUlT_E1_NS1_11comp_targetILNS1_3genE10ELNS1_11target_archE1200ELNS1_3gpuE4ELNS1_3repE0EEENS1_30default_config_static_selectorELNS0_4arch9wavefront6targetE0EEEvS14_, .Lfunc_end769-_ZN7rocprim17ROCPRIM_400000_NS6detail17trampoline_kernelINS0_14default_configENS1_22reduce_config_selectorIN6thrust23THRUST_200600_302600_NS5tupleIblNS6_9null_typeES8_S8_S8_S8_S8_S8_S8_EEEEZNS1_11reduce_implILb1ES3_NS6_12zip_iteratorINS7_INS6_11hip_rocprim26transform_input_iterator_tIbNSD_35transform_pair_of_input_iterators_tIbNS6_6detail15normal_iteratorINS6_10device_ptrIKdEEEESL_NS6_8equal_toIdEEEENSG_9not_fun_tINSD_8identityEEEEENSD_19counting_iterator_tIlEES8_S8_S8_S8_S8_S8_S8_S8_EEEEPS9_S9_NSD_9__find_if7functorIS9_EEEE10hipError_tPvRmT1_T2_T3_mT4_P12ihipStream_tbEUlT_E1_NS1_11comp_targetILNS1_3genE10ELNS1_11target_archE1200ELNS1_3gpuE4ELNS1_3repE0EEENS1_30default_config_static_selectorELNS0_4arch9wavefront6targetE0EEEvS14_
                                        ; -- End function
	.section	.AMDGPU.csdata,"",@progbits
; Kernel info:
; codeLenInByte = 0
; NumSgprs: 0
; NumVgprs: 0
; ScratchSize: 0
; MemoryBound: 0
; FloatMode: 240
; IeeeMode: 1
; LDSByteSize: 0 bytes/workgroup (compile time only)
; SGPRBlocks: 0
; VGPRBlocks: 0
; NumSGPRsForWavesPerEU: 1
; NumVGPRsForWavesPerEU: 1
; Occupancy: 16
; WaveLimiterHint : 0
; COMPUTE_PGM_RSRC2:SCRATCH_EN: 0
; COMPUTE_PGM_RSRC2:USER_SGPR: 15
; COMPUTE_PGM_RSRC2:TRAP_HANDLER: 0
; COMPUTE_PGM_RSRC2:TGID_X_EN: 1
; COMPUTE_PGM_RSRC2:TGID_Y_EN: 0
; COMPUTE_PGM_RSRC2:TGID_Z_EN: 0
; COMPUTE_PGM_RSRC2:TIDIG_COMP_CNT: 0
	.section	.text._ZN7rocprim17ROCPRIM_400000_NS6detail17trampoline_kernelINS0_14default_configENS1_22reduce_config_selectorIN6thrust23THRUST_200600_302600_NS5tupleIblNS6_9null_typeES8_S8_S8_S8_S8_S8_S8_EEEEZNS1_11reduce_implILb1ES3_NS6_12zip_iteratorINS7_INS6_11hip_rocprim26transform_input_iterator_tIbNSD_35transform_pair_of_input_iterators_tIbNS6_6detail15normal_iteratorINS6_10device_ptrIKdEEEESL_NS6_8equal_toIdEEEENSG_9not_fun_tINSD_8identityEEEEENSD_19counting_iterator_tIlEES8_S8_S8_S8_S8_S8_S8_S8_EEEEPS9_S9_NSD_9__find_if7functorIS9_EEEE10hipError_tPvRmT1_T2_T3_mT4_P12ihipStream_tbEUlT_E1_NS1_11comp_targetILNS1_3genE9ELNS1_11target_archE1100ELNS1_3gpuE3ELNS1_3repE0EEENS1_30default_config_static_selectorELNS0_4arch9wavefront6targetE0EEEvS14_,"axG",@progbits,_ZN7rocprim17ROCPRIM_400000_NS6detail17trampoline_kernelINS0_14default_configENS1_22reduce_config_selectorIN6thrust23THRUST_200600_302600_NS5tupleIblNS6_9null_typeES8_S8_S8_S8_S8_S8_S8_EEEEZNS1_11reduce_implILb1ES3_NS6_12zip_iteratorINS7_INS6_11hip_rocprim26transform_input_iterator_tIbNSD_35transform_pair_of_input_iterators_tIbNS6_6detail15normal_iteratorINS6_10device_ptrIKdEEEESL_NS6_8equal_toIdEEEENSG_9not_fun_tINSD_8identityEEEEENSD_19counting_iterator_tIlEES8_S8_S8_S8_S8_S8_S8_S8_EEEEPS9_S9_NSD_9__find_if7functorIS9_EEEE10hipError_tPvRmT1_T2_T3_mT4_P12ihipStream_tbEUlT_E1_NS1_11comp_targetILNS1_3genE9ELNS1_11target_archE1100ELNS1_3gpuE3ELNS1_3repE0EEENS1_30default_config_static_selectorELNS0_4arch9wavefront6targetE0EEEvS14_,comdat
	.protected	_ZN7rocprim17ROCPRIM_400000_NS6detail17trampoline_kernelINS0_14default_configENS1_22reduce_config_selectorIN6thrust23THRUST_200600_302600_NS5tupleIblNS6_9null_typeES8_S8_S8_S8_S8_S8_S8_EEEEZNS1_11reduce_implILb1ES3_NS6_12zip_iteratorINS7_INS6_11hip_rocprim26transform_input_iterator_tIbNSD_35transform_pair_of_input_iterators_tIbNS6_6detail15normal_iteratorINS6_10device_ptrIKdEEEESL_NS6_8equal_toIdEEEENSG_9not_fun_tINSD_8identityEEEEENSD_19counting_iterator_tIlEES8_S8_S8_S8_S8_S8_S8_S8_EEEEPS9_S9_NSD_9__find_if7functorIS9_EEEE10hipError_tPvRmT1_T2_T3_mT4_P12ihipStream_tbEUlT_E1_NS1_11comp_targetILNS1_3genE9ELNS1_11target_archE1100ELNS1_3gpuE3ELNS1_3repE0EEENS1_30default_config_static_selectorELNS0_4arch9wavefront6targetE0EEEvS14_ ; -- Begin function _ZN7rocprim17ROCPRIM_400000_NS6detail17trampoline_kernelINS0_14default_configENS1_22reduce_config_selectorIN6thrust23THRUST_200600_302600_NS5tupleIblNS6_9null_typeES8_S8_S8_S8_S8_S8_S8_EEEEZNS1_11reduce_implILb1ES3_NS6_12zip_iteratorINS7_INS6_11hip_rocprim26transform_input_iterator_tIbNSD_35transform_pair_of_input_iterators_tIbNS6_6detail15normal_iteratorINS6_10device_ptrIKdEEEESL_NS6_8equal_toIdEEEENSG_9not_fun_tINSD_8identityEEEEENSD_19counting_iterator_tIlEES8_S8_S8_S8_S8_S8_S8_S8_EEEEPS9_S9_NSD_9__find_if7functorIS9_EEEE10hipError_tPvRmT1_T2_T3_mT4_P12ihipStream_tbEUlT_E1_NS1_11comp_targetILNS1_3genE9ELNS1_11target_archE1100ELNS1_3gpuE3ELNS1_3repE0EEENS1_30default_config_static_selectorELNS0_4arch9wavefront6targetE0EEEvS14_
	.globl	_ZN7rocprim17ROCPRIM_400000_NS6detail17trampoline_kernelINS0_14default_configENS1_22reduce_config_selectorIN6thrust23THRUST_200600_302600_NS5tupleIblNS6_9null_typeES8_S8_S8_S8_S8_S8_S8_EEEEZNS1_11reduce_implILb1ES3_NS6_12zip_iteratorINS7_INS6_11hip_rocprim26transform_input_iterator_tIbNSD_35transform_pair_of_input_iterators_tIbNS6_6detail15normal_iteratorINS6_10device_ptrIKdEEEESL_NS6_8equal_toIdEEEENSG_9not_fun_tINSD_8identityEEEEENSD_19counting_iterator_tIlEES8_S8_S8_S8_S8_S8_S8_S8_EEEEPS9_S9_NSD_9__find_if7functorIS9_EEEE10hipError_tPvRmT1_T2_T3_mT4_P12ihipStream_tbEUlT_E1_NS1_11comp_targetILNS1_3genE9ELNS1_11target_archE1100ELNS1_3gpuE3ELNS1_3repE0EEENS1_30default_config_static_selectorELNS0_4arch9wavefront6targetE0EEEvS14_
	.p2align	8
	.type	_ZN7rocprim17ROCPRIM_400000_NS6detail17trampoline_kernelINS0_14default_configENS1_22reduce_config_selectorIN6thrust23THRUST_200600_302600_NS5tupleIblNS6_9null_typeES8_S8_S8_S8_S8_S8_S8_EEEEZNS1_11reduce_implILb1ES3_NS6_12zip_iteratorINS7_INS6_11hip_rocprim26transform_input_iterator_tIbNSD_35transform_pair_of_input_iterators_tIbNS6_6detail15normal_iteratorINS6_10device_ptrIKdEEEESL_NS6_8equal_toIdEEEENSG_9not_fun_tINSD_8identityEEEEENSD_19counting_iterator_tIlEES8_S8_S8_S8_S8_S8_S8_S8_EEEEPS9_S9_NSD_9__find_if7functorIS9_EEEE10hipError_tPvRmT1_T2_T3_mT4_P12ihipStream_tbEUlT_E1_NS1_11comp_targetILNS1_3genE9ELNS1_11target_archE1100ELNS1_3gpuE3ELNS1_3repE0EEENS1_30default_config_static_selectorELNS0_4arch9wavefront6targetE0EEEvS14_,@function
_ZN7rocprim17ROCPRIM_400000_NS6detail17trampoline_kernelINS0_14default_configENS1_22reduce_config_selectorIN6thrust23THRUST_200600_302600_NS5tupleIblNS6_9null_typeES8_S8_S8_S8_S8_S8_S8_EEEEZNS1_11reduce_implILb1ES3_NS6_12zip_iteratorINS7_INS6_11hip_rocprim26transform_input_iterator_tIbNSD_35transform_pair_of_input_iterators_tIbNS6_6detail15normal_iteratorINS6_10device_ptrIKdEEEESL_NS6_8equal_toIdEEEENSG_9not_fun_tINSD_8identityEEEEENSD_19counting_iterator_tIlEES8_S8_S8_S8_S8_S8_S8_S8_EEEEPS9_S9_NSD_9__find_if7functorIS9_EEEE10hipError_tPvRmT1_T2_T3_mT4_P12ihipStream_tbEUlT_E1_NS1_11comp_targetILNS1_3genE9ELNS1_11target_archE1100ELNS1_3gpuE3ELNS1_3repE0EEENS1_30default_config_static_selectorELNS0_4arch9wavefront6targetE0EEEvS14_: ; @_ZN7rocprim17ROCPRIM_400000_NS6detail17trampoline_kernelINS0_14default_configENS1_22reduce_config_selectorIN6thrust23THRUST_200600_302600_NS5tupleIblNS6_9null_typeES8_S8_S8_S8_S8_S8_S8_EEEEZNS1_11reduce_implILb1ES3_NS6_12zip_iteratorINS7_INS6_11hip_rocprim26transform_input_iterator_tIbNSD_35transform_pair_of_input_iterators_tIbNS6_6detail15normal_iteratorINS6_10device_ptrIKdEEEESL_NS6_8equal_toIdEEEENSG_9not_fun_tINSD_8identityEEEEENSD_19counting_iterator_tIlEES8_S8_S8_S8_S8_S8_S8_S8_EEEEPS9_S9_NSD_9__find_if7functorIS9_EEEE10hipError_tPvRmT1_T2_T3_mT4_P12ihipStream_tbEUlT_E1_NS1_11comp_targetILNS1_3genE9ELNS1_11target_archE1100ELNS1_3gpuE3ELNS1_3repE0EEENS1_30default_config_static_selectorELNS0_4arch9wavefront6targetE0EEEvS14_
; %bb.0:
	s_mov_b32 s10, s15
	s_clause 0x4
	s_load_b32 s29, s[0:1], 0x4
	s_load_b128 s[16:19], s[0:1], 0x8
	s_load_b128 s[12:15], s[0:1], 0x28
	s_load_b32 s28, s[0:1], 0x40
	s_load_b64 s[20:21], s[0:1], 0x48
	s_waitcnt lgkmcnt(0)
	s_cmp_lt_i32 s29, 4
	s_cbranch_scc1 .LBB770_19
; %bb.1:
	s_cmp_gt_i32 s29, 7
	s_cbranch_scc0 .LBB770_20
; %bb.2:
	s_cmp_eq_u32 s29, 8
	s_mov_b32 s9, 0
	s_cbranch_scc0 .LBB770_21
; %bb.3:
	s_mov_b32 s11, 0
	s_lshl_b32 s26, s10, 11
	s_mov_b32 s27, s11
	s_lshr_b64 s[4:5], s[14:15], 11
	s_lshl_b64 s[2:3], s[26:27], 3
	s_delay_alu instid0(SALU_CYCLE_1)
	s_add_u32 s22, s16, s2
	s_addc_u32 s23, s17, s3
	s_add_u32 s24, s18, s2
	s_addc_u32 s25, s19, s3
	;; [unrolled: 2-line block ×3, first 2 shown]
	s_cmp_lg_u64 s[4:5], s[10:11]
	s_cbranch_scc0 .LBB770_40
; %bb.4:
	v_lshlrev_b32_e32 v7, 3, v0
	v_mov_b32_e32 v33, 0x100
	s_delay_alu instid0(VALU_DEP_2) | instskip(NEXT) | instid1(VALU_DEP_1)
	v_add_co_u32 v27, s2, s22, v7
	v_add_co_ci_u32_e64 v28, null, s23, 0, s2
	v_add_co_u32 v25, s2, s24, v7
	s_delay_alu instid0(VALU_DEP_3) | instskip(NEXT) | instid1(VALU_DEP_3)
	v_add_co_u32 v9, vcc_lo, 0x1000, v27
	v_add_co_ci_u32_e32 v10, vcc_lo, 0, v28, vcc_lo
	v_add_co_ci_u32_e64 v26, null, s25, 0, s2
	v_add_co_u32 v11, vcc_lo, v27, 0x2000
	v_add_co_ci_u32_e32 v12, vcc_lo, 0, v28, vcc_lo
	v_add_co_u32 v13, vcc_lo, 0x1000, v25
	s_delay_alu instid0(VALU_DEP_4)
	v_add_co_ci_u32_e32 v14, vcc_lo, 0, v26, vcc_lo
	v_add_co_u32 v15, vcc_lo, v25, 0x2000
	s_clause 0x3
	global_load_b64 v[1:2], v7, s[22:23]
	global_load_b64 v[3:4], v7, s[24:25] offset:2048
	global_load_b64 v[5:6], v7, s[24:25]
	global_load_b64 v[7:8], v7, s[22:23] offset:2048
	v_add_co_ci_u32_e32 v16, vcc_lo, 0, v26, vcc_lo
	v_add_co_u32 v17, vcc_lo, 0x2000, v27
	v_add_co_ci_u32_e32 v18, vcc_lo, 0, v28, vcc_lo
	v_add_co_u32 v21, vcc_lo, 0x2000, v25
	global_load_b64 v[9:10], v[9:10], off offset:2048
	global_load_b64 v[13:14], v[13:14], off offset:2048
	v_add_co_ci_u32_e32 v22, vcc_lo, 0, v26, vcc_lo
	v_add_co_u32 v25, vcc_lo, 0x3000, v25
	s_clause 0x1
	global_load_b64 v[19:20], v[11:12], off offset:-4096
	global_load_b64 v[11:12], v[11:12], off
	s_clause 0x1
	global_load_b64 v[23:24], v[15:16], off offset:-4096
	global_load_b64 v[15:16], v[15:16], off
	v_add_co_ci_u32_e32 v26, vcc_lo, 0, v26, vcc_lo
	v_add_co_u32 v27, vcc_lo, 0x3000, v27
	v_add_co_ci_u32_e32 v28, vcc_lo, 0, v28, vcc_lo
	global_load_b64 v[17:18], v[17:18], off offset:2048
	s_clause 0x1
	global_load_b64 v[21:22], v[21:22], off offset:2048
	global_load_b64 v[29:30], v[25:26], off
	s_clause 0x1
	global_load_b64 v[31:32], v[27:28], off
	global_load_b64 v[27:28], v[27:28], off offset:2048
	global_load_b64 v[25:26], v[25:26], off offset:2048
	s_waitcnt vmcnt(13)
	v_cmp_neq_f64_e64 s2, v[1:2], v[5:6]
	v_mov_b32_e32 v2, 0x500
	s_waitcnt vmcnt(12)
	v_cmp_neq_f64_e32 vcc_lo, v[7:8], v[3:4]
	v_mov_b32_e32 v1, 0x300
	s_waitcnt vmcnt(10)
	v_cmp_neq_f64_e64 s4, v[9:10], v[13:14]
	s_waitcnt vmcnt(7)
	v_cmp_neq_f64_e64 s3, v[19:20], v[23:24]
	;; [unrolled: 2-line block ×6, first 2 shown]
	v_cndmask_b32_e32 v3, 0x200, v33, vcc_lo
	s_delay_alu instid0(VALU_DEP_1) | instskip(SKIP_3) | instid1(VALU_DEP_1)
	v_cndmask_b32_e64 v3, v3, 0, s2
	s_or_b32 s2, s2, vcc_lo
	v_cndmask_b32_e64 v1, 0x400, v1, s4
	s_or_b32 vcc_lo, s2, s3
	v_cndmask_b32_e32 v1, v1, v3, vcc_lo
	s_or_b32 s2, vcc_lo, s4
	v_cndmask_b32_e64 v2, 0x600, v2, s6
	s_or_b32 vcc_lo, s2, s5
	s_mov_b32 s4, exec_lo
	s_or_b32 s2, vcc_lo, s6
	s_delay_alu instid0(VALU_DEP_1) | instskip(SKIP_3) | instid1(VALU_DEP_2)
	v_cndmask_b32_e32 v1, v2, v1, vcc_lo
	s_or_b32 vcc_lo, s2, s7
	v_add_co_u32 v2, s2, s27, v0
	s_or_b32 s3, vcc_lo, s8
	v_cndmask_b32_e32 v1, 0x700, v1, vcc_lo
	v_cndmask_b32_e64 v5, 0, 1, s3
	v_add_co_ci_u32_e64 v3, null, s30, 0, s2
	s_delay_alu instid0(VALU_DEP_3) | instskip(NEXT) | instid1(VALU_DEP_3)
	v_add_co_u32 v1, vcc_lo, v2, v1
	v_mov_b32_dpp v6, v5 quad_perm:[1,0,3,2] row_mask:0xf bank_mask:0xf
	s_delay_alu instid0(VALU_DEP_3) | instskip(NEXT) | instid1(VALU_DEP_3)
	v_add_co_ci_u32_e32 v2, vcc_lo, 0, v3, vcc_lo
	v_mov_b32_dpp v3, v1 quad_perm:[1,0,3,2] row_mask:0xf bank_mask:0xf
	s_delay_alu instid0(VALU_DEP_3) | instskip(NEXT) | instid1(VALU_DEP_3)
	v_and_b32_e32 v7, 1, v6
	v_mov_b32_dpp v4, v2 quad_perm:[1,0,3,2] row_mask:0xf bank_mask:0xf
	s_delay_alu instid0(VALU_DEP_2)
	v_cmpx_eq_u32_e32 1, v7
; %bb.5:
	v_cndmask_b32_e64 v5, v6, 1, s3
	s_delay_alu instid0(VALU_DEP_3) | instskip(NEXT) | instid1(VALU_DEP_2)
	v_cmp_lt_i64_e32 vcc_lo, v[1:2], v[3:4]
	v_and_b32_e32 v6, 1, v5
	v_and_b32_e32 v5, 0xff, v5
	s_and_b32 vcc_lo, s3, vcc_lo
	s_and_not1_b32 s3, s3, exec_lo
	v_dual_cndmask_b32 v2, v4, v2 :: v_dual_cndmask_b32 v1, v3, v1
	v_cmp_eq_u32_e64 s2, 1, v6
	s_delay_alu instid0(VALU_DEP_1) | instskip(NEXT) | instid1(SALU_CYCLE_1)
	s_and_b32 s2, s2, exec_lo
	s_or_b32 s3, s3, s2
; %bb.6:
	s_or_b32 exec_lo, exec_lo, s4
	v_mov_b32_dpp v6, v5 quad_perm:[2,3,0,1] row_mask:0xf bank_mask:0xf
	v_mov_b32_dpp v3, v1 quad_perm:[2,3,0,1] row_mask:0xf bank_mask:0xf
	;; [unrolled: 1-line block ×3, first 2 shown]
	s_mov_b32 s4, exec_lo
	s_delay_alu instid0(VALU_DEP_3) | instskip(NEXT) | instid1(VALU_DEP_1)
	v_and_b32_e32 v7, 1, v6
	v_cmpx_eq_u32_e32 1, v7
; %bb.7:
	v_cndmask_b32_e64 v5, v6, 1, s3
	v_cmp_lt_i64_e32 vcc_lo, v[1:2], v[3:4]
	s_delay_alu instid0(VALU_DEP_2)
	v_and_b32_e32 v6, 1, v5
	v_and_b32_e32 v5, 0xff, v5
	s_and_b32 vcc_lo, s3, vcc_lo
	s_and_not1_b32 s3, s3, exec_lo
	v_dual_cndmask_b32 v2, v4, v2 :: v_dual_cndmask_b32 v1, v3, v1
	v_cmp_eq_u32_e64 s2, 1, v6
	s_delay_alu instid0(VALU_DEP_1) | instskip(NEXT) | instid1(SALU_CYCLE_1)
	s_and_b32 s2, s2, exec_lo
	s_or_b32 s3, s3, s2
; %bb.8:
	s_or_b32 exec_lo, exec_lo, s4
	v_mov_b32_dpp v6, v5 row_ror:4 row_mask:0xf bank_mask:0xf
	v_mov_b32_dpp v3, v1 row_ror:4 row_mask:0xf bank_mask:0xf
	;; [unrolled: 1-line block ×3, first 2 shown]
	s_mov_b32 s4, exec_lo
	s_delay_alu instid0(VALU_DEP_3) | instskip(NEXT) | instid1(VALU_DEP_1)
	v_and_b32_e32 v7, 1, v6
	v_cmpx_eq_u32_e32 1, v7
; %bb.9:
	v_cndmask_b32_e64 v5, v6, 1, s3
	v_cmp_lt_i64_e32 vcc_lo, v[1:2], v[3:4]
	s_delay_alu instid0(VALU_DEP_2)
	v_and_b32_e32 v6, 1, v5
	v_and_b32_e32 v5, 0xff, v5
	s_and_b32 vcc_lo, s3, vcc_lo
	s_and_not1_b32 s3, s3, exec_lo
	v_dual_cndmask_b32 v2, v4, v2 :: v_dual_cndmask_b32 v1, v3, v1
	v_cmp_eq_u32_e64 s2, 1, v6
	s_delay_alu instid0(VALU_DEP_1) | instskip(NEXT) | instid1(SALU_CYCLE_1)
	s_and_b32 s2, s2, exec_lo
	s_or_b32 s3, s3, s2
; %bb.10:
	s_or_b32 exec_lo, exec_lo, s4
	v_mov_b32_dpp v6, v5 row_ror:8 row_mask:0xf bank_mask:0xf
	v_mov_b32_dpp v3, v1 row_ror:8 row_mask:0xf bank_mask:0xf
	v_mov_b32_dpp v4, v2 row_ror:8 row_mask:0xf bank_mask:0xf
	s_mov_b32 s4, exec_lo
	s_delay_alu instid0(VALU_DEP_3) | instskip(NEXT) | instid1(VALU_DEP_1)
	v_and_b32_e32 v7, 1, v6
	v_cmpx_eq_u32_e32 1, v7
; %bb.11:
	v_cndmask_b32_e64 v5, v6, 1, s3
	v_cmp_lt_i64_e32 vcc_lo, v[1:2], v[3:4]
	s_delay_alu instid0(VALU_DEP_2)
	v_and_b32_e32 v6, 1, v5
	v_and_b32_e32 v5, 0xff, v5
	s_and_b32 vcc_lo, s3, vcc_lo
	s_and_not1_b32 s3, s3, exec_lo
	v_dual_cndmask_b32 v2, v4, v2 :: v_dual_cndmask_b32 v1, v3, v1
	v_cmp_eq_u32_e64 s2, 1, v6
	s_delay_alu instid0(VALU_DEP_1) | instskip(NEXT) | instid1(SALU_CYCLE_1)
	s_and_b32 s2, s2, exec_lo
	s_or_b32 s3, s3, s2
; %bb.12:
	s_or_b32 exec_lo, exec_lo, s4
	ds_swizzle_b32 v6, v5 offset:swizzle(BROADCAST,32,15)
	ds_swizzle_b32 v3, v1 offset:swizzle(BROADCAST,32,15)
	;; [unrolled: 1-line block ×3, first 2 shown]
	s_mov_b32 s2, exec_lo
	s_waitcnt lgkmcnt(2)
	v_and_b32_e32 v7, 1, v6
	s_delay_alu instid0(VALU_DEP_1)
	v_cmpx_eq_u32_e32 1, v7
	s_cbranch_execz .LBB770_14
; %bb.13:
	s_waitcnt lgkmcnt(0)
	v_cmp_lt_i64_e32 vcc_lo, v[1:2], v[3:4]
	v_and_b32_e32 v5, 0xff, v6
	s_delay_alu instid0(VALU_DEP_1)
	v_cndmask_b32_e64 v5, v5, 1, s3
	s_and_b32 vcc_lo, s3, vcc_lo
	v_dual_cndmask_b32 v1, v3, v1 :: v_dual_cndmask_b32 v2, v4, v2
.LBB770_14:
	s_or_b32 exec_lo, exec_lo, s2
	s_waitcnt lgkmcnt(1)
	v_mov_b32_e32 v3, 0
	s_mov_b32 s2, exec_lo
	ds_bpermute_b32 v6, v3, v5 offset:124
	ds_bpermute_b32 v1, v3, v1 offset:124
	;; [unrolled: 1-line block ×3, first 2 shown]
	v_mbcnt_lo_u32_b32 v3, -1, 0
	s_delay_alu instid0(VALU_DEP_1)
	v_cmpx_eq_u32_e32 0, v3
	s_cbranch_execz .LBB770_16
; %bb.15:
	s_waitcnt lgkmcnt(3)
	v_lshrrev_b32_e32 v4, 1, v0
	s_delay_alu instid0(VALU_DEP_1)
	v_and_b32_e32 v4, 0x70, v4
	s_waitcnt lgkmcnt(2)
	ds_store_b8 v4, v6 offset:384
	s_waitcnt lgkmcnt(1)
	ds_store_b64 v4, v[1:2] offset:392
.LBB770_16:
	s_or_b32 exec_lo, exec_lo, s2
	s_delay_alu instid0(SALU_CYCLE_1)
	s_mov_b32 s4, exec_lo
	s_waitcnt lgkmcnt(0)
	s_barrier
	buffer_gl0_inv
	v_cmpx_gt_u32_e32 32, v0
	s_cbranch_execz .LBB770_18
; %bb.17:
	v_and_b32_e32 v6, 7, v3
	s_delay_alu instid0(VALU_DEP_1)
	v_lshlrev_b32_e32 v1, 4, v6
	v_cmp_ne_u32_e32 vcc_lo, 7, v6
	ds_load_u8 v7, v1 offset:384
	ds_load_b64 v[1:2], v1 offset:392
	v_add_co_ci_u32_e32 v4, vcc_lo, 0, v3, vcc_lo
	v_cmp_gt_u32_e32 vcc_lo, 6, v6
	s_delay_alu instid0(VALU_DEP_2)
	v_lshlrev_b32_e32 v5, 2, v4
	v_cndmask_b32_e64 v10, 0, 1, vcc_lo
	s_waitcnt lgkmcnt(1)
	v_and_b32_e32 v4, 0xff, v7
	v_and_b32_e32 v11, 1, v7
	ds_bpermute_b32 v8, v5, v4
	s_waitcnt lgkmcnt(1)
	ds_bpermute_b32 v4, v5, v1
	ds_bpermute_b32 v5, v5, v2
	v_cmp_eq_u32_e64 s3, 1, v11
	s_waitcnt lgkmcnt(2)
	v_and_b32_e32 v9, 1, v8
	s_waitcnt lgkmcnt(0)
	v_cmp_lt_i64_e64 s2, v[4:5], v[1:2]
	s_delay_alu instid0(VALU_DEP_2) | instskip(SKIP_2) | instid1(VALU_DEP_4)
	v_cmp_eq_u32_e32 vcc_lo, 1, v9
	v_lshlrev_b32_e32 v9, 1, v10
	v_cndmask_b32_e64 v7, v7, 1, vcc_lo
	s_and_b32 vcc_lo, vcc_lo, s2
	v_dual_cndmask_b32 v1, v1, v4 :: v_dual_cndmask_b32 v2, v2, v5
	s_delay_alu instid0(VALU_DEP_2) | instskip(SKIP_2) | instid1(VALU_DEP_4)
	v_cndmask_b32_e64 v7, v8, v7, s3
	v_add_lshl_u32 v8, v9, v3, 2
	v_cmp_gt_u32_e32 vcc_lo, 4, v6
	v_cndmask_b32_e64 v1, v4, v1, s3
	v_cndmask_b32_e64 v2, v5, v2, s3
	v_and_b32_e32 v9, 0xff, v7
	v_and_b32_e32 v10, 1, v7
	v_cndmask_b32_e64 v6, 0, 1, vcc_lo
	ds_bpermute_b32 v4, v8, v1
	ds_bpermute_b32 v5, v8, v2
	;; [unrolled: 1-line block ×3, first 2 shown]
	v_cmp_eq_u32_e64 s3, 1, v10
	s_waitcnt lgkmcnt(1)
	v_cmp_lt_i64_e64 s2, v[4:5], v[1:2]
	s_waitcnt lgkmcnt(0)
	v_and_b32_e32 v8, 1, v9
	s_delay_alu instid0(VALU_DEP_1) | instskip(SKIP_1) | instid1(VALU_DEP_4)
	v_cmp_eq_u32_e32 vcc_lo, 1, v8
	v_cndmask_b32_e64 v7, v7, 1, vcc_lo
	s_and_b32 vcc_lo, vcc_lo, s2
	v_dual_cndmask_b32 v1, v1, v4 :: v_dual_cndmask_b32 v2, v2, v5
	s_delay_alu instid0(VALU_DEP_2) | instskip(NEXT) | instid1(VALU_DEP_2)
	v_cndmask_b32_e64 v7, v9, v7, s3
	v_cndmask_b32_e64 v1, v4, v1, s3
	v_lshlrev_b32_e32 v6, 2, v6
	s_delay_alu instid0(VALU_DEP_4) | instskip(NEXT) | instid1(VALU_DEP_2)
	v_cndmask_b32_e64 v2, v5, v2, s3
	v_add_lshl_u32 v6, v6, v3, 2
	v_and_b32_e32 v3, 0xff, v7
	ds_bpermute_b32 v4, v6, v2
	ds_bpermute_b32 v5, v6, v3
	;; [unrolled: 1-line block ×3, first 2 shown]
	s_waitcnt lgkmcnt(1)
	v_and_b32_e32 v6, 1, v5
	s_waitcnt lgkmcnt(0)
	v_cmp_lt_i64_e32 vcc_lo, v[3:4], v[1:2]
	s_delay_alu instid0(VALU_DEP_2) | instskip(SKIP_1) | instid1(VALU_DEP_2)
	v_cmp_eq_u32_e64 s2, 1, v6
	v_and_b32_e32 v6, 1, v7
	v_cndmask_b32_e64 v7, v7, 1, s2
	s_and_b32 vcc_lo, s2, vcc_lo
	s_delay_alu instid0(VALU_DEP_2) | instskip(SKIP_1) | instid1(VALU_DEP_2)
	v_cmp_eq_u32_e64 s2, 1, v6
	v_dual_cndmask_b32 v1, v1, v3 :: v_dual_cndmask_b32 v2, v2, v4
	v_cndmask_b32_e64 v5, v5, v7, s2
	s_delay_alu instid0(VALU_DEP_2) | instskip(NEXT) | instid1(VALU_DEP_3)
	v_cndmask_b32_e64 v1, v3, v1, s2
	v_cndmask_b32_e64 v2, v4, v2, s2
	s_delay_alu instid0(VALU_DEP_3)
	v_and_b32_e32 v6, 0xff, v5
.LBB770_18:
	s_or_b32 exec_lo, exec_lo, s4
	s_branch .LBB770_85
.LBB770_19:
	s_mov_b32 s24, 0
                                        ; implicit-def: $vgpr3_vgpr4
                                        ; implicit-def: $vgpr5
	s_cbranch_execnz .LBB770_129
	s_branch .LBB770_200
.LBB770_20:
	s_mov_b32 s9, -1
.LBB770_21:
	s_mov_b32 s24, 0
                                        ; implicit-def: $vgpr3_vgpr4
                                        ; implicit-def: $vgpr5
	s_and_b32 vcc_lo, exec_lo, s9
	s_cbranch_vccz .LBB770_90
.LBB770_22:
	s_cmp_eq_u32 s29, 4
	s_cbranch_scc0 .LBB770_39
; %bb.23:
	s_mov_b32 s11, 0
	s_lshl_b32 s22, s10, 10
	s_mov_b32 s23, s11
	s_lshr_b64 s[26:27], s[14:15], 10
	s_lshl_b64 s[2:3], s[22:23], 3
	s_delay_alu instid0(SALU_CYCLE_1)
	s_add_u32 s6, s16, s2
	s_addc_u32 s7, s17, s3
	s_add_u32 s8, s18, s2
	s_addc_u32 s9, s19, s3
	;; [unrolled: 2-line block ×3, first 2 shown]
	s_cmp_lg_u64 s[26:27], s[10:11]
	s_cbranch_scc0 .LBB770_91
; %bb.24:
	v_lshlrev_b32_e32 v11, 3, v0
	v_mov_b32_e32 v17, 0x100
	s_waitcnt lgkmcnt(2)
	s_delay_alu instid0(VALU_DEP_2) | instskip(NEXT) | instid1(VALU_DEP_1)
	v_add_co_u32 v5, s2, s6, v11
	v_add_co_ci_u32_e64 v6, null, s7, 0, s2
	s_waitcnt lgkmcnt(1)
	v_add_co_u32 v3, s2, s8, v11
	s_waitcnt lgkmcnt(0)
	v_add_co_ci_u32_e64 v4, null, s9, 0, s2
	global_load_b64 v[1:2], v11, s[8:9] offset:2048
	v_add_co_u32 v3, vcc_lo, 0x1000, v3
	v_add_co_ci_u32_e32 v4, vcc_lo, 0, v4, vcc_lo
	v_add_co_u32 v5, vcc_lo, 0x1000, v5
	v_add_co_ci_u32_e32 v6, vcc_lo, 0, v6, vcc_lo
	s_clause 0x2
	global_load_b64 v[7:8], v11, s[6:7] offset:2048
	global_load_b64 v[9:10], v11, s[8:9]
	global_load_b64 v[11:12], v11, s[6:7]
	global_load_b64 v[13:14], v[3:4], off
	s_clause 0x1
	global_load_b64 v[15:16], v[5:6], off
	global_load_b64 v[5:6], v[5:6], off offset:2048
	global_load_b64 v[3:4], v[3:4], off offset:2048
	s_waitcnt vmcnt(6)
	v_cmp_neq_f64_e32 vcc_lo, v[7:8], v[1:2]
	s_waitcnt vmcnt(4)
	v_cmp_neq_f64_e64 s2, v[11:12], v[9:10]
	s_waitcnt vmcnt(2)
	v_cmp_neq_f64_e64 s3, v[15:16], v[13:14]
	s_waitcnt vmcnt(0)
	v_cmp_neq_f64_e64 s4, v[5:6], v[3:4]
	v_cndmask_b32_e32 v1, 0x200, v17, vcc_lo
	s_delay_alu instid0(VALU_DEP_1)
	v_cndmask_b32_e64 v1, v1, 0, s2
	s_or_b32 s2, s2, vcc_lo
	s_delay_alu instid0(VALU_DEP_4) | instid1(SALU_CYCLE_1)
	s_or_b32 vcc_lo, s2, s3
	v_add_co_u32 v2, s2, s5, v0
	s_delay_alu instid0(VALU_DEP_2) | instskip(SKIP_3) | instid1(VALU_DEP_3)
	v_cndmask_b32_e32 v1, 0x300, v1, vcc_lo
	s_or_b32 s3, vcc_lo, s4
	v_add_co_ci_u32_e64 v3, null, s23, 0, s2
	v_cndmask_b32_e64 v5, 0, 1, s3
	v_add_co_u32 v1, vcc_lo, v2, v1
	s_delay_alu instid0(VALU_DEP_3) | instskip(NEXT) | instid1(VALU_DEP_3)
	v_add_co_ci_u32_e32 v2, vcc_lo, 0, v3, vcc_lo
	v_mov_b32_dpp v6, v5 quad_perm:[1,0,3,2] row_mask:0xf bank_mask:0xf
	s_delay_alu instid0(VALU_DEP_3) | instskip(SKIP_1) | instid1(VALU_DEP_3)
	v_mov_b32_dpp v3, v1 quad_perm:[1,0,3,2] row_mask:0xf bank_mask:0xf
	s_mov_b32 s4, exec_lo
	v_mov_b32_dpp v4, v2 quad_perm:[1,0,3,2] row_mask:0xf bank_mask:0xf
	s_delay_alu instid0(VALU_DEP_3) | instskip(NEXT) | instid1(VALU_DEP_1)
	v_and_b32_e32 v7, 1, v6
	v_cmpx_eq_u32_e32 1, v7
; %bb.25:
	v_cndmask_b32_e64 v5, v6, 1, s3
	s_delay_alu instid0(VALU_DEP_4) | instskip(NEXT) | instid1(VALU_DEP_2)
	v_cmp_lt_i64_e32 vcc_lo, v[1:2], v[3:4]
	v_and_b32_e32 v6, 1, v5
	v_and_b32_e32 v5, 0xff, v5
	s_and_b32 vcc_lo, s3, vcc_lo
	s_and_not1_b32 s3, s3, exec_lo
	v_dual_cndmask_b32 v2, v4, v2 :: v_dual_cndmask_b32 v1, v3, v1
	v_cmp_eq_u32_e64 s2, 1, v6
	s_delay_alu instid0(VALU_DEP_1) | instskip(NEXT) | instid1(SALU_CYCLE_1)
	s_and_b32 s2, s2, exec_lo
	s_or_b32 s3, s3, s2
; %bb.26:
	s_or_b32 exec_lo, exec_lo, s4
	v_mov_b32_dpp v6, v5 quad_perm:[2,3,0,1] row_mask:0xf bank_mask:0xf
	v_mov_b32_dpp v3, v1 quad_perm:[2,3,0,1] row_mask:0xf bank_mask:0xf
	;; [unrolled: 1-line block ×3, first 2 shown]
	s_mov_b32 s4, exec_lo
	s_delay_alu instid0(VALU_DEP_3) | instskip(NEXT) | instid1(VALU_DEP_1)
	v_and_b32_e32 v7, 1, v6
	v_cmpx_eq_u32_e32 1, v7
; %bb.27:
	v_cndmask_b32_e64 v5, v6, 1, s3
	v_cmp_lt_i64_e32 vcc_lo, v[1:2], v[3:4]
	s_delay_alu instid0(VALU_DEP_2)
	v_and_b32_e32 v6, 1, v5
	v_and_b32_e32 v5, 0xff, v5
	s_and_b32 vcc_lo, s3, vcc_lo
	s_and_not1_b32 s3, s3, exec_lo
	v_dual_cndmask_b32 v2, v4, v2 :: v_dual_cndmask_b32 v1, v3, v1
	v_cmp_eq_u32_e64 s2, 1, v6
	s_delay_alu instid0(VALU_DEP_1) | instskip(NEXT) | instid1(SALU_CYCLE_1)
	s_and_b32 s2, s2, exec_lo
	s_or_b32 s3, s3, s2
; %bb.28:
	s_or_b32 exec_lo, exec_lo, s4
	v_mov_b32_dpp v6, v5 row_ror:4 row_mask:0xf bank_mask:0xf
	v_mov_b32_dpp v3, v1 row_ror:4 row_mask:0xf bank_mask:0xf
	;; [unrolled: 1-line block ×3, first 2 shown]
	s_mov_b32 s4, exec_lo
	s_delay_alu instid0(VALU_DEP_3) | instskip(NEXT) | instid1(VALU_DEP_1)
	v_and_b32_e32 v7, 1, v6
	v_cmpx_eq_u32_e32 1, v7
; %bb.29:
	v_cndmask_b32_e64 v5, v6, 1, s3
	v_cmp_lt_i64_e32 vcc_lo, v[1:2], v[3:4]
	s_delay_alu instid0(VALU_DEP_2)
	v_and_b32_e32 v6, 1, v5
	v_and_b32_e32 v5, 0xff, v5
	s_and_b32 vcc_lo, s3, vcc_lo
	s_and_not1_b32 s3, s3, exec_lo
	v_dual_cndmask_b32 v2, v4, v2 :: v_dual_cndmask_b32 v1, v3, v1
	v_cmp_eq_u32_e64 s2, 1, v6
	s_delay_alu instid0(VALU_DEP_1) | instskip(NEXT) | instid1(SALU_CYCLE_1)
	s_and_b32 s2, s2, exec_lo
	s_or_b32 s3, s3, s2
; %bb.30:
	s_or_b32 exec_lo, exec_lo, s4
	v_mov_b32_dpp v6, v5 row_ror:8 row_mask:0xf bank_mask:0xf
	v_mov_b32_dpp v3, v1 row_ror:8 row_mask:0xf bank_mask:0xf
	;; [unrolled: 1-line block ×3, first 2 shown]
	s_mov_b32 s4, exec_lo
	s_delay_alu instid0(VALU_DEP_3) | instskip(NEXT) | instid1(VALU_DEP_1)
	v_and_b32_e32 v7, 1, v6
	v_cmpx_eq_u32_e32 1, v7
; %bb.31:
	v_cndmask_b32_e64 v5, v6, 1, s3
	v_cmp_lt_i64_e32 vcc_lo, v[1:2], v[3:4]
	s_delay_alu instid0(VALU_DEP_2)
	v_and_b32_e32 v6, 1, v5
	v_and_b32_e32 v5, 0xff, v5
	s_and_b32 vcc_lo, s3, vcc_lo
	s_and_not1_b32 s3, s3, exec_lo
	v_dual_cndmask_b32 v2, v4, v2 :: v_dual_cndmask_b32 v1, v3, v1
	v_cmp_eq_u32_e64 s2, 1, v6
	s_delay_alu instid0(VALU_DEP_1) | instskip(NEXT) | instid1(SALU_CYCLE_1)
	s_and_b32 s2, s2, exec_lo
	s_or_b32 s3, s3, s2
; %bb.32:
	s_or_b32 exec_lo, exec_lo, s4
	ds_swizzle_b32 v6, v5 offset:swizzle(BROADCAST,32,15)
	ds_swizzle_b32 v3, v1 offset:swizzle(BROADCAST,32,15)
	;; [unrolled: 1-line block ×3, first 2 shown]
	s_mov_b32 s2, exec_lo
	s_waitcnt lgkmcnt(2)
	v_and_b32_e32 v7, 1, v6
	s_delay_alu instid0(VALU_DEP_1)
	v_cmpx_eq_u32_e32 1, v7
	s_cbranch_execz .LBB770_34
; %bb.33:
	s_waitcnt lgkmcnt(0)
	v_cmp_lt_i64_e32 vcc_lo, v[1:2], v[3:4]
	v_and_b32_e32 v5, 0xff, v6
	s_delay_alu instid0(VALU_DEP_1)
	v_cndmask_b32_e64 v5, v5, 1, s3
	s_and_b32 vcc_lo, s3, vcc_lo
	v_dual_cndmask_b32 v1, v3, v1 :: v_dual_cndmask_b32 v2, v4, v2
.LBB770_34:
	s_or_b32 exec_lo, exec_lo, s2
	s_waitcnt lgkmcnt(1)
	v_mov_b32_e32 v3, 0
	s_mov_b32 s2, exec_lo
	ds_bpermute_b32 v6, v3, v5 offset:124
	ds_bpermute_b32 v1, v3, v1 offset:124
	;; [unrolled: 1-line block ×3, first 2 shown]
	v_mbcnt_lo_u32_b32 v3, -1, 0
	s_delay_alu instid0(VALU_DEP_1)
	v_cmpx_eq_u32_e32 0, v3
	s_cbranch_execz .LBB770_36
; %bb.35:
	s_waitcnt lgkmcnt(3)
	v_lshrrev_b32_e32 v4, 1, v0
	s_delay_alu instid0(VALU_DEP_1)
	v_and_b32_e32 v4, 0x70, v4
	s_waitcnt lgkmcnt(2)
	ds_store_b8 v4, v6 offset:256
	s_waitcnt lgkmcnt(1)
	ds_store_b64 v4, v[1:2] offset:264
.LBB770_36:
	s_or_b32 exec_lo, exec_lo, s2
	s_delay_alu instid0(SALU_CYCLE_1)
	s_mov_b32 s4, exec_lo
	s_waitcnt lgkmcnt(0)
	s_barrier
	buffer_gl0_inv
	v_cmpx_gt_u32_e32 32, v0
	s_cbranch_execz .LBB770_38
; %bb.37:
	v_and_b32_e32 v6, 7, v3
	s_delay_alu instid0(VALU_DEP_1)
	v_lshlrev_b32_e32 v1, 4, v6
	v_cmp_ne_u32_e32 vcc_lo, 7, v6
	ds_load_u8 v7, v1 offset:256
	ds_load_b64 v[1:2], v1 offset:264
	v_add_co_ci_u32_e32 v4, vcc_lo, 0, v3, vcc_lo
	v_cmp_gt_u32_e32 vcc_lo, 6, v6
	s_delay_alu instid0(VALU_DEP_2)
	v_lshlrev_b32_e32 v5, 2, v4
	v_cndmask_b32_e64 v10, 0, 1, vcc_lo
	s_waitcnt lgkmcnt(1)
	v_and_b32_e32 v4, 0xff, v7
	v_and_b32_e32 v11, 1, v7
	ds_bpermute_b32 v8, v5, v4
	s_waitcnt lgkmcnt(1)
	ds_bpermute_b32 v4, v5, v1
	ds_bpermute_b32 v5, v5, v2
	v_cmp_eq_u32_e64 s3, 1, v11
	s_waitcnt lgkmcnt(2)
	v_and_b32_e32 v9, 1, v8
	s_waitcnt lgkmcnt(0)
	v_cmp_lt_i64_e64 s2, v[4:5], v[1:2]
	s_delay_alu instid0(VALU_DEP_2) | instskip(SKIP_2) | instid1(VALU_DEP_4)
	v_cmp_eq_u32_e32 vcc_lo, 1, v9
	v_lshlrev_b32_e32 v9, 1, v10
	v_cndmask_b32_e64 v7, v7, 1, vcc_lo
	s_and_b32 vcc_lo, vcc_lo, s2
	v_dual_cndmask_b32 v1, v1, v4 :: v_dual_cndmask_b32 v2, v2, v5
	s_delay_alu instid0(VALU_DEP_2) | instskip(SKIP_2) | instid1(VALU_DEP_4)
	v_cndmask_b32_e64 v7, v8, v7, s3
	v_add_lshl_u32 v8, v9, v3, 2
	v_cmp_gt_u32_e32 vcc_lo, 4, v6
	v_cndmask_b32_e64 v1, v4, v1, s3
	v_cndmask_b32_e64 v2, v5, v2, s3
	v_and_b32_e32 v9, 0xff, v7
	v_and_b32_e32 v10, 1, v7
	v_cndmask_b32_e64 v6, 0, 1, vcc_lo
	ds_bpermute_b32 v4, v8, v1
	ds_bpermute_b32 v5, v8, v2
	;; [unrolled: 1-line block ×3, first 2 shown]
	v_cmp_eq_u32_e64 s3, 1, v10
	s_waitcnt lgkmcnt(1)
	v_cmp_lt_i64_e64 s2, v[4:5], v[1:2]
	s_waitcnt lgkmcnt(0)
	v_and_b32_e32 v8, 1, v9
	s_delay_alu instid0(VALU_DEP_1) | instskip(SKIP_1) | instid1(VALU_DEP_4)
	v_cmp_eq_u32_e32 vcc_lo, 1, v8
	v_cndmask_b32_e64 v7, v7, 1, vcc_lo
	s_and_b32 vcc_lo, vcc_lo, s2
	v_dual_cndmask_b32 v1, v1, v4 :: v_dual_cndmask_b32 v2, v2, v5
	s_delay_alu instid0(VALU_DEP_2) | instskip(NEXT) | instid1(VALU_DEP_2)
	v_cndmask_b32_e64 v7, v9, v7, s3
	v_cndmask_b32_e64 v1, v4, v1, s3
	v_lshlrev_b32_e32 v6, 2, v6
	s_delay_alu instid0(VALU_DEP_4) | instskip(NEXT) | instid1(VALU_DEP_2)
	v_cndmask_b32_e64 v2, v5, v2, s3
	v_add_lshl_u32 v6, v6, v3, 2
	v_and_b32_e32 v3, 0xff, v7
	ds_bpermute_b32 v4, v6, v2
	ds_bpermute_b32 v5, v6, v3
	;; [unrolled: 1-line block ×3, first 2 shown]
	s_waitcnt lgkmcnt(1)
	v_and_b32_e32 v6, 1, v5
	s_waitcnt lgkmcnt(0)
	v_cmp_lt_i64_e32 vcc_lo, v[3:4], v[1:2]
	s_delay_alu instid0(VALU_DEP_2) | instskip(SKIP_1) | instid1(VALU_DEP_2)
	v_cmp_eq_u32_e64 s2, 1, v6
	v_and_b32_e32 v6, 1, v7
	v_cndmask_b32_e64 v7, v7, 1, s2
	s_and_b32 vcc_lo, s2, vcc_lo
	s_delay_alu instid0(VALU_DEP_2) | instskip(SKIP_1) | instid1(VALU_DEP_2)
	v_cmp_eq_u32_e64 s2, 1, v6
	v_dual_cndmask_b32 v1, v1, v3 :: v_dual_cndmask_b32 v2, v2, v4
	v_cndmask_b32_e64 v5, v5, v7, s2
	s_delay_alu instid0(VALU_DEP_2) | instskip(NEXT) | instid1(VALU_DEP_3)
	v_cndmask_b32_e64 v1, v3, v1, s2
	v_cndmask_b32_e64 v2, v4, v2, s2
	s_delay_alu instid0(VALU_DEP_3)
	v_and_b32_e32 v6, 0xff, v5
.LBB770_38:
	s_or_b32 exec_lo, exec_lo, s4
	s_branch .LBB770_124
.LBB770_39:
                                        ; implicit-def: $vgpr3_vgpr4
                                        ; implicit-def: $vgpr5
	s_branch .LBB770_200
.LBB770_40:
                                        ; implicit-def: $vgpr1_vgpr2
                                        ; implicit-def: $vgpr6
	s_cbranch_execz .LBB770_85
; %bb.41:
	v_mov_b32_e32 v9, 0
	v_dual_mov_b32 v10, 0 :: v_dual_mov_b32 v21, 0
	s_delay_alu instid0(VALU_DEP_2) | instskip(SKIP_2) | instid1(VALU_DEP_3)
	v_mov_b32_e32 v1, v9
	v_mov_b32_e32 v17, 0
	s_sub_i32 s26, s14, s26
	v_mov_b32_e32 v2, v10
	s_mov_b32 s2, exec_lo
	v_cmpx_gt_u32_e64 s26, v0
	s_cbranch_execz .LBB770_43
; %bb.42:
	v_lshlrev_b32_e32 v1, 3, v0
	s_clause 0x1
	global_load_b64 v[3:4], v1, s[22:23]
	global_load_b64 v[5:6], v1, s[24:25]
	v_add_co_u32 v1, s3, s27, v0
	s_delay_alu instid0(VALU_DEP_1)
	v_add_co_ci_u32_e64 v2, null, s30, 0, s3
	s_waitcnt vmcnt(0)
	v_cmp_neq_f64_e32 vcc_lo, v[3:4], v[5:6]
	v_cndmask_b32_e64 v17, 0, 1, vcc_lo
.LBB770_43:
	s_or_b32 exec_lo, exec_lo, s2
	v_or_b32_e32 v3, 0x100, v0
	s_delay_alu instid0(VALU_DEP_1) | instskip(NEXT) | instid1(VALU_DEP_1)
	v_cmp_gt_u32_e64 s7, s26, v3
	s_and_saveexec_b32 s2, s7
	s_cbranch_execz .LBB770_45
; %bb.44:
	v_lshlrev_b32_e32 v6, 3, v0
	v_add_co_u32 v9, s3, s27, v3
	s_delay_alu instid0(VALU_DEP_1)
	v_add_co_ci_u32_e64 v10, null, s30, 0, s3
	s_clause 0x1
	global_load_b64 v[4:5], v6, s[22:23] offset:2048
	global_load_b64 v[6:7], v6, s[24:25] offset:2048
	s_waitcnt vmcnt(0)
	v_cmp_neq_f64_e32 vcc_lo, v[4:5], v[6:7]
	v_cndmask_b32_e64 v21, 0, 1, vcc_lo
.LBB770_45:
	s_or_b32 exec_lo, exec_lo, s2
	v_dual_mov_b32 v7, 0 :: v_dual_mov_b32 v20, 0
	v_mov_b32_e32 v8, 0
	v_or_b32_e32 v3, 0x200, v0
	v_mov_b32_e32 v24, 0
	s_delay_alu instid0(VALU_DEP_3) | instskip(NEXT) | instid1(VALU_DEP_3)
	v_dual_mov_b32 v16, v8 :: v_dual_mov_b32 v15, v7
	v_cmp_gt_u32_e64 s6, s26, v3
	s_delay_alu instid0(VALU_DEP_1)
	s_and_saveexec_b32 s2, s6
	s_cbranch_execz .LBB770_47
; %bb.46:
	v_lshlrev_b32_e32 v6, 3, v3
	v_add_co_u32 v15, s3, s27, v3
	s_delay_alu instid0(VALU_DEP_1)
	v_add_co_ci_u32_e64 v16, null, s30, 0, s3
	s_clause 0x1
	global_load_b64 v[4:5], v6, s[22:23]
	global_load_b64 v[11:12], v6, s[24:25]
	s_waitcnt vmcnt(0)
	v_cmp_neq_f64_e32 vcc_lo, v[4:5], v[11:12]
	v_cndmask_b32_e64 v24, 0, 1, vcc_lo
.LBB770_47:
	s_or_b32 exec_lo, exec_lo, s2
	v_or_b32_e32 v3, 0x300, v0
	s_delay_alu instid0(VALU_DEP_1) | instskip(NEXT) | instid1(VALU_DEP_1)
	v_cmp_gt_u32_e64 s5, s26, v3
	s_and_saveexec_b32 s2, s5
	s_cbranch_execz .LBB770_49
; %bb.48:
	v_lshlrev_b32_e32 v6, 3, v3
	v_add_co_u32 v7, s3, s27, v3
	s_delay_alu instid0(VALU_DEP_1)
	v_add_co_ci_u32_e64 v8, null, s30, 0, s3
	s_clause 0x1
	global_load_b64 v[4:5], v6, s[22:23]
	global_load_b64 v[11:12], v6, s[24:25]
	s_waitcnt vmcnt(0)
	v_cmp_neq_f64_e32 vcc_lo, v[4:5], v[11:12]
	v_cndmask_b32_e64 v20, 0, 1, vcc_lo
.LBB770_49:
	s_or_b32 exec_lo, exec_lo, s2
	v_mov_b32_e32 v5, 0
	v_dual_mov_b32 v6, 0 :: v_dual_mov_b32 v19, 0
	v_or_b32_e32 v3, 0x400, v0
	s_delay_alu instid0(VALU_DEP_2) | instskip(NEXT) | instid1(VALU_DEP_4)
	v_dual_mov_b32 v23, 0 :: v_dual_mov_b32 v14, v6
	v_mov_b32_e32 v13, v5
	s_delay_alu instid0(VALU_DEP_3) | instskip(NEXT) | instid1(VALU_DEP_1)
	v_cmp_gt_u32_e64 s4, s26, v3
	s_and_saveexec_b32 s2, s4
	s_cbranch_execz .LBB770_51
; %bb.50:
	v_lshlrev_b32_e32 v4, 3, v3
	v_add_co_u32 v13, s3, s27, v3
	s_delay_alu instid0(VALU_DEP_1)
	v_add_co_ci_u32_e64 v14, null, s30, 0, s3
	s_clause 0x1
	global_load_b64 v[11:12], v4, s[22:23]
	global_load_b64 v[22:23], v4, s[24:25]
	s_waitcnt vmcnt(0)
	v_cmp_neq_f64_e32 vcc_lo, v[11:12], v[22:23]
	v_cndmask_b32_e64 v23, 0, 1, vcc_lo
.LBB770_51:
	s_or_b32 exec_lo, exec_lo, s2
	v_or_b32_e32 v3, 0x500, v0
	s_delay_alu instid0(VALU_DEP_1) | instskip(NEXT) | instid1(VALU_DEP_1)
	v_cmp_gt_u32_e64 s3, s26, v3
	s_and_saveexec_b32 s2, s3
	s_cbranch_execz .LBB770_53
; %bb.52:
	v_lshlrev_b32_e32 v4, 3, v3
	v_add_co_u32 v5, s8, s27, v3
	s_delay_alu instid0(VALU_DEP_1)
	v_add_co_ci_u32_e64 v6, null, s30, 0, s8
	s_clause 0x1
	global_load_b64 v[11:12], v4, s[22:23]
	global_load_b64 v[18:19], v4, s[24:25]
	s_waitcnt vmcnt(0)
	v_cmp_neq_f64_e32 vcc_lo, v[11:12], v[18:19]
	v_cndmask_b32_e64 v19, 0, 1, vcc_lo
.LBB770_53:
	s_or_b32 exec_lo, exec_lo, s2
	v_dual_mov_b32 v3, 0 :: v_dual_mov_b32 v18, 0
	v_mov_b32_e32 v4, 0
	v_or_b32_e32 v25, 0x600, v0
	v_mov_b32_e32 v22, 0
	s_delay_alu instid0(VALU_DEP_3) | instskip(NEXT) | instid1(VALU_DEP_3)
	v_dual_mov_b32 v12, v4 :: v_dual_mov_b32 v11, v3
	v_cmp_gt_u32_e64 s2, s26, v25
	s_delay_alu instid0(VALU_DEP_1)
	s_and_saveexec_b32 s8, s2
	s_cbranch_execz .LBB770_55
; %bb.54:
	v_lshlrev_b32_e32 v11, 3, v25
	s_clause 0x1
	global_load_b64 v[26:27], v11, s[22:23]
	global_load_b64 v[28:29], v11, s[24:25]
	v_add_co_u32 v11, s31, s27, v25
	s_delay_alu instid0(VALU_DEP_1)
	v_add_co_ci_u32_e64 v12, null, s30, 0, s31
	s_waitcnt vmcnt(0)
	v_cmp_neq_f64_e32 vcc_lo, v[26:27], v[28:29]
	v_cndmask_b32_e64 v22, 0, 1, vcc_lo
.LBB770_55:
	s_or_b32 exec_lo, exec_lo, s8
	v_or_b32_e32 v25, 0x700, v0
	s_delay_alu instid0(VALU_DEP_1)
	v_cmp_gt_u32_e32 vcc_lo, s26, v25
	s_and_saveexec_b32 s31, vcc_lo
	s_cbranch_execnz .LBB770_232
; %bb.56:
	s_or_b32 exec_lo, exec_lo, s31
	s_and_saveexec_b32 s22, s7
	s_cbranch_execnz .LBB770_233
.LBB770_57:
	s_or_b32 exec_lo, exec_lo, s22
	s_and_saveexec_b32 s8, s6
	s_cbranch_execnz .LBB770_234
.LBB770_58:
	s_or_b32 exec_lo, exec_lo, s8
	s_and_saveexec_b32 s7, s5
	s_cbranch_execnz .LBB770_235
.LBB770_59:
	s_or_b32 exec_lo, exec_lo, s7
	s_and_saveexec_b32 s6, s4
	s_cbranch_execnz .LBB770_236
.LBB770_60:
	s_or_b32 exec_lo, exec_lo, s6
	s_and_saveexec_b32 s5, s3
	s_cbranch_execnz .LBB770_237
.LBB770_61:
	s_or_b32 exec_lo, exec_lo, s5
	s_and_saveexec_b32 s4, s2
	s_cbranch_execnz .LBB770_238
.LBB770_62:
	s_or_b32 exec_lo, exec_lo, s4
	s_and_saveexec_b32 s3, vcc_lo
.LBB770_63:
	v_and_b32_e32 v5, 1, v18
	v_cmp_lt_i64_e32 vcc_lo, v[3:4], v[1:2]
	s_delay_alu instid0(VALU_DEP_2) | instskip(NEXT) | instid1(VALU_DEP_1)
	v_cmp_eq_u32_e64 s2, 1, v5
	s_and_b32 vcc_lo, s2, vcc_lo
	v_cndmask_b32_e64 v6, v17, 1, s2
	v_dual_cndmask_b32 v2, v2, v4 :: v_dual_and_b32 v5, 1, v17
	v_cndmask_b32_e32 v1, v1, v3, vcc_lo
	s_delay_alu instid0(VALU_DEP_2) | instskip(NEXT) | instid1(VALU_DEP_3)
	v_cmp_eq_u32_e32 vcc_lo, 1, v5
	v_cndmask_b32_e32 v2, v4, v2, vcc_lo
	v_cndmask_b32_e32 v17, v18, v6, vcc_lo
	s_delay_alu instid0(VALU_DEP_4)
	v_cndmask_b32_e32 v1, v3, v1, vcc_lo
.LBB770_64:
	s_or_b32 exec_lo, exec_lo, s3
	v_mbcnt_lo_u32_b32 v5, -1, 0
	v_and_b32_e32 v7, 0xe0, v0
	s_min_u32 s3, s26, 0x100
	v_and_b32_e32 v6, 0xffff, v17
	s_delay_alu instid0(VALU_DEP_3) | instskip(NEXT) | instid1(VALU_DEP_3)
	v_cmp_ne_u32_e32 vcc_lo, 31, v5
	v_sub_nc_u32_e64 v8, s3, v7 clamp
	v_add_nc_u32_e32 v7, 1, v5
	v_add_co_ci_u32_e32 v3, vcc_lo, 0, v5, vcc_lo
	s_delay_alu instid0(VALU_DEP_2) | instskip(NEXT) | instid1(VALU_DEP_2)
	v_cmp_lt_u32_e32 vcc_lo, v7, v8
	v_dual_mov_b32 v7, v6 :: v_dual_lshlrev_b32 v4, 2, v3
	ds_bpermute_b32 v9, v4, v6
	ds_bpermute_b32 v3, v4, v1
	;; [unrolled: 1-line block ×3, first 2 shown]
	s_and_saveexec_b32 s2, vcc_lo
	s_delay_alu instid0(SALU_CYCLE_1)
	s_xor_b32 s4, exec_lo, s2
	s_cbranch_execz .LBB770_66
; %bb.65:
	s_waitcnt lgkmcnt(2)
	v_and_b32_e32 v7, 1, v9
	s_waitcnt lgkmcnt(0)
	v_cmp_lt_i64_e32 vcc_lo, v[3:4], v[1:2]
	s_delay_alu instid0(VALU_DEP_2) | instskip(SKIP_1) | instid1(VALU_DEP_2)
	v_cmp_eq_u32_e64 s2, 1, v7
	v_and_b32_e32 v7, 1, v17
	v_cndmask_b32_e64 v6, v6, 1, s2
	s_and_b32 vcc_lo, s2, vcc_lo
	s_delay_alu instid0(VALU_DEP_2) | instskip(SKIP_1) | instid1(VALU_DEP_2)
	v_cmp_eq_u32_e64 s2, 1, v7
	v_dual_cndmask_b32 v2, v2, v4 :: v_dual_cndmask_b32 v1, v1, v3
	v_cndmask_b32_e64 v7, v9, v6, s2
	s_delay_alu instid0(VALU_DEP_2) | instskip(NEXT) | instid1(VALU_DEP_3)
	v_cndmask_b32_e64 v2, v4, v2, s2
	v_cndmask_b32_e64 v1, v3, v1, s2
	s_delay_alu instid0(VALU_DEP_3)
	v_and_b32_e32 v6, 0xff, v7
.LBB770_66:
	s_or_b32 exec_lo, exec_lo, s4
	v_cmp_gt_u32_e32 vcc_lo, 30, v5
	v_add_nc_u32_e32 v10, 2, v5
	s_mov_b32 s4, exec_lo
	s_waitcnt lgkmcnt(1)
	v_cndmask_b32_e64 v3, 0, 1, vcc_lo
	s_delay_alu instid0(VALU_DEP_1) | instskip(SKIP_1) | instid1(VALU_DEP_1)
	v_lshlrev_b32_e32 v3, 1, v3
	s_waitcnt lgkmcnt(0)
	v_add_lshl_u32 v4, v3, v5, 2
	ds_bpermute_b32 v9, v4, v6
	ds_bpermute_b32 v3, v4, v1
	ds_bpermute_b32 v4, v4, v2
	v_cmpx_lt_u32_e64 v10, v8
	s_cbranch_execz .LBB770_68
; %bb.67:
	s_waitcnt lgkmcnt(2)
	v_and_b32_e32 v6, 1, v9
	s_waitcnt lgkmcnt(0)
	v_cmp_lt_i64_e32 vcc_lo, v[3:4], v[1:2]
	s_delay_alu instid0(VALU_DEP_2) | instskip(SKIP_1) | instid1(VALU_DEP_2)
	v_cmp_eq_u32_e64 s2, 1, v6
	v_and_b32_e32 v6, 1, v7
	v_cndmask_b32_e64 v7, v7, 1, s2
	s_and_b32 vcc_lo, s2, vcc_lo
	s_delay_alu instid0(VALU_DEP_2) | instskip(SKIP_1) | instid1(VALU_DEP_2)
	v_cmp_eq_u32_e64 s2, 1, v6
	v_dual_cndmask_b32 v1, v1, v3 :: v_dual_cndmask_b32 v2, v2, v4
	v_cndmask_b32_e64 v7, v9, v7, s2
	s_delay_alu instid0(VALU_DEP_2) | instskip(NEXT) | instid1(VALU_DEP_3)
	v_cndmask_b32_e64 v1, v3, v1, s2
	v_cndmask_b32_e64 v2, v4, v2, s2
	s_delay_alu instid0(VALU_DEP_3)
	v_and_b32_e32 v6, 0xff, v7
.LBB770_68:
	s_or_b32 exec_lo, exec_lo, s4
	v_cmp_gt_u32_e32 vcc_lo, 28, v5
	v_add_nc_u32_e32 v10, 4, v5
	s_mov_b32 s4, exec_lo
	s_waitcnt lgkmcnt(1)
	v_cndmask_b32_e64 v3, 0, 1, vcc_lo
	s_delay_alu instid0(VALU_DEP_1) | instskip(SKIP_1) | instid1(VALU_DEP_1)
	v_lshlrev_b32_e32 v3, 2, v3
	s_waitcnt lgkmcnt(0)
	v_add_lshl_u32 v4, v3, v5, 2
	ds_bpermute_b32 v9, v4, v6
	ds_bpermute_b32 v3, v4, v1
	ds_bpermute_b32 v4, v4, v2
	v_cmpx_lt_u32_e64 v10, v8
	;; [unrolled: 35-line block ×4, first 2 shown]
	s_cbranch_execz .LBB770_74
; %bb.73:
	s_waitcnt lgkmcnt(2)
	v_and_b32_e32 v6, 1, v9
	s_waitcnt lgkmcnt(0)
	v_cmp_lt_i64_e32 vcc_lo, v[3:4], v[1:2]
	s_delay_alu instid0(VALU_DEP_2) | instskip(SKIP_1) | instid1(VALU_DEP_2)
	v_cmp_eq_u32_e64 s2, 1, v6
	v_and_b32_e32 v6, 1, v7
	v_cndmask_b32_e64 v7, v7, 1, s2
	s_and_b32 vcc_lo, s2, vcc_lo
	s_delay_alu instid0(VALU_DEP_2) | instskip(SKIP_1) | instid1(VALU_DEP_2)
	v_cmp_eq_u32_e64 s2, 1, v6
	v_dual_cndmask_b32 v1, v1, v3 :: v_dual_cndmask_b32 v2, v2, v4
	v_cndmask_b32_e64 v7, v9, v7, s2
	s_delay_alu instid0(VALU_DEP_2) | instskip(NEXT) | instid1(VALU_DEP_3)
	v_cndmask_b32_e64 v1, v3, v1, s2
	v_cndmask_b32_e64 v2, v4, v2, s2
	s_delay_alu instid0(VALU_DEP_3)
	v_and_b32_e32 v6, 0xff, v7
.LBB770_74:
	s_or_b32 exec_lo, exec_lo, s4
	s_delay_alu instid0(SALU_CYCLE_1)
	s_mov_b32 s2, exec_lo
	v_cmpx_eq_u32_e32 0, v5
	s_cbranch_execz .LBB770_76
; %bb.75:
	s_waitcnt lgkmcnt(1)
	v_lshrrev_b32_e32 v3, 1, v0
	s_delay_alu instid0(VALU_DEP_1)
	v_and_b32_e32 v3, 0x70, v3
	ds_store_b8 v3, v7 offset:512
	ds_store_b64 v3, v[1:2] offset:520
.LBB770_76:
	s_or_b32 exec_lo, exec_lo, s2
	s_delay_alu instid0(SALU_CYCLE_1)
	s_mov_b32 s4, exec_lo
	s_waitcnt lgkmcnt(0)
	s_barrier
	buffer_gl0_inv
	v_cmpx_gt_u32_e32 8, v0
	s_cbranch_execz .LBB770_84
; %bb.77:
	v_lshlrev_b32_e32 v1, 4, v5
	v_and_b32_e32 v8, 7, v5
	s_add_i32 s3, s3, 31
	s_mov_b32 s5, exec_lo
	s_lshr_b32 s3, s3, 5
	ds_load_u8 v7, v1 offset:512
	ds_load_b64 v[1:2], v1 offset:520
	v_cmp_ne_u32_e32 vcc_lo, 7, v8
	v_add_nc_u32_e32 v10, 1, v8
	v_add_co_ci_u32_e32 v3, vcc_lo, 0, v5, vcc_lo
	s_delay_alu instid0(VALU_DEP_1)
	v_lshlrev_b32_e32 v4, 2, v3
	s_waitcnt lgkmcnt(1)
	v_and_b32_e32 v6, 0xff, v7
	s_waitcnt lgkmcnt(0)
	ds_bpermute_b32 v3, v4, v1
	ds_bpermute_b32 v9, v4, v6
	;; [unrolled: 1-line block ×3, first 2 shown]
	v_cmpx_gt_u32_e64 s3, v10
	s_cbranch_execz .LBB770_79
; %bb.78:
	s_waitcnt lgkmcnt(1)
	v_and_b32_e32 v6, 1, v9
	s_waitcnt lgkmcnt(0)
	v_cmp_lt_i64_e32 vcc_lo, v[3:4], v[1:2]
	s_delay_alu instid0(VALU_DEP_2) | instskip(SKIP_1) | instid1(VALU_DEP_2)
	v_cmp_eq_u32_e64 s2, 1, v6
	v_and_b32_e32 v6, 1, v7
	v_cndmask_b32_e64 v7, v7, 1, s2
	s_and_b32 vcc_lo, s2, vcc_lo
	s_delay_alu instid0(VALU_DEP_2) | instskip(SKIP_1) | instid1(VALU_DEP_2)
	v_cmp_eq_u32_e64 s2, 1, v6
	v_dual_cndmask_b32 v1, v1, v3 :: v_dual_cndmask_b32 v2, v2, v4
	v_cndmask_b32_e64 v7, v9, v7, s2
	s_delay_alu instid0(VALU_DEP_2) | instskip(NEXT) | instid1(VALU_DEP_3)
	v_cndmask_b32_e64 v1, v3, v1, s2
	v_cndmask_b32_e64 v2, v4, v2, s2
	s_delay_alu instid0(VALU_DEP_3)
	v_and_b32_e32 v6, 0xff, v7
.LBB770_79:
	s_or_b32 exec_lo, exec_lo, s5
	v_cmp_gt_u32_e32 vcc_lo, 6, v8
	v_add_nc_u32_e32 v10, 2, v8
	s_mov_b32 s5, exec_lo
	s_waitcnt lgkmcnt(2)
	v_cndmask_b32_e64 v3, 0, 1, vcc_lo
	s_delay_alu instid0(VALU_DEP_1) | instskip(SKIP_1) | instid1(VALU_DEP_1)
	v_lshlrev_b32_e32 v3, 1, v3
	s_waitcnt lgkmcnt(0)
	v_add_lshl_u32 v4, v3, v5, 2
	ds_bpermute_b32 v9, v4, v6
	ds_bpermute_b32 v3, v4, v1
	;; [unrolled: 1-line block ×3, first 2 shown]
	v_cmpx_gt_u32_e64 s3, v10
	s_cbranch_execz .LBB770_81
; %bb.80:
	s_waitcnt lgkmcnt(2)
	v_and_b32_e32 v6, 1, v9
	s_waitcnt lgkmcnt(0)
	v_cmp_lt_i64_e32 vcc_lo, v[3:4], v[1:2]
	s_delay_alu instid0(VALU_DEP_2) | instskip(SKIP_1) | instid1(VALU_DEP_2)
	v_cmp_eq_u32_e64 s2, 1, v6
	v_and_b32_e32 v6, 1, v7
	v_cndmask_b32_e64 v7, v7, 1, s2
	s_and_b32 vcc_lo, s2, vcc_lo
	s_delay_alu instid0(VALU_DEP_2) | instskip(SKIP_1) | instid1(VALU_DEP_2)
	v_cmp_eq_u32_e64 s2, 1, v6
	v_dual_cndmask_b32 v1, v1, v3 :: v_dual_cndmask_b32 v2, v2, v4
	v_cndmask_b32_e64 v7, v9, v7, s2
	s_delay_alu instid0(VALU_DEP_2) | instskip(NEXT) | instid1(VALU_DEP_3)
	v_cndmask_b32_e64 v1, v3, v1, s2
	v_cndmask_b32_e64 v2, v4, v2, s2
	s_delay_alu instid0(VALU_DEP_3)
	v_and_b32_e32 v6, 0xff, v7
.LBB770_81:
	s_or_b32 exec_lo, exec_lo, s5
	v_cmp_gt_u32_e32 vcc_lo, 4, v8
	v_add_nc_u32_e32 v8, 4, v8
	s_waitcnt lgkmcnt(1)
	v_cndmask_b32_e64 v3, 0, 1, vcc_lo
	s_delay_alu instid0(VALU_DEP_2) | instskip(NEXT) | instid1(VALU_DEP_2)
	v_cmp_gt_u32_e32 vcc_lo, s3, v8
	v_lshlrev_b32_e32 v3, 2, v3
	s_waitcnt lgkmcnt(0)
	s_delay_alu instid0(VALU_DEP_1)
	v_add_lshl_u32 v4, v3, v5, 2
	ds_bpermute_b32 v5, v4, v6
	ds_bpermute_b32 v3, v4, v1
	;; [unrolled: 1-line block ×3, first 2 shown]
	s_and_saveexec_b32 s3, vcc_lo
	s_cbranch_execz .LBB770_83
; %bb.82:
	s_waitcnt lgkmcnt(2)
	v_and_b32_e32 v6, 1, v5
	s_waitcnt lgkmcnt(0)
	v_cmp_lt_i64_e32 vcc_lo, v[3:4], v[1:2]
	s_delay_alu instid0(VALU_DEP_2) | instskip(SKIP_1) | instid1(VALU_DEP_2)
	v_cmp_eq_u32_e64 s2, 1, v6
	v_and_b32_e32 v6, 1, v7
	v_cndmask_b32_e64 v7, v7, 1, s2
	s_and_b32 vcc_lo, s2, vcc_lo
	s_delay_alu instid0(VALU_DEP_2) | instskip(SKIP_1) | instid1(VALU_DEP_2)
	v_cmp_eq_u32_e64 s2, 1, v6
	v_dual_cndmask_b32 v1, v1, v3 :: v_dual_cndmask_b32 v2, v2, v4
	v_cndmask_b32_e64 v5, v5, v7, s2
	s_delay_alu instid0(VALU_DEP_2) | instskip(NEXT) | instid1(VALU_DEP_3)
	v_cndmask_b32_e64 v1, v3, v1, s2
	v_cndmask_b32_e64 v2, v4, v2, s2
	s_delay_alu instid0(VALU_DEP_3)
	v_and_b32_e32 v6, 0xff, v5
.LBB770_83:
	s_or_b32 exec_lo, exec_lo, s3
.LBB770_84:
	s_delay_alu instid0(SALU_CYCLE_1)
	s_or_b32 exec_lo, exec_lo, s4
.LBB770_85:
	s_mov_b32 s24, 0
                                        ; implicit-def: $vgpr3_vgpr4
                                        ; implicit-def: $vgpr5
	s_mov_b32 s2, exec_lo
	v_cmpx_eq_u32_e32 0, v0
	s_xor_b32 s4, exec_lo, s2
	s_cbranch_execz .LBB770_89
; %bb.86:
	s_waitcnt lgkmcnt(0)
	v_dual_mov_b32 v3, s20 :: v_dual_mov_b32 v4, s21
	v_mov_b32_e32 v5, s28
	s_cmp_eq_u64 s[14:15], 0
	s_cbranch_scc1 .LBB770_88
; %bb.87:
	v_and_b32_e32 v3, 1, v6
	v_cmp_gt_i64_e32 vcc_lo, s[20:21], v[1:2]
	s_bitcmp1_b32 s28, 0
	s_cselect_b32 s3, -1, 0
	s_delay_alu instid0(VALU_DEP_2) | instskip(NEXT) | instid1(VALU_DEP_1)
	v_cmp_eq_u32_e64 s2, 1, v3
	s_and_b32 vcc_lo, s2, vcc_lo
	v_cndmask_b32_e64 v3, s28, 1, s2
	v_cndmask_b32_e32 v7, s20, v1, vcc_lo
	v_cndmask_b32_e32 v4, s21, v2, vcc_lo
	s_delay_alu instid0(VALU_DEP_3) | instskip(NEXT) | instid1(VALU_DEP_3)
	v_cndmask_b32_e64 v5, v6, v3, s3
	v_cndmask_b32_e64 v3, v1, v7, s3
	s_delay_alu instid0(VALU_DEP_3)
	v_cndmask_b32_e64 v4, v2, v4, s3
.LBB770_88:
	s_mov_b32 s24, exec_lo
.LBB770_89:
	s_or_b32 exec_lo, exec_lo, s4
	s_delay_alu instid0(SALU_CYCLE_1)
	s_and_b32 vcc_lo, exec_lo, s9
	s_cbranch_vccnz .LBB770_22
.LBB770_90:
	s_branch .LBB770_200
.LBB770_91:
                                        ; implicit-def: $vgpr1_vgpr2
                                        ; implicit-def: $vgpr6
	s_cbranch_execz .LBB770_124
; %bb.92:
	s_waitcnt lgkmcnt(2)
	v_mov_b32_e32 v5, 0
	v_dual_mov_b32 v6, 0 :: v_dual_mov_b32 v11, 0
	s_delay_alu instid0(VALU_DEP_2) | instskip(SKIP_2) | instid1(VALU_DEP_3)
	v_mov_b32_e32 v1, v5
	v_mov_b32_e32 v9, 0
	s_sub_i32 s22, s14, s22
	v_mov_b32_e32 v2, v6
	s_mov_b32 s2, exec_lo
	v_cmpx_gt_u32_e64 s22, v0
	s_cbranch_execz .LBB770_94
; %bb.93:
	v_lshlrev_b32_e32 v1, 3, v0
	s_waitcnt lgkmcnt(0)
	s_clause 0x1
	global_load_b64 v[3:4], v1, s[6:7]
	global_load_b64 v[7:8], v1, s[8:9]
	v_add_co_u32 v1, s3, s5, v0
	s_delay_alu instid0(VALU_DEP_1)
	v_add_co_ci_u32_e64 v2, null, s23, 0, s3
	s_waitcnt vmcnt(0)
	v_cmp_neq_f64_e32 vcc_lo, v[3:4], v[7:8]
	v_cndmask_b32_e64 v9, 0, 1, vcc_lo
.LBB770_94:
	s_or_b32 exec_lo, exec_lo, s2
	s_waitcnt lgkmcnt(1)
	v_or_b32_e32 v3, 0x100, v0
	s_delay_alu instid0(VALU_DEP_1) | instskip(NEXT) | instid1(VALU_DEP_1)
	v_cmp_gt_u32_e64 s3, s22, v3
	s_and_saveexec_b32 s2, s3
	s_cbranch_execz .LBB770_96
; %bb.95:
	s_waitcnt lgkmcnt(0)
	v_lshlrev_b32_e32 v4, 3, v0
	v_add_co_u32 v5, s4, s5, v3
	s_delay_alu instid0(VALU_DEP_1)
	v_add_co_ci_u32_e64 v6, null, s23, 0, s4
	s_clause 0x1
	global_load_b64 v[7:8], v4, s[6:7] offset:2048
	global_load_b64 v[10:11], v4, s[8:9] offset:2048
	s_waitcnt vmcnt(0)
	v_cmp_neq_f64_e32 vcc_lo, v[7:8], v[10:11]
	v_cndmask_b32_e64 v11, 0, 1, vcc_lo
.LBB770_96:
	s_or_b32 exec_lo, exec_lo, s2
	s_waitcnt lgkmcnt(0)
	v_dual_mov_b32 v3, 0 :: v_dual_mov_b32 v10, 0
	v_mov_b32_e32 v4, 0
	v_or_b32_e32 v13, 0x200, v0
	v_mov_b32_e32 v12, 0
	s_delay_alu instid0(VALU_DEP_3) | instskip(NEXT) | instid1(VALU_DEP_3)
	v_dual_mov_b32 v8, v4 :: v_dual_mov_b32 v7, v3
	v_cmp_gt_u32_e64 s2, s22, v13
	s_delay_alu instid0(VALU_DEP_1)
	s_and_saveexec_b32 s4, s2
	s_cbranch_execz .LBB770_98
; %bb.97:
	v_lshlrev_b32_e32 v7, 3, v13
	s_clause 0x1
	global_load_b64 v[14:15], v7, s[6:7]
	global_load_b64 v[16:17], v7, s[8:9]
	v_add_co_u32 v7, s25, s5, v13
	s_delay_alu instid0(VALU_DEP_1)
	v_add_co_ci_u32_e64 v8, null, s23, 0, s25
	s_waitcnt vmcnt(0)
	v_cmp_neq_f64_e32 vcc_lo, v[14:15], v[16:17]
	v_cndmask_b32_e64 v12, 0, 1, vcc_lo
.LBB770_98:
	s_or_b32 exec_lo, exec_lo, s4
	v_or_b32_e32 v13, 0x300, v0
	s_delay_alu instid0(VALU_DEP_1)
	v_cmp_gt_u32_e32 vcc_lo, s22, v13
	s_and_saveexec_b32 s25, vcc_lo
	s_cbranch_execnz .LBB770_239
; %bb.99:
	s_or_b32 exec_lo, exec_lo, s25
	s_and_saveexec_b32 s5, s3
	s_cbranch_execnz .LBB770_240
.LBB770_100:
	s_or_b32 exec_lo, exec_lo, s5
	s_and_saveexec_b32 s4, s2
	s_cbranch_execnz .LBB770_241
.LBB770_101:
	s_or_b32 exec_lo, exec_lo, s4
	s_and_saveexec_b32 s3, vcc_lo
.LBB770_102:
	v_and_b32_e32 v5, 1, v10
	v_cmp_lt_i64_e32 vcc_lo, v[3:4], v[1:2]
	s_delay_alu instid0(VALU_DEP_2) | instskip(NEXT) | instid1(VALU_DEP_1)
	v_cmp_eq_u32_e64 s2, 1, v5
	s_and_b32 vcc_lo, s2, vcc_lo
	v_cndmask_b32_e64 v6, v9, 1, s2
	v_dual_cndmask_b32 v2, v2, v4 :: v_dual_and_b32 v5, 1, v9
	v_cndmask_b32_e32 v1, v1, v3, vcc_lo
	s_delay_alu instid0(VALU_DEP_2) | instskip(NEXT) | instid1(VALU_DEP_3)
	v_cmp_eq_u32_e32 vcc_lo, 1, v5
	v_cndmask_b32_e32 v2, v4, v2, vcc_lo
	v_cndmask_b32_e32 v9, v10, v6, vcc_lo
	s_delay_alu instid0(VALU_DEP_4)
	v_cndmask_b32_e32 v1, v3, v1, vcc_lo
.LBB770_103:
	s_or_b32 exec_lo, exec_lo, s3
	v_mbcnt_lo_u32_b32 v5, -1, 0
	v_and_b32_e32 v7, 0xe0, v0
	s_min_u32 s3, s22, 0x100
	v_and_b32_e32 v6, 0xffff, v9
	s_delay_alu instid0(VALU_DEP_3) | instskip(NEXT) | instid1(VALU_DEP_3)
	v_cmp_ne_u32_e32 vcc_lo, 31, v5
	v_sub_nc_u32_e64 v8, s3, v7 clamp
	v_add_nc_u32_e32 v7, 1, v5
	v_add_co_ci_u32_e32 v3, vcc_lo, 0, v5, vcc_lo
	s_delay_alu instid0(VALU_DEP_2) | instskip(NEXT) | instid1(VALU_DEP_2)
	v_cmp_lt_u32_e32 vcc_lo, v7, v8
	v_dual_mov_b32 v7, v6 :: v_dual_lshlrev_b32 v4, 2, v3
	ds_bpermute_b32 v10, v4, v6
	ds_bpermute_b32 v3, v4, v1
	;; [unrolled: 1-line block ×3, first 2 shown]
	s_and_saveexec_b32 s2, vcc_lo
	s_delay_alu instid0(SALU_CYCLE_1)
	s_xor_b32 s4, exec_lo, s2
	s_cbranch_execz .LBB770_105
; %bb.104:
	s_waitcnt lgkmcnt(2)
	v_and_b32_e32 v7, 1, v10
	s_waitcnt lgkmcnt(0)
	v_cmp_lt_i64_e32 vcc_lo, v[3:4], v[1:2]
	s_delay_alu instid0(VALU_DEP_2) | instskip(SKIP_1) | instid1(VALU_DEP_2)
	v_cmp_eq_u32_e64 s2, 1, v7
	v_and_b32_e32 v7, 1, v9
	v_cndmask_b32_e64 v6, v6, 1, s2
	s_and_b32 vcc_lo, s2, vcc_lo
	s_delay_alu instid0(VALU_DEP_2) | instskip(SKIP_1) | instid1(VALU_DEP_2)
	v_cmp_eq_u32_e64 s2, 1, v7
	v_dual_cndmask_b32 v2, v2, v4 :: v_dual_cndmask_b32 v1, v1, v3
	v_cndmask_b32_e64 v7, v10, v6, s2
	s_delay_alu instid0(VALU_DEP_2) | instskip(NEXT) | instid1(VALU_DEP_3)
	v_cndmask_b32_e64 v2, v4, v2, s2
	v_cndmask_b32_e64 v1, v3, v1, s2
	s_delay_alu instid0(VALU_DEP_3)
	v_and_b32_e32 v6, 0xff, v7
.LBB770_105:
	s_or_b32 exec_lo, exec_lo, s4
	v_cmp_gt_u32_e32 vcc_lo, 30, v5
	s_waitcnt lgkmcnt(2)
	v_add_nc_u32_e32 v10, 2, v5
	s_mov_b32 s4, exec_lo
	s_waitcnt lgkmcnt(1)
	v_cndmask_b32_e64 v3, 0, 1, vcc_lo
	s_delay_alu instid0(VALU_DEP_1) | instskip(SKIP_1) | instid1(VALU_DEP_1)
	v_lshlrev_b32_e32 v3, 1, v3
	s_waitcnt lgkmcnt(0)
	v_add_lshl_u32 v4, v3, v5, 2
	ds_bpermute_b32 v9, v4, v6
	ds_bpermute_b32 v3, v4, v1
	ds_bpermute_b32 v4, v4, v2
	v_cmpx_lt_u32_e64 v10, v8
	s_cbranch_execz .LBB770_107
; %bb.106:
	s_waitcnt lgkmcnt(2)
	v_and_b32_e32 v6, 1, v9
	s_waitcnt lgkmcnt(0)
	v_cmp_lt_i64_e32 vcc_lo, v[3:4], v[1:2]
	s_delay_alu instid0(VALU_DEP_2) | instskip(SKIP_1) | instid1(VALU_DEP_2)
	v_cmp_eq_u32_e64 s2, 1, v6
	v_and_b32_e32 v6, 1, v7
	v_cndmask_b32_e64 v7, v7, 1, s2
	s_and_b32 vcc_lo, s2, vcc_lo
	s_delay_alu instid0(VALU_DEP_2) | instskip(SKIP_1) | instid1(VALU_DEP_2)
	v_cmp_eq_u32_e64 s2, 1, v6
	v_dual_cndmask_b32 v1, v1, v3 :: v_dual_cndmask_b32 v2, v2, v4
	v_cndmask_b32_e64 v7, v9, v7, s2
	s_delay_alu instid0(VALU_DEP_2) | instskip(NEXT) | instid1(VALU_DEP_3)
	v_cndmask_b32_e64 v1, v3, v1, s2
	v_cndmask_b32_e64 v2, v4, v2, s2
	s_delay_alu instid0(VALU_DEP_3)
	v_and_b32_e32 v6, 0xff, v7
.LBB770_107:
	s_or_b32 exec_lo, exec_lo, s4
	v_cmp_gt_u32_e32 vcc_lo, 28, v5
	v_add_nc_u32_e32 v10, 4, v5
	s_mov_b32 s4, exec_lo
	s_waitcnt lgkmcnt(1)
	v_cndmask_b32_e64 v3, 0, 1, vcc_lo
	s_delay_alu instid0(VALU_DEP_1) | instskip(SKIP_1) | instid1(VALU_DEP_1)
	v_lshlrev_b32_e32 v3, 2, v3
	s_waitcnt lgkmcnt(0)
	v_add_lshl_u32 v4, v3, v5, 2
	ds_bpermute_b32 v9, v4, v6
	ds_bpermute_b32 v3, v4, v1
	ds_bpermute_b32 v4, v4, v2
	v_cmpx_lt_u32_e64 v10, v8
	s_cbranch_execz .LBB770_109
; %bb.108:
	s_waitcnt lgkmcnt(2)
	v_and_b32_e32 v6, 1, v9
	s_waitcnt lgkmcnt(0)
	v_cmp_lt_i64_e32 vcc_lo, v[3:4], v[1:2]
	s_delay_alu instid0(VALU_DEP_2) | instskip(SKIP_1) | instid1(VALU_DEP_2)
	v_cmp_eq_u32_e64 s2, 1, v6
	v_and_b32_e32 v6, 1, v7
	v_cndmask_b32_e64 v7, v7, 1, s2
	s_and_b32 vcc_lo, s2, vcc_lo
	s_delay_alu instid0(VALU_DEP_2) | instskip(SKIP_1) | instid1(VALU_DEP_2)
	v_cmp_eq_u32_e64 s2, 1, v6
	v_dual_cndmask_b32 v1, v1, v3 :: v_dual_cndmask_b32 v2, v2, v4
	v_cndmask_b32_e64 v7, v9, v7, s2
	s_delay_alu instid0(VALU_DEP_2) | instskip(NEXT) | instid1(VALU_DEP_3)
	v_cndmask_b32_e64 v1, v3, v1, s2
	v_cndmask_b32_e64 v2, v4, v2, s2
	s_delay_alu instid0(VALU_DEP_3)
	v_and_b32_e32 v6, 0xff, v7
.LBB770_109:
	s_or_b32 exec_lo, exec_lo, s4
	v_cmp_gt_u32_e32 vcc_lo, 24, v5
	;; [unrolled: 35-line block ×3, first 2 shown]
	v_add_nc_u32_e32 v10, 16, v5
	s_mov_b32 s4, exec_lo
	s_waitcnt lgkmcnt(1)
	v_cndmask_b32_e64 v3, 0, 1, vcc_lo
	s_delay_alu instid0(VALU_DEP_1) | instskip(SKIP_1) | instid1(VALU_DEP_1)
	v_lshlrev_b32_e32 v3, 4, v3
	s_waitcnt lgkmcnt(0)
	v_add_lshl_u32 v4, v3, v5, 2
	ds_bpermute_b32 v9, v4, v6
	ds_bpermute_b32 v3, v4, v1
	;; [unrolled: 1-line block ×3, first 2 shown]
	v_cmpx_lt_u32_e64 v10, v8
	s_cbranch_execz .LBB770_113
; %bb.112:
	s_waitcnt lgkmcnt(2)
	v_and_b32_e32 v6, 1, v9
	s_waitcnt lgkmcnt(0)
	v_cmp_lt_i64_e32 vcc_lo, v[3:4], v[1:2]
	s_delay_alu instid0(VALU_DEP_2) | instskip(SKIP_1) | instid1(VALU_DEP_2)
	v_cmp_eq_u32_e64 s2, 1, v6
	v_and_b32_e32 v6, 1, v7
	v_cndmask_b32_e64 v7, v7, 1, s2
	s_and_b32 vcc_lo, s2, vcc_lo
	s_delay_alu instid0(VALU_DEP_2) | instskip(SKIP_1) | instid1(VALU_DEP_2)
	v_cmp_eq_u32_e64 s2, 1, v6
	v_dual_cndmask_b32 v1, v1, v3 :: v_dual_cndmask_b32 v2, v2, v4
	v_cndmask_b32_e64 v7, v9, v7, s2
	s_delay_alu instid0(VALU_DEP_2) | instskip(NEXT) | instid1(VALU_DEP_3)
	v_cndmask_b32_e64 v1, v3, v1, s2
	v_cndmask_b32_e64 v2, v4, v2, s2
	s_delay_alu instid0(VALU_DEP_3)
	v_and_b32_e32 v6, 0xff, v7
.LBB770_113:
	s_or_b32 exec_lo, exec_lo, s4
	s_delay_alu instid0(SALU_CYCLE_1)
	s_mov_b32 s2, exec_lo
	v_cmpx_eq_u32_e32 0, v5
	s_cbranch_execz .LBB770_115
; %bb.114:
	s_waitcnt lgkmcnt(1)
	v_lshrrev_b32_e32 v3, 1, v0
	s_delay_alu instid0(VALU_DEP_1)
	v_and_b32_e32 v3, 0x70, v3
	ds_store_b8 v3, v7 offset:512
	ds_store_b64 v3, v[1:2] offset:520
.LBB770_115:
	s_or_b32 exec_lo, exec_lo, s2
	s_delay_alu instid0(SALU_CYCLE_1)
	s_mov_b32 s4, exec_lo
	s_waitcnt lgkmcnt(0)
	s_barrier
	buffer_gl0_inv
	v_cmpx_gt_u32_e32 8, v0
	s_cbranch_execz .LBB770_123
; %bb.116:
	v_lshlrev_b32_e32 v1, 4, v5
	v_and_b32_e32 v8, 7, v5
	s_add_i32 s3, s3, 31
	s_mov_b32 s5, exec_lo
	s_lshr_b32 s3, s3, 5
	ds_load_u8 v7, v1 offset:512
	ds_load_b64 v[1:2], v1 offset:520
	v_cmp_ne_u32_e32 vcc_lo, 7, v8
	v_add_nc_u32_e32 v10, 1, v8
	v_add_co_ci_u32_e32 v3, vcc_lo, 0, v5, vcc_lo
	s_delay_alu instid0(VALU_DEP_1)
	v_lshlrev_b32_e32 v4, 2, v3
	s_waitcnt lgkmcnt(1)
	v_and_b32_e32 v6, 0xff, v7
	s_waitcnt lgkmcnt(0)
	ds_bpermute_b32 v3, v4, v1
	ds_bpermute_b32 v9, v4, v6
	;; [unrolled: 1-line block ×3, first 2 shown]
	v_cmpx_gt_u32_e64 s3, v10
	s_cbranch_execz .LBB770_118
; %bb.117:
	s_waitcnt lgkmcnt(1)
	v_and_b32_e32 v6, 1, v9
	s_waitcnt lgkmcnt(0)
	v_cmp_lt_i64_e32 vcc_lo, v[3:4], v[1:2]
	s_delay_alu instid0(VALU_DEP_2) | instskip(SKIP_1) | instid1(VALU_DEP_2)
	v_cmp_eq_u32_e64 s2, 1, v6
	v_and_b32_e32 v6, 1, v7
	v_cndmask_b32_e64 v7, v7, 1, s2
	s_and_b32 vcc_lo, s2, vcc_lo
	s_delay_alu instid0(VALU_DEP_2) | instskip(SKIP_1) | instid1(VALU_DEP_2)
	v_cmp_eq_u32_e64 s2, 1, v6
	v_dual_cndmask_b32 v1, v1, v3 :: v_dual_cndmask_b32 v2, v2, v4
	v_cndmask_b32_e64 v7, v9, v7, s2
	s_delay_alu instid0(VALU_DEP_2) | instskip(NEXT) | instid1(VALU_DEP_3)
	v_cndmask_b32_e64 v1, v3, v1, s2
	v_cndmask_b32_e64 v2, v4, v2, s2
	s_delay_alu instid0(VALU_DEP_3)
	v_and_b32_e32 v6, 0xff, v7
.LBB770_118:
	s_or_b32 exec_lo, exec_lo, s5
	v_cmp_gt_u32_e32 vcc_lo, 6, v8
	v_add_nc_u32_e32 v10, 2, v8
	s_mov_b32 s5, exec_lo
	s_waitcnt lgkmcnt(2)
	v_cndmask_b32_e64 v3, 0, 1, vcc_lo
	s_delay_alu instid0(VALU_DEP_1) | instskip(SKIP_1) | instid1(VALU_DEP_1)
	v_lshlrev_b32_e32 v3, 1, v3
	s_waitcnt lgkmcnt(0)
	v_add_lshl_u32 v4, v3, v5, 2
	ds_bpermute_b32 v9, v4, v6
	ds_bpermute_b32 v3, v4, v1
	;; [unrolled: 1-line block ×3, first 2 shown]
	v_cmpx_gt_u32_e64 s3, v10
	s_cbranch_execz .LBB770_120
; %bb.119:
	s_waitcnt lgkmcnt(2)
	v_and_b32_e32 v6, 1, v9
	s_waitcnt lgkmcnt(0)
	v_cmp_lt_i64_e32 vcc_lo, v[3:4], v[1:2]
	s_delay_alu instid0(VALU_DEP_2) | instskip(SKIP_1) | instid1(VALU_DEP_2)
	v_cmp_eq_u32_e64 s2, 1, v6
	v_and_b32_e32 v6, 1, v7
	v_cndmask_b32_e64 v7, v7, 1, s2
	s_and_b32 vcc_lo, s2, vcc_lo
	s_delay_alu instid0(VALU_DEP_2) | instskip(SKIP_1) | instid1(VALU_DEP_2)
	v_cmp_eq_u32_e64 s2, 1, v6
	v_dual_cndmask_b32 v1, v1, v3 :: v_dual_cndmask_b32 v2, v2, v4
	v_cndmask_b32_e64 v7, v9, v7, s2
	s_delay_alu instid0(VALU_DEP_2) | instskip(NEXT) | instid1(VALU_DEP_3)
	v_cndmask_b32_e64 v1, v3, v1, s2
	v_cndmask_b32_e64 v2, v4, v2, s2
	s_delay_alu instid0(VALU_DEP_3)
	v_and_b32_e32 v6, 0xff, v7
.LBB770_120:
	s_or_b32 exec_lo, exec_lo, s5
	v_cmp_gt_u32_e32 vcc_lo, 4, v8
	v_add_nc_u32_e32 v8, 4, v8
	s_waitcnt lgkmcnt(1)
	v_cndmask_b32_e64 v3, 0, 1, vcc_lo
	s_delay_alu instid0(VALU_DEP_2) | instskip(NEXT) | instid1(VALU_DEP_2)
	v_cmp_gt_u32_e32 vcc_lo, s3, v8
	v_lshlrev_b32_e32 v3, 2, v3
	s_waitcnt lgkmcnt(0)
	s_delay_alu instid0(VALU_DEP_1)
	v_add_lshl_u32 v4, v3, v5, 2
	ds_bpermute_b32 v5, v4, v6
	ds_bpermute_b32 v3, v4, v1
	;; [unrolled: 1-line block ×3, first 2 shown]
	s_and_saveexec_b32 s3, vcc_lo
	s_cbranch_execz .LBB770_122
; %bb.121:
	s_waitcnt lgkmcnt(2)
	v_and_b32_e32 v6, 1, v5
	s_waitcnt lgkmcnt(0)
	v_cmp_lt_i64_e32 vcc_lo, v[3:4], v[1:2]
	s_delay_alu instid0(VALU_DEP_2) | instskip(SKIP_1) | instid1(VALU_DEP_2)
	v_cmp_eq_u32_e64 s2, 1, v6
	v_and_b32_e32 v6, 1, v7
	v_cndmask_b32_e64 v7, v7, 1, s2
	s_and_b32 vcc_lo, s2, vcc_lo
	s_delay_alu instid0(VALU_DEP_2) | instskip(SKIP_1) | instid1(VALU_DEP_2)
	v_cmp_eq_u32_e64 s2, 1, v6
	v_dual_cndmask_b32 v1, v1, v3 :: v_dual_cndmask_b32 v2, v2, v4
	v_cndmask_b32_e64 v5, v5, v7, s2
	s_delay_alu instid0(VALU_DEP_2) | instskip(NEXT) | instid1(VALU_DEP_3)
	v_cndmask_b32_e64 v1, v3, v1, s2
	v_cndmask_b32_e64 v2, v4, v2, s2
	s_delay_alu instid0(VALU_DEP_3)
	v_and_b32_e32 v6, 0xff, v5
.LBB770_122:
	s_or_b32 exec_lo, exec_lo, s3
.LBB770_123:
	s_delay_alu instid0(SALU_CYCLE_1)
	s_or_b32 exec_lo, exec_lo, s4
.LBB770_124:
                                        ; implicit-def: $vgpr3_vgpr4
                                        ; implicit-def: $vgpr5
	s_delay_alu instid0(SALU_CYCLE_1)
	s_mov_b32 s2, exec_lo
	v_cmpx_eq_u32_e32 0, v0
	s_xor_b32 s4, exec_lo, s2
	s_cbranch_execz .LBB770_128
; %bb.125:
	s_waitcnt lgkmcnt(0)
	v_dual_mov_b32 v3, s20 :: v_dual_mov_b32 v4, s21
	v_mov_b32_e32 v5, s28
	s_cmp_eq_u64 s[14:15], 0
	s_cbranch_scc1 .LBB770_127
; %bb.126:
	v_and_b32_e32 v3, 1, v6
	v_cmp_gt_i64_e32 vcc_lo, s[20:21], v[1:2]
	s_bitcmp1_b32 s28, 0
	s_cselect_b32 s3, -1, 0
	s_delay_alu instid0(VALU_DEP_2) | instskip(NEXT) | instid1(VALU_DEP_1)
	v_cmp_eq_u32_e64 s2, 1, v3
	s_and_b32 vcc_lo, s2, vcc_lo
	v_cndmask_b32_e64 v3, s28, 1, s2
	v_cndmask_b32_e32 v7, s20, v1, vcc_lo
	v_cndmask_b32_e32 v4, s21, v2, vcc_lo
	s_delay_alu instid0(VALU_DEP_3) | instskip(NEXT) | instid1(VALU_DEP_3)
	v_cndmask_b32_e64 v5, v6, v3, s3
	v_cndmask_b32_e64 v3, v1, v7, s3
	s_delay_alu instid0(VALU_DEP_3)
	v_cndmask_b32_e64 v4, v2, v4, s3
.LBB770_127:
	s_or_b32 s24, s24, exec_lo
.LBB770_128:
	s_or_b32 exec_lo, exec_lo, s4
	s_branch .LBB770_200
.LBB770_129:
	s_cmp_gt_i32 s29, 1
	s_cbranch_scc0 .LBB770_147
; %bb.130:
	s_cmp_eq_u32 s29, 2
	s_cbranch_scc0 .LBB770_148
; %bb.131:
	s_mov_b32 s11, 0
	s_lshl_b32 s8, s10, 9
	s_mov_b32 s9, s11
	s_lshr_b64 s[26:27], s[14:15], 9
	s_lshl_b64 s[2:3], s[8:9], 3
	s_delay_alu instid0(SALU_CYCLE_1)
	s_add_u32 s4, s16, s2
	s_addc_u32 s5, s17, s3
	s_add_u32 s6, s18, s2
	s_addc_u32 s7, s19, s3
	;; [unrolled: 2-line block ×3, first 2 shown]
	s_cmp_lg_u64 s[26:27], s[10:11]
	s_cbranch_scc0 .LBB770_149
; %bb.132:
	v_lshlrev_b32_e32 v7, 3, v0
	v_add_co_u32 v9, s2, s9, v0
	s_delay_alu instid0(VALU_DEP_1)
	v_add_co_ci_u32_e64 v10, null, s22, 0, s2
	global_load_b64 v[1:2], v7, s[6:7] offset:2048
	s_waitcnt lgkmcnt(0)
	s_clause 0x2
	global_load_b64 v[3:4], v7, s[6:7]
	global_load_b64 v[5:6], v7, s[4:5] offset:2048
	global_load_b64 v[7:8], v7, s[4:5]
	v_add_co_u32 v11, vcc_lo, 0x100, v9
	v_add_co_ci_u32_e32 v12, vcc_lo, 0, v10, vcc_lo
	s_mov_b32 s23, exec_lo
	s_waitcnt vmcnt(1)
	v_cmp_neq_f64_e32 vcc_lo, v[5:6], v[1:2]
	s_waitcnt vmcnt(0)
	v_cmp_neq_f64_e64 s2, v[7:8], v[3:4]
	s_delay_alu instid0(VALU_DEP_1) | instskip(SKIP_3) | instid1(VALU_DEP_3)
	s_or_b32 s3, s2, vcc_lo
	v_cndmask_b32_e64 v2, v12, v10, s2
	v_cndmask_b32_e64 v5, 0, 1, s3
	v_cndmask_b32_e64 v1, v11, v9, s2
	v_mov_b32_dpp v4, v2 quad_perm:[1,0,3,2] row_mask:0xf bank_mask:0xf
	s_delay_alu instid0(VALU_DEP_3) | instskip(NEXT) | instid1(VALU_DEP_3)
	v_mov_b32_dpp v6, v5 quad_perm:[1,0,3,2] row_mask:0xf bank_mask:0xf
	v_mov_b32_dpp v3, v1 quad_perm:[1,0,3,2] row_mask:0xf bank_mask:0xf
	s_delay_alu instid0(VALU_DEP_2) | instskip(NEXT) | instid1(VALU_DEP_1)
	v_and_b32_e32 v7, 1, v6
	v_cmpx_eq_u32_e32 1, v7
; %bb.133:
	v_cndmask_b32_e64 v5, v6, 1, s3
	s_delay_alu instid0(VALU_DEP_4) | instskip(NEXT) | instid1(VALU_DEP_2)
	v_cmp_lt_i64_e32 vcc_lo, v[1:2], v[3:4]
	v_and_b32_e32 v6, 1, v5
	v_and_b32_e32 v5, 0xff, v5
	s_and_b32 vcc_lo, s3, vcc_lo
	s_and_not1_b32 s3, s3, exec_lo
	v_dual_cndmask_b32 v2, v4, v2 :: v_dual_cndmask_b32 v1, v3, v1
	v_cmp_eq_u32_e64 s2, 1, v6
	s_delay_alu instid0(VALU_DEP_1) | instskip(NEXT) | instid1(SALU_CYCLE_1)
	s_and_b32 s2, s2, exec_lo
	s_or_b32 s3, s3, s2
; %bb.134:
	s_or_b32 exec_lo, exec_lo, s23
	v_mov_b32_dpp v6, v5 quad_perm:[2,3,0,1] row_mask:0xf bank_mask:0xf
	v_mov_b32_dpp v3, v1 quad_perm:[2,3,0,1] row_mask:0xf bank_mask:0xf
	v_mov_b32_dpp v4, v2 quad_perm:[2,3,0,1] row_mask:0xf bank_mask:0xf
	s_mov_b32 s23, exec_lo
	s_delay_alu instid0(VALU_DEP_3) | instskip(NEXT) | instid1(VALU_DEP_1)
	v_and_b32_e32 v7, 1, v6
	v_cmpx_eq_u32_e32 1, v7
; %bb.135:
	v_cndmask_b32_e64 v5, v6, 1, s3
	v_cmp_lt_i64_e32 vcc_lo, v[1:2], v[3:4]
	s_delay_alu instid0(VALU_DEP_2)
	v_and_b32_e32 v6, 1, v5
	v_and_b32_e32 v5, 0xff, v5
	s_and_b32 vcc_lo, s3, vcc_lo
	s_and_not1_b32 s3, s3, exec_lo
	v_dual_cndmask_b32 v2, v4, v2 :: v_dual_cndmask_b32 v1, v3, v1
	v_cmp_eq_u32_e64 s2, 1, v6
	s_delay_alu instid0(VALU_DEP_1) | instskip(NEXT) | instid1(SALU_CYCLE_1)
	s_and_b32 s2, s2, exec_lo
	s_or_b32 s3, s3, s2
; %bb.136:
	s_or_b32 exec_lo, exec_lo, s23
	v_mov_b32_dpp v6, v5 row_ror:4 row_mask:0xf bank_mask:0xf
	v_mov_b32_dpp v3, v1 row_ror:4 row_mask:0xf bank_mask:0xf
	;; [unrolled: 1-line block ×3, first 2 shown]
	s_mov_b32 s23, exec_lo
	s_delay_alu instid0(VALU_DEP_3) | instskip(NEXT) | instid1(VALU_DEP_1)
	v_and_b32_e32 v7, 1, v6
	v_cmpx_eq_u32_e32 1, v7
; %bb.137:
	v_cndmask_b32_e64 v5, v6, 1, s3
	v_cmp_lt_i64_e32 vcc_lo, v[1:2], v[3:4]
	s_delay_alu instid0(VALU_DEP_2)
	v_and_b32_e32 v6, 1, v5
	v_and_b32_e32 v5, 0xff, v5
	s_and_b32 vcc_lo, s3, vcc_lo
	s_and_not1_b32 s3, s3, exec_lo
	v_dual_cndmask_b32 v2, v4, v2 :: v_dual_cndmask_b32 v1, v3, v1
	v_cmp_eq_u32_e64 s2, 1, v6
	s_delay_alu instid0(VALU_DEP_1) | instskip(NEXT) | instid1(SALU_CYCLE_1)
	s_and_b32 s2, s2, exec_lo
	s_or_b32 s3, s3, s2
; %bb.138:
	s_or_b32 exec_lo, exec_lo, s23
	v_mov_b32_dpp v6, v5 row_ror:8 row_mask:0xf bank_mask:0xf
	v_mov_b32_dpp v3, v1 row_ror:8 row_mask:0xf bank_mask:0xf
	;; [unrolled: 1-line block ×3, first 2 shown]
	s_mov_b32 s23, exec_lo
	s_delay_alu instid0(VALU_DEP_3) | instskip(NEXT) | instid1(VALU_DEP_1)
	v_and_b32_e32 v7, 1, v6
	v_cmpx_eq_u32_e32 1, v7
; %bb.139:
	v_cndmask_b32_e64 v5, v6, 1, s3
	v_cmp_lt_i64_e32 vcc_lo, v[1:2], v[3:4]
	s_delay_alu instid0(VALU_DEP_2)
	v_and_b32_e32 v6, 1, v5
	v_and_b32_e32 v5, 0xff, v5
	s_and_b32 vcc_lo, s3, vcc_lo
	s_and_not1_b32 s3, s3, exec_lo
	v_dual_cndmask_b32 v2, v4, v2 :: v_dual_cndmask_b32 v1, v3, v1
	v_cmp_eq_u32_e64 s2, 1, v6
	s_delay_alu instid0(VALU_DEP_1) | instskip(NEXT) | instid1(SALU_CYCLE_1)
	s_and_b32 s2, s2, exec_lo
	s_or_b32 s3, s3, s2
; %bb.140:
	s_or_b32 exec_lo, exec_lo, s23
	ds_swizzle_b32 v6, v5 offset:swizzle(BROADCAST,32,15)
	ds_swizzle_b32 v3, v1 offset:swizzle(BROADCAST,32,15)
	;; [unrolled: 1-line block ×3, first 2 shown]
	s_mov_b32 s2, exec_lo
	s_waitcnt lgkmcnt(2)
	v_and_b32_e32 v7, 1, v6
	s_delay_alu instid0(VALU_DEP_1)
	v_cmpx_eq_u32_e32 1, v7
	s_cbranch_execz .LBB770_142
; %bb.141:
	s_waitcnt lgkmcnt(0)
	v_cmp_lt_i64_e32 vcc_lo, v[1:2], v[3:4]
	v_and_b32_e32 v5, 0xff, v6
	s_delay_alu instid0(VALU_DEP_1)
	v_cndmask_b32_e64 v5, v5, 1, s3
	s_and_b32 vcc_lo, s3, vcc_lo
	v_dual_cndmask_b32 v1, v3, v1 :: v_dual_cndmask_b32 v2, v4, v2
.LBB770_142:
	s_or_b32 exec_lo, exec_lo, s2
	s_waitcnt lgkmcnt(1)
	v_mov_b32_e32 v3, 0
	s_mov_b32 s2, exec_lo
	ds_bpermute_b32 v6, v3, v5 offset:124
	ds_bpermute_b32 v1, v3, v1 offset:124
	;; [unrolled: 1-line block ×3, first 2 shown]
	v_mbcnt_lo_u32_b32 v3, -1, 0
	s_delay_alu instid0(VALU_DEP_1)
	v_cmpx_eq_u32_e32 0, v3
	s_cbranch_execz .LBB770_144
; %bb.143:
	s_waitcnt lgkmcnt(3)
	v_lshrrev_b32_e32 v4, 1, v0
	s_delay_alu instid0(VALU_DEP_1)
	v_and_b32_e32 v4, 0x70, v4
	s_waitcnt lgkmcnt(2)
	ds_store_b8 v4, v6 offset:128
	s_waitcnt lgkmcnt(1)
	ds_store_b64 v4, v[1:2] offset:136
.LBB770_144:
	s_or_b32 exec_lo, exec_lo, s2
	s_delay_alu instid0(SALU_CYCLE_1)
	s_mov_b32 s23, exec_lo
	s_waitcnt lgkmcnt(0)
	s_barrier
	buffer_gl0_inv
	v_cmpx_gt_u32_e32 32, v0
	s_cbranch_execz .LBB770_146
; %bb.145:
	v_and_b32_e32 v6, 7, v3
	s_delay_alu instid0(VALU_DEP_1)
	v_lshlrev_b32_e32 v1, 4, v6
	v_cmp_ne_u32_e32 vcc_lo, 7, v6
	ds_load_u8 v7, v1 offset:128
	ds_load_b64 v[1:2], v1 offset:136
	v_add_co_ci_u32_e32 v4, vcc_lo, 0, v3, vcc_lo
	v_cmp_gt_u32_e32 vcc_lo, 6, v6
	s_delay_alu instid0(VALU_DEP_2)
	v_lshlrev_b32_e32 v5, 2, v4
	v_cndmask_b32_e64 v10, 0, 1, vcc_lo
	s_waitcnt lgkmcnt(1)
	v_and_b32_e32 v4, 0xff, v7
	v_and_b32_e32 v11, 1, v7
	ds_bpermute_b32 v8, v5, v4
	s_waitcnt lgkmcnt(1)
	ds_bpermute_b32 v4, v5, v1
	ds_bpermute_b32 v5, v5, v2
	v_cmp_eq_u32_e64 s3, 1, v11
	s_waitcnt lgkmcnt(2)
	v_and_b32_e32 v9, 1, v8
	s_waitcnt lgkmcnt(0)
	v_cmp_lt_i64_e64 s2, v[4:5], v[1:2]
	s_delay_alu instid0(VALU_DEP_2) | instskip(SKIP_2) | instid1(VALU_DEP_4)
	v_cmp_eq_u32_e32 vcc_lo, 1, v9
	v_lshlrev_b32_e32 v9, 1, v10
	v_cndmask_b32_e64 v7, v7, 1, vcc_lo
	s_and_b32 vcc_lo, vcc_lo, s2
	v_dual_cndmask_b32 v1, v1, v4 :: v_dual_cndmask_b32 v2, v2, v5
	s_delay_alu instid0(VALU_DEP_2) | instskip(SKIP_2) | instid1(VALU_DEP_4)
	v_cndmask_b32_e64 v7, v8, v7, s3
	v_add_lshl_u32 v8, v9, v3, 2
	v_cmp_gt_u32_e32 vcc_lo, 4, v6
	v_cndmask_b32_e64 v1, v4, v1, s3
	v_cndmask_b32_e64 v2, v5, v2, s3
	v_and_b32_e32 v9, 0xff, v7
	v_and_b32_e32 v10, 1, v7
	v_cndmask_b32_e64 v6, 0, 1, vcc_lo
	ds_bpermute_b32 v4, v8, v1
	ds_bpermute_b32 v5, v8, v2
	;; [unrolled: 1-line block ×3, first 2 shown]
	v_cmp_eq_u32_e64 s3, 1, v10
	s_waitcnt lgkmcnt(1)
	v_cmp_lt_i64_e64 s2, v[4:5], v[1:2]
	s_waitcnt lgkmcnt(0)
	v_and_b32_e32 v8, 1, v9
	s_delay_alu instid0(VALU_DEP_1) | instskip(SKIP_1) | instid1(VALU_DEP_4)
	v_cmp_eq_u32_e32 vcc_lo, 1, v8
	v_cndmask_b32_e64 v7, v7, 1, vcc_lo
	s_and_b32 vcc_lo, vcc_lo, s2
	v_dual_cndmask_b32 v1, v1, v4 :: v_dual_cndmask_b32 v2, v2, v5
	s_delay_alu instid0(VALU_DEP_2) | instskip(NEXT) | instid1(VALU_DEP_2)
	v_cndmask_b32_e64 v7, v9, v7, s3
	v_cndmask_b32_e64 v1, v4, v1, s3
	v_lshlrev_b32_e32 v6, 2, v6
	s_delay_alu instid0(VALU_DEP_4) | instskip(NEXT) | instid1(VALU_DEP_2)
	v_cndmask_b32_e64 v2, v5, v2, s3
	v_add_lshl_u32 v6, v6, v3, 2
	v_and_b32_e32 v3, 0xff, v7
	ds_bpermute_b32 v4, v6, v2
	ds_bpermute_b32 v5, v6, v3
	;; [unrolled: 1-line block ×3, first 2 shown]
	s_waitcnt lgkmcnt(1)
	v_and_b32_e32 v6, 1, v5
	s_waitcnt lgkmcnt(0)
	v_cmp_lt_i64_e32 vcc_lo, v[3:4], v[1:2]
	s_delay_alu instid0(VALU_DEP_2) | instskip(SKIP_1) | instid1(VALU_DEP_2)
	v_cmp_eq_u32_e64 s2, 1, v6
	v_and_b32_e32 v6, 1, v7
	v_cndmask_b32_e64 v7, v7, 1, s2
	s_and_b32 vcc_lo, s2, vcc_lo
	s_delay_alu instid0(VALU_DEP_2) | instskip(SKIP_1) | instid1(VALU_DEP_2)
	v_cmp_eq_u32_e64 s2, 1, v6
	v_dual_cndmask_b32 v1, v1, v3 :: v_dual_cndmask_b32 v2, v2, v4
	v_cndmask_b32_e64 v5, v5, v7, s2
	s_delay_alu instid0(VALU_DEP_2) | instskip(NEXT) | instid1(VALU_DEP_3)
	v_cndmask_b32_e64 v1, v3, v1, s2
	v_cndmask_b32_e64 v2, v4, v2, s2
	s_delay_alu instid0(VALU_DEP_3)
	v_and_b32_e32 v6, 0xff, v5
.LBB770_146:
	s_or_b32 exec_lo, exec_lo, s23
	s_branch .LBB770_177
.LBB770_147:
                                        ; implicit-def: $vgpr3_vgpr4
                                        ; implicit-def: $vgpr5
	s_cbranch_execnz .LBB770_182
	s_branch .LBB770_200
.LBB770_148:
                                        ; implicit-def: $vgpr3_vgpr4
                                        ; implicit-def: $vgpr5
	s_branch .LBB770_200
.LBB770_149:
                                        ; implicit-def: $vgpr1_vgpr2
                                        ; implicit-def: $vgpr6
	s_cbranch_execz .LBB770_177
; %bb.150:
	s_waitcnt lgkmcnt(0)
	v_mov_b32_e32 v3, 0
	v_dual_mov_b32 v4, 0 :: v_dual_mov_b32 v5, 0
	s_delay_alu instid0(VALU_DEP_2) | instskip(SKIP_2) | instid1(VALU_DEP_3)
	v_mov_b32_e32 v1, v3
	v_mov_b32_e32 v7, 0
	s_sub_i32 s3, s14, s8
	v_mov_b32_e32 v2, v4
	s_mov_b32 s2, exec_lo
	v_cmpx_gt_u32_e64 s3, v0
	s_cbranch_execz .LBB770_152
; %bb.151:
	v_lshlrev_b32_e32 v1, 3, v0
	s_clause 0x1
	global_load_b64 v[6:7], v1, s[4:5]
	global_load_b64 v[8:9], v1, s[6:7]
	v_add_co_u32 v1, s8, s9, v0
	s_delay_alu instid0(VALU_DEP_1)
	v_add_co_ci_u32_e64 v2, null, s22, 0, s8
	s_waitcnt vmcnt(0)
	v_cmp_neq_f64_e32 vcc_lo, v[6:7], v[8:9]
	v_cndmask_b32_e64 v7, 0, 1, vcc_lo
.LBB770_152:
	s_or_b32 exec_lo, exec_lo, s2
	v_or_b32_e32 v6, 0x100, v0
	s_delay_alu instid0(VALU_DEP_1)
	v_cmp_gt_u32_e32 vcc_lo, s3, v6
	s_and_saveexec_b32 s8, vcc_lo
	s_cbranch_execz .LBB770_154
; %bb.153:
	v_lshlrev_b32_e32 v3, 3, v0
	s_clause 0x1
	global_load_b64 v[8:9], v3, s[4:5] offset:2048
	global_load_b64 v[10:11], v3, s[6:7] offset:2048
	v_add_co_u32 v3, s2, s9, v6
	s_delay_alu instid0(VALU_DEP_1) | instskip(SKIP_2) | instid1(VALU_DEP_1)
	v_add_co_ci_u32_e64 v4, null, s22, 0, s2
	s_waitcnt vmcnt(0)
	v_cmp_neq_f64_e64 s2, v[8:9], v[10:11]
	v_cndmask_b32_e64 v5, 0, 1, s2
.LBB770_154:
	s_or_b32 exec_lo, exec_lo, s8
	s_and_saveexec_b32 s4, vcc_lo
; %bb.155:
	s_delay_alu instid0(VALU_DEP_1) | instskip(SKIP_1) | instid1(VALU_DEP_2)
	v_and_b32_e32 v6, 1, v5
	v_cmp_lt_i64_e32 vcc_lo, v[3:4], v[1:2]
	v_cmp_eq_u32_e64 s2, 1, v6
	s_delay_alu instid0(VALU_DEP_1) | instskip(SKIP_4) | instid1(VALU_DEP_3)
	s_and_b32 vcc_lo, s2, vcc_lo
	v_cndmask_b32_e32 v1, v1, v3, vcc_lo
	v_and_b32_e32 v6, 1, v7
	v_cndmask_b32_e64 v7, v7, 1, s2
	v_cndmask_b32_e32 v2, v2, v4, vcc_lo
	v_cmp_eq_u32_e32 vcc_lo, 1, v6
	s_delay_alu instid0(VALU_DEP_2)
	v_dual_cndmask_b32 v7, v5, v7 :: v_dual_cndmask_b32 v2, v4, v2
	v_cndmask_b32_e32 v1, v3, v1, vcc_lo
; %bb.156:
	s_or_b32 exec_lo, exec_lo, s4
	v_mbcnt_lo_u32_b32 v5, -1, 0
	s_delay_alu instid0(VALU_DEP_3)
	v_and_b32_e32 v6, 0xffff, v7
	v_and_b32_e32 v8, 0xe0, v0
	s_min_u32 s3, s3, 0x100
	s_mov_b32 s4, exec_lo
	v_cmp_ne_u32_e32 vcc_lo, 31, v5
	v_add_nc_u32_e32 v10, 1, v5
	v_sub_nc_u32_e64 v8, s3, v8 clamp
	v_add_co_ci_u32_e32 v3, vcc_lo, 0, v5, vcc_lo
	s_delay_alu instid0(VALU_DEP_1)
	v_lshlrev_b32_e32 v4, 2, v3
	ds_bpermute_b32 v9, v4, v6
	ds_bpermute_b32 v3, v4, v1
	ds_bpermute_b32 v4, v4, v2
	v_cmpx_lt_u32_e64 v10, v8
	s_cbranch_execz .LBB770_158
; %bb.157:
	s_waitcnt lgkmcnt(2)
	v_and_b32_e32 v6, 1, v9
	s_waitcnt lgkmcnt(0)
	v_cmp_lt_i64_e32 vcc_lo, v[3:4], v[1:2]
	s_delay_alu instid0(VALU_DEP_2) | instskip(SKIP_1) | instid1(VALU_DEP_2)
	v_cmp_eq_u32_e64 s2, 1, v6
	v_and_b32_e32 v6, 1, v7
	v_cndmask_b32_e64 v7, v7, 1, s2
	s_and_b32 vcc_lo, s2, vcc_lo
	s_delay_alu instid0(VALU_DEP_2) | instskip(SKIP_1) | instid1(VALU_DEP_2)
	v_cmp_eq_u32_e64 s2, 1, v6
	v_dual_cndmask_b32 v1, v1, v3 :: v_dual_cndmask_b32 v2, v2, v4
	v_cndmask_b32_e64 v7, v9, v7, s2
	s_delay_alu instid0(VALU_DEP_2) | instskip(NEXT) | instid1(VALU_DEP_3)
	v_cndmask_b32_e64 v1, v3, v1, s2
	v_cndmask_b32_e64 v2, v4, v2, s2
	s_delay_alu instid0(VALU_DEP_3)
	v_and_b32_e32 v6, 0xff, v7
.LBB770_158:
	s_or_b32 exec_lo, exec_lo, s4
	v_cmp_gt_u32_e32 vcc_lo, 30, v5
	v_add_nc_u32_e32 v10, 2, v5
	s_mov_b32 s4, exec_lo
	s_waitcnt lgkmcnt(1)
	v_cndmask_b32_e64 v3, 0, 1, vcc_lo
	s_delay_alu instid0(VALU_DEP_1) | instskip(SKIP_1) | instid1(VALU_DEP_1)
	v_lshlrev_b32_e32 v3, 1, v3
	s_waitcnt lgkmcnt(0)
	v_add_lshl_u32 v4, v3, v5, 2
	ds_bpermute_b32 v9, v4, v6
	ds_bpermute_b32 v3, v4, v1
	ds_bpermute_b32 v4, v4, v2
	v_cmpx_lt_u32_e64 v10, v8
	s_cbranch_execz .LBB770_160
; %bb.159:
	s_waitcnt lgkmcnt(2)
	v_and_b32_e32 v6, 1, v9
	s_waitcnt lgkmcnt(0)
	v_cmp_lt_i64_e32 vcc_lo, v[3:4], v[1:2]
	s_delay_alu instid0(VALU_DEP_2) | instskip(SKIP_1) | instid1(VALU_DEP_2)
	v_cmp_eq_u32_e64 s2, 1, v6
	v_and_b32_e32 v6, 1, v7
	v_cndmask_b32_e64 v7, v7, 1, s2
	s_and_b32 vcc_lo, s2, vcc_lo
	s_delay_alu instid0(VALU_DEP_2) | instskip(SKIP_1) | instid1(VALU_DEP_2)
	v_cmp_eq_u32_e64 s2, 1, v6
	v_dual_cndmask_b32 v1, v1, v3 :: v_dual_cndmask_b32 v2, v2, v4
	v_cndmask_b32_e64 v7, v9, v7, s2
	s_delay_alu instid0(VALU_DEP_2) | instskip(NEXT) | instid1(VALU_DEP_3)
	v_cndmask_b32_e64 v1, v3, v1, s2
	v_cndmask_b32_e64 v2, v4, v2, s2
	s_delay_alu instid0(VALU_DEP_3)
	v_and_b32_e32 v6, 0xff, v7
.LBB770_160:
	s_or_b32 exec_lo, exec_lo, s4
	v_cmp_gt_u32_e32 vcc_lo, 28, v5
	v_add_nc_u32_e32 v10, 4, v5
	s_mov_b32 s4, exec_lo
	s_waitcnt lgkmcnt(1)
	v_cndmask_b32_e64 v3, 0, 1, vcc_lo
	s_delay_alu instid0(VALU_DEP_1) | instskip(SKIP_1) | instid1(VALU_DEP_1)
	v_lshlrev_b32_e32 v3, 2, v3
	s_waitcnt lgkmcnt(0)
	v_add_lshl_u32 v4, v3, v5, 2
	;; [unrolled: 35-line block ×4, first 2 shown]
	ds_bpermute_b32 v9, v4, v6
	ds_bpermute_b32 v3, v4, v1
	;; [unrolled: 1-line block ×3, first 2 shown]
	v_cmpx_lt_u32_e64 v10, v8
	s_cbranch_execz .LBB770_166
; %bb.165:
	s_waitcnt lgkmcnt(2)
	v_and_b32_e32 v6, 1, v9
	s_waitcnt lgkmcnt(0)
	v_cmp_lt_i64_e32 vcc_lo, v[3:4], v[1:2]
	s_delay_alu instid0(VALU_DEP_2) | instskip(SKIP_1) | instid1(VALU_DEP_2)
	v_cmp_eq_u32_e64 s2, 1, v6
	v_and_b32_e32 v6, 1, v7
	v_cndmask_b32_e64 v7, v7, 1, s2
	s_and_b32 vcc_lo, s2, vcc_lo
	s_delay_alu instid0(VALU_DEP_2) | instskip(SKIP_1) | instid1(VALU_DEP_2)
	v_cmp_eq_u32_e64 s2, 1, v6
	v_dual_cndmask_b32 v1, v1, v3 :: v_dual_cndmask_b32 v2, v2, v4
	v_cndmask_b32_e64 v7, v9, v7, s2
	s_delay_alu instid0(VALU_DEP_2) | instskip(NEXT) | instid1(VALU_DEP_3)
	v_cndmask_b32_e64 v1, v3, v1, s2
	v_cndmask_b32_e64 v2, v4, v2, s2
	s_delay_alu instid0(VALU_DEP_3)
	v_and_b32_e32 v6, 0xff, v7
.LBB770_166:
	s_or_b32 exec_lo, exec_lo, s4
	s_delay_alu instid0(SALU_CYCLE_1)
	s_mov_b32 s2, exec_lo
	v_cmpx_eq_u32_e32 0, v5
	s_cbranch_execz .LBB770_168
; %bb.167:
	s_waitcnt lgkmcnt(1)
	v_lshrrev_b32_e32 v3, 1, v0
	s_delay_alu instid0(VALU_DEP_1)
	v_and_b32_e32 v3, 0x70, v3
	ds_store_b8 v3, v7 offset:512
	ds_store_b64 v3, v[1:2] offset:520
.LBB770_168:
	s_or_b32 exec_lo, exec_lo, s2
	s_delay_alu instid0(SALU_CYCLE_1)
	s_mov_b32 s4, exec_lo
	s_waitcnt lgkmcnt(0)
	s_barrier
	buffer_gl0_inv
	v_cmpx_gt_u32_e32 8, v0
	s_cbranch_execz .LBB770_176
; %bb.169:
	v_lshlrev_b32_e32 v1, 4, v5
	v_and_b32_e32 v8, 7, v5
	s_add_i32 s3, s3, 31
	s_mov_b32 s5, exec_lo
	s_lshr_b32 s3, s3, 5
	ds_load_u8 v7, v1 offset:512
	ds_load_b64 v[1:2], v1 offset:520
	v_cmp_ne_u32_e32 vcc_lo, 7, v8
	v_add_nc_u32_e32 v10, 1, v8
	v_add_co_ci_u32_e32 v3, vcc_lo, 0, v5, vcc_lo
	s_delay_alu instid0(VALU_DEP_1)
	v_lshlrev_b32_e32 v4, 2, v3
	s_waitcnt lgkmcnt(1)
	v_and_b32_e32 v6, 0xff, v7
	s_waitcnt lgkmcnt(0)
	ds_bpermute_b32 v3, v4, v1
	ds_bpermute_b32 v9, v4, v6
	;; [unrolled: 1-line block ×3, first 2 shown]
	v_cmpx_gt_u32_e64 s3, v10
	s_cbranch_execz .LBB770_171
; %bb.170:
	s_waitcnt lgkmcnt(1)
	v_and_b32_e32 v6, 1, v9
	s_waitcnt lgkmcnt(0)
	v_cmp_lt_i64_e32 vcc_lo, v[3:4], v[1:2]
	s_delay_alu instid0(VALU_DEP_2) | instskip(SKIP_1) | instid1(VALU_DEP_2)
	v_cmp_eq_u32_e64 s2, 1, v6
	v_and_b32_e32 v6, 1, v7
	v_cndmask_b32_e64 v7, v7, 1, s2
	s_and_b32 vcc_lo, s2, vcc_lo
	s_delay_alu instid0(VALU_DEP_2) | instskip(SKIP_1) | instid1(VALU_DEP_2)
	v_cmp_eq_u32_e64 s2, 1, v6
	v_dual_cndmask_b32 v1, v1, v3 :: v_dual_cndmask_b32 v2, v2, v4
	v_cndmask_b32_e64 v7, v9, v7, s2
	s_delay_alu instid0(VALU_DEP_2) | instskip(NEXT) | instid1(VALU_DEP_3)
	v_cndmask_b32_e64 v1, v3, v1, s2
	v_cndmask_b32_e64 v2, v4, v2, s2
	s_delay_alu instid0(VALU_DEP_3)
	v_and_b32_e32 v6, 0xff, v7
.LBB770_171:
	s_or_b32 exec_lo, exec_lo, s5
	v_cmp_gt_u32_e32 vcc_lo, 6, v8
	v_add_nc_u32_e32 v10, 2, v8
	s_mov_b32 s5, exec_lo
	s_waitcnt lgkmcnt(2)
	v_cndmask_b32_e64 v3, 0, 1, vcc_lo
	s_delay_alu instid0(VALU_DEP_1) | instskip(SKIP_1) | instid1(VALU_DEP_1)
	v_lshlrev_b32_e32 v3, 1, v3
	s_waitcnt lgkmcnt(0)
	v_add_lshl_u32 v4, v3, v5, 2
	ds_bpermute_b32 v9, v4, v6
	ds_bpermute_b32 v3, v4, v1
	;; [unrolled: 1-line block ×3, first 2 shown]
	v_cmpx_gt_u32_e64 s3, v10
	s_cbranch_execz .LBB770_173
; %bb.172:
	s_waitcnt lgkmcnt(2)
	v_and_b32_e32 v6, 1, v9
	s_waitcnt lgkmcnt(0)
	v_cmp_lt_i64_e32 vcc_lo, v[3:4], v[1:2]
	s_delay_alu instid0(VALU_DEP_2) | instskip(SKIP_1) | instid1(VALU_DEP_2)
	v_cmp_eq_u32_e64 s2, 1, v6
	v_and_b32_e32 v6, 1, v7
	v_cndmask_b32_e64 v7, v7, 1, s2
	s_and_b32 vcc_lo, s2, vcc_lo
	s_delay_alu instid0(VALU_DEP_2) | instskip(SKIP_1) | instid1(VALU_DEP_2)
	v_cmp_eq_u32_e64 s2, 1, v6
	v_dual_cndmask_b32 v1, v1, v3 :: v_dual_cndmask_b32 v2, v2, v4
	v_cndmask_b32_e64 v7, v9, v7, s2
	s_delay_alu instid0(VALU_DEP_2) | instskip(NEXT) | instid1(VALU_DEP_3)
	v_cndmask_b32_e64 v1, v3, v1, s2
	v_cndmask_b32_e64 v2, v4, v2, s2
	s_delay_alu instid0(VALU_DEP_3)
	v_and_b32_e32 v6, 0xff, v7
.LBB770_173:
	s_or_b32 exec_lo, exec_lo, s5
	v_cmp_gt_u32_e32 vcc_lo, 4, v8
	v_add_nc_u32_e32 v8, 4, v8
	s_waitcnt lgkmcnt(1)
	v_cndmask_b32_e64 v3, 0, 1, vcc_lo
	s_delay_alu instid0(VALU_DEP_2) | instskip(NEXT) | instid1(VALU_DEP_2)
	v_cmp_gt_u32_e32 vcc_lo, s3, v8
	v_lshlrev_b32_e32 v3, 2, v3
	s_waitcnt lgkmcnt(0)
	s_delay_alu instid0(VALU_DEP_1)
	v_add_lshl_u32 v4, v3, v5, 2
	ds_bpermute_b32 v5, v4, v6
	ds_bpermute_b32 v3, v4, v1
	;; [unrolled: 1-line block ×3, first 2 shown]
	s_and_saveexec_b32 s3, vcc_lo
	s_cbranch_execz .LBB770_175
; %bb.174:
	s_waitcnt lgkmcnt(2)
	v_and_b32_e32 v6, 1, v5
	s_waitcnt lgkmcnt(0)
	v_cmp_lt_i64_e32 vcc_lo, v[3:4], v[1:2]
	s_delay_alu instid0(VALU_DEP_2) | instskip(SKIP_1) | instid1(VALU_DEP_2)
	v_cmp_eq_u32_e64 s2, 1, v6
	v_and_b32_e32 v6, 1, v7
	v_cndmask_b32_e64 v7, v7, 1, s2
	s_and_b32 vcc_lo, s2, vcc_lo
	s_delay_alu instid0(VALU_DEP_2) | instskip(SKIP_1) | instid1(VALU_DEP_2)
	v_cmp_eq_u32_e64 s2, 1, v6
	v_dual_cndmask_b32 v1, v1, v3 :: v_dual_cndmask_b32 v2, v2, v4
	v_cndmask_b32_e64 v5, v5, v7, s2
	s_delay_alu instid0(VALU_DEP_2) | instskip(NEXT) | instid1(VALU_DEP_3)
	v_cndmask_b32_e64 v1, v3, v1, s2
	v_cndmask_b32_e64 v2, v4, v2, s2
	s_delay_alu instid0(VALU_DEP_3)
	v_and_b32_e32 v6, 0xff, v5
.LBB770_175:
	s_or_b32 exec_lo, exec_lo, s3
.LBB770_176:
	s_delay_alu instid0(SALU_CYCLE_1)
	s_or_b32 exec_lo, exec_lo, s4
.LBB770_177:
                                        ; implicit-def: $vgpr3_vgpr4
                                        ; implicit-def: $vgpr5
	s_delay_alu instid0(SALU_CYCLE_1)
	s_mov_b32 s2, exec_lo
	v_cmpx_eq_u32_e32 0, v0
	s_xor_b32 s4, exec_lo, s2
	s_cbranch_execz .LBB770_181
; %bb.178:
	s_waitcnt lgkmcnt(0)
	v_dual_mov_b32 v3, s20 :: v_dual_mov_b32 v4, s21
	v_mov_b32_e32 v5, s28
	s_cmp_eq_u64 s[14:15], 0
	s_cbranch_scc1 .LBB770_180
; %bb.179:
	v_and_b32_e32 v3, 1, v6
	v_cmp_gt_i64_e32 vcc_lo, s[20:21], v[1:2]
	s_bitcmp1_b32 s28, 0
	s_cselect_b32 s3, -1, 0
	s_delay_alu instid0(VALU_DEP_2) | instskip(NEXT) | instid1(VALU_DEP_1)
	v_cmp_eq_u32_e64 s2, 1, v3
	s_and_b32 vcc_lo, s2, vcc_lo
	v_cndmask_b32_e64 v3, s28, 1, s2
	v_cndmask_b32_e32 v7, s20, v1, vcc_lo
	v_cndmask_b32_e32 v4, s21, v2, vcc_lo
	s_delay_alu instid0(VALU_DEP_3) | instskip(NEXT) | instid1(VALU_DEP_3)
	v_cndmask_b32_e64 v5, v6, v3, s3
	v_cndmask_b32_e64 v3, v1, v7, s3
	s_delay_alu instid0(VALU_DEP_3)
	v_cndmask_b32_e64 v4, v2, v4, s3
.LBB770_180:
	s_or_b32 s24, s24, exec_lo
.LBB770_181:
	s_or_b32 exec_lo, exec_lo, s4
	s_branch .LBB770_200
.LBB770_182:
	s_cmp_eq_u32 s29, 1
	s_cbranch_scc0 .LBB770_199
; %bb.183:
	s_mov_b32 s5, 0
	s_lshr_b64 s[2:3], s[14:15], 8
	s_mov_b32 s11, s5
	s_lshl_b32 s4, s10, 8
	s_cmp_lg_u64 s[2:3], s[10:11]
	s_cbranch_scc0 .LBB770_203
; %bb.184:
	s_lshl_b64 s[2:3], s[4:5], 3
	s_waitcnt lgkmcnt(1)
	v_lshlrev_b32_e32 v3, 3, v0
	s_add_u32 s6, s16, s2
	s_addc_u32 s7, s17, s3
	s_add_u32 s2, s18, s2
	s_addc_u32 s3, s19, s3
	global_load_b64 v[1:2], v3, s[6:7]
	s_waitcnt lgkmcnt(0)
	global_load_b64 v[3:4], v3, s[2:3]
	s_add_u32 s2, s12, s4
	s_addc_u32 s3, s13, 0
	s_waitcnt vmcnt(0)
	v_cmp_neq_f64_e32 vcc_lo, v[1:2], v[3:4]
	v_cndmask_b32_e64 v1, 0, 1, vcc_lo
	v_cndmask_b32_e64 v6, 0, 1, vcc_lo
	s_delay_alu instid0(VALU_DEP_2) | instskip(SKIP_1) | instid1(VALU_DEP_1)
	v_mov_b32_dpp v5, v1 quad_perm:[1,0,3,2] row_mask:0xf bank_mask:0xf
	v_add_co_u32 v1, s2, s2, v0
	v_add_co_ci_u32_e64 v2, null, s3, 0, s2
	s_delay_alu instid0(VALU_DEP_3) | instskip(NEXT) | instid1(VALU_DEP_3)
	v_and_b32_e32 v7, 1, v5
	v_mov_b32_dpp v3, v1 quad_perm:[1,0,3,2] row_mask:0xf bank_mask:0xf
	s_mov_b32 s3, exec_lo
	s_delay_alu instid0(VALU_DEP_3) | instskip(NEXT) | instid1(VALU_DEP_3)
	v_mov_b32_dpp v4, v2 quad_perm:[1,0,3,2] row_mask:0xf bank_mask:0xf
	v_cmpx_eq_u32_e32 1, v7
; %bb.185:
	s_delay_alu instid0(VALU_DEP_2) | instskip(SKIP_1) | instid1(VALU_DEP_2)
	v_cmp_lt_i64_e64 s2, v[1:2], v[3:4]
	v_cndmask_b32_e64 v6, v5, 1, vcc_lo
	s_and_b32 vcc_lo, vcc_lo, s2
	v_dual_cndmask_b32 v2, v4, v2 :: v_dual_cndmask_b32 v1, v3, v1
; %bb.186:
	s_or_b32 exec_lo, exec_lo, s3
	s_delay_alu instid0(VALU_DEP_2) | instskip(SKIP_1) | instid1(VALU_DEP_3)
	v_and_b32_e32 v5, 0xff, v6
	v_and_b32_e32 v6, 1, v6
	v_mov_b32_dpp v3, v1 quad_perm:[2,3,0,1] row_mask:0xf bank_mask:0xf
	v_mov_b32_dpp v4, v2 quad_perm:[2,3,0,1] row_mask:0xf bank_mask:0xf
	s_mov_b32 s6, exec_lo
	v_mov_b32_dpp v7, v5 quad_perm:[2,3,0,1] row_mask:0xf bank_mask:0xf
	v_cmp_eq_u32_e64 s3, 1, v6
	s_delay_alu instid0(VALU_DEP_2) | instskip(NEXT) | instid1(VALU_DEP_1)
	v_and_b32_e32 v8, 1, v7
	v_cmpx_eq_u32_e32 1, v8
; %bb.187:
	s_delay_alu instid0(VALU_DEP_3) | instskip(SKIP_1) | instid1(VALU_DEP_2)
	v_cndmask_b32_e64 v5, v7, 1, s3
	v_cmp_lt_i64_e32 vcc_lo, v[1:2], v[3:4]
	v_and_b32_e32 v6, 1, v5
	v_and_b32_e32 v5, 0xff, v5
	s_and_b32 vcc_lo, s3, vcc_lo
	s_and_not1_b32 s3, s3, exec_lo
	v_dual_cndmask_b32 v2, v4, v2 :: v_dual_cndmask_b32 v1, v3, v1
	v_cmp_eq_u32_e64 s2, 1, v6
	s_delay_alu instid0(VALU_DEP_1) | instskip(NEXT) | instid1(SALU_CYCLE_1)
	s_and_b32 s2, s2, exec_lo
	s_or_b32 s3, s3, s2
; %bb.188:
	s_or_b32 exec_lo, exec_lo, s6
	v_mov_b32_dpp v6, v5 row_ror:4 row_mask:0xf bank_mask:0xf
	v_mov_b32_dpp v3, v1 row_ror:4 row_mask:0xf bank_mask:0xf
	;; [unrolled: 1-line block ×3, first 2 shown]
	s_mov_b32 s6, exec_lo
	s_delay_alu instid0(VALU_DEP_3) | instskip(NEXT) | instid1(VALU_DEP_1)
	v_and_b32_e32 v7, 1, v6
	v_cmpx_eq_u32_e32 1, v7
; %bb.189:
	v_cndmask_b32_e64 v5, v6, 1, s3
	v_cmp_lt_i64_e32 vcc_lo, v[1:2], v[3:4]
	s_delay_alu instid0(VALU_DEP_2)
	v_and_b32_e32 v6, 1, v5
	v_and_b32_e32 v5, 0xff, v5
	s_and_b32 vcc_lo, s3, vcc_lo
	s_and_not1_b32 s3, s3, exec_lo
	v_dual_cndmask_b32 v2, v4, v2 :: v_dual_cndmask_b32 v1, v3, v1
	v_cmp_eq_u32_e64 s2, 1, v6
	s_delay_alu instid0(VALU_DEP_1) | instskip(NEXT) | instid1(SALU_CYCLE_1)
	s_and_b32 s2, s2, exec_lo
	s_or_b32 s3, s3, s2
; %bb.190:
	s_or_b32 exec_lo, exec_lo, s6
	v_mov_b32_dpp v6, v5 row_ror:8 row_mask:0xf bank_mask:0xf
	v_mov_b32_dpp v3, v1 row_ror:8 row_mask:0xf bank_mask:0xf
	;; [unrolled: 1-line block ×3, first 2 shown]
	s_mov_b32 s6, exec_lo
	s_delay_alu instid0(VALU_DEP_3) | instskip(NEXT) | instid1(VALU_DEP_1)
	v_and_b32_e32 v7, 1, v6
	v_cmpx_eq_u32_e32 1, v7
; %bb.191:
	v_cndmask_b32_e64 v5, v6, 1, s3
	v_cmp_lt_i64_e32 vcc_lo, v[1:2], v[3:4]
	s_delay_alu instid0(VALU_DEP_2)
	v_and_b32_e32 v6, 1, v5
	v_and_b32_e32 v5, 0xff, v5
	s_and_b32 vcc_lo, s3, vcc_lo
	s_and_not1_b32 s3, s3, exec_lo
	v_dual_cndmask_b32 v2, v4, v2 :: v_dual_cndmask_b32 v1, v3, v1
	v_cmp_eq_u32_e64 s2, 1, v6
	s_delay_alu instid0(VALU_DEP_1) | instskip(NEXT) | instid1(SALU_CYCLE_1)
	s_and_b32 s2, s2, exec_lo
	s_or_b32 s3, s3, s2
; %bb.192:
	s_or_b32 exec_lo, exec_lo, s6
	ds_swizzle_b32 v6, v5 offset:swizzle(BROADCAST,32,15)
	ds_swizzle_b32 v3, v1 offset:swizzle(BROADCAST,32,15)
	;; [unrolled: 1-line block ×3, first 2 shown]
	s_mov_b32 s2, exec_lo
	s_waitcnt lgkmcnt(2)
	v_and_b32_e32 v7, 1, v6
	s_delay_alu instid0(VALU_DEP_1)
	v_cmpx_eq_u32_e32 1, v7
	s_cbranch_execz .LBB770_194
; %bb.193:
	s_waitcnt lgkmcnt(0)
	v_cmp_lt_i64_e32 vcc_lo, v[1:2], v[3:4]
	v_and_b32_e32 v5, 0xff, v6
	s_delay_alu instid0(VALU_DEP_1)
	v_cndmask_b32_e64 v5, v5, 1, s3
	s_and_b32 vcc_lo, s3, vcc_lo
	v_dual_cndmask_b32 v1, v3, v1 :: v_dual_cndmask_b32 v2, v4, v2
.LBB770_194:
	s_or_b32 exec_lo, exec_lo, s2
	s_waitcnt lgkmcnt(1)
	v_mov_b32_e32 v3, 0
	s_mov_b32 s2, exec_lo
	ds_bpermute_b32 v6, v3, v5 offset:124
	ds_bpermute_b32 v1, v3, v1 offset:124
	;; [unrolled: 1-line block ×3, first 2 shown]
	v_mbcnt_lo_u32_b32 v3, -1, 0
	s_delay_alu instid0(VALU_DEP_1)
	v_cmpx_eq_u32_e32 0, v3
	s_cbranch_execz .LBB770_196
; %bb.195:
	s_waitcnt lgkmcnt(3)
	v_lshrrev_b32_e32 v4, 1, v0
	s_delay_alu instid0(VALU_DEP_1)
	v_and_b32_e32 v4, 0x70, v4
	s_waitcnt lgkmcnt(2)
	ds_store_b8 v4, v6
	s_waitcnt lgkmcnt(1)
	ds_store_b64 v4, v[1:2] offset:8
.LBB770_196:
	s_or_b32 exec_lo, exec_lo, s2
	s_delay_alu instid0(SALU_CYCLE_1)
	s_mov_b32 s6, exec_lo
	s_waitcnt lgkmcnt(0)
	s_barrier
	buffer_gl0_inv
	v_cmpx_gt_u32_e32 32, v0
	s_cbranch_execz .LBB770_198
; %bb.197:
	v_and_b32_e32 v6, 7, v3
	s_delay_alu instid0(VALU_DEP_1)
	v_lshlrev_b32_e32 v1, 4, v6
	v_cmp_ne_u32_e32 vcc_lo, 7, v6
	ds_load_u8 v7, v1
	ds_load_b64 v[1:2], v1 offset:8
	v_add_co_ci_u32_e32 v4, vcc_lo, 0, v3, vcc_lo
	v_cmp_gt_u32_e32 vcc_lo, 6, v6
	s_delay_alu instid0(VALU_DEP_2)
	v_lshlrev_b32_e32 v5, 2, v4
	v_cndmask_b32_e64 v10, 0, 1, vcc_lo
	s_waitcnt lgkmcnt(1)
	v_and_b32_e32 v4, 0xff, v7
	v_and_b32_e32 v11, 1, v7
	ds_bpermute_b32 v8, v5, v4
	s_waitcnt lgkmcnt(1)
	ds_bpermute_b32 v4, v5, v1
	ds_bpermute_b32 v5, v5, v2
	v_cmp_eq_u32_e64 s3, 1, v11
	s_waitcnt lgkmcnt(2)
	v_and_b32_e32 v9, 1, v8
	s_waitcnt lgkmcnt(0)
	v_cmp_lt_i64_e64 s2, v[4:5], v[1:2]
	s_delay_alu instid0(VALU_DEP_2) | instskip(SKIP_2) | instid1(VALU_DEP_4)
	v_cmp_eq_u32_e32 vcc_lo, 1, v9
	v_lshlrev_b32_e32 v9, 1, v10
	v_cndmask_b32_e64 v7, v7, 1, vcc_lo
	s_and_b32 vcc_lo, vcc_lo, s2
	v_dual_cndmask_b32 v1, v1, v4 :: v_dual_cndmask_b32 v2, v2, v5
	s_delay_alu instid0(VALU_DEP_2) | instskip(SKIP_2) | instid1(VALU_DEP_4)
	v_cndmask_b32_e64 v7, v8, v7, s3
	v_add_lshl_u32 v8, v9, v3, 2
	v_cmp_gt_u32_e32 vcc_lo, 4, v6
	v_cndmask_b32_e64 v1, v4, v1, s3
	v_cndmask_b32_e64 v2, v5, v2, s3
	v_and_b32_e32 v9, 0xff, v7
	v_and_b32_e32 v10, 1, v7
	v_cndmask_b32_e64 v6, 0, 1, vcc_lo
	ds_bpermute_b32 v4, v8, v1
	ds_bpermute_b32 v5, v8, v2
	;; [unrolled: 1-line block ×3, first 2 shown]
	v_cmp_eq_u32_e64 s3, 1, v10
	s_waitcnt lgkmcnt(1)
	v_cmp_lt_i64_e64 s2, v[4:5], v[1:2]
	s_waitcnt lgkmcnt(0)
	v_and_b32_e32 v8, 1, v9
	s_delay_alu instid0(VALU_DEP_1) | instskip(SKIP_1) | instid1(VALU_DEP_4)
	v_cmp_eq_u32_e32 vcc_lo, 1, v8
	v_cndmask_b32_e64 v7, v7, 1, vcc_lo
	s_and_b32 vcc_lo, vcc_lo, s2
	v_dual_cndmask_b32 v1, v1, v4 :: v_dual_cndmask_b32 v2, v2, v5
	s_delay_alu instid0(VALU_DEP_2) | instskip(NEXT) | instid1(VALU_DEP_2)
	v_cndmask_b32_e64 v7, v9, v7, s3
	v_cndmask_b32_e64 v1, v4, v1, s3
	v_lshlrev_b32_e32 v6, 2, v6
	s_delay_alu instid0(VALU_DEP_4) | instskip(NEXT) | instid1(VALU_DEP_2)
	v_cndmask_b32_e64 v2, v5, v2, s3
	v_add_lshl_u32 v6, v6, v3, 2
	v_and_b32_e32 v3, 0xff, v7
	ds_bpermute_b32 v4, v6, v2
	ds_bpermute_b32 v5, v6, v3
	;; [unrolled: 1-line block ×3, first 2 shown]
	s_waitcnt lgkmcnt(1)
	v_and_b32_e32 v6, 1, v5
	s_waitcnt lgkmcnt(0)
	v_cmp_lt_i64_e32 vcc_lo, v[3:4], v[1:2]
	s_delay_alu instid0(VALU_DEP_2) | instskip(SKIP_1) | instid1(VALU_DEP_2)
	v_cmp_eq_u32_e64 s2, 1, v6
	v_and_b32_e32 v6, 1, v7
	v_cndmask_b32_e64 v7, v7, 1, s2
	s_and_b32 vcc_lo, s2, vcc_lo
	s_delay_alu instid0(VALU_DEP_2) | instskip(SKIP_1) | instid1(VALU_DEP_2)
	v_cmp_eq_u32_e64 s2, 1, v6
	v_dual_cndmask_b32 v1, v1, v3 :: v_dual_cndmask_b32 v2, v2, v4
	v_cndmask_b32_e64 v5, v5, v7, s2
	s_delay_alu instid0(VALU_DEP_2) | instskip(NEXT) | instid1(VALU_DEP_3)
	v_cndmask_b32_e64 v1, v3, v1, s2
	v_cndmask_b32_e64 v2, v4, v2, s2
	s_delay_alu instid0(VALU_DEP_3)
	v_and_b32_e32 v6, 0xff, v5
.LBB770_198:
	s_or_b32 exec_lo, exec_lo, s6
	s_branch .LBB770_227
.LBB770_199:
                                        ; implicit-def: $vgpr3_vgpr4
                                        ; implicit-def: $vgpr5
                                        ; implicit-def: $sgpr10_sgpr11
.LBB770_200:
	s_and_saveexec_b32 s2, s24
	s_cbranch_execz .LBB770_202
.LBB770_201:
	s_load_b64 s[0:1], s[0:1], 0x38
	s_lshl_b64 s[2:3], s[10:11], 4
	v_mov_b32_e32 v0, 0
	s_waitcnt lgkmcnt(0)
	s_add_u32 s0, s0, s2
	s_addc_u32 s1, s1, s3
	s_clause 0x1
	global_store_b8 v0, v5, s[0:1]
	global_store_b64 v0, v[3:4], s[0:1] offset:8
.LBB770_202:
	s_nop 0
	s_sendmsg sendmsg(MSG_DEALLOC_VGPRS)
	s_endpgm
.LBB770_203:
                                        ; implicit-def: $vgpr1_vgpr2
                                        ; implicit-def: $vgpr6
	s_cbranch_execz .LBB770_227
; %bb.204:
	v_mov_b32_e32 v1, 0
	v_dual_mov_b32 v2, 0 :: v_dual_mov_b32 v7, 0
	s_sub_i32 s2, s14, s4
	s_mov_b32 s3, exec_lo
	v_cmpx_gt_u32_e64 s2, v0
	s_cbranch_execz .LBB770_206
; %bb.205:
	s_lshl_b64 s[6:7], s[4:5], 3
	v_lshlrev_b32_e32 v1, 3, v0
	s_add_u32 s8, s18, s6
	s_addc_u32 s9, s19, s7
	s_add_u32 s6, s16, s6
	s_addc_u32 s7, s17, s7
	s_add_u32 s4, s12, s4
	s_waitcnt lgkmcnt(0)
	s_clause 0x1
	global_load_b64 v[3:4], v1, s[6:7]
	global_load_b64 v[5:6], v1, s[8:9]
	s_addc_u32 s5, s13, 0
	v_add_co_u32 v1, s4, s4, v0
	s_delay_alu instid0(VALU_DEP_1)
	v_add_co_ci_u32_e64 v2, null, s5, 0, s4
	s_waitcnt vmcnt(0)
	v_cmp_neq_f64_e32 vcc_lo, v[3:4], v[5:6]
	v_cndmask_b32_e64 v7, 0, 1, vcc_lo
.LBB770_206:
	s_or_b32 exec_lo, exec_lo, s3
	s_waitcnt lgkmcnt(2)
	v_mbcnt_lo_u32_b32 v5, -1, 0
	s_delay_alu instid0(VALU_DEP_2)
	v_and_b32_e32 v6, 0xffff, v7
	v_and_b32_e32 v8, 0xe0, v0
	s_min_u32 s3, s2, 0x100
	s_mov_b32 s4, exec_lo
	v_cmp_ne_u32_e32 vcc_lo, 31, v5
	v_add_nc_u32_e32 v10, 1, v5
	v_sub_nc_u32_e64 v8, s3, v8 clamp
	s_waitcnt lgkmcnt(1)
	v_add_co_ci_u32_e32 v3, vcc_lo, 0, v5, vcc_lo
	s_waitcnt lgkmcnt(0)
	s_delay_alu instid0(VALU_DEP_1)
	v_lshlrev_b32_e32 v4, 2, v3
	ds_bpermute_b32 v9, v4, v6
	ds_bpermute_b32 v3, v4, v1
	ds_bpermute_b32 v4, v4, v2
	v_cmpx_lt_u32_e64 v10, v8
	s_cbranch_execz .LBB770_208
; %bb.207:
	s_waitcnt lgkmcnt(2)
	v_and_b32_e32 v6, 1, v9
	s_waitcnt lgkmcnt(0)
	v_cmp_lt_i64_e32 vcc_lo, v[3:4], v[1:2]
	s_delay_alu instid0(VALU_DEP_2) | instskip(SKIP_1) | instid1(VALU_DEP_2)
	v_cmp_eq_u32_e64 s2, 1, v6
	v_and_b32_e32 v6, 1, v7
	v_cndmask_b32_e64 v7, v7, 1, s2
	s_and_b32 vcc_lo, s2, vcc_lo
	s_delay_alu instid0(VALU_DEP_2) | instskip(SKIP_1) | instid1(VALU_DEP_2)
	v_cmp_eq_u32_e64 s2, 1, v6
	v_dual_cndmask_b32 v1, v1, v3 :: v_dual_cndmask_b32 v2, v2, v4
	v_cndmask_b32_e64 v7, v9, v7, s2
	s_delay_alu instid0(VALU_DEP_2) | instskip(NEXT) | instid1(VALU_DEP_3)
	v_cndmask_b32_e64 v1, v3, v1, s2
	v_cndmask_b32_e64 v2, v4, v2, s2
	s_delay_alu instid0(VALU_DEP_3)
	v_and_b32_e32 v6, 0xff, v7
.LBB770_208:
	s_or_b32 exec_lo, exec_lo, s4
	v_cmp_gt_u32_e32 vcc_lo, 30, v5
	v_add_nc_u32_e32 v10, 2, v5
	s_mov_b32 s4, exec_lo
	s_waitcnt lgkmcnt(1)
	v_cndmask_b32_e64 v3, 0, 1, vcc_lo
	s_delay_alu instid0(VALU_DEP_1) | instskip(SKIP_1) | instid1(VALU_DEP_1)
	v_lshlrev_b32_e32 v3, 1, v3
	s_waitcnt lgkmcnt(0)
	v_add_lshl_u32 v4, v3, v5, 2
	ds_bpermute_b32 v9, v4, v6
	ds_bpermute_b32 v3, v4, v1
	ds_bpermute_b32 v4, v4, v2
	v_cmpx_lt_u32_e64 v10, v8
	s_cbranch_execz .LBB770_210
; %bb.209:
	s_waitcnt lgkmcnt(2)
	v_and_b32_e32 v6, 1, v9
	s_waitcnt lgkmcnt(0)
	v_cmp_lt_i64_e32 vcc_lo, v[3:4], v[1:2]
	s_delay_alu instid0(VALU_DEP_2) | instskip(SKIP_1) | instid1(VALU_DEP_2)
	v_cmp_eq_u32_e64 s2, 1, v6
	v_and_b32_e32 v6, 1, v7
	v_cndmask_b32_e64 v7, v7, 1, s2
	s_and_b32 vcc_lo, s2, vcc_lo
	s_delay_alu instid0(VALU_DEP_2) | instskip(SKIP_1) | instid1(VALU_DEP_2)
	v_cmp_eq_u32_e64 s2, 1, v6
	v_dual_cndmask_b32 v1, v1, v3 :: v_dual_cndmask_b32 v2, v2, v4
	v_cndmask_b32_e64 v7, v9, v7, s2
	s_delay_alu instid0(VALU_DEP_2) | instskip(NEXT) | instid1(VALU_DEP_3)
	v_cndmask_b32_e64 v1, v3, v1, s2
	v_cndmask_b32_e64 v2, v4, v2, s2
	s_delay_alu instid0(VALU_DEP_3)
	v_and_b32_e32 v6, 0xff, v7
.LBB770_210:
	s_or_b32 exec_lo, exec_lo, s4
	v_cmp_gt_u32_e32 vcc_lo, 28, v5
	v_add_nc_u32_e32 v10, 4, v5
	s_mov_b32 s4, exec_lo
	s_waitcnt lgkmcnt(1)
	v_cndmask_b32_e64 v3, 0, 1, vcc_lo
	s_delay_alu instid0(VALU_DEP_1) | instskip(SKIP_1) | instid1(VALU_DEP_1)
	v_lshlrev_b32_e32 v3, 2, v3
	s_waitcnt lgkmcnt(0)
	v_add_lshl_u32 v4, v3, v5, 2
	;; [unrolled: 35-line block ×4, first 2 shown]
	ds_bpermute_b32 v9, v4, v6
	ds_bpermute_b32 v3, v4, v1
	;; [unrolled: 1-line block ×3, first 2 shown]
	v_cmpx_lt_u32_e64 v10, v8
	s_cbranch_execz .LBB770_216
; %bb.215:
	s_waitcnt lgkmcnt(2)
	v_and_b32_e32 v6, 1, v9
	s_waitcnt lgkmcnt(0)
	v_cmp_lt_i64_e32 vcc_lo, v[3:4], v[1:2]
	s_delay_alu instid0(VALU_DEP_2) | instskip(SKIP_1) | instid1(VALU_DEP_2)
	v_cmp_eq_u32_e64 s2, 1, v6
	v_and_b32_e32 v6, 1, v7
	v_cndmask_b32_e64 v7, v7, 1, s2
	s_and_b32 vcc_lo, s2, vcc_lo
	s_delay_alu instid0(VALU_DEP_2) | instskip(SKIP_1) | instid1(VALU_DEP_2)
	v_cmp_eq_u32_e64 s2, 1, v6
	v_dual_cndmask_b32 v1, v1, v3 :: v_dual_cndmask_b32 v2, v2, v4
	v_cndmask_b32_e64 v7, v9, v7, s2
	s_delay_alu instid0(VALU_DEP_2) | instskip(NEXT) | instid1(VALU_DEP_3)
	v_cndmask_b32_e64 v1, v3, v1, s2
	v_cndmask_b32_e64 v2, v4, v2, s2
	s_delay_alu instid0(VALU_DEP_3)
	v_and_b32_e32 v6, 0xff, v7
.LBB770_216:
	s_or_b32 exec_lo, exec_lo, s4
	s_delay_alu instid0(SALU_CYCLE_1)
	s_mov_b32 s2, exec_lo
	v_cmpx_eq_u32_e32 0, v5
	s_cbranch_execz .LBB770_218
; %bb.217:
	s_waitcnt lgkmcnt(1)
	v_lshrrev_b32_e32 v3, 1, v0
	s_delay_alu instid0(VALU_DEP_1)
	v_and_b32_e32 v3, 0x70, v3
	ds_store_b8 v3, v7 offset:512
	ds_store_b64 v3, v[1:2] offset:520
.LBB770_218:
	s_or_b32 exec_lo, exec_lo, s2
	s_delay_alu instid0(SALU_CYCLE_1)
	s_mov_b32 s4, exec_lo
	s_waitcnt lgkmcnt(0)
	s_barrier
	buffer_gl0_inv
	v_cmpx_gt_u32_e32 8, v0
	s_cbranch_execz .LBB770_226
; %bb.219:
	v_lshlrev_b32_e32 v1, 4, v5
	v_and_b32_e32 v8, 7, v5
	s_add_i32 s3, s3, 31
	s_mov_b32 s5, exec_lo
	s_lshr_b32 s3, s3, 5
	ds_load_u8 v7, v1 offset:512
	ds_load_b64 v[1:2], v1 offset:520
	v_cmp_ne_u32_e32 vcc_lo, 7, v8
	v_add_nc_u32_e32 v10, 1, v8
	v_add_co_ci_u32_e32 v3, vcc_lo, 0, v5, vcc_lo
	s_delay_alu instid0(VALU_DEP_1)
	v_lshlrev_b32_e32 v4, 2, v3
	s_waitcnt lgkmcnt(1)
	v_and_b32_e32 v6, 0xff, v7
	s_waitcnt lgkmcnt(0)
	ds_bpermute_b32 v3, v4, v1
	ds_bpermute_b32 v9, v4, v6
	;; [unrolled: 1-line block ×3, first 2 shown]
	v_cmpx_gt_u32_e64 s3, v10
	s_cbranch_execz .LBB770_221
; %bb.220:
	s_waitcnt lgkmcnt(1)
	v_and_b32_e32 v6, 1, v9
	s_waitcnt lgkmcnt(0)
	v_cmp_lt_i64_e32 vcc_lo, v[3:4], v[1:2]
	s_delay_alu instid0(VALU_DEP_2) | instskip(SKIP_1) | instid1(VALU_DEP_2)
	v_cmp_eq_u32_e64 s2, 1, v6
	v_and_b32_e32 v6, 1, v7
	v_cndmask_b32_e64 v7, v7, 1, s2
	s_and_b32 vcc_lo, s2, vcc_lo
	s_delay_alu instid0(VALU_DEP_2) | instskip(SKIP_1) | instid1(VALU_DEP_2)
	v_cmp_eq_u32_e64 s2, 1, v6
	v_dual_cndmask_b32 v1, v1, v3 :: v_dual_cndmask_b32 v2, v2, v4
	v_cndmask_b32_e64 v7, v9, v7, s2
	s_delay_alu instid0(VALU_DEP_2) | instskip(NEXT) | instid1(VALU_DEP_3)
	v_cndmask_b32_e64 v1, v3, v1, s2
	v_cndmask_b32_e64 v2, v4, v2, s2
	s_delay_alu instid0(VALU_DEP_3)
	v_and_b32_e32 v6, 0xff, v7
.LBB770_221:
	s_or_b32 exec_lo, exec_lo, s5
	v_cmp_gt_u32_e32 vcc_lo, 6, v8
	v_add_nc_u32_e32 v10, 2, v8
	s_mov_b32 s5, exec_lo
	s_waitcnt lgkmcnt(2)
	v_cndmask_b32_e64 v3, 0, 1, vcc_lo
	s_delay_alu instid0(VALU_DEP_1) | instskip(SKIP_1) | instid1(VALU_DEP_1)
	v_lshlrev_b32_e32 v3, 1, v3
	s_waitcnt lgkmcnt(0)
	v_add_lshl_u32 v4, v3, v5, 2
	ds_bpermute_b32 v9, v4, v6
	ds_bpermute_b32 v3, v4, v1
	;; [unrolled: 1-line block ×3, first 2 shown]
	v_cmpx_gt_u32_e64 s3, v10
	s_cbranch_execz .LBB770_223
; %bb.222:
	s_waitcnt lgkmcnt(2)
	v_and_b32_e32 v6, 1, v9
	s_waitcnt lgkmcnt(0)
	v_cmp_lt_i64_e32 vcc_lo, v[3:4], v[1:2]
	s_delay_alu instid0(VALU_DEP_2) | instskip(SKIP_1) | instid1(VALU_DEP_2)
	v_cmp_eq_u32_e64 s2, 1, v6
	v_and_b32_e32 v6, 1, v7
	v_cndmask_b32_e64 v7, v7, 1, s2
	s_and_b32 vcc_lo, s2, vcc_lo
	s_delay_alu instid0(VALU_DEP_2) | instskip(SKIP_1) | instid1(VALU_DEP_2)
	v_cmp_eq_u32_e64 s2, 1, v6
	v_dual_cndmask_b32 v1, v1, v3 :: v_dual_cndmask_b32 v2, v2, v4
	v_cndmask_b32_e64 v7, v9, v7, s2
	s_delay_alu instid0(VALU_DEP_2) | instskip(NEXT) | instid1(VALU_DEP_3)
	v_cndmask_b32_e64 v1, v3, v1, s2
	v_cndmask_b32_e64 v2, v4, v2, s2
	s_delay_alu instid0(VALU_DEP_3)
	v_and_b32_e32 v6, 0xff, v7
.LBB770_223:
	s_or_b32 exec_lo, exec_lo, s5
	v_cmp_gt_u32_e32 vcc_lo, 4, v8
	v_add_nc_u32_e32 v8, 4, v8
	s_waitcnt lgkmcnt(1)
	v_cndmask_b32_e64 v3, 0, 1, vcc_lo
	s_delay_alu instid0(VALU_DEP_2) | instskip(NEXT) | instid1(VALU_DEP_2)
	v_cmp_gt_u32_e32 vcc_lo, s3, v8
	v_lshlrev_b32_e32 v3, 2, v3
	s_waitcnt lgkmcnt(0)
	s_delay_alu instid0(VALU_DEP_1)
	v_add_lshl_u32 v4, v3, v5, 2
	ds_bpermute_b32 v5, v4, v6
	ds_bpermute_b32 v3, v4, v1
	;; [unrolled: 1-line block ×3, first 2 shown]
	s_and_saveexec_b32 s3, vcc_lo
	s_cbranch_execz .LBB770_225
; %bb.224:
	s_waitcnt lgkmcnt(2)
	v_and_b32_e32 v6, 1, v5
	s_waitcnt lgkmcnt(0)
	v_cmp_lt_i64_e32 vcc_lo, v[3:4], v[1:2]
	s_delay_alu instid0(VALU_DEP_2) | instskip(SKIP_1) | instid1(VALU_DEP_2)
	v_cmp_eq_u32_e64 s2, 1, v6
	v_and_b32_e32 v6, 1, v7
	v_cndmask_b32_e64 v7, v7, 1, s2
	s_and_b32 vcc_lo, s2, vcc_lo
	s_delay_alu instid0(VALU_DEP_2) | instskip(SKIP_1) | instid1(VALU_DEP_2)
	v_cmp_eq_u32_e64 s2, 1, v6
	v_dual_cndmask_b32 v1, v1, v3 :: v_dual_cndmask_b32 v2, v2, v4
	v_cndmask_b32_e64 v5, v5, v7, s2
	s_delay_alu instid0(VALU_DEP_2) | instskip(NEXT) | instid1(VALU_DEP_3)
	v_cndmask_b32_e64 v1, v3, v1, s2
	v_cndmask_b32_e64 v2, v4, v2, s2
	s_delay_alu instid0(VALU_DEP_3)
	v_and_b32_e32 v6, 0xff, v5
.LBB770_225:
	s_or_b32 exec_lo, exec_lo, s3
.LBB770_226:
	s_delay_alu instid0(SALU_CYCLE_1)
	s_or_b32 exec_lo, exec_lo, s4
.LBB770_227:
	s_delay_alu instid0(SALU_CYCLE_1)
	s_mov_b32 s4, exec_lo
                                        ; implicit-def: $vgpr3_vgpr4
                                        ; implicit-def: $vgpr5
	v_cmpx_eq_u32_e32 0, v0
	s_cbranch_execz .LBB770_231
; %bb.228:
	s_waitcnt lgkmcnt(0)
	v_dual_mov_b32 v3, s20 :: v_dual_mov_b32 v4, s21
	v_mov_b32_e32 v5, s28
	s_cmp_eq_u64 s[14:15], 0
	s_cbranch_scc1 .LBB770_230
; %bb.229:
	v_and_b32_e32 v0, 1, v6
	v_cmp_gt_i64_e32 vcc_lo, s[20:21], v[1:2]
	s_bitcmp1_b32 s28, 0
	s_cselect_b32 s3, -1, 0
	s_delay_alu instid0(VALU_DEP_2) | instskip(NEXT) | instid1(VALU_DEP_1)
	v_cmp_eq_u32_e64 s2, 1, v0
	s_and_b32 vcc_lo, s2, vcc_lo
	v_cndmask_b32_e64 v0, s28, 1, s2
	v_cndmask_b32_e32 v3, s20, v1, vcc_lo
	v_cndmask_b32_e32 v4, s21, v2, vcc_lo
	s_delay_alu instid0(VALU_DEP_3) | instskip(NEXT) | instid1(VALU_DEP_3)
	v_cndmask_b32_e64 v5, v6, v0, s3
	v_cndmask_b32_e64 v3, v1, v3, s3
	s_delay_alu instid0(VALU_DEP_3)
	v_cndmask_b32_e64 v4, v2, v4, s3
.LBB770_230:
	s_or_b32 s24, s24, exec_lo
.LBB770_231:
	s_or_b32 exec_lo, exec_lo, s4
	s_and_saveexec_b32 s2, s24
	s_cbranch_execnz .LBB770_201
	s_branch .LBB770_202
.LBB770_232:
	v_lshlrev_b32_e32 v3, 3, v25
	s_clause 0x1
	global_load_b64 v[26:27], v3, s[22:23]
	global_load_b64 v[28:29], v3, s[24:25]
	v_add_co_u32 v3, s8, s27, v25
	s_delay_alu instid0(VALU_DEP_1) | instskip(SKIP_2) | instid1(VALU_DEP_1)
	v_add_co_ci_u32_e64 v4, null, s30, 0, s8
	s_waitcnt vmcnt(0)
	v_cmp_neq_f64_e64 s8, v[26:27], v[28:29]
	v_cndmask_b32_e64 v18, 0, 1, s8
	s_or_b32 exec_lo, exec_lo, s31
	s_and_saveexec_b32 s22, s7
	s_cbranch_execz .LBB770_57
.LBB770_233:
	v_and_b32_e32 v25, 1, v21
	v_cmp_lt_i64_e64 s7, v[9:10], v[1:2]
	s_delay_alu instid0(VALU_DEP_2) | instskip(SKIP_1) | instid1(VALU_DEP_2)
	v_cmp_eq_u32_e64 s8, 1, v25
	v_and_b32_e32 v25, 1, v17
	s_and_b32 s7, s8, s7
	v_cndmask_b32_e64 v17, v17, 1, s8
	v_cndmask_b32_e64 v1, v1, v9, s7
	;; [unrolled: 1-line block ×3, first 2 shown]
	v_cmp_eq_u32_e64 s7, 1, v25
	s_delay_alu instid0(VALU_DEP_1) | instskip(NEXT) | instid1(VALU_DEP_3)
	v_cndmask_b32_e64 v17, v21, v17, s7
	v_cndmask_b32_e64 v2, v10, v2, s7
	;; [unrolled: 1-line block ×3, first 2 shown]
	s_or_b32 exec_lo, exec_lo, s22
	s_and_saveexec_b32 s8, s6
	s_cbranch_execz .LBB770_58
.LBB770_234:
	v_and_b32_e32 v9, 1, v24
	v_cmp_lt_i64_e64 s6, v[15:16], v[1:2]
	s_delay_alu instid0(VALU_DEP_2) | instskip(SKIP_1) | instid1(VALU_DEP_2)
	v_cmp_eq_u32_e64 s7, 1, v9
	v_and_b32_e32 v9, 1, v17
	s_and_b32 s6, s7, s6
	v_cndmask_b32_e64 v10, v17, 1, s7
	v_cndmask_b32_e64 v1, v1, v15, s6
	;; [unrolled: 1-line block ×3, first 2 shown]
	v_cmp_eq_u32_e64 s6, 1, v9
	s_delay_alu instid0(VALU_DEP_1) | instskip(NEXT) | instid1(VALU_DEP_3)
	v_cndmask_b32_e64 v17, v24, v10, s6
	v_cndmask_b32_e64 v2, v16, v2, s6
	;; [unrolled: 1-line block ×3, first 2 shown]
	s_or_b32 exec_lo, exec_lo, s8
	s_and_saveexec_b32 s7, s5
	s_cbranch_execz .LBB770_59
.LBB770_235:
	v_and_b32_e32 v9, 1, v20
	v_cmp_lt_i64_e64 s5, v[7:8], v[1:2]
	s_delay_alu instid0(VALU_DEP_2) | instskip(SKIP_1) | instid1(VALU_DEP_2)
	v_cmp_eq_u32_e64 s6, 1, v9
	v_and_b32_e32 v9, 1, v17
	s_and_b32 s5, s6, s5
	v_cndmask_b32_e64 v10, v17, 1, s6
	v_cndmask_b32_e64 v1, v1, v7, s5
	;; [unrolled: 1-line block ×3, first 2 shown]
	v_cmp_eq_u32_e64 s5, 1, v9
	s_delay_alu instid0(VALU_DEP_1) | instskip(NEXT) | instid1(VALU_DEP_3)
	v_cndmask_b32_e64 v17, v20, v10, s5
	v_cndmask_b32_e64 v2, v8, v2, s5
	;; [unrolled: 1-line block ×3, first 2 shown]
	s_or_b32 exec_lo, exec_lo, s7
	s_and_saveexec_b32 s6, s4
	s_cbranch_execz .LBB770_60
.LBB770_236:
	v_and_b32_e32 v7, 1, v23
	v_cmp_lt_i64_e64 s4, v[13:14], v[1:2]
	s_delay_alu instid0(VALU_DEP_2) | instskip(SKIP_1) | instid1(VALU_DEP_2)
	v_cmp_eq_u32_e64 s5, 1, v7
	v_and_b32_e32 v7, 1, v17
	s_and_b32 s4, s5, s4
	v_cndmask_b32_e64 v8, v17, 1, s5
	v_cndmask_b32_e64 v1, v1, v13, s4
	;; [unrolled: 1-line block ×3, first 2 shown]
	v_cmp_eq_u32_e64 s4, 1, v7
	s_delay_alu instid0(VALU_DEP_1) | instskip(NEXT) | instid1(VALU_DEP_3)
	v_cndmask_b32_e64 v17, v23, v8, s4
	v_cndmask_b32_e64 v2, v14, v2, s4
	;; [unrolled: 1-line block ×3, first 2 shown]
	s_or_b32 exec_lo, exec_lo, s6
	s_and_saveexec_b32 s5, s3
	s_cbranch_execz .LBB770_61
.LBB770_237:
	v_and_b32_e32 v7, 1, v19
	v_cmp_lt_i64_e64 s3, v[5:6], v[1:2]
	s_delay_alu instid0(VALU_DEP_2) | instskip(SKIP_1) | instid1(VALU_DEP_2)
	v_cmp_eq_u32_e64 s4, 1, v7
	v_and_b32_e32 v7, 1, v17
	s_and_b32 s3, s4, s3
	v_cndmask_b32_e64 v8, v17, 1, s4
	v_cndmask_b32_e64 v1, v1, v5, s3
	;; [unrolled: 1-line block ×3, first 2 shown]
	v_cmp_eq_u32_e64 s3, 1, v7
	s_delay_alu instid0(VALU_DEP_1) | instskip(NEXT) | instid1(VALU_DEP_3)
	v_cndmask_b32_e64 v17, v19, v8, s3
	v_cndmask_b32_e64 v2, v6, v2, s3
	;; [unrolled: 1-line block ×3, first 2 shown]
	s_or_b32 exec_lo, exec_lo, s5
	s_and_saveexec_b32 s4, s2
	s_cbranch_execz .LBB770_62
.LBB770_238:
	v_and_b32_e32 v5, 1, v22
	v_cmp_lt_i64_e64 s2, v[11:12], v[1:2]
	s_delay_alu instid0(VALU_DEP_2) | instskip(SKIP_1) | instid1(VALU_DEP_2)
	v_cmp_eq_u32_e64 s3, 1, v5
	v_and_b32_e32 v5, 1, v17
	s_and_b32 s2, s3, s2
	v_cndmask_b32_e64 v6, v17, 1, s3
	v_cndmask_b32_e64 v1, v1, v11, s2
	;; [unrolled: 1-line block ×3, first 2 shown]
	v_cmp_eq_u32_e64 s2, 1, v5
	s_delay_alu instid0(VALU_DEP_1) | instskip(NEXT) | instid1(VALU_DEP_3)
	v_cndmask_b32_e64 v17, v22, v6, s2
	v_cndmask_b32_e64 v2, v12, v2, s2
	;; [unrolled: 1-line block ×3, first 2 shown]
	s_or_b32 exec_lo, exec_lo, s4
	s_and_saveexec_b32 s3, vcc_lo
	s_cbranch_execnz .LBB770_63
	s_branch .LBB770_64
.LBB770_239:
	v_lshlrev_b32_e32 v3, 3, v13
	s_clause 0x1
	global_load_b64 v[14:15], v3, s[6:7]
	global_load_b64 v[16:17], v3, s[8:9]
	v_add_co_u32 v3, s4, s5, v13
	s_delay_alu instid0(VALU_DEP_1) | instskip(SKIP_2) | instid1(VALU_DEP_1)
	v_add_co_ci_u32_e64 v4, null, s23, 0, s4
	s_waitcnt vmcnt(0)
	v_cmp_neq_f64_e64 s4, v[14:15], v[16:17]
	v_cndmask_b32_e64 v10, 0, 1, s4
	s_or_b32 exec_lo, exec_lo, s25
	s_and_saveexec_b32 s5, s3
	s_cbranch_execz .LBB770_100
.LBB770_240:
	v_and_b32_e32 v13, 1, v11
	v_cmp_lt_i64_e64 s3, v[5:6], v[1:2]
	s_delay_alu instid0(VALU_DEP_2) | instskip(SKIP_1) | instid1(VALU_DEP_2)
	v_cmp_eq_u32_e64 s4, 1, v13
	v_and_b32_e32 v13, 1, v9
	s_and_b32 s3, s4, s3
	v_cndmask_b32_e64 v9, v9, 1, s4
	v_cndmask_b32_e64 v1, v1, v5, s3
	;; [unrolled: 1-line block ×3, first 2 shown]
	v_cmp_eq_u32_e64 s3, 1, v13
	s_delay_alu instid0(VALU_DEP_1) | instskip(NEXT) | instid1(VALU_DEP_3)
	v_cndmask_b32_e64 v9, v11, v9, s3
	v_cndmask_b32_e64 v2, v6, v2, s3
	;; [unrolled: 1-line block ×3, first 2 shown]
	s_or_b32 exec_lo, exec_lo, s5
	s_and_saveexec_b32 s4, s2
	s_cbranch_execz .LBB770_101
.LBB770_241:
	v_and_b32_e32 v5, 1, v12
	v_cmp_lt_i64_e64 s2, v[7:8], v[1:2]
	s_delay_alu instid0(VALU_DEP_2) | instskip(SKIP_1) | instid1(VALU_DEP_2)
	v_cmp_eq_u32_e64 s3, 1, v5
	v_and_b32_e32 v5, 1, v9
	s_and_b32 s2, s3, s2
	v_cndmask_b32_e64 v6, v9, 1, s3
	v_cndmask_b32_e64 v1, v1, v7, s2
	;; [unrolled: 1-line block ×3, first 2 shown]
	v_cmp_eq_u32_e64 s2, 1, v5
	s_delay_alu instid0(VALU_DEP_1) | instskip(NEXT) | instid1(VALU_DEP_3)
	v_cndmask_b32_e64 v9, v12, v6, s2
	v_cndmask_b32_e64 v2, v8, v2, s2
	;; [unrolled: 1-line block ×3, first 2 shown]
	s_or_b32 exec_lo, exec_lo, s4
	s_and_saveexec_b32 s3, vcc_lo
	s_cbranch_execnz .LBB770_102
	s_branch .LBB770_103
	.section	.rodata,"a",@progbits
	.p2align	6, 0x0
	.amdhsa_kernel _ZN7rocprim17ROCPRIM_400000_NS6detail17trampoline_kernelINS0_14default_configENS1_22reduce_config_selectorIN6thrust23THRUST_200600_302600_NS5tupleIblNS6_9null_typeES8_S8_S8_S8_S8_S8_S8_EEEEZNS1_11reduce_implILb1ES3_NS6_12zip_iteratorINS7_INS6_11hip_rocprim26transform_input_iterator_tIbNSD_35transform_pair_of_input_iterators_tIbNS6_6detail15normal_iteratorINS6_10device_ptrIKdEEEESL_NS6_8equal_toIdEEEENSG_9not_fun_tINSD_8identityEEEEENSD_19counting_iterator_tIlEES8_S8_S8_S8_S8_S8_S8_S8_EEEEPS9_S9_NSD_9__find_if7functorIS9_EEEE10hipError_tPvRmT1_T2_T3_mT4_P12ihipStream_tbEUlT_E1_NS1_11comp_targetILNS1_3genE9ELNS1_11target_archE1100ELNS1_3gpuE3ELNS1_3repE0EEENS1_30default_config_static_selectorELNS0_4arch9wavefront6targetE0EEEvS14_
		.amdhsa_group_segment_fixed_size 640
		.amdhsa_private_segment_fixed_size 0
		.amdhsa_kernarg_size 88
		.amdhsa_user_sgpr_count 15
		.amdhsa_user_sgpr_dispatch_ptr 0
		.amdhsa_user_sgpr_queue_ptr 0
		.amdhsa_user_sgpr_kernarg_segment_ptr 1
		.amdhsa_user_sgpr_dispatch_id 0
		.amdhsa_user_sgpr_private_segment_size 0
		.amdhsa_wavefront_size32 1
		.amdhsa_uses_dynamic_stack 0
		.amdhsa_enable_private_segment 0
		.amdhsa_system_sgpr_workgroup_id_x 1
		.amdhsa_system_sgpr_workgroup_id_y 0
		.amdhsa_system_sgpr_workgroup_id_z 0
		.amdhsa_system_sgpr_workgroup_info 0
		.amdhsa_system_vgpr_workitem_id 0
		.amdhsa_next_free_vgpr 34
		.amdhsa_next_free_sgpr 32
		.amdhsa_reserve_vcc 1
		.amdhsa_float_round_mode_32 0
		.amdhsa_float_round_mode_16_64 0
		.amdhsa_float_denorm_mode_32 3
		.amdhsa_float_denorm_mode_16_64 3
		.amdhsa_dx10_clamp 1
		.amdhsa_ieee_mode 1
		.amdhsa_fp16_overflow 0
		.amdhsa_workgroup_processor_mode 1
		.amdhsa_memory_ordered 1
		.amdhsa_forward_progress 0
		.amdhsa_shared_vgpr_count 0
		.amdhsa_exception_fp_ieee_invalid_op 0
		.amdhsa_exception_fp_denorm_src 0
		.amdhsa_exception_fp_ieee_div_zero 0
		.amdhsa_exception_fp_ieee_overflow 0
		.amdhsa_exception_fp_ieee_underflow 0
		.amdhsa_exception_fp_ieee_inexact 0
		.amdhsa_exception_int_div_zero 0
	.end_amdhsa_kernel
	.section	.text._ZN7rocprim17ROCPRIM_400000_NS6detail17trampoline_kernelINS0_14default_configENS1_22reduce_config_selectorIN6thrust23THRUST_200600_302600_NS5tupleIblNS6_9null_typeES8_S8_S8_S8_S8_S8_S8_EEEEZNS1_11reduce_implILb1ES3_NS6_12zip_iteratorINS7_INS6_11hip_rocprim26transform_input_iterator_tIbNSD_35transform_pair_of_input_iterators_tIbNS6_6detail15normal_iteratorINS6_10device_ptrIKdEEEESL_NS6_8equal_toIdEEEENSG_9not_fun_tINSD_8identityEEEEENSD_19counting_iterator_tIlEES8_S8_S8_S8_S8_S8_S8_S8_EEEEPS9_S9_NSD_9__find_if7functorIS9_EEEE10hipError_tPvRmT1_T2_T3_mT4_P12ihipStream_tbEUlT_E1_NS1_11comp_targetILNS1_3genE9ELNS1_11target_archE1100ELNS1_3gpuE3ELNS1_3repE0EEENS1_30default_config_static_selectorELNS0_4arch9wavefront6targetE0EEEvS14_,"axG",@progbits,_ZN7rocprim17ROCPRIM_400000_NS6detail17trampoline_kernelINS0_14default_configENS1_22reduce_config_selectorIN6thrust23THRUST_200600_302600_NS5tupleIblNS6_9null_typeES8_S8_S8_S8_S8_S8_S8_EEEEZNS1_11reduce_implILb1ES3_NS6_12zip_iteratorINS7_INS6_11hip_rocprim26transform_input_iterator_tIbNSD_35transform_pair_of_input_iterators_tIbNS6_6detail15normal_iteratorINS6_10device_ptrIKdEEEESL_NS6_8equal_toIdEEEENSG_9not_fun_tINSD_8identityEEEEENSD_19counting_iterator_tIlEES8_S8_S8_S8_S8_S8_S8_S8_EEEEPS9_S9_NSD_9__find_if7functorIS9_EEEE10hipError_tPvRmT1_T2_T3_mT4_P12ihipStream_tbEUlT_E1_NS1_11comp_targetILNS1_3genE9ELNS1_11target_archE1100ELNS1_3gpuE3ELNS1_3repE0EEENS1_30default_config_static_selectorELNS0_4arch9wavefront6targetE0EEEvS14_,comdat
.Lfunc_end770:
	.size	_ZN7rocprim17ROCPRIM_400000_NS6detail17trampoline_kernelINS0_14default_configENS1_22reduce_config_selectorIN6thrust23THRUST_200600_302600_NS5tupleIblNS6_9null_typeES8_S8_S8_S8_S8_S8_S8_EEEEZNS1_11reduce_implILb1ES3_NS6_12zip_iteratorINS7_INS6_11hip_rocprim26transform_input_iterator_tIbNSD_35transform_pair_of_input_iterators_tIbNS6_6detail15normal_iteratorINS6_10device_ptrIKdEEEESL_NS6_8equal_toIdEEEENSG_9not_fun_tINSD_8identityEEEEENSD_19counting_iterator_tIlEES8_S8_S8_S8_S8_S8_S8_S8_EEEEPS9_S9_NSD_9__find_if7functorIS9_EEEE10hipError_tPvRmT1_T2_T3_mT4_P12ihipStream_tbEUlT_E1_NS1_11comp_targetILNS1_3genE9ELNS1_11target_archE1100ELNS1_3gpuE3ELNS1_3repE0EEENS1_30default_config_static_selectorELNS0_4arch9wavefront6targetE0EEEvS14_, .Lfunc_end770-_ZN7rocprim17ROCPRIM_400000_NS6detail17trampoline_kernelINS0_14default_configENS1_22reduce_config_selectorIN6thrust23THRUST_200600_302600_NS5tupleIblNS6_9null_typeES8_S8_S8_S8_S8_S8_S8_EEEEZNS1_11reduce_implILb1ES3_NS6_12zip_iteratorINS7_INS6_11hip_rocprim26transform_input_iterator_tIbNSD_35transform_pair_of_input_iterators_tIbNS6_6detail15normal_iteratorINS6_10device_ptrIKdEEEESL_NS6_8equal_toIdEEEENSG_9not_fun_tINSD_8identityEEEEENSD_19counting_iterator_tIlEES8_S8_S8_S8_S8_S8_S8_S8_EEEEPS9_S9_NSD_9__find_if7functorIS9_EEEE10hipError_tPvRmT1_T2_T3_mT4_P12ihipStream_tbEUlT_E1_NS1_11comp_targetILNS1_3genE9ELNS1_11target_archE1100ELNS1_3gpuE3ELNS1_3repE0EEENS1_30default_config_static_selectorELNS0_4arch9wavefront6targetE0EEEvS14_
                                        ; -- End function
	.section	.AMDGPU.csdata,"",@progbits
; Kernel info:
; codeLenInByte = 16136
; NumSgprs: 34
; NumVgprs: 34
; ScratchSize: 0
; MemoryBound: 0
; FloatMode: 240
; IeeeMode: 1
; LDSByteSize: 640 bytes/workgroup (compile time only)
; SGPRBlocks: 4
; VGPRBlocks: 4
; NumSGPRsForWavesPerEU: 34
; NumVGPRsForWavesPerEU: 34
; Occupancy: 16
; WaveLimiterHint : 0
; COMPUTE_PGM_RSRC2:SCRATCH_EN: 0
; COMPUTE_PGM_RSRC2:USER_SGPR: 15
; COMPUTE_PGM_RSRC2:TRAP_HANDLER: 0
; COMPUTE_PGM_RSRC2:TGID_X_EN: 1
; COMPUTE_PGM_RSRC2:TGID_Y_EN: 0
; COMPUTE_PGM_RSRC2:TGID_Z_EN: 0
; COMPUTE_PGM_RSRC2:TIDIG_COMP_CNT: 0
	.section	.text._ZN7rocprim17ROCPRIM_400000_NS6detail17trampoline_kernelINS0_14default_configENS1_22reduce_config_selectorIN6thrust23THRUST_200600_302600_NS5tupleIblNS6_9null_typeES8_S8_S8_S8_S8_S8_S8_EEEEZNS1_11reduce_implILb1ES3_NS6_12zip_iteratorINS7_INS6_11hip_rocprim26transform_input_iterator_tIbNSD_35transform_pair_of_input_iterators_tIbNS6_6detail15normal_iteratorINS6_10device_ptrIKdEEEESL_NS6_8equal_toIdEEEENSG_9not_fun_tINSD_8identityEEEEENSD_19counting_iterator_tIlEES8_S8_S8_S8_S8_S8_S8_S8_EEEEPS9_S9_NSD_9__find_if7functorIS9_EEEE10hipError_tPvRmT1_T2_T3_mT4_P12ihipStream_tbEUlT_E1_NS1_11comp_targetILNS1_3genE8ELNS1_11target_archE1030ELNS1_3gpuE2ELNS1_3repE0EEENS1_30default_config_static_selectorELNS0_4arch9wavefront6targetE0EEEvS14_,"axG",@progbits,_ZN7rocprim17ROCPRIM_400000_NS6detail17trampoline_kernelINS0_14default_configENS1_22reduce_config_selectorIN6thrust23THRUST_200600_302600_NS5tupleIblNS6_9null_typeES8_S8_S8_S8_S8_S8_S8_EEEEZNS1_11reduce_implILb1ES3_NS6_12zip_iteratorINS7_INS6_11hip_rocprim26transform_input_iterator_tIbNSD_35transform_pair_of_input_iterators_tIbNS6_6detail15normal_iteratorINS6_10device_ptrIKdEEEESL_NS6_8equal_toIdEEEENSG_9not_fun_tINSD_8identityEEEEENSD_19counting_iterator_tIlEES8_S8_S8_S8_S8_S8_S8_S8_EEEEPS9_S9_NSD_9__find_if7functorIS9_EEEE10hipError_tPvRmT1_T2_T3_mT4_P12ihipStream_tbEUlT_E1_NS1_11comp_targetILNS1_3genE8ELNS1_11target_archE1030ELNS1_3gpuE2ELNS1_3repE0EEENS1_30default_config_static_selectorELNS0_4arch9wavefront6targetE0EEEvS14_,comdat
	.protected	_ZN7rocprim17ROCPRIM_400000_NS6detail17trampoline_kernelINS0_14default_configENS1_22reduce_config_selectorIN6thrust23THRUST_200600_302600_NS5tupleIblNS6_9null_typeES8_S8_S8_S8_S8_S8_S8_EEEEZNS1_11reduce_implILb1ES3_NS6_12zip_iteratorINS7_INS6_11hip_rocprim26transform_input_iterator_tIbNSD_35transform_pair_of_input_iterators_tIbNS6_6detail15normal_iteratorINS6_10device_ptrIKdEEEESL_NS6_8equal_toIdEEEENSG_9not_fun_tINSD_8identityEEEEENSD_19counting_iterator_tIlEES8_S8_S8_S8_S8_S8_S8_S8_EEEEPS9_S9_NSD_9__find_if7functorIS9_EEEE10hipError_tPvRmT1_T2_T3_mT4_P12ihipStream_tbEUlT_E1_NS1_11comp_targetILNS1_3genE8ELNS1_11target_archE1030ELNS1_3gpuE2ELNS1_3repE0EEENS1_30default_config_static_selectorELNS0_4arch9wavefront6targetE0EEEvS14_ ; -- Begin function _ZN7rocprim17ROCPRIM_400000_NS6detail17trampoline_kernelINS0_14default_configENS1_22reduce_config_selectorIN6thrust23THRUST_200600_302600_NS5tupleIblNS6_9null_typeES8_S8_S8_S8_S8_S8_S8_EEEEZNS1_11reduce_implILb1ES3_NS6_12zip_iteratorINS7_INS6_11hip_rocprim26transform_input_iterator_tIbNSD_35transform_pair_of_input_iterators_tIbNS6_6detail15normal_iteratorINS6_10device_ptrIKdEEEESL_NS6_8equal_toIdEEEENSG_9not_fun_tINSD_8identityEEEEENSD_19counting_iterator_tIlEES8_S8_S8_S8_S8_S8_S8_S8_EEEEPS9_S9_NSD_9__find_if7functorIS9_EEEE10hipError_tPvRmT1_T2_T3_mT4_P12ihipStream_tbEUlT_E1_NS1_11comp_targetILNS1_3genE8ELNS1_11target_archE1030ELNS1_3gpuE2ELNS1_3repE0EEENS1_30default_config_static_selectorELNS0_4arch9wavefront6targetE0EEEvS14_
	.globl	_ZN7rocprim17ROCPRIM_400000_NS6detail17trampoline_kernelINS0_14default_configENS1_22reduce_config_selectorIN6thrust23THRUST_200600_302600_NS5tupleIblNS6_9null_typeES8_S8_S8_S8_S8_S8_S8_EEEEZNS1_11reduce_implILb1ES3_NS6_12zip_iteratorINS7_INS6_11hip_rocprim26transform_input_iterator_tIbNSD_35transform_pair_of_input_iterators_tIbNS6_6detail15normal_iteratorINS6_10device_ptrIKdEEEESL_NS6_8equal_toIdEEEENSG_9not_fun_tINSD_8identityEEEEENSD_19counting_iterator_tIlEES8_S8_S8_S8_S8_S8_S8_S8_EEEEPS9_S9_NSD_9__find_if7functorIS9_EEEE10hipError_tPvRmT1_T2_T3_mT4_P12ihipStream_tbEUlT_E1_NS1_11comp_targetILNS1_3genE8ELNS1_11target_archE1030ELNS1_3gpuE2ELNS1_3repE0EEENS1_30default_config_static_selectorELNS0_4arch9wavefront6targetE0EEEvS14_
	.p2align	8
	.type	_ZN7rocprim17ROCPRIM_400000_NS6detail17trampoline_kernelINS0_14default_configENS1_22reduce_config_selectorIN6thrust23THRUST_200600_302600_NS5tupleIblNS6_9null_typeES8_S8_S8_S8_S8_S8_S8_EEEEZNS1_11reduce_implILb1ES3_NS6_12zip_iteratorINS7_INS6_11hip_rocprim26transform_input_iterator_tIbNSD_35transform_pair_of_input_iterators_tIbNS6_6detail15normal_iteratorINS6_10device_ptrIKdEEEESL_NS6_8equal_toIdEEEENSG_9not_fun_tINSD_8identityEEEEENSD_19counting_iterator_tIlEES8_S8_S8_S8_S8_S8_S8_S8_EEEEPS9_S9_NSD_9__find_if7functorIS9_EEEE10hipError_tPvRmT1_T2_T3_mT4_P12ihipStream_tbEUlT_E1_NS1_11comp_targetILNS1_3genE8ELNS1_11target_archE1030ELNS1_3gpuE2ELNS1_3repE0EEENS1_30default_config_static_selectorELNS0_4arch9wavefront6targetE0EEEvS14_,@function
_ZN7rocprim17ROCPRIM_400000_NS6detail17trampoline_kernelINS0_14default_configENS1_22reduce_config_selectorIN6thrust23THRUST_200600_302600_NS5tupleIblNS6_9null_typeES8_S8_S8_S8_S8_S8_S8_EEEEZNS1_11reduce_implILb1ES3_NS6_12zip_iteratorINS7_INS6_11hip_rocprim26transform_input_iterator_tIbNSD_35transform_pair_of_input_iterators_tIbNS6_6detail15normal_iteratorINS6_10device_ptrIKdEEEESL_NS6_8equal_toIdEEEENSG_9not_fun_tINSD_8identityEEEEENSD_19counting_iterator_tIlEES8_S8_S8_S8_S8_S8_S8_S8_EEEEPS9_S9_NSD_9__find_if7functorIS9_EEEE10hipError_tPvRmT1_T2_T3_mT4_P12ihipStream_tbEUlT_E1_NS1_11comp_targetILNS1_3genE8ELNS1_11target_archE1030ELNS1_3gpuE2ELNS1_3repE0EEENS1_30default_config_static_selectorELNS0_4arch9wavefront6targetE0EEEvS14_: ; @_ZN7rocprim17ROCPRIM_400000_NS6detail17trampoline_kernelINS0_14default_configENS1_22reduce_config_selectorIN6thrust23THRUST_200600_302600_NS5tupleIblNS6_9null_typeES8_S8_S8_S8_S8_S8_S8_EEEEZNS1_11reduce_implILb1ES3_NS6_12zip_iteratorINS7_INS6_11hip_rocprim26transform_input_iterator_tIbNSD_35transform_pair_of_input_iterators_tIbNS6_6detail15normal_iteratorINS6_10device_ptrIKdEEEESL_NS6_8equal_toIdEEEENSG_9not_fun_tINSD_8identityEEEEENSD_19counting_iterator_tIlEES8_S8_S8_S8_S8_S8_S8_S8_EEEEPS9_S9_NSD_9__find_if7functorIS9_EEEE10hipError_tPvRmT1_T2_T3_mT4_P12ihipStream_tbEUlT_E1_NS1_11comp_targetILNS1_3genE8ELNS1_11target_archE1030ELNS1_3gpuE2ELNS1_3repE0EEENS1_30default_config_static_selectorELNS0_4arch9wavefront6targetE0EEEvS14_
; %bb.0:
	.section	.rodata,"a",@progbits
	.p2align	6, 0x0
	.amdhsa_kernel _ZN7rocprim17ROCPRIM_400000_NS6detail17trampoline_kernelINS0_14default_configENS1_22reduce_config_selectorIN6thrust23THRUST_200600_302600_NS5tupleIblNS6_9null_typeES8_S8_S8_S8_S8_S8_S8_EEEEZNS1_11reduce_implILb1ES3_NS6_12zip_iteratorINS7_INS6_11hip_rocprim26transform_input_iterator_tIbNSD_35transform_pair_of_input_iterators_tIbNS6_6detail15normal_iteratorINS6_10device_ptrIKdEEEESL_NS6_8equal_toIdEEEENSG_9not_fun_tINSD_8identityEEEEENSD_19counting_iterator_tIlEES8_S8_S8_S8_S8_S8_S8_S8_EEEEPS9_S9_NSD_9__find_if7functorIS9_EEEE10hipError_tPvRmT1_T2_T3_mT4_P12ihipStream_tbEUlT_E1_NS1_11comp_targetILNS1_3genE8ELNS1_11target_archE1030ELNS1_3gpuE2ELNS1_3repE0EEENS1_30default_config_static_selectorELNS0_4arch9wavefront6targetE0EEEvS14_
		.amdhsa_group_segment_fixed_size 0
		.amdhsa_private_segment_fixed_size 0
		.amdhsa_kernarg_size 88
		.amdhsa_user_sgpr_count 15
		.amdhsa_user_sgpr_dispatch_ptr 0
		.amdhsa_user_sgpr_queue_ptr 0
		.amdhsa_user_sgpr_kernarg_segment_ptr 1
		.amdhsa_user_sgpr_dispatch_id 0
		.amdhsa_user_sgpr_private_segment_size 0
		.amdhsa_wavefront_size32 1
		.amdhsa_uses_dynamic_stack 0
		.amdhsa_enable_private_segment 0
		.amdhsa_system_sgpr_workgroup_id_x 1
		.amdhsa_system_sgpr_workgroup_id_y 0
		.amdhsa_system_sgpr_workgroup_id_z 0
		.amdhsa_system_sgpr_workgroup_info 0
		.amdhsa_system_vgpr_workitem_id 0
		.amdhsa_next_free_vgpr 1
		.amdhsa_next_free_sgpr 1
		.amdhsa_reserve_vcc 0
		.amdhsa_float_round_mode_32 0
		.amdhsa_float_round_mode_16_64 0
		.amdhsa_float_denorm_mode_32 3
		.amdhsa_float_denorm_mode_16_64 3
		.amdhsa_dx10_clamp 1
		.amdhsa_ieee_mode 1
		.amdhsa_fp16_overflow 0
		.amdhsa_workgroup_processor_mode 1
		.amdhsa_memory_ordered 1
		.amdhsa_forward_progress 0
		.amdhsa_shared_vgpr_count 0
		.amdhsa_exception_fp_ieee_invalid_op 0
		.amdhsa_exception_fp_denorm_src 0
		.amdhsa_exception_fp_ieee_div_zero 0
		.amdhsa_exception_fp_ieee_overflow 0
		.amdhsa_exception_fp_ieee_underflow 0
		.amdhsa_exception_fp_ieee_inexact 0
		.amdhsa_exception_int_div_zero 0
	.end_amdhsa_kernel
	.section	.text._ZN7rocprim17ROCPRIM_400000_NS6detail17trampoline_kernelINS0_14default_configENS1_22reduce_config_selectorIN6thrust23THRUST_200600_302600_NS5tupleIblNS6_9null_typeES8_S8_S8_S8_S8_S8_S8_EEEEZNS1_11reduce_implILb1ES3_NS6_12zip_iteratorINS7_INS6_11hip_rocprim26transform_input_iterator_tIbNSD_35transform_pair_of_input_iterators_tIbNS6_6detail15normal_iteratorINS6_10device_ptrIKdEEEESL_NS6_8equal_toIdEEEENSG_9not_fun_tINSD_8identityEEEEENSD_19counting_iterator_tIlEES8_S8_S8_S8_S8_S8_S8_S8_EEEEPS9_S9_NSD_9__find_if7functorIS9_EEEE10hipError_tPvRmT1_T2_T3_mT4_P12ihipStream_tbEUlT_E1_NS1_11comp_targetILNS1_3genE8ELNS1_11target_archE1030ELNS1_3gpuE2ELNS1_3repE0EEENS1_30default_config_static_selectorELNS0_4arch9wavefront6targetE0EEEvS14_,"axG",@progbits,_ZN7rocprim17ROCPRIM_400000_NS6detail17trampoline_kernelINS0_14default_configENS1_22reduce_config_selectorIN6thrust23THRUST_200600_302600_NS5tupleIblNS6_9null_typeES8_S8_S8_S8_S8_S8_S8_EEEEZNS1_11reduce_implILb1ES3_NS6_12zip_iteratorINS7_INS6_11hip_rocprim26transform_input_iterator_tIbNSD_35transform_pair_of_input_iterators_tIbNS6_6detail15normal_iteratorINS6_10device_ptrIKdEEEESL_NS6_8equal_toIdEEEENSG_9not_fun_tINSD_8identityEEEEENSD_19counting_iterator_tIlEES8_S8_S8_S8_S8_S8_S8_S8_EEEEPS9_S9_NSD_9__find_if7functorIS9_EEEE10hipError_tPvRmT1_T2_T3_mT4_P12ihipStream_tbEUlT_E1_NS1_11comp_targetILNS1_3genE8ELNS1_11target_archE1030ELNS1_3gpuE2ELNS1_3repE0EEENS1_30default_config_static_selectorELNS0_4arch9wavefront6targetE0EEEvS14_,comdat
.Lfunc_end771:
	.size	_ZN7rocprim17ROCPRIM_400000_NS6detail17trampoline_kernelINS0_14default_configENS1_22reduce_config_selectorIN6thrust23THRUST_200600_302600_NS5tupleIblNS6_9null_typeES8_S8_S8_S8_S8_S8_S8_EEEEZNS1_11reduce_implILb1ES3_NS6_12zip_iteratorINS7_INS6_11hip_rocprim26transform_input_iterator_tIbNSD_35transform_pair_of_input_iterators_tIbNS6_6detail15normal_iteratorINS6_10device_ptrIKdEEEESL_NS6_8equal_toIdEEEENSG_9not_fun_tINSD_8identityEEEEENSD_19counting_iterator_tIlEES8_S8_S8_S8_S8_S8_S8_S8_EEEEPS9_S9_NSD_9__find_if7functorIS9_EEEE10hipError_tPvRmT1_T2_T3_mT4_P12ihipStream_tbEUlT_E1_NS1_11comp_targetILNS1_3genE8ELNS1_11target_archE1030ELNS1_3gpuE2ELNS1_3repE0EEENS1_30default_config_static_selectorELNS0_4arch9wavefront6targetE0EEEvS14_, .Lfunc_end771-_ZN7rocprim17ROCPRIM_400000_NS6detail17trampoline_kernelINS0_14default_configENS1_22reduce_config_selectorIN6thrust23THRUST_200600_302600_NS5tupleIblNS6_9null_typeES8_S8_S8_S8_S8_S8_S8_EEEEZNS1_11reduce_implILb1ES3_NS6_12zip_iteratorINS7_INS6_11hip_rocprim26transform_input_iterator_tIbNSD_35transform_pair_of_input_iterators_tIbNS6_6detail15normal_iteratorINS6_10device_ptrIKdEEEESL_NS6_8equal_toIdEEEENSG_9not_fun_tINSD_8identityEEEEENSD_19counting_iterator_tIlEES8_S8_S8_S8_S8_S8_S8_S8_EEEEPS9_S9_NSD_9__find_if7functorIS9_EEEE10hipError_tPvRmT1_T2_T3_mT4_P12ihipStream_tbEUlT_E1_NS1_11comp_targetILNS1_3genE8ELNS1_11target_archE1030ELNS1_3gpuE2ELNS1_3repE0EEENS1_30default_config_static_selectorELNS0_4arch9wavefront6targetE0EEEvS14_
                                        ; -- End function
	.section	.AMDGPU.csdata,"",@progbits
; Kernel info:
; codeLenInByte = 0
; NumSgprs: 0
; NumVgprs: 0
; ScratchSize: 0
; MemoryBound: 0
; FloatMode: 240
; IeeeMode: 1
; LDSByteSize: 0 bytes/workgroup (compile time only)
; SGPRBlocks: 0
; VGPRBlocks: 0
; NumSGPRsForWavesPerEU: 1
; NumVGPRsForWavesPerEU: 1
; Occupancy: 16
; WaveLimiterHint : 0
; COMPUTE_PGM_RSRC2:SCRATCH_EN: 0
; COMPUTE_PGM_RSRC2:USER_SGPR: 15
; COMPUTE_PGM_RSRC2:TRAP_HANDLER: 0
; COMPUTE_PGM_RSRC2:TGID_X_EN: 1
; COMPUTE_PGM_RSRC2:TGID_Y_EN: 0
; COMPUTE_PGM_RSRC2:TGID_Z_EN: 0
; COMPUTE_PGM_RSRC2:TIDIG_COMP_CNT: 0
	.section	.text._ZN6thrust23THRUST_200600_302600_NS11hip_rocprim14__parallel_for6kernelILj256ENS1_11__transform17unary_transform_fINS0_12zip_iteratorINS0_5tupleINS0_6detail15normal_iteratorINS0_10device_ptrIfEEEESC_NS0_9null_typeESD_SD_SD_SD_SD_SD_SD_EEEESF_NS4_14no_stencil_tagENS0_8identityINS7_IffSD_SD_SD_SD_SD_SD_SD_SD_EEEENS4_21always_true_predicateEEElLj1EEEvT0_T1_SN_,"axG",@progbits,_ZN6thrust23THRUST_200600_302600_NS11hip_rocprim14__parallel_for6kernelILj256ENS1_11__transform17unary_transform_fINS0_12zip_iteratorINS0_5tupleINS0_6detail15normal_iteratorINS0_10device_ptrIfEEEESC_NS0_9null_typeESD_SD_SD_SD_SD_SD_SD_EEEESF_NS4_14no_stencil_tagENS0_8identityINS7_IffSD_SD_SD_SD_SD_SD_SD_SD_EEEENS4_21always_true_predicateEEElLj1EEEvT0_T1_SN_,comdat
	.protected	_ZN6thrust23THRUST_200600_302600_NS11hip_rocprim14__parallel_for6kernelILj256ENS1_11__transform17unary_transform_fINS0_12zip_iteratorINS0_5tupleINS0_6detail15normal_iteratorINS0_10device_ptrIfEEEESC_NS0_9null_typeESD_SD_SD_SD_SD_SD_SD_EEEESF_NS4_14no_stencil_tagENS0_8identityINS7_IffSD_SD_SD_SD_SD_SD_SD_SD_EEEENS4_21always_true_predicateEEElLj1EEEvT0_T1_SN_ ; -- Begin function _ZN6thrust23THRUST_200600_302600_NS11hip_rocprim14__parallel_for6kernelILj256ENS1_11__transform17unary_transform_fINS0_12zip_iteratorINS0_5tupleINS0_6detail15normal_iteratorINS0_10device_ptrIfEEEESC_NS0_9null_typeESD_SD_SD_SD_SD_SD_SD_EEEESF_NS4_14no_stencil_tagENS0_8identityINS7_IffSD_SD_SD_SD_SD_SD_SD_SD_EEEENS4_21always_true_predicateEEElLj1EEEvT0_T1_SN_
	.globl	_ZN6thrust23THRUST_200600_302600_NS11hip_rocprim14__parallel_for6kernelILj256ENS1_11__transform17unary_transform_fINS0_12zip_iteratorINS0_5tupleINS0_6detail15normal_iteratorINS0_10device_ptrIfEEEESC_NS0_9null_typeESD_SD_SD_SD_SD_SD_SD_EEEESF_NS4_14no_stencil_tagENS0_8identityINS7_IffSD_SD_SD_SD_SD_SD_SD_SD_EEEENS4_21always_true_predicateEEElLj1EEEvT0_T1_SN_
	.p2align	8
	.type	_ZN6thrust23THRUST_200600_302600_NS11hip_rocprim14__parallel_for6kernelILj256ENS1_11__transform17unary_transform_fINS0_12zip_iteratorINS0_5tupleINS0_6detail15normal_iteratorINS0_10device_ptrIfEEEESC_NS0_9null_typeESD_SD_SD_SD_SD_SD_SD_EEEESF_NS4_14no_stencil_tagENS0_8identityINS7_IffSD_SD_SD_SD_SD_SD_SD_SD_EEEENS4_21always_true_predicateEEElLj1EEEvT0_T1_SN_,@function
_ZN6thrust23THRUST_200600_302600_NS11hip_rocprim14__parallel_for6kernelILj256ENS1_11__transform17unary_transform_fINS0_12zip_iteratorINS0_5tupleINS0_6detail15normal_iteratorINS0_10device_ptrIfEEEESC_NS0_9null_typeESD_SD_SD_SD_SD_SD_SD_EEEESF_NS4_14no_stencil_tagENS0_8identityINS7_IffSD_SD_SD_SD_SD_SD_SD_SD_EEEENS4_21always_true_predicateEEElLj1EEEvT0_T1_SN_: ; @_ZN6thrust23THRUST_200600_302600_NS11hip_rocprim14__parallel_for6kernelILj256ENS1_11__transform17unary_transform_fINS0_12zip_iteratorINS0_5tupleINS0_6detail15normal_iteratorINS0_10device_ptrIfEEEESC_NS0_9null_typeESD_SD_SD_SD_SD_SD_SD_EEEESF_NS4_14no_stencil_tagENS0_8identityINS7_IffSD_SD_SD_SD_SD_SD_SD_SD_EEEENS4_21always_true_predicateEEElLj1EEEvT0_T1_SN_
; %bb.0:
	s_clause 0x1
	s_load_b128 s[16:19], s[0:1], 0x28
	s_load_b256 s[0:7], s[0:1], 0x0
	s_lshl_b32 s8, s15, 8
	s_waitcnt lgkmcnt(0)
	s_add_u32 s8, s8, s18
	s_addc_u32 s9, 0, s19
	s_sub_u32 s10, s16, s8
	s_subb_u32 s11, s17, s9
	s_delay_alu instid0(SALU_CYCLE_1) | instskip(NEXT) | instid1(VALU_DEP_1)
	v_cmp_gt_i64_e64 s11, 0x100, s[10:11]
	s_and_b32 s11, s11, exec_lo
	s_cselect_b32 s11, s10, 0x100
	s_mov_b32 s10, -1
	s_cmpk_lg_i32 s11, 0x100
	s_cbranch_scc1 .LBB772_3
; %bb.1:
	s_and_not1_b32 vcc_lo, exec_lo, s10
	s_cbranch_vccz .LBB772_6
.LBB772_2:
	s_nop 0
	s_sendmsg sendmsg(MSG_DEALLOC_VGPRS)
	s_endpgm
.LBB772_3:
	s_mov_b32 s10, exec_lo
	v_cmpx_gt_u32_e64 s11, v0
	s_cbranch_execz .LBB772_5
; %bb.4:
	v_add_co_u32 v1, s11, s8, v0
	s_delay_alu instid0(VALU_DEP_1) | instskip(NEXT) | instid1(VALU_DEP_1)
	v_add_co_ci_u32_e64 v2, null, s9, 0, s11
	v_lshlrev_b64 v[1:2], 2, v[1:2]
	s_delay_alu instid0(VALU_DEP_1) | instskip(NEXT) | instid1(VALU_DEP_2)
	v_add_co_u32 v3, vcc_lo, s0, v1
	v_add_co_ci_u32_e32 v4, vcc_lo, s1, v2, vcc_lo
	v_add_co_u32 v5, vcc_lo, s2, v1
	v_add_co_ci_u32_e32 v6, vcc_lo, s3, v2, vcc_lo
	global_load_b32 v7, v[3:4], off
	global_load_b32 v5, v[5:6], off
	v_add_co_u32 v3, vcc_lo, s4, v1
	v_add_co_ci_u32_e32 v4, vcc_lo, s5, v2, vcc_lo
	v_add_co_u32 v1, vcc_lo, s6, v1
	v_add_co_ci_u32_e32 v2, vcc_lo, s7, v2, vcc_lo
	s_waitcnt vmcnt(1)
	global_store_b32 v[3:4], v7, off
	s_waitcnt vmcnt(0)
	global_store_b32 v[1:2], v5, off
.LBB772_5:
	s_or_b32 exec_lo, exec_lo, s10
	s_cbranch_execnz .LBB772_2
.LBB772_6:
	v_add_co_u32 v0, s8, s8, v0
	s_delay_alu instid0(VALU_DEP_1) | instskip(NEXT) | instid1(VALU_DEP_1)
	v_add_co_ci_u32_e64 v1, null, s9, 0, s8
	v_lshlrev_b64 v[0:1], 2, v[0:1]
	s_delay_alu instid0(VALU_DEP_1) | instskip(NEXT) | instid1(VALU_DEP_2)
	v_add_co_u32 v2, vcc_lo, s0, v0
	v_add_co_ci_u32_e32 v3, vcc_lo, s1, v1, vcc_lo
	v_add_co_u32 v4, vcc_lo, s2, v0
	v_add_co_ci_u32_e32 v5, vcc_lo, s3, v1, vcc_lo
	global_load_b32 v6, v[2:3], off
	global_load_b32 v4, v[4:5], off
	v_add_co_u32 v2, vcc_lo, s4, v0
	v_add_co_ci_u32_e32 v3, vcc_lo, s5, v1, vcc_lo
	v_add_co_u32 v0, vcc_lo, s6, v0
	v_add_co_ci_u32_e32 v1, vcc_lo, s7, v1, vcc_lo
	s_waitcnt vmcnt(1)
	global_store_b32 v[2:3], v6, off
	s_waitcnt vmcnt(0)
	global_store_b32 v[0:1], v4, off
	s_nop 0
	s_sendmsg sendmsg(MSG_DEALLOC_VGPRS)
	s_endpgm
	.section	.rodata,"a",@progbits
	.p2align	6, 0x0
	.amdhsa_kernel _ZN6thrust23THRUST_200600_302600_NS11hip_rocprim14__parallel_for6kernelILj256ENS1_11__transform17unary_transform_fINS0_12zip_iteratorINS0_5tupleINS0_6detail15normal_iteratorINS0_10device_ptrIfEEEESC_NS0_9null_typeESD_SD_SD_SD_SD_SD_SD_EEEESF_NS4_14no_stencil_tagENS0_8identityINS7_IffSD_SD_SD_SD_SD_SD_SD_SD_EEEENS4_21always_true_predicateEEElLj1EEEvT0_T1_SN_
		.amdhsa_group_segment_fixed_size 0
		.amdhsa_private_segment_fixed_size 0
		.amdhsa_kernarg_size 56
		.amdhsa_user_sgpr_count 15
		.amdhsa_user_sgpr_dispatch_ptr 0
		.amdhsa_user_sgpr_queue_ptr 0
		.amdhsa_user_sgpr_kernarg_segment_ptr 1
		.amdhsa_user_sgpr_dispatch_id 0
		.amdhsa_user_sgpr_private_segment_size 0
		.amdhsa_wavefront_size32 1
		.amdhsa_uses_dynamic_stack 0
		.amdhsa_enable_private_segment 0
		.amdhsa_system_sgpr_workgroup_id_x 1
		.amdhsa_system_sgpr_workgroup_id_y 0
		.amdhsa_system_sgpr_workgroup_id_z 0
		.amdhsa_system_sgpr_workgroup_info 0
		.amdhsa_system_vgpr_workitem_id 0
		.amdhsa_next_free_vgpr 8
		.amdhsa_next_free_sgpr 20
		.amdhsa_reserve_vcc 1
		.amdhsa_float_round_mode_32 0
		.amdhsa_float_round_mode_16_64 0
		.amdhsa_float_denorm_mode_32 3
		.amdhsa_float_denorm_mode_16_64 3
		.amdhsa_dx10_clamp 1
		.amdhsa_ieee_mode 1
		.amdhsa_fp16_overflow 0
		.amdhsa_workgroup_processor_mode 1
		.amdhsa_memory_ordered 1
		.amdhsa_forward_progress 0
		.amdhsa_shared_vgpr_count 0
		.amdhsa_exception_fp_ieee_invalid_op 0
		.amdhsa_exception_fp_denorm_src 0
		.amdhsa_exception_fp_ieee_div_zero 0
		.amdhsa_exception_fp_ieee_overflow 0
		.amdhsa_exception_fp_ieee_underflow 0
		.amdhsa_exception_fp_ieee_inexact 0
		.amdhsa_exception_int_div_zero 0
	.end_amdhsa_kernel
	.section	.text._ZN6thrust23THRUST_200600_302600_NS11hip_rocprim14__parallel_for6kernelILj256ENS1_11__transform17unary_transform_fINS0_12zip_iteratorINS0_5tupleINS0_6detail15normal_iteratorINS0_10device_ptrIfEEEESC_NS0_9null_typeESD_SD_SD_SD_SD_SD_SD_EEEESF_NS4_14no_stencil_tagENS0_8identityINS7_IffSD_SD_SD_SD_SD_SD_SD_SD_EEEENS4_21always_true_predicateEEElLj1EEEvT0_T1_SN_,"axG",@progbits,_ZN6thrust23THRUST_200600_302600_NS11hip_rocprim14__parallel_for6kernelILj256ENS1_11__transform17unary_transform_fINS0_12zip_iteratorINS0_5tupleINS0_6detail15normal_iteratorINS0_10device_ptrIfEEEESC_NS0_9null_typeESD_SD_SD_SD_SD_SD_SD_EEEESF_NS4_14no_stencil_tagENS0_8identityINS7_IffSD_SD_SD_SD_SD_SD_SD_SD_EEEENS4_21always_true_predicateEEElLj1EEEvT0_T1_SN_,comdat
.Lfunc_end772:
	.size	_ZN6thrust23THRUST_200600_302600_NS11hip_rocprim14__parallel_for6kernelILj256ENS1_11__transform17unary_transform_fINS0_12zip_iteratorINS0_5tupleINS0_6detail15normal_iteratorINS0_10device_ptrIfEEEESC_NS0_9null_typeESD_SD_SD_SD_SD_SD_SD_EEEESF_NS4_14no_stencil_tagENS0_8identityINS7_IffSD_SD_SD_SD_SD_SD_SD_SD_EEEENS4_21always_true_predicateEEElLj1EEEvT0_T1_SN_, .Lfunc_end772-_ZN6thrust23THRUST_200600_302600_NS11hip_rocprim14__parallel_for6kernelILj256ENS1_11__transform17unary_transform_fINS0_12zip_iteratorINS0_5tupleINS0_6detail15normal_iteratorINS0_10device_ptrIfEEEESC_NS0_9null_typeESD_SD_SD_SD_SD_SD_SD_EEEESF_NS4_14no_stencil_tagENS0_8identityINS7_IffSD_SD_SD_SD_SD_SD_SD_SD_EEEENS4_21always_true_predicateEEElLj1EEEvT0_T1_SN_
                                        ; -- End function
	.section	.AMDGPU.csdata,"",@progbits
; Kernel info:
; codeLenInByte = 380
; NumSgprs: 22
; NumVgprs: 8
; ScratchSize: 0
; MemoryBound: 0
; FloatMode: 240
; IeeeMode: 1
; LDSByteSize: 0 bytes/workgroup (compile time only)
; SGPRBlocks: 2
; VGPRBlocks: 0
; NumSGPRsForWavesPerEU: 22
; NumVGPRsForWavesPerEU: 8
; Occupancy: 16
; WaveLimiterHint : 0
; COMPUTE_PGM_RSRC2:SCRATCH_EN: 0
; COMPUTE_PGM_RSRC2:USER_SGPR: 15
; COMPUTE_PGM_RSRC2:TRAP_HANDLER: 0
; COMPUTE_PGM_RSRC2:TGID_X_EN: 1
; COMPUTE_PGM_RSRC2:TGID_Y_EN: 0
; COMPUTE_PGM_RSRC2:TGID_Z_EN: 0
; COMPUTE_PGM_RSRC2:TIDIG_COMP_CNT: 0
	.section	.text._ZN7rocprim17ROCPRIM_400000_NS6detail17trampoline_kernelINS0_14default_configENS1_22reduce_config_selectorIN6thrust23THRUST_200600_302600_NS5tupleIblNS6_9null_typeES8_S8_S8_S8_S8_S8_S8_EEEEZNS1_11reduce_implILb1ES3_NS6_12zip_iteratorINS7_INS6_11hip_rocprim26transform_input_iterator_tIbNSD_35transform_pair_of_input_iterators_tIbNS6_6detail15normal_iteratorINS6_10device_ptrIKfEEEESL_NS6_8equal_toIfEEEENSG_9not_fun_tINSD_8identityEEEEENSD_19counting_iterator_tIlEES8_S8_S8_S8_S8_S8_S8_S8_EEEEPS9_S9_NSD_9__find_if7functorIS9_EEEE10hipError_tPvRmT1_T2_T3_mT4_P12ihipStream_tbEUlT_E0_NS1_11comp_targetILNS1_3genE0ELNS1_11target_archE4294967295ELNS1_3gpuE0ELNS1_3repE0EEENS1_30default_config_static_selectorELNS0_4arch9wavefront6targetE0EEEvS14_,"axG",@progbits,_ZN7rocprim17ROCPRIM_400000_NS6detail17trampoline_kernelINS0_14default_configENS1_22reduce_config_selectorIN6thrust23THRUST_200600_302600_NS5tupleIblNS6_9null_typeES8_S8_S8_S8_S8_S8_S8_EEEEZNS1_11reduce_implILb1ES3_NS6_12zip_iteratorINS7_INS6_11hip_rocprim26transform_input_iterator_tIbNSD_35transform_pair_of_input_iterators_tIbNS6_6detail15normal_iteratorINS6_10device_ptrIKfEEEESL_NS6_8equal_toIfEEEENSG_9not_fun_tINSD_8identityEEEEENSD_19counting_iterator_tIlEES8_S8_S8_S8_S8_S8_S8_S8_EEEEPS9_S9_NSD_9__find_if7functorIS9_EEEE10hipError_tPvRmT1_T2_T3_mT4_P12ihipStream_tbEUlT_E0_NS1_11comp_targetILNS1_3genE0ELNS1_11target_archE4294967295ELNS1_3gpuE0ELNS1_3repE0EEENS1_30default_config_static_selectorELNS0_4arch9wavefront6targetE0EEEvS14_,comdat
	.protected	_ZN7rocprim17ROCPRIM_400000_NS6detail17trampoline_kernelINS0_14default_configENS1_22reduce_config_selectorIN6thrust23THRUST_200600_302600_NS5tupleIblNS6_9null_typeES8_S8_S8_S8_S8_S8_S8_EEEEZNS1_11reduce_implILb1ES3_NS6_12zip_iteratorINS7_INS6_11hip_rocprim26transform_input_iterator_tIbNSD_35transform_pair_of_input_iterators_tIbNS6_6detail15normal_iteratorINS6_10device_ptrIKfEEEESL_NS6_8equal_toIfEEEENSG_9not_fun_tINSD_8identityEEEEENSD_19counting_iterator_tIlEES8_S8_S8_S8_S8_S8_S8_S8_EEEEPS9_S9_NSD_9__find_if7functorIS9_EEEE10hipError_tPvRmT1_T2_T3_mT4_P12ihipStream_tbEUlT_E0_NS1_11comp_targetILNS1_3genE0ELNS1_11target_archE4294967295ELNS1_3gpuE0ELNS1_3repE0EEENS1_30default_config_static_selectorELNS0_4arch9wavefront6targetE0EEEvS14_ ; -- Begin function _ZN7rocprim17ROCPRIM_400000_NS6detail17trampoline_kernelINS0_14default_configENS1_22reduce_config_selectorIN6thrust23THRUST_200600_302600_NS5tupleIblNS6_9null_typeES8_S8_S8_S8_S8_S8_S8_EEEEZNS1_11reduce_implILb1ES3_NS6_12zip_iteratorINS7_INS6_11hip_rocprim26transform_input_iterator_tIbNSD_35transform_pair_of_input_iterators_tIbNS6_6detail15normal_iteratorINS6_10device_ptrIKfEEEESL_NS6_8equal_toIfEEEENSG_9not_fun_tINSD_8identityEEEEENSD_19counting_iterator_tIlEES8_S8_S8_S8_S8_S8_S8_S8_EEEEPS9_S9_NSD_9__find_if7functorIS9_EEEE10hipError_tPvRmT1_T2_T3_mT4_P12ihipStream_tbEUlT_E0_NS1_11comp_targetILNS1_3genE0ELNS1_11target_archE4294967295ELNS1_3gpuE0ELNS1_3repE0EEENS1_30default_config_static_selectorELNS0_4arch9wavefront6targetE0EEEvS14_
	.globl	_ZN7rocprim17ROCPRIM_400000_NS6detail17trampoline_kernelINS0_14default_configENS1_22reduce_config_selectorIN6thrust23THRUST_200600_302600_NS5tupleIblNS6_9null_typeES8_S8_S8_S8_S8_S8_S8_EEEEZNS1_11reduce_implILb1ES3_NS6_12zip_iteratorINS7_INS6_11hip_rocprim26transform_input_iterator_tIbNSD_35transform_pair_of_input_iterators_tIbNS6_6detail15normal_iteratorINS6_10device_ptrIKfEEEESL_NS6_8equal_toIfEEEENSG_9not_fun_tINSD_8identityEEEEENSD_19counting_iterator_tIlEES8_S8_S8_S8_S8_S8_S8_S8_EEEEPS9_S9_NSD_9__find_if7functorIS9_EEEE10hipError_tPvRmT1_T2_T3_mT4_P12ihipStream_tbEUlT_E0_NS1_11comp_targetILNS1_3genE0ELNS1_11target_archE4294967295ELNS1_3gpuE0ELNS1_3repE0EEENS1_30default_config_static_selectorELNS0_4arch9wavefront6targetE0EEEvS14_
	.p2align	8
	.type	_ZN7rocprim17ROCPRIM_400000_NS6detail17trampoline_kernelINS0_14default_configENS1_22reduce_config_selectorIN6thrust23THRUST_200600_302600_NS5tupleIblNS6_9null_typeES8_S8_S8_S8_S8_S8_S8_EEEEZNS1_11reduce_implILb1ES3_NS6_12zip_iteratorINS7_INS6_11hip_rocprim26transform_input_iterator_tIbNSD_35transform_pair_of_input_iterators_tIbNS6_6detail15normal_iteratorINS6_10device_ptrIKfEEEESL_NS6_8equal_toIfEEEENSG_9not_fun_tINSD_8identityEEEEENSD_19counting_iterator_tIlEES8_S8_S8_S8_S8_S8_S8_S8_EEEEPS9_S9_NSD_9__find_if7functorIS9_EEEE10hipError_tPvRmT1_T2_T3_mT4_P12ihipStream_tbEUlT_E0_NS1_11comp_targetILNS1_3genE0ELNS1_11target_archE4294967295ELNS1_3gpuE0ELNS1_3repE0EEENS1_30default_config_static_selectorELNS0_4arch9wavefront6targetE0EEEvS14_,@function
_ZN7rocprim17ROCPRIM_400000_NS6detail17trampoline_kernelINS0_14default_configENS1_22reduce_config_selectorIN6thrust23THRUST_200600_302600_NS5tupleIblNS6_9null_typeES8_S8_S8_S8_S8_S8_S8_EEEEZNS1_11reduce_implILb1ES3_NS6_12zip_iteratorINS7_INS6_11hip_rocprim26transform_input_iterator_tIbNSD_35transform_pair_of_input_iterators_tIbNS6_6detail15normal_iteratorINS6_10device_ptrIKfEEEESL_NS6_8equal_toIfEEEENSG_9not_fun_tINSD_8identityEEEEENSD_19counting_iterator_tIlEES8_S8_S8_S8_S8_S8_S8_S8_EEEEPS9_S9_NSD_9__find_if7functorIS9_EEEE10hipError_tPvRmT1_T2_T3_mT4_P12ihipStream_tbEUlT_E0_NS1_11comp_targetILNS1_3genE0ELNS1_11target_archE4294967295ELNS1_3gpuE0ELNS1_3repE0EEENS1_30default_config_static_selectorELNS0_4arch9wavefront6targetE0EEEvS14_: ; @_ZN7rocprim17ROCPRIM_400000_NS6detail17trampoline_kernelINS0_14default_configENS1_22reduce_config_selectorIN6thrust23THRUST_200600_302600_NS5tupleIblNS6_9null_typeES8_S8_S8_S8_S8_S8_S8_EEEEZNS1_11reduce_implILb1ES3_NS6_12zip_iteratorINS7_INS6_11hip_rocprim26transform_input_iterator_tIbNSD_35transform_pair_of_input_iterators_tIbNS6_6detail15normal_iteratorINS6_10device_ptrIKfEEEESL_NS6_8equal_toIfEEEENSG_9not_fun_tINSD_8identityEEEEENSD_19counting_iterator_tIlEES8_S8_S8_S8_S8_S8_S8_S8_EEEEPS9_S9_NSD_9__find_if7functorIS9_EEEE10hipError_tPvRmT1_T2_T3_mT4_P12ihipStream_tbEUlT_E0_NS1_11comp_targetILNS1_3genE0ELNS1_11target_archE4294967295ELNS1_3gpuE0ELNS1_3repE0EEENS1_30default_config_static_selectorELNS0_4arch9wavefront6targetE0EEEvS14_
; %bb.0:
	.section	.rodata,"a",@progbits
	.p2align	6, 0x0
	.amdhsa_kernel _ZN7rocprim17ROCPRIM_400000_NS6detail17trampoline_kernelINS0_14default_configENS1_22reduce_config_selectorIN6thrust23THRUST_200600_302600_NS5tupleIblNS6_9null_typeES8_S8_S8_S8_S8_S8_S8_EEEEZNS1_11reduce_implILb1ES3_NS6_12zip_iteratorINS7_INS6_11hip_rocprim26transform_input_iterator_tIbNSD_35transform_pair_of_input_iterators_tIbNS6_6detail15normal_iteratorINS6_10device_ptrIKfEEEESL_NS6_8equal_toIfEEEENSG_9not_fun_tINSD_8identityEEEEENSD_19counting_iterator_tIlEES8_S8_S8_S8_S8_S8_S8_S8_EEEEPS9_S9_NSD_9__find_if7functorIS9_EEEE10hipError_tPvRmT1_T2_T3_mT4_P12ihipStream_tbEUlT_E0_NS1_11comp_targetILNS1_3genE0ELNS1_11target_archE4294967295ELNS1_3gpuE0ELNS1_3repE0EEENS1_30default_config_static_selectorELNS0_4arch9wavefront6targetE0EEEvS14_
		.amdhsa_group_segment_fixed_size 0
		.amdhsa_private_segment_fixed_size 0
		.amdhsa_kernarg_size 104
		.amdhsa_user_sgpr_count 15
		.amdhsa_user_sgpr_dispatch_ptr 0
		.amdhsa_user_sgpr_queue_ptr 0
		.amdhsa_user_sgpr_kernarg_segment_ptr 1
		.amdhsa_user_sgpr_dispatch_id 0
		.amdhsa_user_sgpr_private_segment_size 0
		.amdhsa_wavefront_size32 1
		.amdhsa_uses_dynamic_stack 0
		.amdhsa_enable_private_segment 0
		.amdhsa_system_sgpr_workgroup_id_x 1
		.amdhsa_system_sgpr_workgroup_id_y 0
		.amdhsa_system_sgpr_workgroup_id_z 0
		.amdhsa_system_sgpr_workgroup_info 0
		.amdhsa_system_vgpr_workitem_id 0
		.amdhsa_next_free_vgpr 1
		.amdhsa_next_free_sgpr 1
		.amdhsa_reserve_vcc 0
		.amdhsa_float_round_mode_32 0
		.amdhsa_float_round_mode_16_64 0
		.amdhsa_float_denorm_mode_32 3
		.amdhsa_float_denorm_mode_16_64 3
		.amdhsa_dx10_clamp 1
		.amdhsa_ieee_mode 1
		.amdhsa_fp16_overflow 0
		.amdhsa_workgroup_processor_mode 1
		.amdhsa_memory_ordered 1
		.amdhsa_forward_progress 0
		.amdhsa_shared_vgpr_count 0
		.amdhsa_exception_fp_ieee_invalid_op 0
		.amdhsa_exception_fp_denorm_src 0
		.amdhsa_exception_fp_ieee_div_zero 0
		.amdhsa_exception_fp_ieee_overflow 0
		.amdhsa_exception_fp_ieee_underflow 0
		.amdhsa_exception_fp_ieee_inexact 0
		.amdhsa_exception_int_div_zero 0
	.end_amdhsa_kernel
	.section	.text._ZN7rocprim17ROCPRIM_400000_NS6detail17trampoline_kernelINS0_14default_configENS1_22reduce_config_selectorIN6thrust23THRUST_200600_302600_NS5tupleIblNS6_9null_typeES8_S8_S8_S8_S8_S8_S8_EEEEZNS1_11reduce_implILb1ES3_NS6_12zip_iteratorINS7_INS6_11hip_rocprim26transform_input_iterator_tIbNSD_35transform_pair_of_input_iterators_tIbNS6_6detail15normal_iteratorINS6_10device_ptrIKfEEEESL_NS6_8equal_toIfEEEENSG_9not_fun_tINSD_8identityEEEEENSD_19counting_iterator_tIlEES8_S8_S8_S8_S8_S8_S8_S8_EEEEPS9_S9_NSD_9__find_if7functorIS9_EEEE10hipError_tPvRmT1_T2_T3_mT4_P12ihipStream_tbEUlT_E0_NS1_11comp_targetILNS1_3genE0ELNS1_11target_archE4294967295ELNS1_3gpuE0ELNS1_3repE0EEENS1_30default_config_static_selectorELNS0_4arch9wavefront6targetE0EEEvS14_,"axG",@progbits,_ZN7rocprim17ROCPRIM_400000_NS6detail17trampoline_kernelINS0_14default_configENS1_22reduce_config_selectorIN6thrust23THRUST_200600_302600_NS5tupleIblNS6_9null_typeES8_S8_S8_S8_S8_S8_S8_EEEEZNS1_11reduce_implILb1ES3_NS6_12zip_iteratorINS7_INS6_11hip_rocprim26transform_input_iterator_tIbNSD_35transform_pair_of_input_iterators_tIbNS6_6detail15normal_iteratorINS6_10device_ptrIKfEEEESL_NS6_8equal_toIfEEEENSG_9not_fun_tINSD_8identityEEEEENSD_19counting_iterator_tIlEES8_S8_S8_S8_S8_S8_S8_S8_EEEEPS9_S9_NSD_9__find_if7functorIS9_EEEE10hipError_tPvRmT1_T2_T3_mT4_P12ihipStream_tbEUlT_E0_NS1_11comp_targetILNS1_3genE0ELNS1_11target_archE4294967295ELNS1_3gpuE0ELNS1_3repE0EEENS1_30default_config_static_selectorELNS0_4arch9wavefront6targetE0EEEvS14_,comdat
.Lfunc_end773:
	.size	_ZN7rocprim17ROCPRIM_400000_NS6detail17trampoline_kernelINS0_14default_configENS1_22reduce_config_selectorIN6thrust23THRUST_200600_302600_NS5tupleIblNS6_9null_typeES8_S8_S8_S8_S8_S8_S8_EEEEZNS1_11reduce_implILb1ES3_NS6_12zip_iteratorINS7_INS6_11hip_rocprim26transform_input_iterator_tIbNSD_35transform_pair_of_input_iterators_tIbNS6_6detail15normal_iteratorINS6_10device_ptrIKfEEEESL_NS6_8equal_toIfEEEENSG_9not_fun_tINSD_8identityEEEEENSD_19counting_iterator_tIlEES8_S8_S8_S8_S8_S8_S8_S8_EEEEPS9_S9_NSD_9__find_if7functorIS9_EEEE10hipError_tPvRmT1_T2_T3_mT4_P12ihipStream_tbEUlT_E0_NS1_11comp_targetILNS1_3genE0ELNS1_11target_archE4294967295ELNS1_3gpuE0ELNS1_3repE0EEENS1_30default_config_static_selectorELNS0_4arch9wavefront6targetE0EEEvS14_, .Lfunc_end773-_ZN7rocprim17ROCPRIM_400000_NS6detail17trampoline_kernelINS0_14default_configENS1_22reduce_config_selectorIN6thrust23THRUST_200600_302600_NS5tupleIblNS6_9null_typeES8_S8_S8_S8_S8_S8_S8_EEEEZNS1_11reduce_implILb1ES3_NS6_12zip_iteratorINS7_INS6_11hip_rocprim26transform_input_iterator_tIbNSD_35transform_pair_of_input_iterators_tIbNS6_6detail15normal_iteratorINS6_10device_ptrIKfEEEESL_NS6_8equal_toIfEEEENSG_9not_fun_tINSD_8identityEEEEENSD_19counting_iterator_tIlEES8_S8_S8_S8_S8_S8_S8_S8_EEEEPS9_S9_NSD_9__find_if7functorIS9_EEEE10hipError_tPvRmT1_T2_T3_mT4_P12ihipStream_tbEUlT_E0_NS1_11comp_targetILNS1_3genE0ELNS1_11target_archE4294967295ELNS1_3gpuE0ELNS1_3repE0EEENS1_30default_config_static_selectorELNS0_4arch9wavefront6targetE0EEEvS14_
                                        ; -- End function
	.section	.AMDGPU.csdata,"",@progbits
; Kernel info:
; codeLenInByte = 0
; NumSgprs: 0
; NumVgprs: 0
; ScratchSize: 0
; MemoryBound: 0
; FloatMode: 240
; IeeeMode: 1
; LDSByteSize: 0 bytes/workgroup (compile time only)
; SGPRBlocks: 0
; VGPRBlocks: 0
; NumSGPRsForWavesPerEU: 1
; NumVGPRsForWavesPerEU: 1
; Occupancy: 16
; WaveLimiterHint : 0
; COMPUTE_PGM_RSRC2:SCRATCH_EN: 0
; COMPUTE_PGM_RSRC2:USER_SGPR: 15
; COMPUTE_PGM_RSRC2:TRAP_HANDLER: 0
; COMPUTE_PGM_RSRC2:TGID_X_EN: 1
; COMPUTE_PGM_RSRC2:TGID_Y_EN: 0
; COMPUTE_PGM_RSRC2:TGID_Z_EN: 0
; COMPUTE_PGM_RSRC2:TIDIG_COMP_CNT: 0
	.section	.text._ZN7rocprim17ROCPRIM_400000_NS6detail17trampoline_kernelINS0_14default_configENS1_22reduce_config_selectorIN6thrust23THRUST_200600_302600_NS5tupleIblNS6_9null_typeES8_S8_S8_S8_S8_S8_S8_EEEEZNS1_11reduce_implILb1ES3_NS6_12zip_iteratorINS7_INS6_11hip_rocprim26transform_input_iterator_tIbNSD_35transform_pair_of_input_iterators_tIbNS6_6detail15normal_iteratorINS6_10device_ptrIKfEEEESL_NS6_8equal_toIfEEEENSG_9not_fun_tINSD_8identityEEEEENSD_19counting_iterator_tIlEES8_S8_S8_S8_S8_S8_S8_S8_EEEEPS9_S9_NSD_9__find_if7functorIS9_EEEE10hipError_tPvRmT1_T2_T3_mT4_P12ihipStream_tbEUlT_E0_NS1_11comp_targetILNS1_3genE5ELNS1_11target_archE942ELNS1_3gpuE9ELNS1_3repE0EEENS1_30default_config_static_selectorELNS0_4arch9wavefront6targetE0EEEvS14_,"axG",@progbits,_ZN7rocprim17ROCPRIM_400000_NS6detail17trampoline_kernelINS0_14default_configENS1_22reduce_config_selectorIN6thrust23THRUST_200600_302600_NS5tupleIblNS6_9null_typeES8_S8_S8_S8_S8_S8_S8_EEEEZNS1_11reduce_implILb1ES3_NS6_12zip_iteratorINS7_INS6_11hip_rocprim26transform_input_iterator_tIbNSD_35transform_pair_of_input_iterators_tIbNS6_6detail15normal_iteratorINS6_10device_ptrIKfEEEESL_NS6_8equal_toIfEEEENSG_9not_fun_tINSD_8identityEEEEENSD_19counting_iterator_tIlEES8_S8_S8_S8_S8_S8_S8_S8_EEEEPS9_S9_NSD_9__find_if7functorIS9_EEEE10hipError_tPvRmT1_T2_T3_mT4_P12ihipStream_tbEUlT_E0_NS1_11comp_targetILNS1_3genE5ELNS1_11target_archE942ELNS1_3gpuE9ELNS1_3repE0EEENS1_30default_config_static_selectorELNS0_4arch9wavefront6targetE0EEEvS14_,comdat
	.protected	_ZN7rocprim17ROCPRIM_400000_NS6detail17trampoline_kernelINS0_14default_configENS1_22reduce_config_selectorIN6thrust23THRUST_200600_302600_NS5tupleIblNS6_9null_typeES8_S8_S8_S8_S8_S8_S8_EEEEZNS1_11reduce_implILb1ES3_NS6_12zip_iteratorINS7_INS6_11hip_rocprim26transform_input_iterator_tIbNSD_35transform_pair_of_input_iterators_tIbNS6_6detail15normal_iteratorINS6_10device_ptrIKfEEEESL_NS6_8equal_toIfEEEENSG_9not_fun_tINSD_8identityEEEEENSD_19counting_iterator_tIlEES8_S8_S8_S8_S8_S8_S8_S8_EEEEPS9_S9_NSD_9__find_if7functorIS9_EEEE10hipError_tPvRmT1_T2_T3_mT4_P12ihipStream_tbEUlT_E0_NS1_11comp_targetILNS1_3genE5ELNS1_11target_archE942ELNS1_3gpuE9ELNS1_3repE0EEENS1_30default_config_static_selectorELNS0_4arch9wavefront6targetE0EEEvS14_ ; -- Begin function _ZN7rocprim17ROCPRIM_400000_NS6detail17trampoline_kernelINS0_14default_configENS1_22reduce_config_selectorIN6thrust23THRUST_200600_302600_NS5tupleIblNS6_9null_typeES8_S8_S8_S8_S8_S8_S8_EEEEZNS1_11reduce_implILb1ES3_NS6_12zip_iteratorINS7_INS6_11hip_rocprim26transform_input_iterator_tIbNSD_35transform_pair_of_input_iterators_tIbNS6_6detail15normal_iteratorINS6_10device_ptrIKfEEEESL_NS6_8equal_toIfEEEENSG_9not_fun_tINSD_8identityEEEEENSD_19counting_iterator_tIlEES8_S8_S8_S8_S8_S8_S8_S8_EEEEPS9_S9_NSD_9__find_if7functorIS9_EEEE10hipError_tPvRmT1_T2_T3_mT4_P12ihipStream_tbEUlT_E0_NS1_11comp_targetILNS1_3genE5ELNS1_11target_archE942ELNS1_3gpuE9ELNS1_3repE0EEENS1_30default_config_static_selectorELNS0_4arch9wavefront6targetE0EEEvS14_
	.globl	_ZN7rocprim17ROCPRIM_400000_NS6detail17trampoline_kernelINS0_14default_configENS1_22reduce_config_selectorIN6thrust23THRUST_200600_302600_NS5tupleIblNS6_9null_typeES8_S8_S8_S8_S8_S8_S8_EEEEZNS1_11reduce_implILb1ES3_NS6_12zip_iteratorINS7_INS6_11hip_rocprim26transform_input_iterator_tIbNSD_35transform_pair_of_input_iterators_tIbNS6_6detail15normal_iteratorINS6_10device_ptrIKfEEEESL_NS6_8equal_toIfEEEENSG_9not_fun_tINSD_8identityEEEEENSD_19counting_iterator_tIlEES8_S8_S8_S8_S8_S8_S8_S8_EEEEPS9_S9_NSD_9__find_if7functorIS9_EEEE10hipError_tPvRmT1_T2_T3_mT4_P12ihipStream_tbEUlT_E0_NS1_11comp_targetILNS1_3genE5ELNS1_11target_archE942ELNS1_3gpuE9ELNS1_3repE0EEENS1_30default_config_static_selectorELNS0_4arch9wavefront6targetE0EEEvS14_
	.p2align	8
	.type	_ZN7rocprim17ROCPRIM_400000_NS6detail17trampoline_kernelINS0_14default_configENS1_22reduce_config_selectorIN6thrust23THRUST_200600_302600_NS5tupleIblNS6_9null_typeES8_S8_S8_S8_S8_S8_S8_EEEEZNS1_11reduce_implILb1ES3_NS6_12zip_iteratorINS7_INS6_11hip_rocprim26transform_input_iterator_tIbNSD_35transform_pair_of_input_iterators_tIbNS6_6detail15normal_iteratorINS6_10device_ptrIKfEEEESL_NS6_8equal_toIfEEEENSG_9not_fun_tINSD_8identityEEEEENSD_19counting_iterator_tIlEES8_S8_S8_S8_S8_S8_S8_S8_EEEEPS9_S9_NSD_9__find_if7functorIS9_EEEE10hipError_tPvRmT1_T2_T3_mT4_P12ihipStream_tbEUlT_E0_NS1_11comp_targetILNS1_3genE5ELNS1_11target_archE942ELNS1_3gpuE9ELNS1_3repE0EEENS1_30default_config_static_selectorELNS0_4arch9wavefront6targetE0EEEvS14_,@function
_ZN7rocprim17ROCPRIM_400000_NS6detail17trampoline_kernelINS0_14default_configENS1_22reduce_config_selectorIN6thrust23THRUST_200600_302600_NS5tupleIblNS6_9null_typeES8_S8_S8_S8_S8_S8_S8_EEEEZNS1_11reduce_implILb1ES3_NS6_12zip_iteratorINS7_INS6_11hip_rocprim26transform_input_iterator_tIbNSD_35transform_pair_of_input_iterators_tIbNS6_6detail15normal_iteratorINS6_10device_ptrIKfEEEESL_NS6_8equal_toIfEEEENSG_9not_fun_tINSD_8identityEEEEENSD_19counting_iterator_tIlEES8_S8_S8_S8_S8_S8_S8_S8_EEEEPS9_S9_NSD_9__find_if7functorIS9_EEEE10hipError_tPvRmT1_T2_T3_mT4_P12ihipStream_tbEUlT_E0_NS1_11comp_targetILNS1_3genE5ELNS1_11target_archE942ELNS1_3gpuE9ELNS1_3repE0EEENS1_30default_config_static_selectorELNS0_4arch9wavefront6targetE0EEEvS14_: ; @_ZN7rocprim17ROCPRIM_400000_NS6detail17trampoline_kernelINS0_14default_configENS1_22reduce_config_selectorIN6thrust23THRUST_200600_302600_NS5tupleIblNS6_9null_typeES8_S8_S8_S8_S8_S8_S8_EEEEZNS1_11reduce_implILb1ES3_NS6_12zip_iteratorINS7_INS6_11hip_rocprim26transform_input_iterator_tIbNSD_35transform_pair_of_input_iterators_tIbNS6_6detail15normal_iteratorINS6_10device_ptrIKfEEEESL_NS6_8equal_toIfEEEENSG_9not_fun_tINSD_8identityEEEEENSD_19counting_iterator_tIlEES8_S8_S8_S8_S8_S8_S8_S8_EEEEPS9_S9_NSD_9__find_if7functorIS9_EEEE10hipError_tPvRmT1_T2_T3_mT4_P12ihipStream_tbEUlT_E0_NS1_11comp_targetILNS1_3genE5ELNS1_11target_archE942ELNS1_3gpuE9ELNS1_3repE0EEENS1_30default_config_static_selectorELNS0_4arch9wavefront6targetE0EEEvS14_
; %bb.0:
	.section	.rodata,"a",@progbits
	.p2align	6, 0x0
	.amdhsa_kernel _ZN7rocprim17ROCPRIM_400000_NS6detail17trampoline_kernelINS0_14default_configENS1_22reduce_config_selectorIN6thrust23THRUST_200600_302600_NS5tupleIblNS6_9null_typeES8_S8_S8_S8_S8_S8_S8_EEEEZNS1_11reduce_implILb1ES3_NS6_12zip_iteratorINS7_INS6_11hip_rocprim26transform_input_iterator_tIbNSD_35transform_pair_of_input_iterators_tIbNS6_6detail15normal_iteratorINS6_10device_ptrIKfEEEESL_NS6_8equal_toIfEEEENSG_9not_fun_tINSD_8identityEEEEENSD_19counting_iterator_tIlEES8_S8_S8_S8_S8_S8_S8_S8_EEEEPS9_S9_NSD_9__find_if7functorIS9_EEEE10hipError_tPvRmT1_T2_T3_mT4_P12ihipStream_tbEUlT_E0_NS1_11comp_targetILNS1_3genE5ELNS1_11target_archE942ELNS1_3gpuE9ELNS1_3repE0EEENS1_30default_config_static_selectorELNS0_4arch9wavefront6targetE0EEEvS14_
		.amdhsa_group_segment_fixed_size 0
		.amdhsa_private_segment_fixed_size 0
		.amdhsa_kernarg_size 104
		.amdhsa_user_sgpr_count 15
		.amdhsa_user_sgpr_dispatch_ptr 0
		.amdhsa_user_sgpr_queue_ptr 0
		.amdhsa_user_sgpr_kernarg_segment_ptr 1
		.amdhsa_user_sgpr_dispatch_id 0
		.amdhsa_user_sgpr_private_segment_size 0
		.amdhsa_wavefront_size32 1
		.amdhsa_uses_dynamic_stack 0
		.amdhsa_enable_private_segment 0
		.amdhsa_system_sgpr_workgroup_id_x 1
		.amdhsa_system_sgpr_workgroup_id_y 0
		.amdhsa_system_sgpr_workgroup_id_z 0
		.amdhsa_system_sgpr_workgroup_info 0
		.amdhsa_system_vgpr_workitem_id 0
		.amdhsa_next_free_vgpr 1
		.amdhsa_next_free_sgpr 1
		.amdhsa_reserve_vcc 0
		.amdhsa_float_round_mode_32 0
		.amdhsa_float_round_mode_16_64 0
		.amdhsa_float_denorm_mode_32 3
		.amdhsa_float_denorm_mode_16_64 3
		.amdhsa_dx10_clamp 1
		.amdhsa_ieee_mode 1
		.amdhsa_fp16_overflow 0
		.amdhsa_workgroup_processor_mode 1
		.amdhsa_memory_ordered 1
		.amdhsa_forward_progress 0
		.amdhsa_shared_vgpr_count 0
		.amdhsa_exception_fp_ieee_invalid_op 0
		.amdhsa_exception_fp_denorm_src 0
		.amdhsa_exception_fp_ieee_div_zero 0
		.amdhsa_exception_fp_ieee_overflow 0
		.amdhsa_exception_fp_ieee_underflow 0
		.amdhsa_exception_fp_ieee_inexact 0
		.amdhsa_exception_int_div_zero 0
	.end_amdhsa_kernel
	.section	.text._ZN7rocprim17ROCPRIM_400000_NS6detail17trampoline_kernelINS0_14default_configENS1_22reduce_config_selectorIN6thrust23THRUST_200600_302600_NS5tupleIblNS6_9null_typeES8_S8_S8_S8_S8_S8_S8_EEEEZNS1_11reduce_implILb1ES3_NS6_12zip_iteratorINS7_INS6_11hip_rocprim26transform_input_iterator_tIbNSD_35transform_pair_of_input_iterators_tIbNS6_6detail15normal_iteratorINS6_10device_ptrIKfEEEESL_NS6_8equal_toIfEEEENSG_9not_fun_tINSD_8identityEEEEENSD_19counting_iterator_tIlEES8_S8_S8_S8_S8_S8_S8_S8_EEEEPS9_S9_NSD_9__find_if7functorIS9_EEEE10hipError_tPvRmT1_T2_T3_mT4_P12ihipStream_tbEUlT_E0_NS1_11comp_targetILNS1_3genE5ELNS1_11target_archE942ELNS1_3gpuE9ELNS1_3repE0EEENS1_30default_config_static_selectorELNS0_4arch9wavefront6targetE0EEEvS14_,"axG",@progbits,_ZN7rocprim17ROCPRIM_400000_NS6detail17trampoline_kernelINS0_14default_configENS1_22reduce_config_selectorIN6thrust23THRUST_200600_302600_NS5tupleIblNS6_9null_typeES8_S8_S8_S8_S8_S8_S8_EEEEZNS1_11reduce_implILb1ES3_NS6_12zip_iteratorINS7_INS6_11hip_rocprim26transform_input_iterator_tIbNSD_35transform_pair_of_input_iterators_tIbNS6_6detail15normal_iteratorINS6_10device_ptrIKfEEEESL_NS6_8equal_toIfEEEENSG_9not_fun_tINSD_8identityEEEEENSD_19counting_iterator_tIlEES8_S8_S8_S8_S8_S8_S8_S8_EEEEPS9_S9_NSD_9__find_if7functorIS9_EEEE10hipError_tPvRmT1_T2_T3_mT4_P12ihipStream_tbEUlT_E0_NS1_11comp_targetILNS1_3genE5ELNS1_11target_archE942ELNS1_3gpuE9ELNS1_3repE0EEENS1_30default_config_static_selectorELNS0_4arch9wavefront6targetE0EEEvS14_,comdat
.Lfunc_end774:
	.size	_ZN7rocprim17ROCPRIM_400000_NS6detail17trampoline_kernelINS0_14default_configENS1_22reduce_config_selectorIN6thrust23THRUST_200600_302600_NS5tupleIblNS6_9null_typeES8_S8_S8_S8_S8_S8_S8_EEEEZNS1_11reduce_implILb1ES3_NS6_12zip_iteratorINS7_INS6_11hip_rocprim26transform_input_iterator_tIbNSD_35transform_pair_of_input_iterators_tIbNS6_6detail15normal_iteratorINS6_10device_ptrIKfEEEESL_NS6_8equal_toIfEEEENSG_9not_fun_tINSD_8identityEEEEENSD_19counting_iterator_tIlEES8_S8_S8_S8_S8_S8_S8_S8_EEEEPS9_S9_NSD_9__find_if7functorIS9_EEEE10hipError_tPvRmT1_T2_T3_mT4_P12ihipStream_tbEUlT_E0_NS1_11comp_targetILNS1_3genE5ELNS1_11target_archE942ELNS1_3gpuE9ELNS1_3repE0EEENS1_30default_config_static_selectorELNS0_4arch9wavefront6targetE0EEEvS14_, .Lfunc_end774-_ZN7rocprim17ROCPRIM_400000_NS6detail17trampoline_kernelINS0_14default_configENS1_22reduce_config_selectorIN6thrust23THRUST_200600_302600_NS5tupleIblNS6_9null_typeES8_S8_S8_S8_S8_S8_S8_EEEEZNS1_11reduce_implILb1ES3_NS6_12zip_iteratorINS7_INS6_11hip_rocprim26transform_input_iterator_tIbNSD_35transform_pair_of_input_iterators_tIbNS6_6detail15normal_iteratorINS6_10device_ptrIKfEEEESL_NS6_8equal_toIfEEEENSG_9not_fun_tINSD_8identityEEEEENSD_19counting_iterator_tIlEES8_S8_S8_S8_S8_S8_S8_S8_EEEEPS9_S9_NSD_9__find_if7functorIS9_EEEE10hipError_tPvRmT1_T2_T3_mT4_P12ihipStream_tbEUlT_E0_NS1_11comp_targetILNS1_3genE5ELNS1_11target_archE942ELNS1_3gpuE9ELNS1_3repE0EEENS1_30default_config_static_selectorELNS0_4arch9wavefront6targetE0EEEvS14_
                                        ; -- End function
	.section	.AMDGPU.csdata,"",@progbits
; Kernel info:
; codeLenInByte = 0
; NumSgprs: 0
; NumVgprs: 0
; ScratchSize: 0
; MemoryBound: 0
; FloatMode: 240
; IeeeMode: 1
; LDSByteSize: 0 bytes/workgroup (compile time only)
; SGPRBlocks: 0
; VGPRBlocks: 0
; NumSGPRsForWavesPerEU: 1
; NumVGPRsForWavesPerEU: 1
; Occupancy: 16
; WaveLimiterHint : 0
; COMPUTE_PGM_RSRC2:SCRATCH_EN: 0
; COMPUTE_PGM_RSRC2:USER_SGPR: 15
; COMPUTE_PGM_RSRC2:TRAP_HANDLER: 0
; COMPUTE_PGM_RSRC2:TGID_X_EN: 1
; COMPUTE_PGM_RSRC2:TGID_Y_EN: 0
; COMPUTE_PGM_RSRC2:TGID_Z_EN: 0
; COMPUTE_PGM_RSRC2:TIDIG_COMP_CNT: 0
	.section	.text._ZN7rocprim17ROCPRIM_400000_NS6detail17trampoline_kernelINS0_14default_configENS1_22reduce_config_selectorIN6thrust23THRUST_200600_302600_NS5tupleIblNS6_9null_typeES8_S8_S8_S8_S8_S8_S8_EEEEZNS1_11reduce_implILb1ES3_NS6_12zip_iteratorINS7_INS6_11hip_rocprim26transform_input_iterator_tIbNSD_35transform_pair_of_input_iterators_tIbNS6_6detail15normal_iteratorINS6_10device_ptrIKfEEEESL_NS6_8equal_toIfEEEENSG_9not_fun_tINSD_8identityEEEEENSD_19counting_iterator_tIlEES8_S8_S8_S8_S8_S8_S8_S8_EEEEPS9_S9_NSD_9__find_if7functorIS9_EEEE10hipError_tPvRmT1_T2_T3_mT4_P12ihipStream_tbEUlT_E0_NS1_11comp_targetILNS1_3genE4ELNS1_11target_archE910ELNS1_3gpuE8ELNS1_3repE0EEENS1_30default_config_static_selectorELNS0_4arch9wavefront6targetE0EEEvS14_,"axG",@progbits,_ZN7rocprim17ROCPRIM_400000_NS6detail17trampoline_kernelINS0_14default_configENS1_22reduce_config_selectorIN6thrust23THRUST_200600_302600_NS5tupleIblNS6_9null_typeES8_S8_S8_S8_S8_S8_S8_EEEEZNS1_11reduce_implILb1ES3_NS6_12zip_iteratorINS7_INS6_11hip_rocprim26transform_input_iterator_tIbNSD_35transform_pair_of_input_iterators_tIbNS6_6detail15normal_iteratorINS6_10device_ptrIKfEEEESL_NS6_8equal_toIfEEEENSG_9not_fun_tINSD_8identityEEEEENSD_19counting_iterator_tIlEES8_S8_S8_S8_S8_S8_S8_S8_EEEEPS9_S9_NSD_9__find_if7functorIS9_EEEE10hipError_tPvRmT1_T2_T3_mT4_P12ihipStream_tbEUlT_E0_NS1_11comp_targetILNS1_3genE4ELNS1_11target_archE910ELNS1_3gpuE8ELNS1_3repE0EEENS1_30default_config_static_selectorELNS0_4arch9wavefront6targetE0EEEvS14_,comdat
	.protected	_ZN7rocprim17ROCPRIM_400000_NS6detail17trampoline_kernelINS0_14default_configENS1_22reduce_config_selectorIN6thrust23THRUST_200600_302600_NS5tupleIblNS6_9null_typeES8_S8_S8_S8_S8_S8_S8_EEEEZNS1_11reduce_implILb1ES3_NS6_12zip_iteratorINS7_INS6_11hip_rocprim26transform_input_iterator_tIbNSD_35transform_pair_of_input_iterators_tIbNS6_6detail15normal_iteratorINS6_10device_ptrIKfEEEESL_NS6_8equal_toIfEEEENSG_9not_fun_tINSD_8identityEEEEENSD_19counting_iterator_tIlEES8_S8_S8_S8_S8_S8_S8_S8_EEEEPS9_S9_NSD_9__find_if7functorIS9_EEEE10hipError_tPvRmT1_T2_T3_mT4_P12ihipStream_tbEUlT_E0_NS1_11comp_targetILNS1_3genE4ELNS1_11target_archE910ELNS1_3gpuE8ELNS1_3repE0EEENS1_30default_config_static_selectorELNS0_4arch9wavefront6targetE0EEEvS14_ ; -- Begin function _ZN7rocprim17ROCPRIM_400000_NS6detail17trampoline_kernelINS0_14default_configENS1_22reduce_config_selectorIN6thrust23THRUST_200600_302600_NS5tupleIblNS6_9null_typeES8_S8_S8_S8_S8_S8_S8_EEEEZNS1_11reduce_implILb1ES3_NS6_12zip_iteratorINS7_INS6_11hip_rocprim26transform_input_iterator_tIbNSD_35transform_pair_of_input_iterators_tIbNS6_6detail15normal_iteratorINS6_10device_ptrIKfEEEESL_NS6_8equal_toIfEEEENSG_9not_fun_tINSD_8identityEEEEENSD_19counting_iterator_tIlEES8_S8_S8_S8_S8_S8_S8_S8_EEEEPS9_S9_NSD_9__find_if7functorIS9_EEEE10hipError_tPvRmT1_T2_T3_mT4_P12ihipStream_tbEUlT_E0_NS1_11comp_targetILNS1_3genE4ELNS1_11target_archE910ELNS1_3gpuE8ELNS1_3repE0EEENS1_30default_config_static_selectorELNS0_4arch9wavefront6targetE0EEEvS14_
	.globl	_ZN7rocprim17ROCPRIM_400000_NS6detail17trampoline_kernelINS0_14default_configENS1_22reduce_config_selectorIN6thrust23THRUST_200600_302600_NS5tupleIblNS6_9null_typeES8_S8_S8_S8_S8_S8_S8_EEEEZNS1_11reduce_implILb1ES3_NS6_12zip_iteratorINS7_INS6_11hip_rocprim26transform_input_iterator_tIbNSD_35transform_pair_of_input_iterators_tIbNS6_6detail15normal_iteratorINS6_10device_ptrIKfEEEESL_NS6_8equal_toIfEEEENSG_9not_fun_tINSD_8identityEEEEENSD_19counting_iterator_tIlEES8_S8_S8_S8_S8_S8_S8_S8_EEEEPS9_S9_NSD_9__find_if7functorIS9_EEEE10hipError_tPvRmT1_T2_T3_mT4_P12ihipStream_tbEUlT_E0_NS1_11comp_targetILNS1_3genE4ELNS1_11target_archE910ELNS1_3gpuE8ELNS1_3repE0EEENS1_30default_config_static_selectorELNS0_4arch9wavefront6targetE0EEEvS14_
	.p2align	8
	.type	_ZN7rocprim17ROCPRIM_400000_NS6detail17trampoline_kernelINS0_14default_configENS1_22reduce_config_selectorIN6thrust23THRUST_200600_302600_NS5tupleIblNS6_9null_typeES8_S8_S8_S8_S8_S8_S8_EEEEZNS1_11reduce_implILb1ES3_NS6_12zip_iteratorINS7_INS6_11hip_rocprim26transform_input_iterator_tIbNSD_35transform_pair_of_input_iterators_tIbNS6_6detail15normal_iteratorINS6_10device_ptrIKfEEEESL_NS6_8equal_toIfEEEENSG_9not_fun_tINSD_8identityEEEEENSD_19counting_iterator_tIlEES8_S8_S8_S8_S8_S8_S8_S8_EEEEPS9_S9_NSD_9__find_if7functorIS9_EEEE10hipError_tPvRmT1_T2_T3_mT4_P12ihipStream_tbEUlT_E0_NS1_11comp_targetILNS1_3genE4ELNS1_11target_archE910ELNS1_3gpuE8ELNS1_3repE0EEENS1_30default_config_static_selectorELNS0_4arch9wavefront6targetE0EEEvS14_,@function
_ZN7rocprim17ROCPRIM_400000_NS6detail17trampoline_kernelINS0_14default_configENS1_22reduce_config_selectorIN6thrust23THRUST_200600_302600_NS5tupleIblNS6_9null_typeES8_S8_S8_S8_S8_S8_S8_EEEEZNS1_11reduce_implILb1ES3_NS6_12zip_iteratorINS7_INS6_11hip_rocprim26transform_input_iterator_tIbNSD_35transform_pair_of_input_iterators_tIbNS6_6detail15normal_iteratorINS6_10device_ptrIKfEEEESL_NS6_8equal_toIfEEEENSG_9not_fun_tINSD_8identityEEEEENSD_19counting_iterator_tIlEES8_S8_S8_S8_S8_S8_S8_S8_EEEEPS9_S9_NSD_9__find_if7functorIS9_EEEE10hipError_tPvRmT1_T2_T3_mT4_P12ihipStream_tbEUlT_E0_NS1_11comp_targetILNS1_3genE4ELNS1_11target_archE910ELNS1_3gpuE8ELNS1_3repE0EEENS1_30default_config_static_selectorELNS0_4arch9wavefront6targetE0EEEvS14_: ; @_ZN7rocprim17ROCPRIM_400000_NS6detail17trampoline_kernelINS0_14default_configENS1_22reduce_config_selectorIN6thrust23THRUST_200600_302600_NS5tupleIblNS6_9null_typeES8_S8_S8_S8_S8_S8_S8_EEEEZNS1_11reduce_implILb1ES3_NS6_12zip_iteratorINS7_INS6_11hip_rocprim26transform_input_iterator_tIbNSD_35transform_pair_of_input_iterators_tIbNS6_6detail15normal_iteratorINS6_10device_ptrIKfEEEESL_NS6_8equal_toIfEEEENSG_9not_fun_tINSD_8identityEEEEENSD_19counting_iterator_tIlEES8_S8_S8_S8_S8_S8_S8_S8_EEEEPS9_S9_NSD_9__find_if7functorIS9_EEEE10hipError_tPvRmT1_T2_T3_mT4_P12ihipStream_tbEUlT_E0_NS1_11comp_targetILNS1_3genE4ELNS1_11target_archE910ELNS1_3gpuE8ELNS1_3repE0EEENS1_30default_config_static_selectorELNS0_4arch9wavefront6targetE0EEEvS14_
; %bb.0:
	.section	.rodata,"a",@progbits
	.p2align	6, 0x0
	.amdhsa_kernel _ZN7rocprim17ROCPRIM_400000_NS6detail17trampoline_kernelINS0_14default_configENS1_22reduce_config_selectorIN6thrust23THRUST_200600_302600_NS5tupleIblNS6_9null_typeES8_S8_S8_S8_S8_S8_S8_EEEEZNS1_11reduce_implILb1ES3_NS6_12zip_iteratorINS7_INS6_11hip_rocprim26transform_input_iterator_tIbNSD_35transform_pair_of_input_iterators_tIbNS6_6detail15normal_iteratorINS6_10device_ptrIKfEEEESL_NS6_8equal_toIfEEEENSG_9not_fun_tINSD_8identityEEEEENSD_19counting_iterator_tIlEES8_S8_S8_S8_S8_S8_S8_S8_EEEEPS9_S9_NSD_9__find_if7functorIS9_EEEE10hipError_tPvRmT1_T2_T3_mT4_P12ihipStream_tbEUlT_E0_NS1_11comp_targetILNS1_3genE4ELNS1_11target_archE910ELNS1_3gpuE8ELNS1_3repE0EEENS1_30default_config_static_selectorELNS0_4arch9wavefront6targetE0EEEvS14_
		.amdhsa_group_segment_fixed_size 0
		.amdhsa_private_segment_fixed_size 0
		.amdhsa_kernarg_size 104
		.amdhsa_user_sgpr_count 15
		.amdhsa_user_sgpr_dispatch_ptr 0
		.amdhsa_user_sgpr_queue_ptr 0
		.amdhsa_user_sgpr_kernarg_segment_ptr 1
		.amdhsa_user_sgpr_dispatch_id 0
		.amdhsa_user_sgpr_private_segment_size 0
		.amdhsa_wavefront_size32 1
		.amdhsa_uses_dynamic_stack 0
		.amdhsa_enable_private_segment 0
		.amdhsa_system_sgpr_workgroup_id_x 1
		.amdhsa_system_sgpr_workgroup_id_y 0
		.amdhsa_system_sgpr_workgroup_id_z 0
		.amdhsa_system_sgpr_workgroup_info 0
		.amdhsa_system_vgpr_workitem_id 0
		.amdhsa_next_free_vgpr 1
		.amdhsa_next_free_sgpr 1
		.amdhsa_reserve_vcc 0
		.amdhsa_float_round_mode_32 0
		.amdhsa_float_round_mode_16_64 0
		.amdhsa_float_denorm_mode_32 3
		.amdhsa_float_denorm_mode_16_64 3
		.amdhsa_dx10_clamp 1
		.amdhsa_ieee_mode 1
		.amdhsa_fp16_overflow 0
		.amdhsa_workgroup_processor_mode 1
		.amdhsa_memory_ordered 1
		.amdhsa_forward_progress 0
		.amdhsa_shared_vgpr_count 0
		.amdhsa_exception_fp_ieee_invalid_op 0
		.amdhsa_exception_fp_denorm_src 0
		.amdhsa_exception_fp_ieee_div_zero 0
		.amdhsa_exception_fp_ieee_overflow 0
		.amdhsa_exception_fp_ieee_underflow 0
		.amdhsa_exception_fp_ieee_inexact 0
		.amdhsa_exception_int_div_zero 0
	.end_amdhsa_kernel
	.section	.text._ZN7rocprim17ROCPRIM_400000_NS6detail17trampoline_kernelINS0_14default_configENS1_22reduce_config_selectorIN6thrust23THRUST_200600_302600_NS5tupleIblNS6_9null_typeES8_S8_S8_S8_S8_S8_S8_EEEEZNS1_11reduce_implILb1ES3_NS6_12zip_iteratorINS7_INS6_11hip_rocprim26transform_input_iterator_tIbNSD_35transform_pair_of_input_iterators_tIbNS6_6detail15normal_iteratorINS6_10device_ptrIKfEEEESL_NS6_8equal_toIfEEEENSG_9not_fun_tINSD_8identityEEEEENSD_19counting_iterator_tIlEES8_S8_S8_S8_S8_S8_S8_S8_EEEEPS9_S9_NSD_9__find_if7functorIS9_EEEE10hipError_tPvRmT1_T2_T3_mT4_P12ihipStream_tbEUlT_E0_NS1_11comp_targetILNS1_3genE4ELNS1_11target_archE910ELNS1_3gpuE8ELNS1_3repE0EEENS1_30default_config_static_selectorELNS0_4arch9wavefront6targetE0EEEvS14_,"axG",@progbits,_ZN7rocprim17ROCPRIM_400000_NS6detail17trampoline_kernelINS0_14default_configENS1_22reduce_config_selectorIN6thrust23THRUST_200600_302600_NS5tupleIblNS6_9null_typeES8_S8_S8_S8_S8_S8_S8_EEEEZNS1_11reduce_implILb1ES3_NS6_12zip_iteratorINS7_INS6_11hip_rocprim26transform_input_iterator_tIbNSD_35transform_pair_of_input_iterators_tIbNS6_6detail15normal_iteratorINS6_10device_ptrIKfEEEESL_NS6_8equal_toIfEEEENSG_9not_fun_tINSD_8identityEEEEENSD_19counting_iterator_tIlEES8_S8_S8_S8_S8_S8_S8_S8_EEEEPS9_S9_NSD_9__find_if7functorIS9_EEEE10hipError_tPvRmT1_T2_T3_mT4_P12ihipStream_tbEUlT_E0_NS1_11comp_targetILNS1_3genE4ELNS1_11target_archE910ELNS1_3gpuE8ELNS1_3repE0EEENS1_30default_config_static_selectorELNS0_4arch9wavefront6targetE0EEEvS14_,comdat
.Lfunc_end775:
	.size	_ZN7rocprim17ROCPRIM_400000_NS6detail17trampoline_kernelINS0_14default_configENS1_22reduce_config_selectorIN6thrust23THRUST_200600_302600_NS5tupleIblNS6_9null_typeES8_S8_S8_S8_S8_S8_S8_EEEEZNS1_11reduce_implILb1ES3_NS6_12zip_iteratorINS7_INS6_11hip_rocprim26transform_input_iterator_tIbNSD_35transform_pair_of_input_iterators_tIbNS6_6detail15normal_iteratorINS6_10device_ptrIKfEEEESL_NS6_8equal_toIfEEEENSG_9not_fun_tINSD_8identityEEEEENSD_19counting_iterator_tIlEES8_S8_S8_S8_S8_S8_S8_S8_EEEEPS9_S9_NSD_9__find_if7functorIS9_EEEE10hipError_tPvRmT1_T2_T3_mT4_P12ihipStream_tbEUlT_E0_NS1_11comp_targetILNS1_3genE4ELNS1_11target_archE910ELNS1_3gpuE8ELNS1_3repE0EEENS1_30default_config_static_selectorELNS0_4arch9wavefront6targetE0EEEvS14_, .Lfunc_end775-_ZN7rocprim17ROCPRIM_400000_NS6detail17trampoline_kernelINS0_14default_configENS1_22reduce_config_selectorIN6thrust23THRUST_200600_302600_NS5tupleIblNS6_9null_typeES8_S8_S8_S8_S8_S8_S8_EEEEZNS1_11reduce_implILb1ES3_NS6_12zip_iteratorINS7_INS6_11hip_rocprim26transform_input_iterator_tIbNSD_35transform_pair_of_input_iterators_tIbNS6_6detail15normal_iteratorINS6_10device_ptrIKfEEEESL_NS6_8equal_toIfEEEENSG_9not_fun_tINSD_8identityEEEEENSD_19counting_iterator_tIlEES8_S8_S8_S8_S8_S8_S8_S8_EEEEPS9_S9_NSD_9__find_if7functorIS9_EEEE10hipError_tPvRmT1_T2_T3_mT4_P12ihipStream_tbEUlT_E0_NS1_11comp_targetILNS1_3genE4ELNS1_11target_archE910ELNS1_3gpuE8ELNS1_3repE0EEENS1_30default_config_static_selectorELNS0_4arch9wavefront6targetE0EEEvS14_
                                        ; -- End function
	.section	.AMDGPU.csdata,"",@progbits
; Kernel info:
; codeLenInByte = 0
; NumSgprs: 0
; NumVgprs: 0
; ScratchSize: 0
; MemoryBound: 0
; FloatMode: 240
; IeeeMode: 1
; LDSByteSize: 0 bytes/workgroup (compile time only)
; SGPRBlocks: 0
; VGPRBlocks: 0
; NumSGPRsForWavesPerEU: 1
; NumVGPRsForWavesPerEU: 1
; Occupancy: 16
; WaveLimiterHint : 0
; COMPUTE_PGM_RSRC2:SCRATCH_EN: 0
; COMPUTE_PGM_RSRC2:USER_SGPR: 15
; COMPUTE_PGM_RSRC2:TRAP_HANDLER: 0
; COMPUTE_PGM_RSRC2:TGID_X_EN: 1
; COMPUTE_PGM_RSRC2:TGID_Y_EN: 0
; COMPUTE_PGM_RSRC2:TGID_Z_EN: 0
; COMPUTE_PGM_RSRC2:TIDIG_COMP_CNT: 0
	.section	.text._ZN7rocprim17ROCPRIM_400000_NS6detail17trampoline_kernelINS0_14default_configENS1_22reduce_config_selectorIN6thrust23THRUST_200600_302600_NS5tupleIblNS6_9null_typeES8_S8_S8_S8_S8_S8_S8_EEEEZNS1_11reduce_implILb1ES3_NS6_12zip_iteratorINS7_INS6_11hip_rocprim26transform_input_iterator_tIbNSD_35transform_pair_of_input_iterators_tIbNS6_6detail15normal_iteratorINS6_10device_ptrIKfEEEESL_NS6_8equal_toIfEEEENSG_9not_fun_tINSD_8identityEEEEENSD_19counting_iterator_tIlEES8_S8_S8_S8_S8_S8_S8_S8_EEEEPS9_S9_NSD_9__find_if7functorIS9_EEEE10hipError_tPvRmT1_T2_T3_mT4_P12ihipStream_tbEUlT_E0_NS1_11comp_targetILNS1_3genE3ELNS1_11target_archE908ELNS1_3gpuE7ELNS1_3repE0EEENS1_30default_config_static_selectorELNS0_4arch9wavefront6targetE0EEEvS14_,"axG",@progbits,_ZN7rocprim17ROCPRIM_400000_NS6detail17trampoline_kernelINS0_14default_configENS1_22reduce_config_selectorIN6thrust23THRUST_200600_302600_NS5tupleIblNS6_9null_typeES8_S8_S8_S8_S8_S8_S8_EEEEZNS1_11reduce_implILb1ES3_NS6_12zip_iteratorINS7_INS6_11hip_rocprim26transform_input_iterator_tIbNSD_35transform_pair_of_input_iterators_tIbNS6_6detail15normal_iteratorINS6_10device_ptrIKfEEEESL_NS6_8equal_toIfEEEENSG_9not_fun_tINSD_8identityEEEEENSD_19counting_iterator_tIlEES8_S8_S8_S8_S8_S8_S8_S8_EEEEPS9_S9_NSD_9__find_if7functorIS9_EEEE10hipError_tPvRmT1_T2_T3_mT4_P12ihipStream_tbEUlT_E0_NS1_11comp_targetILNS1_3genE3ELNS1_11target_archE908ELNS1_3gpuE7ELNS1_3repE0EEENS1_30default_config_static_selectorELNS0_4arch9wavefront6targetE0EEEvS14_,comdat
	.protected	_ZN7rocprim17ROCPRIM_400000_NS6detail17trampoline_kernelINS0_14default_configENS1_22reduce_config_selectorIN6thrust23THRUST_200600_302600_NS5tupleIblNS6_9null_typeES8_S8_S8_S8_S8_S8_S8_EEEEZNS1_11reduce_implILb1ES3_NS6_12zip_iteratorINS7_INS6_11hip_rocprim26transform_input_iterator_tIbNSD_35transform_pair_of_input_iterators_tIbNS6_6detail15normal_iteratorINS6_10device_ptrIKfEEEESL_NS6_8equal_toIfEEEENSG_9not_fun_tINSD_8identityEEEEENSD_19counting_iterator_tIlEES8_S8_S8_S8_S8_S8_S8_S8_EEEEPS9_S9_NSD_9__find_if7functorIS9_EEEE10hipError_tPvRmT1_T2_T3_mT4_P12ihipStream_tbEUlT_E0_NS1_11comp_targetILNS1_3genE3ELNS1_11target_archE908ELNS1_3gpuE7ELNS1_3repE0EEENS1_30default_config_static_selectorELNS0_4arch9wavefront6targetE0EEEvS14_ ; -- Begin function _ZN7rocprim17ROCPRIM_400000_NS6detail17trampoline_kernelINS0_14default_configENS1_22reduce_config_selectorIN6thrust23THRUST_200600_302600_NS5tupleIblNS6_9null_typeES8_S8_S8_S8_S8_S8_S8_EEEEZNS1_11reduce_implILb1ES3_NS6_12zip_iteratorINS7_INS6_11hip_rocprim26transform_input_iterator_tIbNSD_35transform_pair_of_input_iterators_tIbNS6_6detail15normal_iteratorINS6_10device_ptrIKfEEEESL_NS6_8equal_toIfEEEENSG_9not_fun_tINSD_8identityEEEEENSD_19counting_iterator_tIlEES8_S8_S8_S8_S8_S8_S8_S8_EEEEPS9_S9_NSD_9__find_if7functorIS9_EEEE10hipError_tPvRmT1_T2_T3_mT4_P12ihipStream_tbEUlT_E0_NS1_11comp_targetILNS1_3genE3ELNS1_11target_archE908ELNS1_3gpuE7ELNS1_3repE0EEENS1_30default_config_static_selectorELNS0_4arch9wavefront6targetE0EEEvS14_
	.globl	_ZN7rocprim17ROCPRIM_400000_NS6detail17trampoline_kernelINS0_14default_configENS1_22reduce_config_selectorIN6thrust23THRUST_200600_302600_NS5tupleIblNS6_9null_typeES8_S8_S8_S8_S8_S8_S8_EEEEZNS1_11reduce_implILb1ES3_NS6_12zip_iteratorINS7_INS6_11hip_rocprim26transform_input_iterator_tIbNSD_35transform_pair_of_input_iterators_tIbNS6_6detail15normal_iteratorINS6_10device_ptrIKfEEEESL_NS6_8equal_toIfEEEENSG_9not_fun_tINSD_8identityEEEEENSD_19counting_iterator_tIlEES8_S8_S8_S8_S8_S8_S8_S8_EEEEPS9_S9_NSD_9__find_if7functorIS9_EEEE10hipError_tPvRmT1_T2_T3_mT4_P12ihipStream_tbEUlT_E0_NS1_11comp_targetILNS1_3genE3ELNS1_11target_archE908ELNS1_3gpuE7ELNS1_3repE0EEENS1_30default_config_static_selectorELNS0_4arch9wavefront6targetE0EEEvS14_
	.p2align	8
	.type	_ZN7rocprim17ROCPRIM_400000_NS6detail17trampoline_kernelINS0_14default_configENS1_22reduce_config_selectorIN6thrust23THRUST_200600_302600_NS5tupleIblNS6_9null_typeES8_S8_S8_S8_S8_S8_S8_EEEEZNS1_11reduce_implILb1ES3_NS6_12zip_iteratorINS7_INS6_11hip_rocprim26transform_input_iterator_tIbNSD_35transform_pair_of_input_iterators_tIbNS6_6detail15normal_iteratorINS6_10device_ptrIKfEEEESL_NS6_8equal_toIfEEEENSG_9not_fun_tINSD_8identityEEEEENSD_19counting_iterator_tIlEES8_S8_S8_S8_S8_S8_S8_S8_EEEEPS9_S9_NSD_9__find_if7functorIS9_EEEE10hipError_tPvRmT1_T2_T3_mT4_P12ihipStream_tbEUlT_E0_NS1_11comp_targetILNS1_3genE3ELNS1_11target_archE908ELNS1_3gpuE7ELNS1_3repE0EEENS1_30default_config_static_selectorELNS0_4arch9wavefront6targetE0EEEvS14_,@function
_ZN7rocprim17ROCPRIM_400000_NS6detail17trampoline_kernelINS0_14default_configENS1_22reduce_config_selectorIN6thrust23THRUST_200600_302600_NS5tupleIblNS6_9null_typeES8_S8_S8_S8_S8_S8_S8_EEEEZNS1_11reduce_implILb1ES3_NS6_12zip_iteratorINS7_INS6_11hip_rocprim26transform_input_iterator_tIbNSD_35transform_pair_of_input_iterators_tIbNS6_6detail15normal_iteratorINS6_10device_ptrIKfEEEESL_NS6_8equal_toIfEEEENSG_9not_fun_tINSD_8identityEEEEENSD_19counting_iterator_tIlEES8_S8_S8_S8_S8_S8_S8_S8_EEEEPS9_S9_NSD_9__find_if7functorIS9_EEEE10hipError_tPvRmT1_T2_T3_mT4_P12ihipStream_tbEUlT_E0_NS1_11comp_targetILNS1_3genE3ELNS1_11target_archE908ELNS1_3gpuE7ELNS1_3repE0EEENS1_30default_config_static_selectorELNS0_4arch9wavefront6targetE0EEEvS14_: ; @_ZN7rocprim17ROCPRIM_400000_NS6detail17trampoline_kernelINS0_14default_configENS1_22reduce_config_selectorIN6thrust23THRUST_200600_302600_NS5tupleIblNS6_9null_typeES8_S8_S8_S8_S8_S8_S8_EEEEZNS1_11reduce_implILb1ES3_NS6_12zip_iteratorINS7_INS6_11hip_rocprim26transform_input_iterator_tIbNSD_35transform_pair_of_input_iterators_tIbNS6_6detail15normal_iteratorINS6_10device_ptrIKfEEEESL_NS6_8equal_toIfEEEENSG_9not_fun_tINSD_8identityEEEEENSD_19counting_iterator_tIlEES8_S8_S8_S8_S8_S8_S8_S8_EEEEPS9_S9_NSD_9__find_if7functorIS9_EEEE10hipError_tPvRmT1_T2_T3_mT4_P12ihipStream_tbEUlT_E0_NS1_11comp_targetILNS1_3genE3ELNS1_11target_archE908ELNS1_3gpuE7ELNS1_3repE0EEENS1_30default_config_static_selectorELNS0_4arch9wavefront6targetE0EEEvS14_
; %bb.0:
	.section	.rodata,"a",@progbits
	.p2align	6, 0x0
	.amdhsa_kernel _ZN7rocprim17ROCPRIM_400000_NS6detail17trampoline_kernelINS0_14default_configENS1_22reduce_config_selectorIN6thrust23THRUST_200600_302600_NS5tupleIblNS6_9null_typeES8_S8_S8_S8_S8_S8_S8_EEEEZNS1_11reduce_implILb1ES3_NS6_12zip_iteratorINS7_INS6_11hip_rocprim26transform_input_iterator_tIbNSD_35transform_pair_of_input_iterators_tIbNS6_6detail15normal_iteratorINS6_10device_ptrIKfEEEESL_NS6_8equal_toIfEEEENSG_9not_fun_tINSD_8identityEEEEENSD_19counting_iterator_tIlEES8_S8_S8_S8_S8_S8_S8_S8_EEEEPS9_S9_NSD_9__find_if7functorIS9_EEEE10hipError_tPvRmT1_T2_T3_mT4_P12ihipStream_tbEUlT_E0_NS1_11comp_targetILNS1_3genE3ELNS1_11target_archE908ELNS1_3gpuE7ELNS1_3repE0EEENS1_30default_config_static_selectorELNS0_4arch9wavefront6targetE0EEEvS14_
		.amdhsa_group_segment_fixed_size 0
		.amdhsa_private_segment_fixed_size 0
		.amdhsa_kernarg_size 104
		.amdhsa_user_sgpr_count 15
		.amdhsa_user_sgpr_dispatch_ptr 0
		.amdhsa_user_sgpr_queue_ptr 0
		.amdhsa_user_sgpr_kernarg_segment_ptr 1
		.amdhsa_user_sgpr_dispatch_id 0
		.amdhsa_user_sgpr_private_segment_size 0
		.amdhsa_wavefront_size32 1
		.amdhsa_uses_dynamic_stack 0
		.amdhsa_enable_private_segment 0
		.amdhsa_system_sgpr_workgroup_id_x 1
		.amdhsa_system_sgpr_workgroup_id_y 0
		.amdhsa_system_sgpr_workgroup_id_z 0
		.amdhsa_system_sgpr_workgroup_info 0
		.amdhsa_system_vgpr_workitem_id 0
		.amdhsa_next_free_vgpr 1
		.amdhsa_next_free_sgpr 1
		.amdhsa_reserve_vcc 0
		.amdhsa_float_round_mode_32 0
		.amdhsa_float_round_mode_16_64 0
		.amdhsa_float_denorm_mode_32 3
		.amdhsa_float_denorm_mode_16_64 3
		.amdhsa_dx10_clamp 1
		.amdhsa_ieee_mode 1
		.amdhsa_fp16_overflow 0
		.amdhsa_workgroup_processor_mode 1
		.amdhsa_memory_ordered 1
		.amdhsa_forward_progress 0
		.amdhsa_shared_vgpr_count 0
		.amdhsa_exception_fp_ieee_invalid_op 0
		.amdhsa_exception_fp_denorm_src 0
		.amdhsa_exception_fp_ieee_div_zero 0
		.amdhsa_exception_fp_ieee_overflow 0
		.amdhsa_exception_fp_ieee_underflow 0
		.amdhsa_exception_fp_ieee_inexact 0
		.amdhsa_exception_int_div_zero 0
	.end_amdhsa_kernel
	.section	.text._ZN7rocprim17ROCPRIM_400000_NS6detail17trampoline_kernelINS0_14default_configENS1_22reduce_config_selectorIN6thrust23THRUST_200600_302600_NS5tupleIblNS6_9null_typeES8_S8_S8_S8_S8_S8_S8_EEEEZNS1_11reduce_implILb1ES3_NS6_12zip_iteratorINS7_INS6_11hip_rocprim26transform_input_iterator_tIbNSD_35transform_pair_of_input_iterators_tIbNS6_6detail15normal_iteratorINS6_10device_ptrIKfEEEESL_NS6_8equal_toIfEEEENSG_9not_fun_tINSD_8identityEEEEENSD_19counting_iterator_tIlEES8_S8_S8_S8_S8_S8_S8_S8_EEEEPS9_S9_NSD_9__find_if7functorIS9_EEEE10hipError_tPvRmT1_T2_T3_mT4_P12ihipStream_tbEUlT_E0_NS1_11comp_targetILNS1_3genE3ELNS1_11target_archE908ELNS1_3gpuE7ELNS1_3repE0EEENS1_30default_config_static_selectorELNS0_4arch9wavefront6targetE0EEEvS14_,"axG",@progbits,_ZN7rocprim17ROCPRIM_400000_NS6detail17trampoline_kernelINS0_14default_configENS1_22reduce_config_selectorIN6thrust23THRUST_200600_302600_NS5tupleIblNS6_9null_typeES8_S8_S8_S8_S8_S8_S8_EEEEZNS1_11reduce_implILb1ES3_NS6_12zip_iteratorINS7_INS6_11hip_rocprim26transform_input_iterator_tIbNSD_35transform_pair_of_input_iterators_tIbNS6_6detail15normal_iteratorINS6_10device_ptrIKfEEEESL_NS6_8equal_toIfEEEENSG_9not_fun_tINSD_8identityEEEEENSD_19counting_iterator_tIlEES8_S8_S8_S8_S8_S8_S8_S8_EEEEPS9_S9_NSD_9__find_if7functorIS9_EEEE10hipError_tPvRmT1_T2_T3_mT4_P12ihipStream_tbEUlT_E0_NS1_11comp_targetILNS1_3genE3ELNS1_11target_archE908ELNS1_3gpuE7ELNS1_3repE0EEENS1_30default_config_static_selectorELNS0_4arch9wavefront6targetE0EEEvS14_,comdat
.Lfunc_end776:
	.size	_ZN7rocprim17ROCPRIM_400000_NS6detail17trampoline_kernelINS0_14default_configENS1_22reduce_config_selectorIN6thrust23THRUST_200600_302600_NS5tupleIblNS6_9null_typeES8_S8_S8_S8_S8_S8_S8_EEEEZNS1_11reduce_implILb1ES3_NS6_12zip_iteratorINS7_INS6_11hip_rocprim26transform_input_iterator_tIbNSD_35transform_pair_of_input_iterators_tIbNS6_6detail15normal_iteratorINS6_10device_ptrIKfEEEESL_NS6_8equal_toIfEEEENSG_9not_fun_tINSD_8identityEEEEENSD_19counting_iterator_tIlEES8_S8_S8_S8_S8_S8_S8_S8_EEEEPS9_S9_NSD_9__find_if7functorIS9_EEEE10hipError_tPvRmT1_T2_T3_mT4_P12ihipStream_tbEUlT_E0_NS1_11comp_targetILNS1_3genE3ELNS1_11target_archE908ELNS1_3gpuE7ELNS1_3repE0EEENS1_30default_config_static_selectorELNS0_4arch9wavefront6targetE0EEEvS14_, .Lfunc_end776-_ZN7rocprim17ROCPRIM_400000_NS6detail17trampoline_kernelINS0_14default_configENS1_22reduce_config_selectorIN6thrust23THRUST_200600_302600_NS5tupleIblNS6_9null_typeES8_S8_S8_S8_S8_S8_S8_EEEEZNS1_11reduce_implILb1ES3_NS6_12zip_iteratorINS7_INS6_11hip_rocprim26transform_input_iterator_tIbNSD_35transform_pair_of_input_iterators_tIbNS6_6detail15normal_iteratorINS6_10device_ptrIKfEEEESL_NS6_8equal_toIfEEEENSG_9not_fun_tINSD_8identityEEEEENSD_19counting_iterator_tIlEES8_S8_S8_S8_S8_S8_S8_S8_EEEEPS9_S9_NSD_9__find_if7functorIS9_EEEE10hipError_tPvRmT1_T2_T3_mT4_P12ihipStream_tbEUlT_E0_NS1_11comp_targetILNS1_3genE3ELNS1_11target_archE908ELNS1_3gpuE7ELNS1_3repE0EEENS1_30default_config_static_selectorELNS0_4arch9wavefront6targetE0EEEvS14_
                                        ; -- End function
	.section	.AMDGPU.csdata,"",@progbits
; Kernel info:
; codeLenInByte = 0
; NumSgprs: 0
; NumVgprs: 0
; ScratchSize: 0
; MemoryBound: 0
; FloatMode: 240
; IeeeMode: 1
; LDSByteSize: 0 bytes/workgroup (compile time only)
; SGPRBlocks: 0
; VGPRBlocks: 0
; NumSGPRsForWavesPerEU: 1
; NumVGPRsForWavesPerEU: 1
; Occupancy: 16
; WaveLimiterHint : 0
; COMPUTE_PGM_RSRC2:SCRATCH_EN: 0
; COMPUTE_PGM_RSRC2:USER_SGPR: 15
; COMPUTE_PGM_RSRC2:TRAP_HANDLER: 0
; COMPUTE_PGM_RSRC2:TGID_X_EN: 1
; COMPUTE_PGM_RSRC2:TGID_Y_EN: 0
; COMPUTE_PGM_RSRC2:TGID_Z_EN: 0
; COMPUTE_PGM_RSRC2:TIDIG_COMP_CNT: 0
	.section	.text._ZN7rocprim17ROCPRIM_400000_NS6detail17trampoline_kernelINS0_14default_configENS1_22reduce_config_selectorIN6thrust23THRUST_200600_302600_NS5tupleIblNS6_9null_typeES8_S8_S8_S8_S8_S8_S8_EEEEZNS1_11reduce_implILb1ES3_NS6_12zip_iteratorINS7_INS6_11hip_rocprim26transform_input_iterator_tIbNSD_35transform_pair_of_input_iterators_tIbNS6_6detail15normal_iteratorINS6_10device_ptrIKfEEEESL_NS6_8equal_toIfEEEENSG_9not_fun_tINSD_8identityEEEEENSD_19counting_iterator_tIlEES8_S8_S8_S8_S8_S8_S8_S8_EEEEPS9_S9_NSD_9__find_if7functorIS9_EEEE10hipError_tPvRmT1_T2_T3_mT4_P12ihipStream_tbEUlT_E0_NS1_11comp_targetILNS1_3genE2ELNS1_11target_archE906ELNS1_3gpuE6ELNS1_3repE0EEENS1_30default_config_static_selectorELNS0_4arch9wavefront6targetE0EEEvS14_,"axG",@progbits,_ZN7rocprim17ROCPRIM_400000_NS6detail17trampoline_kernelINS0_14default_configENS1_22reduce_config_selectorIN6thrust23THRUST_200600_302600_NS5tupleIblNS6_9null_typeES8_S8_S8_S8_S8_S8_S8_EEEEZNS1_11reduce_implILb1ES3_NS6_12zip_iteratorINS7_INS6_11hip_rocprim26transform_input_iterator_tIbNSD_35transform_pair_of_input_iterators_tIbNS6_6detail15normal_iteratorINS6_10device_ptrIKfEEEESL_NS6_8equal_toIfEEEENSG_9not_fun_tINSD_8identityEEEEENSD_19counting_iterator_tIlEES8_S8_S8_S8_S8_S8_S8_S8_EEEEPS9_S9_NSD_9__find_if7functorIS9_EEEE10hipError_tPvRmT1_T2_T3_mT4_P12ihipStream_tbEUlT_E0_NS1_11comp_targetILNS1_3genE2ELNS1_11target_archE906ELNS1_3gpuE6ELNS1_3repE0EEENS1_30default_config_static_selectorELNS0_4arch9wavefront6targetE0EEEvS14_,comdat
	.protected	_ZN7rocprim17ROCPRIM_400000_NS6detail17trampoline_kernelINS0_14default_configENS1_22reduce_config_selectorIN6thrust23THRUST_200600_302600_NS5tupleIblNS6_9null_typeES8_S8_S8_S8_S8_S8_S8_EEEEZNS1_11reduce_implILb1ES3_NS6_12zip_iteratorINS7_INS6_11hip_rocprim26transform_input_iterator_tIbNSD_35transform_pair_of_input_iterators_tIbNS6_6detail15normal_iteratorINS6_10device_ptrIKfEEEESL_NS6_8equal_toIfEEEENSG_9not_fun_tINSD_8identityEEEEENSD_19counting_iterator_tIlEES8_S8_S8_S8_S8_S8_S8_S8_EEEEPS9_S9_NSD_9__find_if7functorIS9_EEEE10hipError_tPvRmT1_T2_T3_mT4_P12ihipStream_tbEUlT_E0_NS1_11comp_targetILNS1_3genE2ELNS1_11target_archE906ELNS1_3gpuE6ELNS1_3repE0EEENS1_30default_config_static_selectorELNS0_4arch9wavefront6targetE0EEEvS14_ ; -- Begin function _ZN7rocprim17ROCPRIM_400000_NS6detail17trampoline_kernelINS0_14default_configENS1_22reduce_config_selectorIN6thrust23THRUST_200600_302600_NS5tupleIblNS6_9null_typeES8_S8_S8_S8_S8_S8_S8_EEEEZNS1_11reduce_implILb1ES3_NS6_12zip_iteratorINS7_INS6_11hip_rocprim26transform_input_iterator_tIbNSD_35transform_pair_of_input_iterators_tIbNS6_6detail15normal_iteratorINS6_10device_ptrIKfEEEESL_NS6_8equal_toIfEEEENSG_9not_fun_tINSD_8identityEEEEENSD_19counting_iterator_tIlEES8_S8_S8_S8_S8_S8_S8_S8_EEEEPS9_S9_NSD_9__find_if7functorIS9_EEEE10hipError_tPvRmT1_T2_T3_mT4_P12ihipStream_tbEUlT_E0_NS1_11comp_targetILNS1_3genE2ELNS1_11target_archE906ELNS1_3gpuE6ELNS1_3repE0EEENS1_30default_config_static_selectorELNS0_4arch9wavefront6targetE0EEEvS14_
	.globl	_ZN7rocprim17ROCPRIM_400000_NS6detail17trampoline_kernelINS0_14default_configENS1_22reduce_config_selectorIN6thrust23THRUST_200600_302600_NS5tupleIblNS6_9null_typeES8_S8_S8_S8_S8_S8_S8_EEEEZNS1_11reduce_implILb1ES3_NS6_12zip_iteratorINS7_INS6_11hip_rocprim26transform_input_iterator_tIbNSD_35transform_pair_of_input_iterators_tIbNS6_6detail15normal_iteratorINS6_10device_ptrIKfEEEESL_NS6_8equal_toIfEEEENSG_9not_fun_tINSD_8identityEEEEENSD_19counting_iterator_tIlEES8_S8_S8_S8_S8_S8_S8_S8_EEEEPS9_S9_NSD_9__find_if7functorIS9_EEEE10hipError_tPvRmT1_T2_T3_mT4_P12ihipStream_tbEUlT_E0_NS1_11comp_targetILNS1_3genE2ELNS1_11target_archE906ELNS1_3gpuE6ELNS1_3repE0EEENS1_30default_config_static_selectorELNS0_4arch9wavefront6targetE0EEEvS14_
	.p2align	8
	.type	_ZN7rocprim17ROCPRIM_400000_NS6detail17trampoline_kernelINS0_14default_configENS1_22reduce_config_selectorIN6thrust23THRUST_200600_302600_NS5tupleIblNS6_9null_typeES8_S8_S8_S8_S8_S8_S8_EEEEZNS1_11reduce_implILb1ES3_NS6_12zip_iteratorINS7_INS6_11hip_rocprim26transform_input_iterator_tIbNSD_35transform_pair_of_input_iterators_tIbNS6_6detail15normal_iteratorINS6_10device_ptrIKfEEEESL_NS6_8equal_toIfEEEENSG_9not_fun_tINSD_8identityEEEEENSD_19counting_iterator_tIlEES8_S8_S8_S8_S8_S8_S8_S8_EEEEPS9_S9_NSD_9__find_if7functorIS9_EEEE10hipError_tPvRmT1_T2_T3_mT4_P12ihipStream_tbEUlT_E0_NS1_11comp_targetILNS1_3genE2ELNS1_11target_archE906ELNS1_3gpuE6ELNS1_3repE0EEENS1_30default_config_static_selectorELNS0_4arch9wavefront6targetE0EEEvS14_,@function
_ZN7rocprim17ROCPRIM_400000_NS6detail17trampoline_kernelINS0_14default_configENS1_22reduce_config_selectorIN6thrust23THRUST_200600_302600_NS5tupleIblNS6_9null_typeES8_S8_S8_S8_S8_S8_S8_EEEEZNS1_11reduce_implILb1ES3_NS6_12zip_iteratorINS7_INS6_11hip_rocprim26transform_input_iterator_tIbNSD_35transform_pair_of_input_iterators_tIbNS6_6detail15normal_iteratorINS6_10device_ptrIKfEEEESL_NS6_8equal_toIfEEEENSG_9not_fun_tINSD_8identityEEEEENSD_19counting_iterator_tIlEES8_S8_S8_S8_S8_S8_S8_S8_EEEEPS9_S9_NSD_9__find_if7functorIS9_EEEE10hipError_tPvRmT1_T2_T3_mT4_P12ihipStream_tbEUlT_E0_NS1_11comp_targetILNS1_3genE2ELNS1_11target_archE906ELNS1_3gpuE6ELNS1_3repE0EEENS1_30default_config_static_selectorELNS0_4arch9wavefront6targetE0EEEvS14_: ; @_ZN7rocprim17ROCPRIM_400000_NS6detail17trampoline_kernelINS0_14default_configENS1_22reduce_config_selectorIN6thrust23THRUST_200600_302600_NS5tupleIblNS6_9null_typeES8_S8_S8_S8_S8_S8_S8_EEEEZNS1_11reduce_implILb1ES3_NS6_12zip_iteratorINS7_INS6_11hip_rocprim26transform_input_iterator_tIbNSD_35transform_pair_of_input_iterators_tIbNS6_6detail15normal_iteratorINS6_10device_ptrIKfEEEESL_NS6_8equal_toIfEEEENSG_9not_fun_tINSD_8identityEEEEENSD_19counting_iterator_tIlEES8_S8_S8_S8_S8_S8_S8_S8_EEEEPS9_S9_NSD_9__find_if7functorIS9_EEEE10hipError_tPvRmT1_T2_T3_mT4_P12ihipStream_tbEUlT_E0_NS1_11comp_targetILNS1_3genE2ELNS1_11target_archE906ELNS1_3gpuE6ELNS1_3repE0EEENS1_30default_config_static_selectorELNS0_4arch9wavefront6targetE0EEEvS14_
; %bb.0:
	.section	.rodata,"a",@progbits
	.p2align	6, 0x0
	.amdhsa_kernel _ZN7rocprim17ROCPRIM_400000_NS6detail17trampoline_kernelINS0_14default_configENS1_22reduce_config_selectorIN6thrust23THRUST_200600_302600_NS5tupleIblNS6_9null_typeES8_S8_S8_S8_S8_S8_S8_EEEEZNS1_11reduce_implILb1ES3_NS6_12zip_iteratorINS7_INS6_11hip_rocprim26transform_input_iterator_tIbNSD_35transform_pair_of_input_iterators_tIbNS6_6detail15normal_iteratorINS6_10device_ptrIKfEEEESL_NS6_8equal_toIfEEEENSG_9not_fun_tINSD_8identityEEEEENSD_19counting_iterator_tIlEES8_S8_S8_S8_S8_S8_S8_S8_EEEEPS9_S9_NSD_9__find_if7functorIS9_EEEE10hipError_tPvRmT1_T2_T3_mT4_P12ihipStream_tbEUlT_E0_NS1_11comp_targetILNS1_3genE2ELNS1_11target_archE906ELNS1_3gpuE6ELNS1_3repE0EEENS1_30default_config_static_selectorELNS0_4arch9wavefront6targetE0EEEvS14_
		.amdhsa_group_segment_fixed_size 0
		.amdhsa_private_segment_fixed_size 0
		.amdhsa_kernarg_size 104
		.amdhsa_user_sgpr_count 15
		.amdhsa_user_sgpr_dispatch_ptr 0
		.amdhsa_user_sgpr_queue_ptr 0
		.amdhsa_user_sgpr_kernarg_segment_ptr 1
		.amdhsa_user_sgpr_dispatch_id 0
		.amdhsa_user_sgpr_private_segment_size 0
		.amdhsa_wavefront_size32 1
		.amdhsa_uses_dynamic_stack 0
		.amdhsa_enable_private_segment 0
		.amdhsa_system_sgpr_workgroup_id_x 1
		.amdhsa_system_sgpr_workgroup_id_y 0
		.amdhsa_system_sgpr_workgroup_id_z 0
		.amdhsa_system_sgpr_workgroup_info 0
		.amdhsa_system_vgpr_workitem_id 0
		.amdhsa_next_free_vgpr 1
		.amdhsa_next_free_sgpr 1
		.amdhsa_reserve_vcc 0
		.amdhsa_float_round_mode_32 0
		.amdhsa_float_round_mode_16_64 0
		.amdhsa_float_denorm_mode_32 3
		.amdhsa_float_denorm_mode_16_64 3
		.amdhsa_dx10_clamp 1
		.amdhsa_ieee_mode 1
		.amdhsa_fp16_overflow 0
		.amdhsa_workgroup_processor_mode 1
		.amdhsa_memory_ordered 1
		.amdhsa_forward_progress 0
		.amdhsa_shared_vgpr_count 0
		.amdhsa_exception_fp_ieee_invalid_op 0
		.amdhsa_exception_fp_denorm_src 0
		.amdhsa_exception_fp_ieee_div_zero 0
		.amdhsa_exception_fp_ieee_overflow 0
		.amdhsa_exception_fp_ieee_underflow 0
		.amdhsa_exception_fp_ieee_inexact 0
		.amdhsa_exception_int_div_zero 0
	.end_amdhsa_kernel
	.section	.text._ZN7rocprim17ROCPRIM_400000_NS6detail17trampoline_kernelINS0_14default_configENS1_22reduce_config_selectorIN6thrust23THRUST_200600_302600_NS5tupleIblNS6_9null_typeES8_S8_S8_S8_S8_S8_S8_EEEEZNS1_11reduce_implILb1ES3_NS6_12zip_iteratorINS7_INS6_11hip_rocprim26transform_input_iterator_tIbNSD_35transform_pair_of_input_iterators_tIbNS6_6detail15normal_iteratorINS6_10device_ptrIKfEEEESL_NS6_8equal_toIfEEEENSG_9not_fun_tINSD_8identityEEEEENSD_19counting_iterator_tIlEES8_S8_S8_S8_S8_S8_S8_S8_EEEEPS9_S9_NSD_9__find_if7functorIS9_EEEE10hipError_tPvRmT1_T2_T3_mT4_P12ihipStream_tbEUlT_E0_NS1_11comp_targetILNS1_3genE2ELNS1_11target_archE906ELNS1_3gpuE6ELNS1_3repE0EEENS1_30default_config_static_selectorELNS0_4arch9wavefront6targetE0EEEvS14_,"axG",@progbits,_ZN7rocprim17ROCPRIM_400000_NS6detail17trampoline_kernelINS0_14default_configENS1_22reduce_config_selectorIN6thrust23THRUST_200600_302600_NS5tupleIblNS6_9null_typeES8_S8_S8_S8_S8_S8_S8_EEEEZNS1_11reduce_implILb1ES3_NS6_12zip_iteratorINS7_INS6_11hip_rocprim26transform_input_iterator_tIbNSD_35transform_pair_of_input_iterators_tIbNS6_6detail15normal_iteratorINS6_10device_ptrIKfEEEESL_NS6_8equal_toIfEEEENSG_9not_fun_tINSD_8identityEEEEENSD_19counting_iterator_tIlEES8_S8_S8_S8_S8_S8_S8_S8_EEEEPS9_S9_NSD_9__find_if7functorIS9_EEEE10hipError_tPvRmT1_T2_T3_mT4_P12ihipStream_tbEUlT_E0_NS1_11comp_targetILNS1_3genE2ELNS1_11target_archE906ELNS1_3gpuE6ELNS1_3repE0EEENS1_30default_config_static_selectorELNS0_4arch9wavefront6targetE0EEEvS14_,comdat
.Lfunc_end777:
	.size	_ZN7rocprim17ROCPRIM_400000_NS6detail17trampoline_kernelINS0_14default_configENS1_22reduce_config_selectorIN6thrust23THRUST_200600_302600_NS5tupleIblNS6_9null_typeES8_S8_S8_S8_S8_S8_S8_EEEEZNS1_11reduce_implILb1ES3_NS6_12zip_iteratorINS7_INS6_11hip_rocprim26transform_input_iterator_tIbNSD_35transform_pair_of_input_iterators_tIbNS6_6detail15normal_iteratorINS6_10device_ptrIKfEEEESL_NS6_8equal_toIfEEEENSG_9not_fun_tINSD_8identityEEEEENSD_19counting_iterator_tIlEES8_S8_S8_S8_S8_S8_S8_S8_EEEEPS9_S9_NSD_9__find_if7functorIS9_EEEE10hipError_tPvRmT1_T2_T3_mT4_P12ihipStream_tbEUlT_E0_NS1_11comp_targetILNS1_3genE2ELNS1_11target_archE906ELNS1_3gpuE6ELNS1_3repE0EEENS1_30default_config_static_selectorELNS0_4arch9wavefront6targetE0EEEvS14_, .Lfunc_end777-_ZN7rocprim17ROCPRIM_400000_NS6detail17trampoline_kernelINS0_14default_configENS1_22reduce_config_selectorIN6thrust23THRUST_200600_302600_NS5tupleIblNS6_9null_typeES8_S8_S8_S8_S8_S8_S8_EEEEZNS1_11reduce_implILb1ES3_NS6_12zip_iteratorINS7_INS6_11hip_rocprim26transform_input_iterator_tIbNSD_35transform_pair_of_input_iterators_tIbNS6_6detail15normal_iteratorINS6_10device_ptrIKfEEEESL_NS6_8equal_toIfEEEENSG_9not_fun_tINSD_8identityEEEEENSD_19counting_iterator_tIlEES8_S8_S8_S8_S8_S8_S8_S8_EEEEPS9_S9_NSD_9__find_if7functorIS9_EEEE10hipError_tPvRmT1_T2_T3_mT4_P12ihipStream_tbEUlT_E0_NS1_11comp_targetILNS1_3genE2ELNS1_11target_archE906ELNS1_3gpuE6ELNS1_3repE0EEENS1_30default_config_static_selectorELNS0_4arch9wavefront6targetE0EEEvS14_
                                        ; -- End function
	.section	.AMDGPU.csdata,"",@progbits
; Kernel info:
; codeLenInByte = 0
; NumSgprs: 0
; NumVgprs: 0
; ScratchSize: 0
; MemoryBound: 0
; FloatMode: 240
; IeeeMode: 1
; LDSByteSize: 0 bytes/workgroup (compile time only)
; SGPRBlocks: 0
; VGPRBlocks: 0
; NumSGPRsForWavesPerEU: 1
; NumVGPRsForWavesPerEU: 1
; Occupancy: 16
; WaveLimiterHint : 0
; COMPUTE_PGM_RSRC2:SCRATCH_EN: 0
; COMPUTE_PGM_RSRC2:USER_SGPR: 15
; COMPUTE_PGM_RSRC2:TRAP_HANDLER: 0
; COMPUTE_PGM_RSRC2:TGID_X_EN: 1
; COMPUTE_PGM_RSRC2:TGID_Y_EN: 0
; COMPUTE_PGM_RSRC2:TGID_Z_EN: 0
; COMPUTE_PGM_RSRC2:TIDIG_COMP_CNT: 0
	.section	.text._ZN7rocprim17ROCPRIM_400000_NS6detail17trampoline_kernelINS0_14default_configENS1_22reduce_config_selectorIN6thrust23THRUST_200600_302600_NS5tupleIblNS6_9null_typeES8_S8_S8_S8_S8_S8_S8_EEEEZNS1_11reduce_implILb1ES3_NS6_12zip_iteratorINS7_INS6_11hip_rocprim26transform_input_iterator_tIbNSD_35transform_pair_of_input_iterators_tIbNS6_6detail15normal_iteratorINS6_10device_ptrIKfEEEESL_NS6_8equal_toIfEEEENSG_9not_fun_tINSD_8identityEEEEENSD_19counting_iterator_tIlEES8_S8_S8_S8_S8_S8_S8_S8_EEEEPS9_S9_NSD_9__find_if7functorIS9_EEEE10hipError_tPvRmT1_T2_T3_mT4_P12ihipStream_tbEUlT_E0_NS1_11comp_targetILNS1_3genE10ELNS1_11target_archE1201ELNS1_3gpuE5ELNS1_3repE0EEENS1_30default_config_static_selectorELNS0_4arch9wavefront6targetE0EEEvS14_,"axG",@progbits,_ZN7rocprim17ROCPRIM_400000_NS6detail17trampoline_kernelINS0_14default_configENS1_22reduce_config_selectorIN6thrust23THRUST_200600_302600_NS5tupleIblNS6_9null_typeES8_S8_S8_S8_S8_S8_S8_EEEEZNS1_11reduce_implILb1ES3_NS6_12zip_iteratorINS7_INS6_11hip_rocprim26transform_input_iterator_tIbNSD_35transform_pair_of_input_iterators_tIbNS6_6detail15normal_iteratorINS6_10device_ptrIKfEEEESL_NS6_8equal_toIfEEEENSG_9not_fun_tINSD_8identityEEEEENSD_19counting_iterator_tIlEES8_S8_S8_S8_S8_S8_S8_S8_EEEEPS9_S9_NSD_9__find_if7functorIS9_EEEE10hipError_tPvRmT1_T2_T3_mT4_P12ihipStream_tbEUlT_E0_NS1_11comp_targetILNS1_3genE10ELNS1_11target_archE1201ELNS1_3gpuE5ELNS1_3repE0EEENS1_30default_config_static_selectorELNS0_4arch9wavefront6targetE0EEEvS14_,comdat
	.protected	_ZN7rocprim17ROCPRIM_400000_NS6detail17trampoline_kernelINS0_14default_configENS1_22reduce_config_selectorIN6thrust23THRUST_200600_302600_NS5tupleIblNS6_9null_typeES8_S8_S8_S8_S8_S8_S8_EEEEZNS1_11reduce_implILb1ES3_NS6_12zip_iteratorINS7_INS6_11hip_rocprim26transform_input_iterator_tIbNSD_35transform_pair_of_input_iterators_tIbNS6_6detail15normal_iteratorINS6_10device_ptrIKfEEEESL_NS6_8equal_toIfEEEENSG_9not_fun_tINSD_8identityEEEEENSD_19counting_iterator_tIlEES8_S8_S8_S8_S8_S8_S8_S8_EEEEPS9_S9_NSD_9__find_if7functorIS9_EEEE10hipError_tPvRmT1_T2_T3_mT4_P12ihipStream_tbEUlT_E0_NS1_11comp_targetILNS1_3genE10ELNS1_11target_archE1201ELNS1_3gpuE5ELNS1_3repE0EEENS1_30default_config_static_selectorELNS0_4arch9wavefront6targetE0EEEvS14_ ; -- Begin function _ZN7rocprim17ROCPRIM_400000_NS6detail17trampoline_kernelINS0_14default_configENS1_22reduce_config_selectorIN6thrust23THRUST_200600_302600_NS5tupleIblNS6_9null_typeES8_S8_S8_S8_S8_S8_S8_EEEEZNS1_11reduce_implILb1ES3_NS6_12zip_iteratorINS7_INS6_11hip_rocprim26transform_input_iterator_tIbNSD_35transform_pair_of_input_iterators_tIbNS6_6detail15normal_iteratorINS6_10device_ptrIKfEEEESL_NS6_8equal_toIfEEEENSG_9not_fun_tINSD_8identityEEEEENSD_19counting_iterator_tIlEES8_S8_S8_S8_S8_S8_S8_S8_EEEEPS9_S9_NSD_9__find_if7functorIS9_EEEE10hipError_tPvRmT1_T2_T3_mT4_P12ihipStream_tbEUlT_E0_NS1_11comp_targetILNS1_3genE10ELNS1_11target_archE1201ELNS1_3gpuE5ELNS1_3repE0EEENS1_30default_config_static_selectorELNS0_4arch9wavefront6targetE0EEEvS14_
	.globl	_ZN7rocprim17ROCPRIM_400000_NS6detail17trampoline_kernelINS0_14default_configENS1_22reduce_config_selectorIN6thrust23THRUST_200600_302600_NS5tupleIblNS6_9null_typeES8_S8_S8_S8_S8_S8_S8_EEEEZNS1_11reduce_implILb1ES3_NS6_12zip_iteratorINS7_INS6_11hip_rocprim26transform_input_iterator_tIbNSD_35transform_pair_of_input_iterators_tIbNS6_6detail15normal_iteratorINS6_10device_ptrIKfEEEESL_NS6_8equal_toIfEEEENSG_9not_fun_tINSD_8identityEEEEENSD_19counting_iterator_tIlEES8_S8_S8_S8_S8_S8_S8_S8_EEEEPS9_S9_NSD_9__find_if7functorIS9_EEEE10hipError_tPvRmT1_T2_T3_mT4_P12ihipStream_tbEUlT_E0_NS1_11comp_targetILNS1_3genE10ELNS1_11target_archE1201ELNS1_3gpuE5ELNS1_3repE0EEENS1_30default_config_static_selectorELNS0_4arch9wavefront6targetE0EEEvS14_
	.p2align	8
	.type	_ZN7rocprim17ROCPRIM_400000_NS6detail17trampoline_kernelINS0_14default_configENS1_22reduce_config_selectorIN6thrust23THRUST_200600_302600_NS5tupleIblNS6_9null_typeES8_S8_S8_S8_S8_S8_S8_EEEEZNS1_11reduce_implILb1ES3_NS6_12zip_iteratorINS7_INS6_11hip_rocprim26transform_input_iterator_tIbNSD_35transform_pair_of_input_iterators_tIbNS6_6detail15normal_iteratorINS6_10device_ptrIKfEEEESL_NS6_8equal_toIfEEEENSG_9not_fun_tINSD_8identityEEEEENSD_19counting_iterator_tIlEES8_S8_S8_S8_S8_S8_S8_S8_EEEEPS9_S9_NSD_9__find_if7functorIS9_EEEE10hipError_tPvRmT1_T2_T3_mT4_P12ihipStream_tbEUlT_E0_NS1_11comp_targetILNS1_3genE10ELNS1_11target_archE1201ELNS1_3gpuE5ELNS1_3repE0EEENS1_30default_config_static_selectorELNS0_4arch9wavefront6targetE0EEEvS14_,@function
_ZN7rocprim17ROCPRIM_400000_NS6detail17trampoline_kernelINS0_14default_configENS1_22reduce_config_selectorIN6thrust23THRUST_200600_302600_NS5tupleIblNS6_9null_typeES8_S8_S8_S8_S8_S8_S8_EEEEZNS1_11reduce_implILb1ES3_NS6_12zip_iteratorINS7_INS6_11hip_rocprim26transform_input_iterator_tIbNSD_35transform_pair_of_input_iterators_tIbNS6_6detail15normal_iteratorINS6_10device_ptrIKfEEEESL_NS6_8equal_toIfEEEENSG_9not_fun_tINSD_8identityEEEEENSD_19counting_iterator_tIlEES8_S8_S8_S8_S8_S8_S8_S8_EEEEPS9_S9_NSD_9__find_if7functorIS9_EEEE10hipError_tPvRmT1_T2_T3_mT4_P12ihipStream_tbEUlT_E0_NS1_11comp_targetILNS1_3genE10ELNS1_11target_archE1201ELNS1_3gpuE5ELNS1_3repE0EEENS1_30default_config_static_selectorELNS0_4arch9wavefront6targetE0EEEvS14_: ; @_ZN7rocprim17ROCPRIM_400000_NS6detail17trampoline_kernelINS0_14default_configENS1_22reduce_config_selectorIN6thrust23THRUST_200600_302600_NS5tupleIblNS6_9null_typeES8_S8_S8_S8_S8_S8_S8_EEEEZNS1_11reduce_implILb1ES3_NS6_12zip_iteratorINS7_INS6_11hip_rocprim26transform_input_iterator_tIbNSD_35transform_pair_of_input_iterators_tIbNS6_6detail15normal_iteratorINS6_10device_ptrIKfEEEESL_NS6_8equal_toIfEEEENSG_9not_fun_tINSD_8identityEEEEENSD_19counting_iterator_tIlEES8_S8_S8_S8_S8_S8_S8_S8_EEEEPS9_S9_NSD_9__find_if7functorIS9_EEEE10hipError_tPvRmT1_T2_T3_mT4_P12ihipStream_tbEUlT_E0_NS1_11comp_targetILNS1_3genE10ELNS1_11target_archE1201ELNS1_3gpuE5ELNS1_3repE0EEENS1_30default_config_static_selectorELNS0_4arch9wavefront6targetE0EEEvS14_
; %bb.0:
	.section	.rodata,"a",@progbits
	.p2align	6, 0x0
	.amdhsa_kernel _ZN7rocprim17ROCPRIM_400000_NS6detail17trampoline_kernelINS0_14default_configENS1_22reduce_config_selectorIN6thrust23THRUST_200600_302600_NS5tupleIblNS6_9null_typeES8_S8_S8_S8_S8_S8_S8_EEEEZNS1_11reduce_implILb1ES3_NS6_12zip_iteratorINS7_INS6_11hip_rocprim26transform_input_iterator_tIbNSD_35transform_pair_of_input_iterators_tIbNS6_6detail15normal_iteratorINS6_10device_ptrIKfEEEESL_NS6_8equal_toIfEEEENSG_9not_fun_tINSD_8identityEEEEENSD_19counting_iterator_tIlEES8_S8_S8_S8_S8_S8_S8_S8_EEEEPS9_S9_NSD_9__find_if7functorIS9_EEEE10hipError_tPvRmT1_T2_T3_mT4_P12ihipStream_tbEUlT_E0_NS1_11comp_targetILNS1_3genE10ELNS1_11target_archE1201ELNS1_3gpuE5ELNS1_3repE0EEENS1_30default_config_static_selectorELNS0_4arch9wavefront6targetE0EEEvS14_
		.amdhsa_group_segment_fixed_size 0
		.amdhsa_private_segment_fixed_size 0
		.amdhsa_kernarg_size 104
		.amdhsa_user_sgpr_count 15
		.amdhsa_user_sgpr_dispatch_ptr 0
		.amdhsa_user_sgpr_queue_ptr 0
		.amdhsa_user_sgpr_kernarg_segment_ptr 1
		.amdhsa_user_sgpr_dispatch_id 0
		.amdhsa_user_sgpr_private_segment_size 0
		.amdhsa_wavefront_size32 1
		.amdhsa_uses_dynamic_stack 0
		.amdhsa_enable_private_segment 0
		.amdhsa_system_sgpr_workgroup_id_x 1
		.amdhsa_system_sgpr_workgroup_id_y 0
		.amdhsa_system_sgpr_workgroup_id_z 0
		.amdhsa_system_sgpr_workgroup_info 0
		.amdhsa_system_vgpr_workitem_id 0
		.amdhsa_next_free_vgpr 1
		.amdhsa_next_free_sgpr 1
		.amdhsa_reserve_vcc 0
		.amdhsa_float_round_mode_32 0
		.amdhsa_float_round_mode_16_64 0
		.amdhsa_float_denorm_mode_32 3
		.amdhsa_float_denorm_mode_16_64 3
		.amdhsa_dx10_clamp 1
		.amdhsa_ieee_mode 1
		.amdhsa_fp16_overflow 0
		.amdhsa_workgroup_processor_mode 1
		.amdhsa_memory_ordered 1
		.amdhsa_forward_progress 0
		.amdhsa_shared_vgpr_count 0
		.amdhsa_exception_fp_ieee_invalid_op 0
		.amdhsa_exception_fp_denorm_src 0
		.amdhsa_exception_fp_ieee_div_zero 0
		.amdhsa_exception_fp_ieee_overflow 0
		.amdhsa_exception_fp_ieee_underflow 0
		.amdhsa_exception_fp_ieee_inexact 0
		.amdhsa_exception_int_div_zero 0
	.end_amdhsa_kernel
	.section	.text._ZN7rocprim17ROCPRIM_400000_NS6detail17trampoline_kernelINS0_14default_configENS1_22reduce_config_selectorIN6thrust23THRUST_200600_302600_NS5tupleIblNS6_9null_typeES8_S8_S8_S8_S8_S8_S8_EEEEZNS1_11reduce_implILb1ES3_NS6_12zip_iteratorINS7_INS6_11hip_rocprim26transform_input_iterator_tIbNSD_35transform_pair_of_input_iterators_tIbNS6_6detail15normal_iteratorINS6_10device_ptrIKfEEEESL_NS6_8equal_toIfEEEENSG_9not_fun_tINSD_8identityEEEEENSD_19counting_iterator_tIlEES8_S8_S8_S8_S8_S8_S8_S8_EEEEPS9_S9_NSD_9__find_if7functorIS9_EEEE10hipError_tPvRmT1_T2_T3_mT4_P12ihipStream_tbEUlT_E0_NS1_11comp_targetILNS1_3genE10ELNS1_11target_archE1201ELNS1_3gpuE5ELNS1_3repE0EEENS1_30default_config_static_selectorELNS0_4arch9wavefront6targetE0EEEvS14_,"axG",@progbits,_ZN7rocprim17ROCPRIM_400000_NS6detail17trampoline_kernelINS0_14default_configENS1_22reduce_config_selectorIN6thrust23THRUST_200600_302600_NS5tupleIblNS6_9null_typeES8_S8_S8_S8_S8_S8_S8_EEEEZNS1_11reduce_implILb1ES3_NS6_12zip_iteratorINS7_INS6_11hip_rocprim26transform_input_iterator_tIbNSD_35transform_pair_of_input_iterators_tIbNS6_6detail15normal_iteratorINS6_10device_ptrIKfEEEESL_NS6_8equal_toIfEEEENSG_9not_fun_tINSD_8identityEEEEENSD_19counting_iterator_tIlEES8_S8_S8_S8_S8_S8_S8_S8_EEEEPS9_S9_NSD_9__find_if7functorIS9_EEEE10hipError_tPvRmT1_T2_T3_mT4_P12ihipStream_tbEUlT_E0_NS1_11comp_targetILNS1_3genE10ELNS1_11target_archE1201ELNS1_3gpuE5ELNS1_3repE0EEENS1_30default_config_static_selectorELNS0_4arch9wavefront6targetE0EEEvS14_,comdat
.Lfunc_end778:
	.size	_ZN7rocprim17ROCPRIM_400000_NS6detail17trampoline_kernelINS0_14default_configENS1_22reduce_config_selectorIN6thrust23THRUST_200600_302600_NS5tupleIblNS6_9null_typeES8_S8_S8_S8_S8_S8_S8_EEEEZNS1_11reduce_implILb1ES3_NS6_12zip_iteratorINS7_INS6_11hip_rocprim26transform_input_iterator_tIbNSD_35transform_pair_of_input_iterators_tIbNS6_6detail15normal_iteratorINS6_10device_ptrIKfEEEESL_NS6_8equal_toIfEEEENSG_9not_fun_tINSD_8identityEEEEENSD_19counting_iterator_tIlEES8_S8_S8_S8_S8_S8_S8_S8_EEEEPS9_S9_NSD_9__find_if7functorIS9_EEEE10hipError_tPvRmT1_T2_T3_mT4_P12ihipStream_tbEUlT_E0_NS1_11comp_targetILNS1_3genE10ELNS1_11target_archE1201ELNS1_3gpuE5ELNS1_3repE0EEENS1_30default_config_static_selectorELNS0_4arch9wavefront6targetE0EEEvS14_, .Lfunc_end778-_ZN7rocprim17ROCPRIM_400000_NS6detail17trampoline_kernelINS0_14default_configENS1_22reduce_config_selectorIN6thrust23THRUST_200600_302600_NS5tupleIblNS6_9null_typeES8_S8_S8_S8_S8_S8_S8_EEEEZNS1_11reduce_implILb1ES3_NS6_12zip_iteratorINS7_INS6_11hip_rocprim26transform_input_iterator_tIbNSD_35transform_pair_of_input_iterators_tIbNS6_6detail15normal_iteratorINS6_10device_ptrIKfEEEESL_NS6_8equal_toIfEEEENSG_9not_fun_tINSD_8identityEEEEENSD_19counting_iterator_tIlEES8_S8_S8_S8_S8_S8_S8_S8_EEEEPS9_S9_NSD_9__find_if7functorIS9_EEEE10hipError_tPvRmT1_T2_T3_mT4_P12ihipStream_tbEUlT_E0_NS1_11comp_targetILNS1_3genE10ELNS1_11target_archE1201ELNS1_3gpuE5ELNS1_3repE0EEENS1_30default_config_static_selectorELNS0_4arch9wavefront6targetE0EEEvS14_
                                        ; -- End function
	.section	.AMDGPU.csdata,"",@progbits
; Kernel info:
; codeLenInByte = 0
; NumSgprs: 0
; NumVgprs: 0
; ScratchSize: 0
; MemoryBound: 0
; FloatMode: 240
; IeeeMode: 1
; LDSByteSize: 0 bytes/workgroup (compile time only)
; SGPRBlocks: 0
; VGPRBlocks: 0
; NumSGPRsForWavesPerEU: 1
; NumVGPRsForWavesPerEU: 1
; Occupancy: 16
; WaveLimiterHint : 0
; COMPUTE_PGM_RSRC2:SCRATCH_EN: 0
; COMPUTE_PGM_RSRC2:USER_SGPR: 15
; COMPUTE_PGM_RSRC2:TRAP_HANDLER: 0
; COMPUTE_PGM_RSRC2:TGID_X_EN: 1
; COMPUTE_PGM_RSRC2:TGID_Y_EN: 0
; COMPUTE_PGM_RSRC2:TGID_Z_EN: 0
; COMPUTE_PGM_RSRC2:TIDIG_COMP_CNT: 0
	.section	.text._ZN7rocprim17ROCPRIM_400000_NS6detail17trampoline_kernelINS0_14default_configENS1_22reduce_config_selectorIN6thrust23THRUST_200600_302600_NS5tupleIblNS6_9null_typeES8_S8_S8_S8_S8_S8_S8_EEEEZNS1_11reduce_implILb1ES3_NS6_12zip_iteratorINS7_INS6_11hip_rocprim26transform_input_iterator_tIbNSD_35transform_pair_of_input_iterators_tIbNS6_6detail15normal_iteratorINS6_10device_ptrIKfEEEESL_NS6_8equal_toIfEEEENSG_9not_fun_tINSD_8identityEEEEENSD_19counting_iterator_tIlEES8_S8_S8_S8_S8_S8_S8_S8_EEEEPS9_S9_NSD_9__find_if7functorIS9_EEEE10hipError_tPvRmT1_T2_T3_mT4_P12ihipStream_tbEUlT_E0_NS1_11comp_targetILNS1_3genE10ELNS1_11target_archE1200ELNS1_3gpuE4ELNS1_3repE0EEENS1_30default_config_static_selectorELNS0_4arch9wavefront6targetE0EEEvS14_,"axG",@progbits,_ZN7rocprim17ROCPRIM_400000_NS6detail17trampoline_kernelINS0_14default_configENS1_22reduce_config_selectorIN6thrust23THRUST_200600_302600_NS5tupleIblNS6_9null_typeES8_S8_S8_S8_S8_S8_S8_EEEEZNS1_11reduce_implILb1ES3_NS6_12zip_iteratorINS7_INS6_11hip_rocprim26transform_input_iterator_tIbNSD_35transform_pair_of_input_iterators_tIbNS6_6detail15normal_iteratorINS6_10device_ptrIKfEEEESL_NS6_8equal_toIfEEEENSG_9not_fun_tINSD_8identityEEEEENSD_19counting_iterator_tIlEES8_S8_S8_S8_S8_S8_S8_S8_EEEEPS9_S9_NSD_9__find_if7functorIS9_EEEE10hipError_tPvRmT1_T2_T3_mT4_P12ihipStream_tbEUlT_E0_NS1_11comp_targetILNS1_3genE10ELNS1_11target_archE1200ELNS1_3gpuE4ELNS1_3repE0EEENS1_30default_config_static_selectorELNS0_4arch9wavefront6targetE0EEEvS14_,comdat
	.protected	_ZN7rocprim17ROCPRIM_400000_NS6detail17trampoline_kernelINS0_14default_configENS1_22reduce_config_selectorIN6thrust23THRUST_200600_302600_NS5tupleIblNS6_9null_typeES8_S8_S8_S8_S8_S8_S8_EEEEZNS1_11reduce_implILb1ES3_NS6_12zip_iteratorINS7_INS6_11hip_rocprim26transform_input_iterator_tIbNSD_35transform_pair_of_input_iterators_tIbNS6_6detail15normal_iteratorINS6_10device_ptrIKfEEEESL_NS6_8equal_toIfEEEENSG_9not_fun_tINSD_8identityEEEEENSD_19counting_iterator_tIlEES8_S8_S8_S8_S8_S8_S8_S8_EEEEPS9_S9_NSD_9__find_if7functorIS9_EEEE10hipError_tPvRmT1_T2_T3_mT4_P12ihipStream_tbEUlT_E0_NS1_11comp_targetILNS1_3genE10ELNS1_11target_archE1200ELNS1_3gpuE4ELNS1_3repE0EEENS1_30default_config_static_selectorELNS0_4arch9wavefront6targetE0EEEvS14_ ; -- Begin function _ZN7rocprim17ROCPRIM_400000_NS6detail17trampoline_kernelINS0_14default_configENS1_22reduce_config_selectorIN6thrust23THRUST_200600_302600_NS5tupleIblNS6_9null_typeES8_S8_S8_S8_S8_S8_S8_EEEEZNS1_11reduce_implILb1ES3_NS6_12zip_iteratorINS7_INS6_11hip_rocprim26transform_input_iterator_tIbNSD_35transform_pair_of_input_iterators_tIbNS6_6detail15normal_iteratorINS6_10device_ptrIKfEEEESL_NS6_8equal_toIfEEEENSG_9not_fun_tINSD_8identityEEEEENSD_19counting_iterator_tIlEES8_S8_S8_S8_S8_S8_S8_S8_EEEEPS9_S9_NSD_9__find_if7functorIS9_EEEE10hipError_tPvRmT1_T2_T3_mT4_P12ihipStream_tbEUlT_E0_NS1_11comp_targetILNS1_3genE10ELNS1_11target_archE1200ELNS1_3gpuE4ELNS1_3repE0EEENS1_30default_config_static_selectorELNS0_4arch9wavefront6targetE0EEEvS14_
	.globl	_ZN7rocprim17ROCPRIM_400000_NS6detail17trampoline_kernelINS0_14default_configENS1_22reduce_config_selectorIN6thrust23THRUST_200600_302600_NS5tupleIblNS6_9null_typeES8_S8_S8_S8_S8_S8_S8_EEEEZNS1_11reduce_implILb1ES3_NS6_12zip_iteratorINS7_INS6_11hip_rocprim26transform_input_iterator_tIbNSD_35transform_pair_of_input_iterators_tIbNS6_6detail15normal_iteratorINS6_10device_ptrIKfEEEESL_NS6_8equal_toIfEEEENSG_9not_fun_tINSD_8identityEEEEENSD_19counting_iterator_tIlEES8_S8_S8_S8_S8_S8_S8_S8_EEEEPS9_S9_NSD_9__find_if7functorIS9_EEEE10hipError_tPvRmT1_T2_T3_mT4_P12ihipStream_tbEUlT_E0_NS1_11comp_targetILNS1_3genE10ELNS1_11target_archE1200ELNS1_3gpuE4ELNS1_3repE0EEENS1_30default_config_static_selectorELNS0_4arch9wavefront6targetE0EEEvS14_
	.p2align	8
	.type	_ZN7rocprim17ROCPRIM_400000_NS6detail17trampoline_kernelINS0_14default_configENS1_22reduce_config_selectorIN6thrust23THRUST_200600_302600_NS5tupleIblNS6_9null_typeES8_S8_S8_S8_S8_S8_S8_EEEEZNS1_11reduce_implILb1ES3_NS6_12zip_iteratorINS7_INS6_11hip_rocprim26transform_input_iterator_tIbNSD_35transform_pair_of_input_iterators_tIbNS6_6detail15normal_iteratorINS6_10device_ptrIKfEEEESL_NS6_8equal_toIfEEEENSG_9not_fun_tINSD_8identityEEEEENSD_19counting_iterator_tIlEES8_S8_S8_S8_S8_S8_S8_S8_EEEEPS9_S9_NSD_9__find_if7functorIS9_EEEE10hipError_tPvRmT1_T2_T3_mT4_P12ihipStream_tbEUlT_E0_NS1_11comp_targetILNS1_3genE10ELNS1_11target_archE1200ELNS1_3gpuE4ELNS1_3repE0EEENS1_30default_config_static_selectorELNS0_4arch9wavefront6targetE0EEEvS14_,@function
_ZN7rocprim17ROCPRIM_400000_NS6detail17trampoline_kernelINS0_14default_configENS1_22reduce_config_selectorIN6thrust23THRUST_200600_302600_NS5tupleIblNS6_9null_typeES8_S8_S8_S8_S8_S8_S8_EEEEZNS1_11reduce_implILb1ES3_NS6_12zip_iteratorINS7_INS6_11hip_rocprim26transform_input_iterator_tIbNSD_35transform_pair_of_input_iterators_tIbNS6_6detail15normal_iteratorINS6_10device_ptrIKfEEEESL_NS6_8equal_toIfEEEENSG_9not_fun_tINSD_8identityEEEEENSD_19counting_iterator_tIlEES8_S8_S8_S8_S8_S8_S8_S8_EEEEPS9_S9_NSD_9__find_if7functorIS9_EEEE10hipError_tPvRmT1_T2_T3_mT4_P12ihipStream_tbEUlT_E0_NS1_11comp_targetILNS1_3genE10ELNS1_11target_archE1200ELNS1_3gpuE4ELNS1_3repE0EEENS1_30default_config_static_selectorELNS0_4arch9wavefront6targetE0EEEvS14_: ; @_ZN7rocprim17ROCPRIM_400000_NS6detail17trampoline_kernelINS0_14default_configENS1_22reduce_config_selectorIN6thrust23THRUST_200600_302600_NS5tupleIblNS6_9null_typeES8_S8_S8_S8_S8_S8_S8_EEEEZNS1_11reduce_implILb1ES3_NS6_12zip_iteratorINS7_INS6_11hip_rocprim26transform_input_iterator_tIbNSD_35transform_pair_of_input_iterators_tIbNS6_6detail15normal_iteratorINS6_10device_ptrIKfEEEESL_NS6_8equal_toIfEEEENSG_9not_fun_tINSD_8identityEEEEENSD_19counting_iterator_tIlEES8_S8_S8_S8_S8_S8_S8_S8_EEEEPS9_S9_NSD_9__find_if7functorIS9_EEEE10hipError_tPvRmT1_T2_T3_mT4_P12ihipStream_tbEUlT_E0_NS1_11comp_targetILNS1_3genE10ELNS1_11target_archE1200ELNS1_3gpuE4ELNS1_3repE0EEENS1_30default_config_static_selectorELNS0_4arch9wavefront6targetE0EEEvS14_
; %bb.0:
	.section	.rodata,"a",@progbits
	.p2align	6, 0x0
	.amdhsa_kernel _ZN7rocprim17ROCPRIM_400000_NS6detail17trampoline_kernelINS0_14default_configENS1_22reduce_config_selectorIN6thrust23THRUST_200600_302600_NS5tupleIblNS6_9null_typeES8_S8_S8_S8_S8_S8_S8_EEEEZNS1_11reduce_implILb1ES3_NS6_12zip_iteratorINS7_INS6_11hip_rocprim26transform_input_iterator_tIbNSD_35transform_pair_of_input_iterators_tIbNS6_6detail15normal_iteratorINS6_10device_ptrIKfEEEESL_NS6_8equal_toIfEEEENSG_9not_fun_tINSD_8identityEEEEENSD_19counting_iterator_tIlEES8_S8_S8_S8_S8_S8_S8_S8_EEEEPS9_S9_NSD_9__find_if7functorIS9_EEEE10hipError_tPvRmT1_T2_T3_mT4_P12ihipStream_tbEUlT_E0_NS1_11comp_targetILNS1_3genE10ELNS1_11target_archE1200ELNS1_3gpuE4ELNS1_3repE0EEENS1_30default_config_static_selectorELNS0_4arch9wavefront6targetE0EEEvS14_
		.amdhsa_group_segment_fixed_size 0
		.amdhsa_private_segment_fixed_size 0
		.amdhsa_kernarg_size 104
		.amdhsa_user_sgpr_count 15
		.amdhsa_user_sgpr_dispatch_ptr 0
		.amdhsa_user_sgpr_queue_ptr 0
		.amdhsa_user_sgpr_kernarg_segment_ptr 1
		.amdhsa_user_sgpr_dispatch_id 0
		.amdhsa_user_sgpr_private_segment_size 0
		.amdhsa_wavefront_size32 1
		.amdhsa_uses_dynamic_stack 0
		.amdhsa_enable_private_segment 0
		.amdhsa_system_sgpr_workgroup_id_x 1
		.amdhsa_system_sgpr_workgroup_id_y 0
		.amdhsa_system_sgpr_workgroup_id_z 0
		.amdhsa_system_sgpr_workgroup_info 0
		.amdhsa_system_vgpr_workitem_id 0
		.amdhsa_next_free_vgpr 1
		.amdhsa_next_free_sgpr 1
		.amdhsa_reserve_vcc 0
		.amdhsa_float_round_mode_32 0
		.amdhsa_float_round_mode_16_64 0
		.amdhsa_float_denorm_mode_32 3
		.amdhsa_float_denorm_mode_16_64 3
		.amdhsa_dx10_clamp 1
		.amdhsa_ieee_mode 1
		.amdhsa_fp16_overflow 0
		.amdhsa_workgroup_processor_mode 1
		.amdhsa_memory_ordered 1
		.amdhsa_forward_progress 0
		.amdhsa_shared_vgpr_count 0
		.amdhsa_exception_fp_ieee_invalid_op 0
		.amdhsa_exception_fp_denorm_src 0
		.amdhsa_exception_fp_ieee_div_zero 0
		.amdhsa_exception_fp_ieee_overflow 0
		.amdhsa_exception_fp_ieee_underflow 0
		.amdhsa_exception_fp_ieee_inexact 0
		.amdhsa_exception_int_div_zero 0
	.end_amdhsa_kernel
	.section	.text._ZN7rocprim17ROCPRIM_400000_NS6detail17trampoline_kernelINS0_14default_configENS1_22reduce_config_selectorIN6thrust23THRUST_200600_302600_NS5tupleIblNS6_9null_typeES8_S8_S8_S8_S8_S8_S8_EEEEZNS1_11reduce_implILb1ES3_NS6_12zip_iteratorINS7_INS6_11hip_rocprim26transform_input_iterator_tIbNSD_35transform_pair_of_input_iterators_tIbNS6_6detail15normal_iteratorINS6_10device_ptrIKfEEEESL_NS6_8equal_toIfEEEENSG_9not_fun_tINSD_8identityEEEEENSD_19counting_iterator_tIlEES8_S8_S8_S8_S8_S8_S8_S8_EEEEPS9_S9_NSD_9__find_if7functorIS9_EEEE10hipError_tPvRmT1_T2_T3_mT4_P12ihipStream_tbEUlT_E0_NS1_11comp_targetILNS1_3genE10ELNS1_11target_archE1200ELNS1_3gpuE4ELNS1_3repE0EEENS1_30default_config_static_selectorELNS0_4arch9wavefront6targetE0EEEvS14_,"axG",@progbits,_ZN7rocprim17ROCPRIM_400000_NS6detail17trampoline_kernelINS0_14default_configENS1_22reduce_config_selectorIN6thrust23THRUST_200600_302600_NS5tupleIblNS6_9null_typeES8_S8_S8_S8_S8_S8_S8_EEEEZNS1_11reduce_implILb1ES3_NS6_12zip_iteratorINS7_INS6_11hip_rocprim26transform_input_iterator_tIbNSD_35transform_pair_of_input_iterators_tIbNS6_6detail15normal_iteratorINS6_10device_ptrIKfEEEESL_NS6_8equal_toIfEEEENSG_9not_fun_tINSD_8identityEEEEENSD_19counting_iterator_tIlEES8_S8_S8_S8_S8_S8_S8_S8_EEEEPS9_S9_NSD_9__find_if7functorIS9_EEEE10hipError_tPvRmT1_T2_T3_mT4_P12ihipStream_tbEUlT_E0_NS1_11comp_targetILNS1_3genE10ELNS1_11target_archE1200ELNS1_3gpuE4ELNS1_3repE0EEENS1_30default_config_static_selectorELNS0_4arch9wavefront6targetE0EEEvS14_,comdat
.Lfunc_end779:
	.size	_ZN7rocprim17ROCPRIM_400000_NS6detail17trampoline_kernelINS0_14default_configENS1_22reduce_config_selectorIN6thrust23THRUST_200600_302600_NS5tupleIblNS6_9null_typeES8_S8_S8_S8_S8_S8_S8_EEEEZNS1_11reduce_implILb1ES3_NS6_12zip_iteratorINS7_INS6_11hip_rocprim26transform_input_iterator_tIbNSD_35transform_pair_of_input_iterators_tIbNS6_6detail15normal_iteratorINS6_10device_ptrIKfEEEESL_NS6_8equal_toIfEEEENSG_9not_fun_tINSD_8identityEEEEENSD_19counting_iterator_tIlEES8_S8_S8_S8_S8_S8_S8_S8_EEEEPS9_S9_NSD_9__find_if7functorIS9_EEEE10hipError_tPvRmT1_T2_T3_mT4_P12ihipStream_tbEUlT_E0_NS1_11comp_targetILNS1_3genE10ELNS1_11target_archE1200ELNS1_3gpuE4ELNS1_3repE0EEENS1_30default_config_static_selectorELNS0_4arch9wavefront6targetE0EEEvS14_, .Lfunc_end779-_ZN7rocprim17ROCPRIM_400000_NS6detail17trampoline_kernelINS0_14default_configENS1_22reduce_config_selectorIN6thrust23THRUST_200600_302600_NS5tupleIblNS6_9null_typeES8_S8_S8_S8_S8_S8_S8_EEEEZNS1_11reduce_implILb1ES3_NS6_12zip_iteratorINS7_INS6_11hip_rocprim26transform_input_iterator_tIbNSD_35transform_pair_of_input_iterators_tIbNS6_6detail15normal_iteratorINS6_10device_ptrIKfEEEESL_NS6_8equal_toIfEEEENSG_9not_fun_tINSD_8identityEEEEENSD_19counting_iterator_tIlEES8_S8_S8_S8_S8_S8_S8_S8_EEEEPS9_S9_NSD_9__find_if7functorIS9_EEEE10hipError_tPvRmT1_T2_T3_mT4_P12ihipStream_tbEUlT_E0_NS1_11comp_targetILNS1_3genE10ELNS1_11target_archE1200ELNS1_3gpuE4ELNS1_3repE0EEENS1_30default_config_static_selectorELNS0_4arch9wavefront6targetE0EEEvS14_
                                        ; -- End function
	.section	.AMDGPU.csdata,"",@progbits
; Kernel info:
; codeLenInByte = 0
; NumSgprs: 0
; NumVgprs: 0
; ScratchSize: 0
; MemoryBound: 0
; FloatMode: 240
; IeeeMode: 1
; LDSByteSize: 0 bytes/workgroup (compile time only)
; SGPRBlocks: 0
; VGPRBlocks: 0
; NumSGPRsForWavesPerEU: 1
; NumVGPRsForWavesPerEU: 1
; Occupancy: 16
; WaveLimiterHint : 0
; COMPUTE_PGM_RSRC2:SCRATCH_EN: 0
; COMPUTE_PGM_RSRC2:USER_SGPR: 15
; COMPUTE_PGM_RSRC2:TRAP_HANDLER: 0
; COMPUTE_PGM_RSRC2:TGID_X_EN: 1
; COMPUTE_PGM_RSRC2:TGID_Y_EN: 0
; COMPUTE_PGM_RSRC2:TGID_Z_EN: 0
; COMPUTE_PGM_RSRC2:TIDIG_COMP_CNT: 0
	.section	.text._ZN7rocprim17ROCPRIM_400000_NS6detail17trampoline_kernelINS0_14default_configENS1_22reduce_config_selectorIN6thrust23THRUST_200600_302600_NS5tupleIblNS6_9null_typeES8_S8_S8_S8_S8_S8_S8_EEEEZNS1_11reduce_implILb1ES3_NS6_12zip_iteratorINS7_INS6_11hip_rocprim26transform_input_iterator_tIbNSD_35transform_pair_of_input_iterators_tIbNS6_6detail15normal_iteratorINS6_10device_ptrIKfEEEESL_NS6_8equal_toIfEEEENSG_9not_fun_tINSD_8identityEEEEENSD_19counting_iterator_tIlEES8_S8_S8_S8_S8_S8_S8_S8_EEEEPS9_S9_NSD_9__find_if7functorIS9_EEEE10hipError_tPvRmT1_T2_T3_mT4_P12ihipStream_tbEUlT_E0_NS1_11comp_targetILNS1_3genE9ELNS1_11target_archE1100ELNS1_3gpuE3ELNS1_3repE0EEENS1_30default_config_static_selectorELNS0_4arch9wavefront6targetE0EEEvS14_,"axG",@progbits,_ZN7rocprim17ROCPRIM_400000_NS6detail17trampoline_kernelINS0_14default_configENS1_22reduce_config_selectorIN6thrust23THRUST_200600_302600_NS5tupleIblNS6_9null_typeES8_S8_S8_S8_S8_S8_S8_EEEEZNS1_11reduce_implILb1ES3_NS6_12zip_iteratorINS7_INS6_11hip_rocprim26transform_input_iterator_tIbNSD_35transform_pair_of_input_iterators_tIbNS6_6detail15normal_iteratorINS6_10device_ptrIKfEEEESL_NS6_8equal_toIfEEEENSG_9not_fun_tINSD_8identityEEEEENSD_19counting_iterator_tIlEES8_S8_S8_S8_S8_S8_S8_S8_EEEEPS9_S9_NSD_9__find_if7functorIS9_EEEE10hipError_tPvRmT1_T2_T3_mT4_P12ihipStream_tbEUlT_E0_NS1_11comp_targetILNS1_3genE9ELNS1_11target_archE1100ELNS1_3gpuE3ELNS1_3repE0EEENS1_30default_config_static_selectorELNS0_4arch9wavefront6targetE0EEEvS14_,comdat
	.protected	_ZN7rocprim17ROCPRIM_400000_NS6detail17trampoline_kernelINS0_14default_configENS1_22reduce_config_selectorIN6thrust23THRUST_200600_302600_NS5tupleIblNS6_9null_typeES8_S8_S8_S8_S8_S8_S8_EEEEZNS1_11reduce_implILb1ES3_NS6_12zip_iteratorINS7_INS6_11hip_rocprim26transform_input_iterator_tIbNSD_35transform_pair_of_input_iterators_tIbNS6_6detail15normal_iteratorINS6_10device_ptrIKfEEEESL_NS6_8equal_toIfEEEENSG_9not_fun_tINSD_8identityEEEEENSD_19counting_iterator_tIlEES8_S8_S8_S8_S8_S8_S8_S8_EEEEPS9_S9_NSD_9__find_if7functorIS9_EEEE10hipError_tPvRmT1_T2_T3_mT4_P12ihipStream_tbEUlT_E0_NS1_11comp_targetILNS1_3genE9ELNS1_11target_archE1100ELNS1_3gpuE3ELNS1_3repE0EEENS1_30default_config_static_selectorELNS0_4arch9wavefront6targetE0EEEvS14_ ; -- Begin function _ZN7rocprim17ROCPRIM_400000_NS6detail17trampoline_kernelINS0_14default_configENS1_22reduce_config_selectorIN6thrust23THRUST_200600_302600_NS5tupleIblNS6_9null_typeES8_S8_S8_S8_S8_S8_S8_EEEEZNS1_11reduce_implILb1ES3_NS6_12zip_iteratorINS7_INS6_11hip_rocprim26transform_input_iterator_tIbNSD_35transform_pair_of_input_iterators_tIbNS6_6detail15normal_iteratorINS6_10device_ptrIKfEEEESL_NS6_8equal_toIfEEEENSG_9not_fun_tINSD_8identityEEEEENSD_19counting_iterator_tIlEES8_S8_S8_S8_S8_S8_S8_S8_EEEEPS9_S9_NSD_9__find_if7functorIS9_EEEE10hipError_tPvRmT1_T2_T3_mT4_P12ihipStream_tbEUlT_E0_NS1_11comp_targetILNS1_3genE9ELNS1_11target_archE1100ELNS1_3gpuE3ELNS1_3repE0EEENS1_30default_config_static_selectorELNS0_4arch9wavefront6targetE0EEEvS14_
	.globl	_ZN7rocprim17ROCPRIM_400000_NS6detail17trampoline_kernelINS0_14default_configENS1_22reduce_config_selectorIN6thrust23THRUST_200600_302600_NS5tupleIblNS6_9null_typeES8_S8_S8_S8_S8_S8_S8_EEEEZNS1_11reduce_implILb1ES3_NS6_12zip_iteratorINS7_INS6_11hip_rocprim26transform_input_iterator_tIbNSD_35transform_pair_of_input_iterators_tIbNS6_6detail15normal_iteratorINS6_10device_ptrIKfEEEESL_NS6_8equal_toIfEEEENSG_9not_fun_tINSD_8identityEEEEENSD_19counting_iterator_tIlEES8_S8_S8_S8_S8_S8_S8_S8_EEEEPS9_S9_NSD_9__find_if7functorIS9_EEEE10hipError_tPvRmT1_T2_T3_mT4_P12ihipStream_tbEUlT_E0_NS1_11comp_targetILNS1_3genE9ELNS1_11target_archE1100ELNS1_3gpuE3ELNS1_3repE0EEENS1_30default_config_static_selectorELNS0_4arch9wavefront6targetE0EEEvS14_
	.p2align	8
	.type	_ZN7rocprim17ROCPRIM_400000_NS6detail17trampoline_kernelINS0_14default_configENS1_22reduce_config_selectorIN6thrust23THRUST_200600_302600_NS5tupleIblNS6_9null_typeES8_S8_S8_S8_S8_S8_S8_EEEEZNS1_11reduce_implILb1ES3_NS6_12zip_iteratorINS7_INS6_11hip_rocprim26transform_input_iterator_tIbNSD_35transform_pair_of_input_iterators_tIbNS6_6detail15normal_iteratorINS6_10device_ptrIKfEEEESL_NS6_8equal_toIfEEEENSG_9not_fun_tINSD_8identityEEEEENSD_19counting_iterator_tIlEES8_S8_S8_S8_S8_S8_S8_S8_EEEEPS9_S9_NSD_9__find_if7functorIS9_EEEE10hipError_tPvRmT1_T2_T3_mT4_P12ihipStream_tbEUlT_E0_NS1_11comp_targetILNS1_3genE9ELNS1_11target_archE1100ELNS1_3gpuE3ELNS1_3repE0EEENS1_30default_config_static_selectorELNS0_4arch9wavefront6targetE0EEEvS14_,@function
_ZN7rocprim17ROCPRIM_400000_NS6detail17trampoline_kernelINS0_14default_configENS1_22reduce_config_selectorIN6thrust23THRUST_200600_302600_NS5tupleIblNS6_9null_typeES8_S8_S8_S8_S8_S8_S8_EEEEZNS1_11reduce_implILb1ES3_NS6_12zip_iteratorINS7_INS6_11hip_rocprim26transform_input_iterator_tIbNSD_35transform_pair_of_input_iterators_tIbNS6_6detail15normal_iteratorINS6_10device_ptrIKfEEEESL_NS6_8equal_toIfEEEENSG_9not_fun_tINSD_8identityEEEEENSD_19counting_iterator_tIlEES8_S8_S8_S8_S8_S8_S8_S8_EEEEPS9_S9_NSD_9__find_if7functorIS9_EEEE10hipError_tPvRmT1_T2_T3_mT4_P12ihipStream_tbEUlT_E0_NS1_11comp_targetILNS1_3genE9ELNS1_11target_archE1100ELNS1_3gpuE3ELNS1_3repE0EEENS1_30default_config_static_selectorELNS0_4arch9wavefront6targetE0EEEvS14_: ; @_ZN7rocprim17ROCPRIM_400000_NS6detail17trampoline_kernelINS0_14default_configENS1_22reduce_config_selectorIN6thrust23THRUST_200600_302600_NS5tupleIblNS6_9null_typeES8_S8_S8_S8_S8_S8_S8_EEEEZNS1_11reduce_implILb1ES3_NS6_12zip_iteratorINS7_INS6_11hip_rocprim26transform_input_iterator_tIbNSD_35transform_pair_of_input_iterators_tIbNS6_6detail15normal_iteratorINS6_10device_ptrIKfEEEESL_NS6_8equal_toIfEEEENSG_9not_fun_tINSD_8identityEEEEENSD_19counting_iterator_tIlEES8_S8_S8_S8_S8_S8_S8_S8_EEEEPS9_S9_NSD_9__find_if7functorIS9_EEEE10hipError_tPvRmT1_T2_T3_mT4_P12ihipStream_tbEUlT_E0_NS1_11comp_targetILNS1_3genE9ELNS1_11target_archE1100ELNS1_3gpuE3ELNS1_3repE0EEENS1_30default_config_static_selectorELNS0_4arch9wavefront6targetE0EEEvS14_
; %bb.0:
	s_clause 0x1
	s_load_b256 s[4:11], s[0:1], 0x20
	s_load_b128 s[24:27], s[0:1], 0x0
	s_mov_b32 s16, s15
	s_load_b128 s[12:15], s[0:1], 0x40
	s_mov_b32 s23, 0
	v_lshlrev_b32_e32 v9, 2, v0
	s_mov_b32 s17, s23
	s_waitcnt lgkmcnt(0)
	s_lshl_b64 s[2:3], s[6:7], 2
	s_delay_alu instid0(SALU_CYCLE_1)
	s_add_u32 s18, s24, s2
	s_addc_u32 s19, s25, s3
	s_add_u32 s20, s26, s2
	s_addc_u32 s21, s27, s3
	s_lshl_b32 s22, s16, 10
	s_lshr_b64 s[24:25], s[8:9], 10
	s_lshl_b64 s[2:3], s[22:23], 2
	s_delay_alu instid0(SALU_CYCLE_1)
	s_add_u32 s18, s18, s2
	s_addc_u32 s19, s19, s3
	s_add_u32 s20, s20, s2
	s_addc_u32 s21, s21, s3
	;; [unrolled: 2-line block ×4, first 2 shown]
	s_cmp_lg_u64 s[24:25], s[16:17]
	s_cbranch_scc0 .LBB780_16
; %bb.1:
	s_clause 0x7
	global_load_b32 v1, v9, s[20:21] offset:1024
	global_load_b32 v2, v9, s[18:19] offset:1024
	global_load_b32 v3, v9, s[18:19]
	global_load_b32 v4, v9, s[20:21]
	global_load_b32 v5, v9, s[18:19] offset:2048
	global_load_b32 v6, v9, s[20:21] offset:2048
	;; [unrolled: 1-line block ×4, first 2 shown]
	v_mov_b32_e32 v10, 0x100
	s_waitcnt vmcnt(6)
	v_cmp_neq_f32_e32 vcc_lo, v2, v1
	s_waitcnt vmcnt(4)
	v_cmp_neq_f32_e64 s2, v3, v4
	s_waitcnt vmcnt(2)
	v_cmp_neq_f32_e64 s3, v5, v6
	v_cndmask_b32_e32 v1, 0x200, v10, vcc_lo
	s_waitcnt vmcnt(0)
	v_cmp_neq_f32_e64 s4, v8, v7
	s_delay_alu instid0(VALU_DEP_2) | instskip(SKIP_1) | instid1(SALU_CYCLE_1)
	v_cndmask_b32_e64 v1, v1, 0, s2
	s_or_b32 s2, s2, vcc_lo
	s_or_b32 vcc_lo, s2, s3
	v_add_co_u32 v2, s2, s5, v0
	s_delay_alu instid0(VALU_DEP_2) | instskip(SKIP_3) | instid1(VALU_DEP_3)
	v_cndmask_b32_e32 v1, 0x300, v1, vcc_lo
	s_or_b32 s3, vcc_lo, s4
	v_add_co_ci_u32_e64 v3, null, s23, 0, s2
	v_cndmask_b32_e64 v5, 0, 1, s3
	v_add_co_u32 v1, vcc_lo, v2, v1
	s_delay_alu instid0(VALU_DEP_3) | instskip(NEXT) | instid1(VALU_DEP_3)
	v_add_co_ci_u32_e32 v2, vcc_lo, 0, v3, vcc_lo
	v_mov_b32_dpp v6, v5 quad_perm:[1,0,3,2] row_mask:0xf bank_mask:0xf
	s_delay_alu instid0(VALU_DEP_3) | instskip(SKIP_1) | instid1(VALU_DEP_3)
	v_mov_b32_dpp v3, v1 quad_perm:[1,0,3,2] row_mask:0xf bank_mask:0xf
	s_mov_b32 s4, exec_lo
	v_mov_b32_dpp v4, v2 quad_perm:[1,0,3,2] row_mask:0xf bank_mask:0xf
	s_delay_alu instid0(VALU_DEP_3) | instskip(NEXT) | instid1(VALU_DEP_1)
	v_and_b32_e32 v7, 1, v6
	v_cmpx_eq_u32_e32 1, v7
; %bb.2:
	v_cndmask_b32_e64 v5, v6, 1, s3
	s_delay_alu instid0(VALU_DEP_4) | instskip(NEXT) | instid1(VALU_DEP_2)
	v_cmp_lt_i64_e32 vcc_lo, v[1:2], v[3:4]
	v_and_b32_e32 v6, 1, v5
	v_and_b32_e32 v5, 0xff, v5
	s_and_b32 vcc_lo, s3, vcc_lo
	s_and_not1_b32 s3, s3, exec_lo
	v_dual_cndmask_b32 v2, v4, v2 :: v_dual_cndmask_b32 v1, v3, v1
	v_cmp_eq_u32_e64 s2, 1, v6
	s_delay_alu instid0(VALU_DEP_1) | instskip(NEXT) | instid1(SALU_CYCLE_1)
	s_and_b32 s2, s2, exec_lo
	s_or_b32 s3, s3, s2
; %bb.3:
	s_or_b32 exec_lo, exec_lo, s4
	v_mov_b32_dpp v6, v5 quad_perm:[2,3,0,1] row_mask:0xf bank_mask:0xf
	v_mov_b32_dpp v3, v1 quad_perm:[2,3,0,1] row_mask:0xf bank_mask:0xf
	;; [unrolled: 1-line block ×3, first 2 shown]
	s_mov_b32 s4, exec_lo
	s_delay_alu instid0(VALU_DEP_3) | instskip(NEXT) | instid1(VALU_DEP_1)
	v_and_b32_e32 v7, 1, v6
	v_cmpx_eq_u32_e32 1, v7
; %bb.4:
	v_cndmask_b32_e64 v5, v6, 1, s3
	v_cmp_lt_i64_e32 vcc_lo, v[1:2], v[3:4]
	s_delay_alu instid0(VALU_DEP_2)
	v_and_b32_e32 v6, 1, v5
	v_and_b32_e32 v5, 0xff, v5
	s_and_b32 vcc_lo, s3, vcc_lo
	s_and_not1_b32 s3, s3, exec_lo
	v_dual_cndmask_b32 v2, v4, v2 :: v_dual_cndmask_b32 v1, v3, v1
	v_cmp_eq_u32_e64 s2, 1, v6
	s_delay_alu instid0(VALU_DEP_1) | instskip(NEXT) | instid1(SALU_CYCLE_1)
	s_and_b32 s2, s2, exec_lo
	s_or_b32 s3, s3, s2
; %bb.5:
	s_or_b32 exec_lo, exec_lo, s4
	v_mov_b32_dpp v6, v5 row_ror:4 row_mask:0xf bank_mask:0xf
	v_mov_b32_dpp v3, v1 row_ror:4 row_mask:0xf bank_mask:0xf
	;; [unrolled: 1-line block ×3, first 2 shown]
	s_mov_b32 s4, exec_lo
	s_delay_alu instid0(VALU_DEP_3) | instskip(NEXT) | instid1(VALU_DEP_1)
	v_and_b32_e32 v7, 1, v6
	v_cmpx_eq_u32_e32 1, v7
; %bb.6:
	v_cndmask_b32_e64 v5, v6, 1, s3
	v_cmp_lt_i64_e32 vcc_lo, v[1:2], v[3:4]
	s_delay_alu instid0(VALU_DEP_2)
	v_and_b32_e32 v6, 1, v5
	v_and_b32_e32 v5, 0xff, v5
	s_and_b32 vcc_lo, s3, vcc_lo
	s_and_not1_b32 s3, s3, exec_lo
	v_dual_cndmask_b32 v2, v4, v2 :: v_dual_cndmask_b32 v1, v3, v1
	v_cmp_eq_u32_e64 s2, 1, v6
	s_delay_alu instid0(VALU_DEP_1) | instskip(NEXT) | instid1(SALU_CYCLE_1)
	s_and_b32 s2, s2, exec_lo
	s_or_b32 s3, s3, s2
; %bb.7:
	s_or_b32 exec_lo, exec_lo, s4
	v_mov_b32_dpp v6, v5 row_ror:8 row_mask:0xf bank_mask:0xf
	v_mov_b32_dpp v3, v1 row_ror:8 row_mask:0xf bank_mask:0xf
	;; [unrolled: 1-line block ×3, first 2 shown]
	s_mov_b32 s4, exec_lo
	s_delay_alu instid0(VALU_DEP_3) | instskip(NEXT) | instid1(VALU_DEP_1)
	v_and_b32_e32 v7, 1, v6
	v_cmpx_eq_u32_e32 1, v7
; %bb.8:
	v_cndmask_b32_e64 v5, v6, 1, s3
	v_cmp_lt_i64_e32 vcc_lo, v[1:2], v[3:4]
	s_delay_alu instid0(VALU_DEP_2)
	v_and_b32_e32 v6, 1, v5
	v_and_b32_e32 v5, 0xff, v5
	s_and_b32 vcc_lo, s3, vcc_lo
	s_and_not1_b32 s3, s3, exec_lo
	v_dual_cndmask_b32 v2, v4, v2 :: v_dual_cndmask_b32 v1, v3, v1
	v_cmp_eq_u32_e64 s2, 1, v6
	s_delay_alu instid0(VALU_DEP_1) | instskip(NEXT) | instid1(SALU_CYCLE_1)
	s_and_b32 s2, s2, exec_lo
	s_or_b32 s3, s3, s2
; %bb.9:
	s_or_b32 exec_lo, exec_lo, s4
	ds_swizzle_b32 v6, v5 offset:swizzle(BROADCAST,32,15)
	ds_swizzle_b32 v3, v1 offset:swizzle(BROADCAST,32,15)
	;; [unrolled: 1-line block ×3, first 2 shown]
	s_mov_b32 s2, exec_lo
	s_waitcnt lgkmcnt(2)
	v_and_b32_e32 v7, 1, v6
	s_delay_alu instid0(VALU_DEP_1)
	v_cmpx_eq_u32_e32 1, v7
	s_cbranch_execz .LBB780_11
; %bb.10:
	s_waitcnt lgkmcnt(0)
	v_cmp_lt_i64_e32 vcc_lo, v[1:2], v[3:4]
	v_and_b32_e32 v5, 0xff, v6
	s_delay_alu instid0(VALU_DEP_1)
	v_cndmask_b32_e64 v5, v5, 1, s3
	s_and_b32 vcc_lo, s3, vcc_lo
	v_dual_cndmask_b32 v1, v3, v1 :: v_dual_cndmask_b32 v2, v4, v2
.LBB780_11:
	s_or_b32 exec_lo, exec_lo, s2
	s_waitcnt lgkmcnt(1)
	v_mov_b32_e32 v3, 0
	s_mov_b32 s2, exec_lo
	ds_bpermute_b32 v6, v3, v5 offset:124
	ds_bpermute_b32 v1, v3, v1 offset:124
	;; [unrolled: 1-line block ×3, first 2 shown]
	v_mbcnt_lo_u32_b32 v3, -1, 0
	s_delay_alu instid0(VALU_DEP_1)
	v_cmpx_eq_u32_e32 0, v3
	s_cbranch_execz .LBB780_13
; %bb.12:
	s_waitcnt lgkmcnt(3)
	v_lshrrev_b32_e32 v4, 1, v0
	s_delay_alu instid0(VALU_DEP_1)
	v_and_b32_e32 v4, 0x70, v4
	s_waitcnt lgkmcnt(2)
	ds_store_b8 v4, v6
	s_waitcnt lgkmcnt(1)
	ds_store_b64 v4, v[1:2] offset:8
.LBB780_13:
	s_or_b32 exec_lo, exec_lo, s2
	s_delay_alu instid0(SALU_CYCLE_1)
	s_mov_b32 s4, exec_lo
	s_waitcnt lgkmcnt(0)
	s_barrier
	buffer_gl0_inv
	v_cmpx_gt_u32_e32 32, v0
	s_cbranch_execz .LBB780_15
; %bb.14:
	v_and_b32_e32 v6, 7, v3
	s_delay_alu instid0(VALU_DEP_1)
	v_lshlrev_b32_e32 v1, 4, v6
	v_cmp_ne_u32_e32 vcc_lo, 7, v6
	ds_load_u8 v7, v1
	ds_load_b64 v[1:2], v1 offset:8
	v_add_co_ci_u32_e32 v4, vcc_lo, 0, v3, vcc_lo
	v_cmp_gt_u32_e32 vcc_lo, 6, v6
	s_delay_alu instid0(VALU_DEP_2)
	v_lshlrev_b32_e32 v5, 2, v4
	v_cndmask_b32_e64 v11, 0, 1, vcc_lo
	s_waitcnt lgkmcnt(1)
	v_and_b32_e32 v4, 0xff, v7
	v_and_b32_e32 v12, 1, v7
	ds_bpermute_b32 v8, v5, v4
	s_waitcnt lgkmcnt(1)
	ds_bpermute_b32 v4, v5, v1
	ds_bpermute_b32 v5, v5, v2
	v_cmp_eq_u32_e64 s3, 1, v12
	s_waitcnt lgkmcnt(2)
	v_and_b32_e32 v10, 1, v8
	s_waitcnt lgkmcnt(0)
	v_cmp_lt_i64_e64 s2, v[4:5], v[1:2]
	s_delay_alu instid0(VALU_DEP_2) | instskip(SKIP_2) | instid1(VALU_DEP_4)
	v_cmp_eq_u32_e32 vcc_lo, 1, v10
	v_lshlrev_b32_e32 v10, 1, v11
	v_cndmask_b32_e64 v7, v7, 1, vcc_lo
	s_and_b32 vcc_lo, vcc_lo, s2
	v_dual_cndmask_b32 v1, v1, v4 :: v_dual_cndmask_b32 v2, v2, v5
	s_delay_alu instid0(VALU_DEP_2) | instskip(SKIP_2) | instid1(VALU_DEP_4)
	v_cndmask_b32_e64 v7, v8, v7, s3
	v_add_lshl_u32 v8, v10, v3, 2
	v_cmp_gt_u32_e32 vcc_lo, 4, v6
	v_cndmask_b32_e64 v1, v4, v1, s3
	v_cndmask_b32_e64 v2, v5, v2, s3
	v_and_b32_e32 v10, 0xff, v7
	v_cndmask_b32_e64 v6, 0, 1, vcc_lo
	ds_bpermute_b32 v4, v8, v1
	ds_bpermute_b32 v5, v8, v2
	;; [unrolled: 1-line block ×3, first 2 shown]
	v_and_b32_e32 v11, 1, v7
	v_lshlrev_b32_e32 v6, 2, v6
	s_delay_alu instid0(VALU_DEP_1) | instskip(SKIP_4) | instid1(VALU_DEP_1)
	v_add_lshl_u32 v6, v6, v3, 2
	s_waitcnt lgkmcnt(1)
	v_cmp_lt_i64_e64 s2, v[4:5], v[1:2]
	s_waitcnt lgkmcnt(0)
	v_and_b32_e32 v8, 1, v10
	v_cmp_eq_u32_e32 vcc_lo, 1, v8
	v_cndmask_b32_e64 v7, v7, 1, vcc_lo
	s_delay_alu instid0(VALU_DEP_4) | instskip(SKIP_3) | instid1(VALU_DEP_2)
	s_and_b32 vcc_lo, vcc_lo, s2
	v_cndmask_b32_e32 v2, v2, v5, vcc_lo
	v_cmp_eq_u32_e64 s3, 1, v11
	v_cndmask_b32_e32 v1, v1, v4, vcc_lo
	v_cndmask_b32_e64 v7, v10, v7, s3
	s_delay_alu instid0(VALU_DEP_4) | instskip(NEXT) | instid1(VALU_DEP_3)
	v_cndmask_b32_e64 v2, v5, v2, s3
	v_cndmask_b32_e64 v1, v4, v1, s3
	ds_bpermute_b32 v4, v6, v2
	v_and_b32_e32 v3, 0xff, v7
	ds_bpermute_b32 v5, v6, v3
	ds_bpermute_b32 v3, v6, v1
	s_waitcnt lgkmcnt(1)
	v_and_b32_e32 v6, 1, v5
	s_waitcnt lgkmcnt(0)
	v_cmp_lt_i64_e32 vcc_lo, v[3:4], v[1:2]
	s_delay_alu instid0(VALU_DEP_2) | instskip(SKIP_1) | instid1(VALU_DEP_2)
	v_cmp_eq_u32_e64 s2, 1, v6
	v_and_b32_e32 v6, 1, v7
	v_cndmask_b32_e64 v7, v7, 1, s2
	s_and_b32 vcc_lo, s2, vcc_lo
	s_delay_alu instid0(VALU_DEP_2) | instskip(SKIP_1) | instid1(VALU_DEP_2)
	v_cmp_eq_u32_e64 s2, 1, v6
	v_dual_cndmask_b32 v2, v2, v4 :: v_dual_cndmask_b32 v1, v1, v3
	v_cndmask_b32_e64 v5, v5, v7, s2
	s_delay_alu instid0(VALU_DEP_2) | instskip(NEXT) | instid1(VALU_DEP_3)
	v_cndmask_b32_e64 v2, v4, v2, s2
	v_cndmask_b32_e64 v1, v3, v1, s2
	s_delay_alu instid0(VALU_DEP_3)
	v_and_b32_e32 v6, 0xff, v5
.LBB780_15:
	s_or_b32 exec_lo, exec_lo, s4
	s_load_b64 s[6:7], s[0:1], 0x58
	s_branch .LBB780_49
.LBB780_16:
                                        ; implicit-def: $vgpr1_vgpr2
                                        ; implicit-def: $vgpr6
	s_load_b64 s[6:7], s[0:1], 0x58
	s_cbranch_execz .LBB780_49
; %bb.17:
	v_dual_mov_b32 v5, 0 :: v_dual_mov_b32 v12, 0
	v_mov_b32_e32 v6, 0
	s_delay_alu instid0(VALU_DEP_2) | instskip(SKIP_2) | instid1(VALU_DEP_2)
	v_dual_mov_b32 v1, v5 :: v_dual_mov_b32 v10, 0
	s_sub_i32 s22, s8, s22
	s_mov_b32 s2, exec_lo
	v_mov_b32_e32 v2, v6
	v_cmpx_gt_u32_e64 s22, v0
	s_cbranch_execz .LBB780_19
; %bb.18:
	s_clause 0x1
	global_load_b32 v3, v9, s[18:19]
	global_load_b32 v4, v9, s[20:21]
	v_add_co_u32 v1, s3, s5, v0
	s_delay_alu instid0(VALU_DEP_1)
	v_add_co_ci_u32_e64 v2, null, s23, 0, s3
	s_waitcnt vmcnt(0)
	v_cmp_neq_f32_e32 vcc_lo, v3, v4
	v_cndmask_b32_e64 v10, 0, 1, vcc_lo
.LBB780_19:
	s_or_b32 exec_lo, exec_lo, s2
	v_or_b32_e32 v3, 0x100, v0
	s_delay_alu instid0(VALU_DEP_1) | instskip(NEXT) | instid1(VALU_DEP_1)
	v_cmp_gt_u32_e64 s3, s22, v3
	s_and_saveexec_b32 s2, s3
	s_cbranch_execz .LBB780_21
; %bb.20:
	s_clause 0x1
	global_load_b32 v4, v9, s[18:19] offset:1024
	global_load_b32 v7, v9, s[20:21] offset:1024
	v_add_co_u32 v5, s4, s5, v3
	s_delay_alu instid0(VALU_DEP_1)
	v_add_co_ci_u32_e64 v6, null, s23, 0, s4
	s_waitcnt vmcnt(0)
	v_cmp_neq_f32_e32 vcc_lo, v4, v7
	v_cndmask_b32_e64 v12, 0, 1, vcc_lo
.LBB780_21:
	s_or_b32 exec_lo, exec_lo, s2
	v_mov_b32_e32 v3, 0
	v_dual_mov_b32 v4, 0 :: v_dual_mov_b32 v11, 0
	v_or_b32_e32 v14, 0x200, v0
	s_delay_alu instid0(VALU_DEP_2) | instskip(NEXT) | instid1(VALU_DEP_4)
	v_dual_mov_b32 v13, 0 :: v_dual_mov_b32 v8, v4
	v_mov_b32_e32 v7, v3
	s_delay_alu instid0(VALU_DEP_3) | instskip(NEXT) | instid1(VALU_DEP_1)
	v_cmp_gt_u32_e64 s2, s22, v14
	s_and_saveexec_b32 s4, s2
	s_cbranch_execz .LBB780_23
; %bb.22:
	s_clause 0x1
	global_load_b32 v13, v9, s[18:19] offset:2048
	global_load_b32 v15, v9, s[20:21] offset:2048
	v_add_co_u32 v7, s24, s5, v14
	s_delay_alu instid0(VALU_DEP_1)
	v_add_co_ci_u32_e64 v8, null, s23, 0, s24
	s_waitcnt vmcnt(0)
	v_cmp_neq_f32_e32 vcc_lo, v13, v15
	v_cndmask_b32_e64 v13, 0, 1, vcc_lo
.LBB780_23:
	s_or_b32 exec_lo, exec_lo, s4
	v_or_b32_e32 v14, 0x300, v0
	s_delay_alu instid0(VALU_DEP_1)
	v_cmp_gt_u32_e32 vcc_lo, s22, v14
	s_and_saveexec_b32 s24, vcc_lo
	s_cbranch_execnz .LBB780_52
; %bb.24:
	s_or_b32 exec_lo, exec_lo, s24
	s_and_saveexec_b32 s5, s3
	s_cbranch_execnz .LBB780_53
.LBB780_25:
	s_or_b32 exec_lo, exec_lo, s5
	s_and_saveexec_b32 s4, s2
	s_cbranch_execnz .LBB780_54
.LBB780_26:
	s_or_b32 exec_lo, exec_lo, s4
	s_and_saveexec_b32 s3, vcc_lo
.LBB780_27:
	v_and_b32_e32 v5, 1, v11
	v_cmp_lt_i64_e32 vcc_lo, v[3:4], v[1:2]
	s_delay_alu instid0(VALU_DEP_2) | instskip(SKIP_1) | instid1(VALU_DEP_2)
	v_cmp_eq_u32_e64 s2, 1, v5
	v_and_b32_e32 v5, 1, v10
	s_and_b32 vcc_lo, s2, vcc_lo
	v_cndmask_b32_e64 v6, v10, 1, s2
	v_dual_cndmask_b32 v2, v2, v4 :: v_dual_cndmask_b32 v1, v1, v3
	s_delay_alu instid0(VALU_DEP_3) | instskip(NEXT) | instid1(VALU_DEP_3)
	v_cmp_eq_u32_e32 vcc_lo, 1, v5
	v_cndmask_b32_e32 v10, v11, v6, vcc_lo
	s_delay_alu instid0(VALU_DEP_3)
	v_dual_cndmask_b32 v2, v4, v2 :: v_dual_cndmask_b32 v1, v3, v1
.LBB780_28:
	s_or_b32 exec_lo, exec_lo, s3
	v_mbcnt_lo_u32_b32 v5, -1, 0
	v_and_b32_e32 v7, 0xe0, v0
	s_min_u32 s3, s22, 0x100
	v_and_b32_e32 v6, 0xffff, v10
	s_delay_alu instid0(VALU_DEP_3) | instskip(NEXT) | instid1(VALU_DEP_3)
	v_cmp_ne_u32_e32 vcc_lo, 31, v5
	v_sub_nc_u32_e64 v8, s3, v7 clamp
	v_add_nc_u32_e32 v7, 1, v5
	v_add_co_ci_u32_e32 v3, vcc_lo, 0, v5, vcc_lo
	s_delay_alu instid0(VALU_DEP_2) | instskip(NEXT) | instid1(VALU_DEP_2)
	v_cmp_lt_u32_e32 vcc_lo, v7, v8
	v_dual_mov_b32 v7, v6 :: v_dual_lshlrev_b32 v4, 2, v3
	ds_bpermute_b32 v9, v4, v6
	ds_bpermute_b32 v3, v4, v1
	;; [unrolled: 1-line block ×3, first 2 shown]
	s_and_saveexec_b32 s2, vcc_lo
	s_delay_alu instid0(SALU_CYCLE_1)
	s_xor_b32 s4, exec_lo, s2
	s_cbranch_execz .LBB780_30
; %bb.29:
	s_waitcnt lgkmcnt(0)
	v_and_b32_e32 v7, 1, v9
	v_cmp_lt_i64_e32 vcc_lo, v[3:4], v[1:2]
	s_delay_alu instid0(VALU_DEP_2) | instskip(SKIP_1) | instid1(VALU_DEP_2)
	v_cmp_eq_u32_e64 s2, 1, v7
	v_and_b32_e32 v7, 1, v10
	v_cndmask_b32_e64 v6, v6, 1, s2
	s_and_b32 vcc_lo, s2, vcc_lo
	s_delay_alu instid0(VALU_DEP_2) | instskip(SKIP_1) | instid1(VALU_DEP_2)
	v_cmp_eq_u32_e64 s2, 1, v7
	v_dual_cndmask_b32 v2, v2, v4 :: v_dual_cndmask_b32 v1, v1, v3
	v_cndmask_b32_e64 v7, v9, v6, s2
	s_delay_alu instid0(VALU_DEP_2) | instskip(NEXT) | instid1(VALU_DEP_3)
	v_cndmask_b32_e64 v2, v4, v2, s2
	v_cndmask_b32_e64 v1, v3, v1, s2
	s_delay_alu instid0(VALU_DEP_3)
	v_and_b32_e32 v6, 0xff, v7
.LBB780_30:
	s_or_b32 exec_lo, exec_lo, s4
	v_cmp_gt_u32_e32 vcc_lo, 30, v5
	v_add_nc_u32_e32 v10, 2, v5
	s_mov_b32 s4, exec_lo
	s_waitcnt lgkmcnt(0)
	v_cndmask_b32_e64 v3, 0, 1, vcc_lo
	s_delay_alu instid0(VALU_DEP_1) | instskip(NEXT) | instid1(VALU_DEP_1)
	v_lshlrev_b32_e32 v3, 1, v3
	v_add_lshl_u32 v4, v3, v5, 2
	ds_bpermute_b32 v9, v4, v6
	ds_bpermute_b32 v3, v4, v1
	ds_bpermute_b32 v4, v4, v2
	v_cmpx_lt_u32_e64 v10, v8
	s_cbranch_execz .LBB780_32
; %bb.31:
	s_waitcnt lgkmcnt(2)
	v_and_b32_e32 v6, 1, v9
	s_waitcnt lgkmcnt(0)
	v_cmp_lt_i64_e32 vcc_lo, v[3:4], v[1:2]
	s_delay_alu instid0(VALU_DEP_2) | instskip(SKIP_1) | instid1(VALU_DEP_2)
	v_cmp_eq_u32_e64 s2, 1, v6
	v_and_b32_e32 v6, 1, v7
	v_cndmask_b32_e64 v7, v7, 1, s2
	s_and_b32 vcc_lo, s2, vcc_lo
	s_delay_alu instid0(VALU_DEP_2) | instskip(SKIP_1) | instid1(VALU_DEP_2)
	v_cmp_eq_u32_e64 s2, 1, v6
	v_dual_cndmask_b32 v1, v1, v3 :: v_dual_cndmask_b32 v2, v2, v4
	v_cndmask_b32_e64 v7, v9, v7, s2
	s_delay_alu instid0(VALU_DEP_2) | instskip(NEXT) | instid1(VALU_DEP_3)
	v_cndmask_b32_e64 v1, v3, v1, s2
	v_cndmask_b32_e64 v2, v4, v2, s2
	s_delay_alu instid0(VALU_DEP_3)
	v_and_b32_e32 v6, 0xff, v7
.LBB780_32:
	s_or_b32 exec_lo, exec_lo, s4
	v_cmp_gt_u32_e32 vcc_lo, 28, v5
	v_add_nc_u32_e32 v10, 4, v5
	s_mov_b32 s4, exec_lo
	s_waitcnt lgkmcnt(1)
	v_cndmask_b32_e64 v3, 0, 1, vcc_lo
	s_delay_alu instid0(VALU_DEP_1) | instskip(SKIP_1) | instid1(VALU_DEP_1)
	v_lshlrev_b32_e32 v3, 2, v3
	s_waitcnt lgkmcnt(0)
	v_add_lshl_u32 v4, v3, v5, 2
	ds_bpermute_b32 v9, v4, v6
	ds_bpermute_b32 v3, v4, v1
	ds_bpermute_b32 v4, v4, v2
	v_cmpx_lt_u32_e64 v10, v8
	s_cbranch_execz .LBB780_34
; %bb.33:
	s_waitcnt lgkmcnt(2)
	v_and_b32_e32 v6, 1, v9
	s_waitcnt lgkmcnt(0)
	v_cmp_lt_i64_e32 vcc_lo, v[3:4], v[1:2]
	s_delay_alu instid0(VALU_DEP_2) | instskip(SKIP_1) | instid1(VALU_DEP_2)
	v_cmp_eq_u32_e64 s2, 1, v6
	v_and_b32_e32 v6, 1, v7
	v_cndmask_b32_e64 v7, v7, 1, s2
	s_and_b32 vcc_lo, s2, vcc_lo
	s_delay_alu instid0(VALU_DEP_2) | instskip(SKIP_1) | instid1(VALU_DEP_2)
	v_cmp_eq_u32_e64 s2, 1, v6
	v_dual_cndmask_b32 v1, v1, v3 :: v_dual_cndmask_b32 v2, v2, v4
	v_cndmask_b32_e64 v7, v9, v7, s2
	s_delay_alu instid0(VALU_DEP_2) | instskip(NEXT) | instid1(VALU_DEP_3)
	v_cndmask_b32_e64 v1, v3, v1, s2
	v_cndmask_b32_e64 v2, v4, v2, s2
	s_delay_alu instid0(VALU_DEP_3)
	v_and_b32_e32 v6, 0xff, v7
.LBB780_34:
	s_or_b32 exec_lo, exec_lo, s4
	v_cmp_gt_u32_e32 vcc_lo, 24, v5
	v_add_nc_u32_e32 v10, 8, v5
	s_mov_b32 s4, exec_lo
	s_waitcnt lgkmcnt(1)
	v_cndmask_b32_e64 v3, 0, 1, vcc_lo
	s_delay_alu instid0(VALU_DEP_1) | instskip(SKIP_1) | instid1(VALU_DEP_1)
	v_lshlrev_b32_e32 v3, 3, v3
	s_waitcnt lgkmcnt(0)
	;; [unrolled: 35-line block ×3, first 2 shown]
	v_add_lshl_u32 v4, v3, v5, 2
	ds_bpermute_b32 v9, v4, v6
	ds_bpermute_b32 v3, v4, v1
	;; [unrolled: 1-line block ×3, first 2 shown]
	v_cmpx_lt_u32_e64 v10, v8
	s_cbranch_execz .LBB780_38
; %bb.37:
	s_waitcnt lgkmcnt(2)
	v_and_b32_e32 v6, 1, v9
	s_waitcnt lgkmcnt(0)
	v_cmp_lt_i64_e32 vcc_lo, v[3:4], v[1:2]
	s_delay_alu instid0(VALU_DEP_2) | instskip(SKIP_1) | instid1(VALU_DEP_2)
	v_cmp_eq_u32_e64 s2, 1, v6
	v_and_b32_e32 v6, 1, v7
	v_cndmask_b32_e64 v7, v7, 1, s2
	s_and_b32 vcc_lo, s2, vcc_lo
	s_delay_alu instid0(VALU_DEP_2) | instskip(SKIP_1) | instid1(VALU_DEP_2)
	v_cmp_eq_u32_e64 s2, 1, v6
	v_dual_cndmask_b32 v1, v1, v3 :: v_dual_cndmask_b32 v2, v2, v4
	v_cndmask_b32_e64 v7, v9, v7, s2
	s_delay_alu instid0(VALU_DEP_2) | instskip(NEXT) | instid1(VALU_DEP_3)
	v_cndmask_b32_e64 v1, v3, v1, s2
	v_cndmask_b32_e64 v2, v4, v2, s2
	s_delay_alu instid0(VALU_DEP_3)
	v_and_b32_e32 v6, 0xff, v7
.LBB780_38:
	s_or_b32 exec_lo, exec_lo, s4
	s_delay_alu instid0(SALU_CYCLE_1)
	s_mov_b32 s2, exec_lo
	v_cmpx_eq_u32_e32 0, v5
	s_cbranch_execz .LBB780_40
; %bb.39:
	s_waitcnt lgkmcnt(1)
	v_lshrrev_b32_e32 v3, 1, v0
	s_delay_alu instid0(VALU_DEP_1)
	v_and_b32_e32 v3, 0x70, v3
	ds_store_b8 v3, v7 offset:128
	ds_store_b64 v3, v[1:2] offset:136
.LBB780_40:
	s_or_b32 exec_lo, exec_lo, s2
	s_delay_alu instid0(SALU_CYCLE_1)
	s_mov_b32 s4, exec_lo
	s_waitcnt lgkmcnt(0)
	s_barrier
	buffer_gl0_inv
	v_cmpx_gt_u32_e32 8, v0
	s_cbranch_execz .LBB780_48
; %bb.41:
	v_lshlrev_b32_e32 v1, 4, v5
	v_and_b32_e32 v8, 7, v5
	s_add_i32 s3, s3, 31
	s_mov_b32 s5, exec_lo
	s_lshr_b32 s3, s3, 5
	ds_load_u8 v7, v1 offset:128
	ds_load_b64 v[1:2], v1 offset:136
	v_cmp_ne_u32_e32 vcc_lo, 7, v8
	v_add_nc_u32_e32 v10, 1, v8
	v_add_co_ci_u32_e32 v3, vcc_lo, 0, v5, vcc_lo
	s_delay_alu instid0(VALU_DEP_1)
	v_lshlrev_b32_e32 v4, 2, v3
	s_waitcnt lgkmcnt(1)
	v_and_b32_e32 v6, 0xff, v7
	s_waitcnt lgkmcnt(0)
	ds_bpermute_b32 v3, v4, v1
	ds_bpermute_b32 v9, v4, v6
	;; [unrolled: 1-line block ×3, first 2 shown]
	v_cmpx_gt_u32_e64 s3, v10
	s_cbranch_execz .LBB780_43
; %bb.42:
	s_waitcnt lgkmcnt(1)
	v_and_b32_e32 v6, 1, v9
	s_waitcnt lgkmcnt(0)
	v_cmp_lt_i64_e32 vcc_lo, v[3:4], v[1:2]
	s_delay_alu instid0(VALU_DEP_2) | instskip(SKIP_1) | instid1(VALU_DEP_2)
	v_cmp_eq_u32_e64 s2, 1, v6
	v_and_b32_e32 v6, 1, v7
	v_cndmask_b32_e64 v7, v7, 1, s2
	s_and_b32 vcc_lo, s2, vcc_lo
	s_delay_alu instid0(VALU_DEP_2) | instskip(SKIP_1) | instid1(VALU_DEP_2)
	v_cmp_eq_u32_e64 s2, 1, v6
	v_dual_cndmask_b32 v1, v1, v3 :: v_dual_cndmask_b32 v2, v2, v4
	v_cndmask_b32_e64 v7, v9, v7, s2
	s_delay_alu instid0(VALU_DEP_2) | instskip(NEXT) | instid1(VALU_DEP_3)
	v_cndmask_b32_e64 v1, v3, v1, s2
	v_cndmask_b32_e64 v2, v4, v2, s2
	s_delay_alu instid0(VALU_DEP_3)
	v_and_b32_e32 v6, 0xff, v7
.LBB780_43:
	s_or_b32 exec_lo, exec_lo, s5
	v_cmp_gt_u32_e32 vcc_lo, 6, v8
	v_add_nc_u32_e32 v10, 2, v8
	s_mov_b32 s5, exec_lo
	s_waitcnt lgkmcnt(2)
	v_cndmask_b32_e64 v3, 0, 1, vcc_lo
	s_delay_alu instid0(VALU_DEP_1) | instskip(SKIP_1) | instid1(VALU_DEP_1)
	v_lshlrev_b32_e32 v3, 1, v3
	s_waitcnt lgkmcnt(0)
	v_add_lshl_u32 v4, v3, v5, 2
	ds_bpermute_b32 v9, v4, v6
	ds_bpermute_b32 v3, v4, v1
	ds_bpermute_b32 v4, v4, v2
	v_cmpx_gt_u32_e64 s3, v10
	s_cbranch_execz .LBB780_45
; %bb.44:
	s_waitcnt lgkmcnt(2)
	v_and_b32_e32 v6, 1, v9
	s_waitcnt lgkmcnt(0)
	v_cmp_lt_i64_e32 vcc_lo, v[3:4], v[1:2]
	s_delay_alu instid0(VALU_DEP_2) | instskip(SKIP_1) | instid1(VALU_DEP_2)
	v_cmp_eq_u32_e64 s2, 1, v6
	v_and_b32_e32 v6, 1, v7
	v_cndmask_b32_e64 v7, v7, 1, s2
	s_and_b32 vcc_lo, s2, vcc_lo
	s_delay_alu instid0(VALU_DEP_2) | instskip(SKIP_1) | instid1(VALU_DEP_2)
	v_cmp_eq_u32_e64 s2, 1, v6
	v_dual_cndmask_b32 v1, v1, v3 :: v_dual_cndmask_b32 v2, v2, v4
	v_cndmask_b32_e64 v7, v9, v7, s2
	s_delay_alu instid0(VALU_DEP_2) | instskip(NEXT) | instid1(VALU_DEP_3)
	v_cndmask_b32_e64 v1, v3, v1, s2
	v_cndmask_b32_e64 v2, v4, v2, s2
	s_delay_alu instid0(VALU_DEP_3)
	v_and_b32_e32 v6, 0xff, v7
.LBB780_45:
	s_or_b32 exec_lo, exec_lo, s5
	v_cmp_gt_u32_e32 vcc_lo, 4, v8
	v_add_nc_u32_e32 v8, 4, v8
	s_waitcnt lgkmcnt(1)
	v_cndmask_b32_e64 v3, 0, 1, vcc_lo
	s_delay_alu instid0(VALU_DEP_2) | instskip(NEXT) | instid1(VALU_DEP_2)
	v_cmp_gt_u32_e32 vcc_lo, s3, v8
	v_lshlrev_b32_e32 v3, 2, v3
	s_waitcnt lgkmcnt(0)
	s_delay_alu instid0(VALU_DEP_1)
	v_add_lshl_u32 v4, v3, v5, 2
	ds_bpermute_b32 v5, v4, v6
	ds_bpermute_b32 v3, v4, v1
	;; [unrolled: 1-line block ×3, first 2 shown]
	s_and_saveexec_b32 s3, vcc_lo
	s_cbranch_execz .LBB780_47
; %bb.46:
	s_waitcnt lgkmcnt(2)
	v_and_b32_e32 v6, 1, v5
	s_waitcnt lgkmcnt(0)
	v_cmp_lt_i64_e32 vcc_lo, v[3:4], v[1:2]
	s_delay_alu instid0(VALU_DEP_2) | instskip(SKIP_1) | instid1(VALU_DEP_2)
	v_cmp_eq_u32_e64 s2, 1, v6
	v_and_b32_e32 v6, 1, v7
	v_cndmask_b32_e64 v7, v7, 1, s2
	s_and_b32 vcc_lo, s2, vcc_lo
	s_delay_alu instid0(VALU_DEP_2) | instskip(SKIP_1) | instid1(VALU_DEP_2)
	v_cmp_eq_u32_e64 s2, 1, v6
	v_dual_cndmask_b32 v1, v1, v3 :: v_dual_cndmask_b32 v2, v2, v4
	v_cndmask_b32_e64 v5, v5, v7, s2
	s_delay_alu instid0(VALU_DEP_2) | instskip(NEXT) | instid1(VALU_DEP_3)
	v_cndmask_b32_e64 v1, v3, v1, s2
	v_cndmask_b32_e64 v2, v4, v2, s2
	s_delay_alu instid0(VALU_DEP_3)
	v_and_b32_e32 v6, 0xff, v5
.LBB780_47:
	s_or_b32 exec_lo, exec_lo, s3
.LBB780_48:
	s_delay_alu instid0(SALU_CYCLE_1)
	s_or_b32 exec_lo, exec_lo, s4
.LBB780_49:
	s_load_b32 s0, s[0:1], 0x50
	s_mov_b32 s1, exec_lo
	v_cmpx_eq_u32_e32 0, v0
	s_cbranch_execz .LBB780_51
; %bb.50:
	s_mul_i32 s1, s14, s13
	s_mul_hi_u32 s2, s14, s12
	s_mul_i32 s3, s15, s12
	s_add_i32 s1, s2, s1
	s_mul_i32 s2, s14, s12
	s_add_i32 s3, s1, s3
	v_mov_b32_e32 v0, 0
	s_lshl_b64 s[2:3], s[2:3], 4
	s_delay_alu instid0(SALU_CYCLE_1)
	s_add_u32 s1, s10, s2
	s_addc_u32 s4, s11, s3
	s_cmp_eq_u64 s[8:9], 0
	s_cselect_b32 s5, -1, 0
	s_lshl_b64 s[2:3], s[16:17], 4
	s_waitcnt lgkmcnt(0)
	v_cndmask_b32_e64 v3, v6, s0, s5
	v_cndmask_b32_e64 v2, v2, s7, s5
	;; [unrolled: 1-line block ×3, first 2 shown]
	s_add_u32 s0, s1, s2
	s_addc_u32 s1, s4, s3
	s_clause 0x1
	global_store_b8 v0, v3, s[0:1]
	global_store_b64 v0, v[1:2], s[0:1] offset:8
.LBB780_51:
	s_nop 0
	s_sendmsg sendmsg(MSG_DEALLOC_VGPRS)
	s_endpgm
.LBB780_52:
	s_clause 0x1
	global_load_b32 v11, v9, s[18:19] offset:3072
	global_load_b32 v9, v9, s[20:21] offset:3072
	v_add_co_u32 v3, s4, s5, v14
	s_delay_alu instid0(VALU_DEP_1) | instskip(SKIP_2) | instid1(VALU_DEP_1)
	v_add_co_ci_u32_e64 v4, null, s23, 0, s4
	s_waitcnt vmcnt(0)
	v_cmp_neq_f32_e64 s4, v11, v9
	v_cndmask_b32_e64 v11, 0, 1, s4
	s_or_b32 exec_lo, exec_lo, s24
	s_and_saveexec_b32 s5, s3
	s_cbranch_execz .LBB780_25
.LBB780_53:
	v_and_b32_e32 v9, 1, v12
	v_cmp_lt_i64_e64 s3, v[5:6], v[1:2]
	s_delay_alu instid0(VALU_DEP_2) | instskip(SKIP_1) | instid1(VALU_DEP_2)
	v_cmp_eq_u32_e64 s4, 1, v9
	v_and_b32_e32 v9, 1, v10
	s_and_b32 s3, s4, s3
	v_cndmask_b32_e64 v10, v10, 1, s4
	v_cndmask_b32_e64 v1, v1, v5, s3
	;; [unrolled: 1-line block ×3, first 2 shown]
	v_cmp_eq_u32_e64 s3, 1, v9
	s_delay_alu instid0(VALU_DEP_1) | instskip(NEXT) | instid1(VALU_DEP_3)
	v_cndmask_b32_e64 v10, v12, v10, s3
	v_cndmask_b32_e64 v2, v6, v2, s3
	;; [unrolled: 1-line block ×3, first 2 shown]
	s_or_b32 exec_lo, exec_lo, s5
	s_and_saveexec_b32 s4, s2
	s_cbranch_execz .LBB780_26
.LBB780_54:
	v_and_b32_e32 v5, 1, v13
	v_cmp_lt_i64_e64 s2, v[7:8], v[1:2]
	s_delay_alu instid0(VALU_DEP_2) | instskip(SKIP_1) | instid1(VALU_DEP_2)
	v_cmp_eq_u32_e64 s3, 1, v5
	v_and_b32_e32 v5, 1, v10
	s_and_b32 s2, s3, s2
	v_cndmask_b32_e64 v6, v10, 1, s3
	v_cndmask_b32_e64 v1, v1, v7, s2
	v_cndmask_b32_e64 v2, v2, v8, s2
	v_cmp_eq_u32_e64 s2, 1, v5
	s_delay_alu instid0(VALU_DEP_1) | instskip(NEXT) | instid1(VALU_DEP_3)
	v_cndmask_b32_e64 v10, v13, v6, s2
	v_cndmask_b32_e64 v2, v8, v2, s2
	;; [unrolled: 1-line block ×3, first 2 shown]
	s_or_b32 exec_lo, exec_lo, s4
	s_and_saveexec_b32 s3, vcc_lo
	s_cbranch_execnz .LBB780_27
	s_branch .LBB780_28
	.section	.rodata,"a",@progbits
	.p2align	6, 0x0
	.amdhsa_kernel _ZN7rocprim17ROCPRIM_400000_NS6detail17trampoline_kernelINS0_14default_configENS1_22reduce_config_selectorIN6thrust23THRUST_200600_302600_NS5tupleIblNS6_9null_typeES8_S8_S8_S8_S8_S8_S8_EEEEZNS1_11reduce_implILb1ES3_NS6_12zip_iteratorINS7_INS6_11hip_rocprim26transform_input_iterator_tIbNSD_35transform_pair_of_input_iterators_tIbNS6_6detail15normal_iteratorINS6_10device_ptrIKfEEEESL_NS6_8equal_toIfEEEENSG_9not_fun_tINSD_8identityEEEEENSD_19counting_iterator_tIlEES8_S8_S8_S8_S8_S8_S8_S8_EEEEPS9_S9_NSD_9__find_if7functorIS9_EEEE10hipError_tPvRmT1_T2_T3_mT4_P12ihipStream_tbEUlT_E0_NS1_11comp_targetILNS1_3genE9ELNS1_11target_archE1100ELNS1_3gpuE3ELNS1_3repE0EEENS1_30default_config_static_selectorELNS0_4arch9wavefront6targetE0EEEvS14_
		.amdhsa_group_segment_fixed_size 256
		.amdhsa_private_segment_fixed_size 0
		.amdhsa_kernarg_size 104
		.amdhsa_user_sgpr_count 15
		.amdhsa_user_sgpr_dispatch_ptr 0
		.amdhsa_user_sgpr_queue_ptr 0
		.amdhsa_user_sgpr_kernarg_segment_ptr 1
		.amdhsa_user_sgpr_dispatch_id 0
		.amdhsa_user_sgpr_private_segment_size 0
		.amdhsa_wavefront_size32 1
		.amdhsa_uses_dynamic_stack 0
		.amdhsa_enable_private_segment 0
		.amdhsa_system_sgpr_workgroup_id_x 1
		.amdhsa_system_sgpr_workgroup_id_y 0
		.amdhsa_system_sgpr_workgroup_id_z 0
		.amdhsa_system_sgpr_workgroup_info 0
		.amdhsa_system_vgpr_workitem_id 0
		.amdhsa_next_free_vgpr 16
		.amdhsa_next_free_sgpr 28
		.amdhsa_reserve_vcc 1
		.amdhsa_float_round_mode_32 0
		.amdhsa_float_round_mode_16_64 0
		.amdhsa_float_denorm_mode_32 3
		.amdhsa_float_denorm_mode_16_64 3
		.amdhsa_dx10_clamp 1
		.amdhsa_ieee_mode 1
		.amdhsa_fp16_overflow 0
		.amdhsa_workgroup_processor_mode 1
		.amdhsa_memory_ordered 1
		.amdhsa_forward_progress 0
		.amdhsa_shared_vgpr_count 0
		.amdhsa_exception_fp_ieee_invalid_op 0
		.amdhsa_exception_fp_denorm_src 0
		.amdhsa_exception_fp_ieee_div_zero 0
		.amdhsa_exception_fp_ieee_overflow 0
		.amdhsa_exception_fp_ieee_underflow 0
		.amdhsa_exception_fp_ieee_inexact 0
		.amdhsa_exception_int_div_zero 0
	.end_amdhsa_kernel
	.section	.text._ZN7rocprim17ROCPRIM_400000_NS6detail17trampoline_kernelINS0_14default_configENS1_22reduce_config_selectorIN6thrust23THRUST_200600_302600_NS5tupleIblNS6_9null_typeES8_S8_S8_S8_S8_S8_S8_EEEEZNS1_11reduce_implILb1ES3_NS6_12zip_iteratorINS7_INS6_11hip_rocprim26transform_input_iterator_tIbNSD_35transform_pair_of_input_iterators_tIbNS6_6detail15normal_iteratorINS6_10device_ptrIKfEEEESL_NS6_8equal_toIfEEEENSG_9not_fun_tINSD_8identityEEEEENSD_19counting_iterator_tIlEES8_S8_S8_S8_S8_S8_S8_S8_EEEEPS9_S9_NSD_9__find_if7functorIS9_EEEE10hipError_tPvRmT1_T2_T3_mT4_P12ihipStream_tbEUlT_E0_NS1_11comp_targetILNS1_3genE9ELNS1_11target_archE1100ELNS1_3gpuE3ELNS1_3repE0EEENS1_30default_config_static_selectorELNS0_4arch9wavefront6targetE0EEEvS14_,"axG",@progbits,_ZN7rocprim17ROCPRIM_400000_NS6detail17trampoline_kernelINS0_14default_configENS1_22reduce_config_selectorIN6thrust23THRUST_200600_302600_NS5tupleIblNS6_9null_typeES8_S8_S8_S8_S8_S8_S8_EEEEZNS1_11reduce_implILb1ES3_NS6_12zip_iteratorINS7_INS6_11hip_rocprim26transform_input_iterator_tIbNSD_35transform_pair_of_input_iterators_tIbNS6_6detail15normal_iteratorINS6_10device_ptrIKfEEEESL_NS6_8equal_toIfEEEENSG_9not_fun_tINSD_8identityEEEEENSD_19counting_iterator_tIlEES8_S8_S8_S8_S8_S8_S8_S8_EEEEPS9_S9_NSD_9__find_if7functorIS9_EEEE10hipError_tPvRmT1_T2_T3_mT4_P12ihipStream_tbEUlT_E0_NS1_11comp_targetILNS1_3genE9ELNS1_11target_archE1100ELNS1_3gpuE3ELNS1_3repE0EEENS1_30default_config_static_selectorELNS0_4arch9wavefront6targetE0EEEvS14_,comdat
.Lfunc_end780:
	.size	_ZN7rocprim17ROCPRIM_400000_NS6detail17trampoline_kernelINS0_14default_configENS1_22reduce_config_selectorIN6thrust23THRUST_200600_302600_NS5tupleIblNS6_9null_typeES8_S8_S8_S8_S8_S8_S8_EEEEZNS1_11reduce_implILb1ES3_NS6_12zip_iteratorINS7_INS6_11hip_rocprim26transform_input_iterator_tIbNSD_35transform_pair_of_input_iterators_tIbNS6_6detail15normal_iteratorINS6_10device_ptrIKfEEEESL_NS6_8equal_toIfEEEENSG_9not_fun_tINSD_8identityEEEEENSD_19counting_iterator_tIlEES8_S8_S8_S8_S8_S8_S8_S8_EEEEPS9_S9_NSD_9__find_if7functorIS9_EEEE10hipError_tPvRmT1_T2_T3_mT4_P12ihipStream_tbEUlT_E0_NS1_11comp_targetILNS1_3genE9ELNS1_11target_archE1100ELNS1_3gpuE3ELNS1_3repE0EEENS1_30default_config_static_selectorELNS0_4arch9wavefront6targetE0EEEvS14_, .Lfunc_end780-_ZN7rocprim17ROCPRIM_400000_NS6detail17trampoline_kernelINS0_14default_configENS1_22reduce_config_selectorIN6thrust23THRUST_200600_302600_NS5tupleIblNS6_9null_typeES8_S8_S8_S8_S8_S8_S8_EEEEZNS1_11reduce_implILb1ES3_NS6_12zip_iteratorINS7_INS6_11hip_rocprim26transform_input_iterator_tIbNSD_35transform_pair_of_input_iterators_tIbNS6_6detail15normal_iteratorINS6_10device_ptrIKfEEEESL_NS6_8equal_toIfEEEENSG_9not_fun_tINSD_8identityEEEEENSD_19counting_iterator_tIlEES8_S8_S8_S8_S8_S8_S8_S8_EEEEPS9_S9_NSD_9__find_if7functorIS9_EEEE10hipError_tPvRmT1_T2_T3_mT4_P12ihipStream_tbEUlT_E0_NS1_11comp_targetILNS1_3genE9ELNS1_11target_archE1100ELNS1_3gpuE3ELNS1_3repE0EEENS1_30default_config_static_selectorELNS0_4arch9wavefront6targetE0EEEvS14_
                                        ; -- End function
	.section	.AMDGPU.csdata,"",@progbits
; Kernel info:
; codeLenInByte = 4024
; NumSgprs: 30
; NumVgprs: 16
; ScratchSize: 0
; MemoryBound: 0
; FloatMode: 240
; IeeeMode: 1
; LDSByteSize: 256 bytes/workgroup (compile time only)
; SGPRBlocks: 3
; VGPRBlocks: 1
; NumSGPRsForWavesPerEU: 30
; NumVGPRsForWavesPerEU: 16
; Occupancy: 16
; WaveLimiterHint : 0
; COMPUTE_PGM_RSRC2:SCRATCH_EN: 0
; COMPUTE_PGM_RSRC2:USER_SGPR: 15
; COMPUTE_PGM_RSRC2:TRAP_HANDLER: 0
; COMPUTE_PGM_RSRC2:TGID_X_EN: 1
; COMPUTE_PGM_RSRC2:TGID_Y_EN: 0
; COMPUTE_PGM_RSRC2:TGID_Z_EN: 0
; COMPUTE_PGM_RSRC2:TIDIG_COMP_CNT: 0
	.section	.text._ZN7rocprim17ROCPRIM_400000_NS6detail17trampoline_kernelINS0_14default_configENS1_22reduce_config_selectorIN6thrust23THRUST_200600_302600_NS5tupleIblNS6_9null_typeES8_S8_S8_S8_S8_S8_S8_EEEEZNS1_11reduce_implILb1ES3_NS6_12zip_iteratorINS7_INS6_11hip_rocprim26transform_input_iterator_tIbNSD_35transform_pair_of_input_iterators_tIbNS6_6detail15normal_iteratorINS6_10device_ptrIKfEEEESL_NS6_8equal_toIfEEEENSG_9not_fun_tINSD_8identityEEEEENSD_19counting_iterator_tIlEES8_S8_S8_S8_S8_S8_S8_S8_EEEEPS9_S9_NSD_9__find_if7functorIS9_EEEE10hipError_tPvRmT1_T2_T3_mT4_P12ihipStream_tbEUlT_E0_NS1_11comp_targetILNS1_3genE8ELNS1_11target_archE1030ELNS1_3gpuE2ELNS1_3repE0EEENS1_30default_config_static_selectorELNS0_4arch9wavefront6targetE0EEEvS14_,"axG",@progbits,_ZN7rocprim17ROCPRIM_400000_NS6detail17trampoline_kernelINS0_14default_configENS1_22reduce_config_selectorIN6thrust23THRUST_200600_302600_NS5tupleIblNS6_9null_typeES8_S8_S8_S8_S8_S8_S8_EEEEZNS1_11reduce_implILb1ES3_NS6_12zip_iteratorINS7_INS6_11hip_rocprim26transform_input_iterator_tIbNSD_35transform_pair_of_input_iterators_tIbNS6_6detail15normal_iteratorINS6_10device_ptrIKfEEEESL_NS6_8equal_toIfEEEENSG_9not_fun_tINSD_8identityEEEEENSD_19counting_iterator_tIlEES8_S8_S8_S8_S8_S8_S8_S8_EEEEPS9_S9_NSD_9__find_if7functorIS9_EEEE10hipError_tPvRmT1_T2_T3_mT4_P12ihipStream_tbEUlT_E0_NS1_11comp_targetILNS1_3genE8ELNS1_11target_archE1030ELNS1_3gpuE2ELNS1_3repE0EEENS1_30default_config_static_selectorELNS0_4arch9wavefront6targetE0EEEvS14_,comdat
	.protected	_ZN7rocprim17ROCPRIM_400000_NS6detail17trampoline_kernelINS0_14default_configENS1_22reduce_config_selectorIN6thrust23THRUST_200600_302600_NS5tupleIblNS6_9null_typeES8_S8_S8_S8_S8_S8_S8_EEEEZNS1_11reduce_implILb1ES3_NS6_12zip_iteratorINS7_INS6_11hip_rocprim26transform_input_iterator_tIbNSD_35transform_pair_of_input_iterators_tIbNS6_6detail15normal_iteratorINS6_10device_ptrIKfEEEESL_NS6_8equal_toIfEEEENSG_9not_fun_tINSD_8identityEEEEENSD_19counting_iterator_tIlEES8_S8_S8_S8_S8_S8_S8_S8_EEEEPS9_S9_NSD_9__find_if7functorIS9_EEEE10hipError_tPvRmT1_T2_T3_mT4_P12ihipStream_tbEUlT_E0_NS1_11comp_targetILNS1_3genE8ELNS1_11target_archE1030ELNS1_3gpuE2ELNS1_3repE0EEENS1_30default_config_static_selectorELNS0_4arch9wavefront6targetE0EEEvS14_ ; -- Begin function _ZN7rocprim17ROCPRIM_400000_NS6detail17trampoline_kernelINS0_14default_configENS1_22reduce_config_selectorIN6thrust23THRUST_200600_302600_NS5tupleIblNS6_9null_typeES8_S8_S8_S8_S8_S8_S8_EEEEZNS1_11reduce_implILb1ES3_NS6_12zip_iteratorINS7_INS6_11hip_rocprim26transform_input_iterator_tIbNSD_35transform_pair_of_input_iterators_tIbNS6_6detail15normal_iteratorINS6_10device_ptrIKfEEEESL_NS6_8equal_toIfEEEENSG_9not_fun_tINSD_8identityEEEEENSD_19counting_iterator_tIlEES8_S8_S8_S8_S8_S8_S8_S8_EEEEPS9_S9_NSD_9__find_if7functorIS9_EEEE10hipError_tPvRmT1_T2_T3_mT4_P12ihipStream_tbEUlT_E0_NS1_11comp_targetILNS1_3genE8ELNS1_11target_archE1030ELNS1_3gpuE2ELNS1_3repE0EEENS1_30default_config_static_selectorELNS0_4arch9wavefront6targetE0EEEvS14_
	.globl	_ZN7rocprim17ROCPRIM_400000_NS6detail17trampoline_kernelINS0_14default_configENS1_22reduce_config_selectorIN6thrust23THRUST_200600_302600_NS5tupleIblNS6_9null_typeES8_S8_S8_S8_S8_S8_S8_EEEEZNS1_11reduce_implILb1ES3_NS6_12zip_iteratorINS7_INS6_11hip_rocprim26transform_input_iterator_tIbNSD_35transform_pair_of_input_iterators_tIbNS6_6detail15normal_iteratorINS6_10device_ptrIKfEEEESL_NS6_8equal_toIfEEEENSG_9not_fun_tINSD_8identityEEEEENSD_19counting_iterator_tIlEES8_S8_S8_S8_S8_S8_S8_S8_EEEEPS9_S9_NSD_9__find_if7functorIS9_EEEE10hipError_tPvRmT1_T2_T3_mT4_P12ihipStream_tbEUlT_E0_NS1_11comp_targetILNS1_3genE8ELNS1_11target_archE1030ELNS1_3gpuE2ELNS1_3repE0EEENS1_30default_config_static_selectorELNS0_4arch9wavefront6targetE0EEEvS14_
	.p2align	8
	.type	_ZN7rocprim17ROCPRIM_400000_NS6detail17trampoline_kernelINS0_14default_configENS1_22reduce_config_selectorIN6thrust23THRUST_200600_302600_NS5tupleIblNS6_9null_typeES8_S8_S8_S8_S8_S8_S8_EEEEZNS1_11reduce_implILb1ES3_NS6_12zip_iteratorINS7_INS6_11hip_rocprim26transform_input_iterator_tIbNSD_35transform_pair_of_input_iterators_tIbNS6_6detail15normal_iteratorINS6_10device_ptrIKfEEEESL_NS6_8equal_toIfEEEENSG_9not_fun_tINSD_8identityEEEEENSD_19counting_iterator_tIlEES8_S8_S8_S8_S8_S8_S8_S8_EEEEPS9_S9_NSD_9__find_if7functorIS9_EEEE10hipError_tPvRmT1_T2_T3_mT4_P12ihipStream_tbEUlT_E0_NS1_11comp_targetILNS1_3genE8ELNS1_11target_archE1030ELNS1_3gpuE2ELNS1_3repE0EEENS1_30default_config_static_selectorELNS0_4arch9wavefront6targetE0EEEvS14_,@function
_ZN7rocprim17ROCPRIM_400000_NS6detail17trampoline_kernelINS0_14default_configENS1_22reduce_config_selectorIN6thrust23THRUST_200600_302600_NS5tupleIblNS6_9null_typeES8_S8_S8_S8_S8_S8_S8_EEEEZNS1_11reduce_implILb1ES3_NS6_12zip_iteratorINS7_INS6_11hip_rocprim26transform_input_iterator_tIbNSD_35transform_pair_of_input_iterators_tIbNS6_6detail15normal_iteratorINS6_10device_ptrIKfEEEESL_NS6_8equal_toIfEEEENSG_9not_fun_tINSD_8identityEEEEENSD_19counting_iterator_tIlEES8_S8_S8_S8_S8_S8_S8_S8_EEEEPS9_S9_NSD_9__find_if7functorIS9_EEEE10hipError_tPvRmT1_T2_T3_mT4_P12ihipStream_tbEUlT_E0_NS1_11comp_targetILNS1_3genE8ELNS1_11target_archE1030ELNS1_3gpuE2ELNS1_3repE0EEENS1_30default_config_static_selectorELNS0_4arch9wavefront6targetE0EEEvS14_: ; @_ZN7rocprim17ROCPRIM_400000_NS6detail17trampoline_kernelINS0_14default_configENS1_22reduce_config_selectorIN6thrust23THRUST_200600_302600_NS5tupleIblNS6_9null_typeES8_S8_S8_S8_S8_S8_S8_EEEEZNS1_11reduce_implILb1ES3_NS6_12zip_iteratorINS7_INS6_11hip_rocprim26transform_input_iterator_tIbNSD_35transform_pair_of_input_iterators_tIbNS6_6detail15normal_iteratorINS6_10device_ptrIKfEEEESL_NS6_8equal_toIfEEEENSG_9not_fun_tINSD_8identityEEEEENSD_19counting_iterator_tIlEES8_S8_S8_S8_S8_S8_S8_S8_EEEEPS9_S9_NSD_9__find_if7functorIS9_EEEE10hipError_tPvRmT1_T2_T3_mT4_P12ihipStream_tbEUlT_E0_NS1_11comp_targetILNS1_3genE8ELNS1_11target_archE1030ELNS1_3gpuE2ELNS1_3repE0EEENS1_30default_config_static_selectorELNS0_4arch9wavefront6targetE0EEEvS14_
; %bb.0:
	.section	.rodata,"a",@progbits
	.p2align	6, 0x0
	.amdhsa_kernel _ZN7rocprim17ROCPRIM_400000_NS6detail17trampoline_kernelINS0_14default_configENS1_22reduce_config_selectorIN6thrust23THRUST_200600_302600_NS5tupleIblNS6_9null_typeES8_S8_S8_S8_S8_S8_S8_EEEEZNS1_11reduce_implILb1ES3_NS6_12zip_iteratorINS7_INS6_11hip_rocprim26transform_input_iterator_tIbNSD_35transform_pair_of_input_iterators_tIbNS6_6detail15normal_iteratorINS6_10device_ptrIKfEEEESL_NS6_8equal_toIfEEEENSG_9not_fun_tINSD_8identityEEEEENSD_19counting_iterator_tIlEES8_S8_S8_S8_S8_S8_S8_S8_EEEEPS9_S9_NSD_9__find_if7functorIS9_EEEE10hipError_tPvRmT1_T2_T3_mT4_P12ihipStream_tbEUlT_E0_NS1_11comp_targetILNS1_3genE8ELNS1_11target_archE1030ELNS1_3gpuE2ELNS1_3repE0EEENS1_30default_config_static_selectorELNS0_4arch9wavefront6targetE0EEEvS14_
		.amdhsa_group_segment_fixed_size 0
		.amdhsa_private_segment_fixed_size 0
		.amdhsa_kernarg_size 104
		.amdhsa_user_sgpr_count 15
		.amdhsa_user_sgpr_dispatch_ptr 0
		.amdhsa_user_sgpr_queue_ptr 0
		.amdhsa_user_sgpr_kernarg_segment_ptr 1
		.amdhsa_user_sgpr_dispatch_id 0
		.amdhsa_user_sgpr_private_segment_size 0
		.amdhsa_wavefront_size32 1
		.amdhsa_uses_dynamic_stack 0
		.amdhsa_enable_private_segment 0
		.amdhsa_system_sgpr_workgroup_id_x 1
		.amdhsa_system_sgpr_workgroup_id_y 0
		.amdhsa_system_sgpr_workgroup_id_z 0
		.amdhsa_system_sgpr_workgroup_info 0
		.amdhsa_system_vgpr_workitem_id 0
		.amdhsa_next_free_vgpr 1
		.amdhsa_next_free_sgpr 1
		.amdhsa_reserve_vcc 0
		.amdhsa_float_round_mode_32 0
		.amdhsa_float_round_mode_16_64 0
		.amdhsa_float_denorm_mode_32 3
		.amdhsa_float_denorm_mode_16_64 3
		.amdhsa_dx10_clamp 1
		.amdhsa_ieee_mode 1
		.amdhsa_fp16_overflow 0
		.amdhsa_workgroup_processor_mode 1
		.amdhsa_memory_ordered 1
		.amdhsa_forward_progress 0
		.amdhsa_shared_vgpr_count 0
		.amdhsa_exception_fp_ieee_invalid_op 0
		.amdhsa_exception_fp_denorm_src 0
		.amdhsa_exception_fp_ieee_div_zero 0
		.amdhsa_exception_fp_ieee_overflow 0
		.amdhsa_exception_fp_ieee_underflow 0
		.amdhsa_exception_fp_ieee_inexact 0
		.amdhsa_exception_int_div_zero 0
	.end_amdhsa_kernel
	.section	.text._ZN7rocprim17ROCPRIM_400000_NS6detail17trampoline_kernelINS0_14default_configENS1_22reduce_config_selectorIN6thrust23THRUST_200600_302600_NS5tupleIblNS6_9null_typeES8_S8_S8_S8_S8_S8_S8_EEEEZNS1_11reduce_implILb1ES3_NS6_12zip_iteratorINS7_INS6_11hip_rocprim26transform_input_iterator_tIbNSD_35transform_pair_of_input_iterators_tIbNS6_6detail15normal_iteratorINS6_10device_ptrIKfEEEESL_NS6_8equal_toIfEEEENSG_9not_fun_tINSD_8identityEEEEENSD_19counting_iterator_tIlEES8_S8_S8_S8_S8_S8_S8_S8_EEEEPS9_S9_NSD_9__find_if7functorIS9_EEEE10hipError_tPvRmT1_T2_T3_mT4_P12ihipStream_tbEUlT_E0_NS1_11comp_targetILNS1_3genE8ELNS1_11target_archE1030ELNS1_3gpuE2ELNS1_3repE0EEENS1_30default_config_static_selectorELNS0_4arch9wavefront6targetE0EEEvS14_,"axG",@progbits,_ZN7rocprim17ROCPRIM_400000_NS6detail17trampoline_kernelINS0_14default_configENS1_22reduce_config_selectorIN6thrust23THRUST_200600_302600_NS5tupleIblNS6_9null_typeES8_S8_S8_S8_S8_S8_S8_EEEEZNS1_11reduce_implILb1ES3_NS6_12zip_iteratorINS7_INS6_11hip_rocprim26transform_input_iterator_tIbNSD_35transform_pair_of_input_iterators_tIbNS6_6detail15normal_iteratorINS6_10device_ptrIKfEEEESL_NS6_8equal_toIfEEEENSG_9not_fun_tINSD_8identityEEEEENSD_19counting_iterator_tIlEES8_S8_S8_S8_S8_S8_S8_S8_EEEEPS9_S9_NSD_9__find_if7functorIS9_EEEE10hipError_tPvRmT1_T2_T3_mT4_P12ihipStream_tbEUlT_E0_NS1_11comp_targetILNS1_3genE8ELNS1_11target_archE1030ELNS1_3gpuE2ELNS1_3repE0EEENS1_30default_config_static_selectorELNS0_4arch9wavefront6targetE0EEEvS14_,comdat
.Lfunc_end781:
	.size	_ZN7rocprim17ROCPRIM_400000_NS6detail17trampoline_kernelINS0_14default_configENS1_22reduce_config_selectorIN6thrust23THRUST_200600_302600_NS5tupleIblNS6_9null_typeES8_S8_S8_S8_S8_S8_S8_EEEEZNS1_11reduce_implILb1ES3_NS6_12zip_iteratorINS7_INS6_11hip_rocprim26transform_input_iterator_tIbNSD_35transform_pair_of_input_iterators_tIbNS6_6detail15normal_iteratorINS6_10device_ptrIKfEEEESL_NS6_8equal_toIfEEEENSG_9not_fun_tINSD_8identityEEEEENSD_19counting_iterator_tIlEES8_S8_S8_S8_S8_S8_S8_S8_EEEEPS9_S9_NSD_9__find_if7functorIS9_EEEE10hipError_tPvRmT1_T2_T3_mT4_P12ihipStream_tbEUlT_E0_NS1_11comp_targetILNS1_3genE8ELNS1_11target_archE1030ELNS1_3gpuE2ELNS1_3repE0EEENS1_30default_config_static_selectorELNS0_4arch9wavefront6targetE0EEEvS14_, .Lfunc_end781-_ZN7rocprim17ROCPRIM_400000_NS6detail17trampoline_kernelINS0_14default_configENS1_22reduce_config_selectorIN6thrust23THRUST_200600_302600_NS5tupleIblNS6_9null_typeES8_S8_S8_S8_S8_S8_S8_EEEEZNS1_11reduce_implILb1ES3_NS6_12zip_iteratorINS7_INS6_11hip_rocprim26transform_input_iterator_tIbNSD_35transform_pair_of_input_iterators_tIbNS6_6detail15normal_iteratorINS6_10device_ptrIKfEEEESL_NS6_8equal_toIfEEEENSG_9not_fun_tINSD_8identityEEEEENSD_19counting_iterator_tIlEES8_S8_S8_S8_S8_S8_S8_S8_EEEEPS9_S9_NSD_9__find_if7functorIS9_EEEE10hipError_tPvRmT1_T2_T3_mT4_P12ihipStream_tbEUlT_E0_NS1_11comp_targetILNS1_3genE8ELNS1_11target_archE1030ELNS1_3gpuE2ELNS1_3repE0EEENS1_30default_config_static_selectorELNS0_4arch9wavefront6targetE0EEEvS14_
                                        ; -- End function
	.section	.AMDGPU.csdata,"",@progbits
; Kernel info:
; codeLenInByte = 0
; NumSgprs: 0
; NumVgprs: 0
; ScratchSize: 0
; MemoryBound: 0
; FloatMode: 240
; IeeeMode: 1
; LDSByteSize: 0 bytes/workgroup (compile time only)
; SGPRBlocks: 0
; VGPRBlocks: 0
; NumSGPRsForWavesPerEU: 1
; NumVGPRsForWavesPerEU: 1
; Occupancy: 16
; WaveLimiterHint : 0
; COMPUTE_PGM_RSRC2:SCRATCH_EN: 0
; COMPUTE_PGM_RSRC2:USER_SGPR: 15
; COMPUTE_PGM_RSRC2:TRAP_HANDLER: 0
; COMPUTE_PGM_RSRC2:TGID_X_EN: 1
; COMPUTE_PGM_RSRC2:TGID_Y_EN: 0
; COMPUTE_PGM_RSRC2:TGID_Z_EN: 0
; COMPUTE_PGM_RSRC2:TIDIG_COMP_CNT: 0
	.section	.text._ZN7rocprim17ROCPRIM_400000_NS6detail17trampoline_kernelINS0_14default_configENS1_22reduce_config_selectorIN6thrust23THRUST_200600_302600_NS5tupleIblNS6_9null_typeES8_S8_S8_S8_S8_S8_S8_EEEEZNS1_11reduce_implILb1ES3_NS6_12zip_iteratorINS7_INS6_11hip_rocprim26transform_input_iterator_tIbNSD_35transform_pair_of_input_iterators_tIbNS6_6detail15normal_iteratorINS6_10device_ptrIKfEEEESL_NS6_8equal_toIfEEEENSG_9not_fun_tINSD_8identityEEEEENSD_19counting_iterator_tIlEES8_S8_S8_S8_S8_S8_S8_S8_EEEEPS9_S9_NSD_9__find_if7functorIS9_EEEE10hipError_tPvRmT1_T2_T3_mT4_P12ihipStream_tbEUlT_E1_NS1_11comp_targetILNS1_3genE0ELNS1_11target_archE4294967295ELNS1_3gpuE0ELNS1_3repE0EEENS1_30default_config_static_selectorELNS0_4arch9wavefront6targetE0EEEvS14_,"axG",@progbits,_ZN7rocprim17ROCPRIM_400000_NS6detail17trampoline_kernelINS0_14default_configENS1_22reduce_config_selectorIN6thrust23THRUST_200600_302600_NS5tupleIblNS6_9null_typeES8_S8_S8_S8_S8_S8_S8_EEEEZNS1_11reduce_implILb1ES3_NS6_12zip_iteratorINS7_INS6_11hip_rocprim26transform_input_iterator_tIbNSD_35transform_pair_of_input_iterators_tIbNS6_6detail15normal_iteratorINS6_10device_ptrIKfEEEESL_NS6_8equal_toIfEEEENSG_9not_fun_tINSD_8identityEEEEENSD_19counting_iterator_tIlEES8_S8_S8_S8_S8_S8_S8_S8_EEEEPS9_S9_NSD_9__find_if7functorIS9_EEEE10hipError_tPvRmT1_T2_T3_mT4_P12ihipStream_tbEUlT_E1_NS1_11comp_targetILNS1_3genE0ELNS1_11target_archE4294967295ELNS1_3gpuE0ELNS1_3repE0EEENS1_30default_config_static_selectorELNS0_4arch9wavefront6targetE0EEEvS14_,comdat
	.protected	_ZN7rocprim17ROCPRIM_400000_NS6detail17trampoline_kernelINS0_14default_configENS1_22reduce_config_selectorIN6thrust23THRUST_200600_302600_NS5tupleIblNS6_9null_typeES8_S8_S8_S8_S8_S8_S8_EEEEZNS1_11reduce_implILb1ES3_NS6_12zip_iteratorINS7_INS6_11hip_rocprim26transform_input_iterator_tIbNSD_35transform_pair_of_input_iterators_tIbNS6_6detail15normal_iteratorINS6_10device_ptrIKfEEEESL_NS6_8equal_toIfEEEENSG_9not_fun_tINSD_8identityEEEEENSD_19counting_iterator_tIlEES8_S8_S8_S8_S8_S8_S8_S8_EEEEPS9_S9_NSD_9__find_if7functorIS9_EEEE10hipError_tPvRmT1_T2_T3_mT4_P12ihipStream_tbEUlT_E1_NS1_11comp_targetILNS1_3genE0ELNS1_11target_archE4294967295ELNS1_3gpuE0ELNS1_3repE0EEENS1_30default_config_static_selectorELNS0_4arch9wavefront6targetE0EEEvS14_ ; -- Begin function _ZN7rocprim17ROCPRIM_400000_NS6detail17trampoline_kernelINS0_14default_configENS1_22reduce_config_selectorIN6thrust23THRUST_200600_302600_NS5tupleIblNS6_9null_typeES8_S8_S8_S8_S8_S8_S8_EEEEZNS1_11reduce_implILb1ES3_NS6_12zip_iteratorINS7_INS6_11hip_rocprim26transform_input_iterator_tIbNSD_35transform_pair_of_input_iterators_tIbNS6_6detail15normal_iteratorINS6_10device_ptrIKfEEEESL_NS6_8equal_toIfEEEENSG_9not_fun_tINSD_8identityEEEEENSD_19counting_iterator_tIlEES8_S8_S8_S8_S8_S8_S8_S8_EEEEPS9_S9_NSD_9__find_if7functorIS9_EEEE10hipError_tPvRmT1_T2_T3_mT4_P12ihipStream_tbEUlT_E1_NS1_11comp_targetILNS1_3genE0ELNS1_11target_archE4294967295ELNS1_3gpuE0ELNS1_3repE0EEENS1_30default_config_static_selectorELNS0_4arch9wavefront6targetE0EEEvS14_
	.globl	_ZN7rocprim17ROCPRIM_400000_NS6detail17trampoline_kernelINS0_14default_configENS1_22reduce_config_selectorIN6thrust23THRUST_200600_302600_NS5tupleIblNS6_9null_typeES8_S8_S8_S8_S8_S8_S8_EEEEZNS1_11reduce_implILb1ES3_NS6_12zip_iteratorINS7_INS6_11hip_rocprim26transform_input_iterator_tIbNSD_35transform_pair_of_input_iterators_tIbNS6_6detail15normal_iteratorINS6_10device_ptrIKfEEEESL_NS6_8equal_toIfEEEENSG_9not_fun_tINSD_8identityEEEEENSD_19counting_iterator_tIlEES8_S8_S8_S8_S8_S8_S8_S8_EEEEPS9_S9_NSD_9__find_if7functorIS9_EEEE10hipError_tPvRmT1_T2_T3_mT4_P12ihipStream_tbEUlT_E1_NS1_11comp_targetILNS1_3genE0ELNS1_11target_archE4294967295ELNS1_3gpuE0ELNS1_3repE0EEENS1_30default_config_static_selectorELNS0_4arch9wavefront6targetE0EEEvS14_
	.p2align	8
	.type	_ZN7rocprim17ROCPRIM_400000_NS6detail17trampoline_kernelINS0_14default_configENS1_22reduce_config_selectorIN6thrust23THRUST_200600_302600_NS5tupleIblNS6_9null_typeES8_S8_S8_S8_S8_S8_S8_EEEEZNS1_11reduce_implILb1ES3_NS6_12zip_iteratorINS7_INS6_11hip_rocprim26transform_input_iterator_tIbNSD_35transform_pair_of_input_iterators_tIbNS6_6detail15normal_iteratorINS6_10device_ptrIKfEEEESL_NS6_8equal_toIfEEEENSG_9not_fun_tINSD_8identityEEEEENSD_19counting_iterator_tIlEES8_S8_S8_S8_S8_S8_S8_S8_EEEEPS9_S9_NSD_9__find_if7functorIS9_EEEE10hipError_tPvRmT1_T2_T3_mT4_P12ihipStream_tbEUlT_E1_NS1_11comp_targetILNS1_3genE0ELNS1_11target_archE4294967295ELNS1_3gpuE0ELNS1_3repE0EEENS1_30default_config_static_selectorELNS0_4arch9wavefront6targetE0EEEvS14_,@function
_ZN7rocprim17ROCPRIM_400000_NS6detail17trampoline_kernelINS0_14default_configENS1_22reduce_config_selectorIN6thrust23THRUST_200600_302600_NS5tupleIblNS6_9null_typeES8_S8_S8_S8_S8_S8_S8_EEEEZNS1_11reduce_implILb1ES3_NS6_12zip_iteratorINS7_INS6_11hip_rocprim26transform_input_iterator_tIbNSD_35transform_pair_of_input_iterators_tIbNS6_6detail15normal_iteratorINS6_10device_ptrIKfEEEESL_NS6_8equal_toIfEEEENSG_9not_fun_tINSD_8identityEEEEENSD_19counting_iterator_tIlEES8_S8_S8_S8_S8_S8_S8_S8_EEEEPS9_S9_NSD_9__find_if7functorIS9_EEEE10hipError_tPvRmT1_T2_T3_mT4_P12ihipStream_tbEUlT_E1_NS1_11comp_targetILNS1_3genE0ELNS1_11target_archE4294967295ELNS1_3gpuE0ELNS1_3repE0EEENS1_30default_config_static_selectorELNS0_4arch9wavefront6targetE0EEEvS14_: ; @_ZN7rocprim17ROCPRIM_400000_NS6detail17trampoline_kernelINS0_14default_configENS1_22reduce_config_selectorIN6thrust23THRUST_200600_302600_NS5tupleIblNS6_9null_typeES8_S8_S8_S8_S8_S8_S8_EEEEZNS1_11reduce_implILb1ES3_NS6_12zip_iteratorINS7_INS6_11hip_rocprim26transform_input_iterator_tIbNSD_35transform_pair_of_input_iterators_tIbNS6_6detail15normal_iteratorINS6_10device_ptrIKfEEEESL_NS6_8equal_toIfEEEENSG_9not_fun_tINSD_8identityEEEEENSD_19counting_iterator_tIlEES8_S8_S8_S8_S8_S8_S8_S8_EEEEPS9_S9_NSD_9__find_if7functorIS9_EEEE10hipError_tPvRmT1_T2_T3_mT4_P12ihipStream_tbEUlT_E1_NS1_11comp_targetILNS1_3genE0ELNS1_11target_archE4294967295ELNS1_3gpuE0ELNS1_3repE0EEENS1_30default_config_static_selectorELNS0_4arch9wavefront6targetE0EEEvS14_
; %bb.0:
	.section	.rodata,"a",@progbits
	.p2align	6, 0x0
	.amdhsa_kernel _ZN7rocprim17ROCPRIM_400000_NS6detail17trampoline_kernelINS0_14default_configENS1_22reduce_config_selectorIN6thrust23THRUST_200600_302600_NS5tupleIblNS6_9null_typeES8_S8_S8_S8_S8_S8_S8_EEEEZNS1_11reduce_implILb1ES3_NS6_12zip_iteratorINS7_INS6_11hip_rocprim26transform_input_iterator_tIbNSD_35transform_pair_of_input_iterators_tIbNS6_6detail15normal_iteratorINS6_10device_ptrIKfEEEESL_NS6_8equal_toIfEEEENSG_9not_fun_tINSD_8identityEEEEENSD_19counting_iterator_tIlEES8_S8_S8_S8_S8_S8_S8_S8_EEEEPS9_S9_NSD_9__find_if7functorIS9_EEEE10hipError_tPvRmT1_T2_T3_mT4_P12ihipStream_tbEUlT_E1_NS1_11comp_targetILNS1_3genE0ELNS1_11target_archE4294967295ELNS1_3gpuE0ELNS1_3repE0EEENS1_30default_config_static_selectorELNS0_4arch9wavefront6targetE0EEEvS14_
		.amdhsa_group_segment_fixed_size 0
		.amdhsa_private_segment_fixed_size 0
		.amdhsa_kernarg_size 88
		.amdhsa_user_sgpr_count 15
		.amdhsa_user_sgpr_dispatch_ptr 0
		.amdhsa_user_sgpr_queue_ptr 0
		.amdhsa_user_sgpr_kernarg_segment_ptr 1
		.amdhsa_user_sgpr_dispatch_id 0
		.amdhsa_user_sgpr_private_segment_size 0
		.amdhsa_wavefront_size32 1
		.amdhsa_uses_dynamic_stack 0
		.amdhsa_enable_private_segment 0
		.amdhsa_system_sgpr_workgroup_id_x 1
		.amdhsa_system_sgpr_workgroup_id_y 0
		.amdhsa_system_sgpr_workgroup_id_z 0
		.amdhsa_system_sgpr_workgroup_info 0
		.amdhsa_system_vgpr_workitem_id 0
		.amdhsa_next_free_vgpr 1
		.amdhsa_next_free_sgpr 1
		.amdhsa_reserve_vcc 0
		.amdhsa_float_round_mode_32 0
		.amdhsa_float_round_mode_16_64 0
		.amdhsa_float_denorm_mode_32 3
		.amdhsa_float_denorm_mode_16_64 3
		.amdhsa_dx10_clamp 1
		.amdhsa_ieee_mode 1
		.amdhsa_fp16_overflow 0
		.amdhsa_workgroup_processor_mode 1
		.amdhsa_memory_ordered 1
		.amdhsa_forward_progress 0
		.amdhsa_shared_vgpr_count 0
		.amdhsa_exception_fp_ieee_invalid_op 0
		.amdhsa_exception_fp_denorm_src 0
		.amdhsa_exception_fp_ieee_div_zero 0
		.amdhsa_exception_fp_ieee_overflow 0
		.amdhsa_exception_fp_ieee_underflow 0
		.amdhsa_exception_fp_ieee_inexact 0
		.amdhsa_exception_int_div_zero 0
	.end_amdhsa_kernel
	.section	.text._ZN7rocprim17ROCPRIM_400000_NS6detail17trampoline_kernelINS0_14default_configENS1_22reduce_config_selectorIN6thrust23THRUST_200600_302600_NS5tupleIblNS6_9null_typeES8_S8_S8_S8_S8_S8_S8_EEEEZNS1_11reduce_implILb1ES3_NS6_12zip_iteratorINS7_INS6_11hip_rocprim26transform_input_iterator_tIbNSD_35transform_pair_of_input_iterators_tIbNS6_6detail15normal_iteratorINS6_10device_ptrIKfEEEESL_NS6_8equal_toIfEEEENSG_9not_fun_tINSD_8identityEEEEENSD_19counting_iterator_tIlEES8_S8_S8_S8_S8_S8_S8_S8_EEEEPS9_S9_NSD_9__find_if7functorIS9_EEEE10hipError_tPvRmT1_T2_T3_mT4_P12ihipStream_tbEUlT_E1_NS1_11comp_targetILNS1_3genE0ELNS1_11target_archE4294967295ELNS1_3gpuE0ELNS1_3repE0EEENS1_30default_config_static_selectorELNS0_4arch9wavefront6targetE0EEEvS14_,"axG",@progbits,_ZN7rocprim17ROCPRIM_400000_NS6detail17trampoline_kernelINS0_14default_configENS1_22reduce_config_selectorIN6thrust23THRUST_200600_302600_NS5tupleIblNS6_9null_typeES8_S8_S8_S8_S8_S8_S8_EEEEZNS1_11reduce_implILb1ES3_NS6_12zip_iteratorINS7_INS6_11hip_rocprim26transform_input_iterator_tIbNSD_35transform_pair_of_input_iterators_tIbNS6_6detail15normal_iteratorINS6_10device_ptrIKfEEEESL_NS6_8equal_toIfEEEENSG_9not_fun_tINSD_8identityEEEEENSD_19counting_iterator_tIlEES8_S8_S8_S8_S8_S8_S8_S8_EEEEPS9_S9_NSD_9__find_if7functorIS9_EEEE10hipError_tPvRmT1_T2_T3_mT4_P12ihipStream_tbEUlT_E1_NS1_11comp_targetILNS1_3genE0ELNS1_11target_archE4294967295ELNS1_3gpuE0ELNS1_3repE0EEENS1_30default_config_static_selectorELNS0_4arch9wavefront6targetE0EEEvS14_,comdat
.Lfunc_end782:
	.size	_ZN7rocprim17ROCPRIM_400000_NS6detail17trampoline_kernelINS0_14default_configENS1_22reduce_config_selectorIN6thrust23THRUST_200600_302600_NS5tupleIblNS6_9null_typeES8_S8_S8_S8_S8_S8_S8_EEEEZNS1_11reduce_implILb1ES3_NS6_12zip_iteratorINS7_INS6_11hip_rocprim26transform_input_iterator_tIbNSD_35transform_pair_of_input_iterators_tIbNS6_6detail15normal_iteratorINS6_10device_ptrIKfEEEESL_NS6_8equal_toIfEEEENSG_9not_fun_tINSD_8identityEEEEENSD_19counting_iterator_tIlEES8_S8_S8_S8_S8_S8_S8_S8_EEEEPS9_S9_NSD_9__find_if7functorIS9_EEEE10hipError_tPvRmT1_T2_T3_mT4_P12ihipStream_tbEUlT_E1_NS1_11comp_targetILNS1_3genE0ELNS1_11target_archE4294967295ELNS1_3gpuE0ELNS1_3repE0EEENS1_30default_config_static_selectorELNS0_4arch9wavefront6targetE0EEEvS14_, .Lfunc_end782-_ZN7rocprim17ROCPRIM_400000_NS6detail17trampoline_kernelINS0_14default_configENS1_22reduce_config_selectorIN6thrust23THRUST_200600_302600_NS5tupleIblNS6_9null_typeES8_S8_S8_S8_S8_S8_S8_EEEEZNS1_11reduce_implILb1ES3_NS6_12zip_iteratorINS7_INS6_11hip_rocprim26transform_input_iterator_tIbNSD_35transform_pair_of_input_iterators_tIbNS6_6detail15normal_iteratorINS6_10device_ptrIKfEEEESL_NS6_8equal_toIfEEEENSG_9not_fun_tINSD_8identityEEEEENSD_19counting_iterator_tIlEES8_S8_S8_S8_S8_S8_S8_S8_EEEEPS9_S9_NSD_9__find_if7functorIS9_EEEE10hipError_tPvRmT1_T2_T3_mT4_P12ihipStream_tbEUlT_E1_NS1_11comp_targetILNS1_3genE0ELNS1_11target_archE4294967295ELNS1_3gpuE0ELNS1_3repE0EEENS1_30default_config_static_selectorELNS0_4arch9wavefront6targetE0EEEvS14_
                                        ; -- End function
	.section	.AMDGPU.csdata,"",@progbits
; Kernel info:
; codeLenInByte = 0
; NumSgprs: 0
; NumVgprs: 0
; ScratchSize: 0
; MemoryBound: 0
; FloatMode: 240
; IeeeMode: 1
; LDSByteSize: 0 bytes/workgroup (compile time only)
; SGPRBlocks: 0
; VGPRBlocks: 0
; NumSGPRsForWavesPerEU: 1
; NumVGPRsForWavesPerEU: 1
; Occupancy: 16
; WaveLimiterHint : 0
; COMPUTE_PGM_RSRC2:SCRATCH_EN: 0
; COMPUTE_PGM_RSRC2:USER_SGPR: 15
; COMPUTE_PGM_RSRC2:TRAP_HANDLER: 0
; COMPUTE_PGM_RSRC2:TGID_X_EN: 1
; COMPUTE_PGM_RSRC2:TGID_Y_EN: 0
; COMPUTE_PGM_RSRC2:TGID_Z_EN: 0
; COMPUTE_PGM_RSRC2:TIDIG_COMP_CNT: 0
	.section	.text._ZN7rocprim17ROCPRIM_400000_NS6detail17trampoline_kernelINS0_14default_configENS1_22reduce_config_selectorIN6thrust23THRUST_200600_302600_NS5tupleIblNS6_9null_typeES8_S8_S8_S8_S8_S8_S8_EEEEZNS1_11reduce_implILb1ES3_NS6_12zip_iteratorINS7_INS6_11hip_rocprim26transform_input_iterator_tIbNSD_35transform_pair_of_input_iterators_tIbNS6_6detail15normal_iteratorINS6_10device_ptrIKfEEEESL_NS6_8equal_toIfEEEENSG_9not_fun_tINSD_8identityEEEEENSD_19counting_iterator_tIlEES8_S8_S8_S8_S8_S8_S8_S8_EEEEPS9_S9_NSD_9__find_if7functorIS9_EEEE10hipError_tPvRmT1_T2_T3_mT4_P12ihipStream_tbEUlT_E1_NS1_11comp_targetILNS1_3genE5ELNS1_11target_archE942ELNS1_3gpuE9ELNS1_3repE0EEENS1_30default_config_static_selectorELNS0_4arch9wavefront6targetE0EEEvS14_,"axG",@progbits,_ZN7rocprim17ROCPRIM_400000_NS6detail17trampoline_kernelINS0_14default_configENS1_22reduce_config_selectorIN6thrust23THRUST_200600_302600_NS5tupleIblNS6_9null_typeES8_S8_S8_S8_S8_S8_S8_EEEEZNS1_11reduce_implILb1ES3_NS6_12zip_iteratorINS7_INS6_11hip_rocprim26transform_input_iterator_tIbNSD_35transform_pair_of_input_iterators_tIbNS6_6detail15normal_iteratorINS6_10device_ptrIKfEEEESL_NS6_8equal_toIfEEEENSG_9not_fun_tINSD_8identityEEEEENSD_19counting_iterator_tIlEES8_S8_S8_S8_S8_S8_S8_S8_EEEEPS9_S9_NSD_9__find_if7functorIS9_EEEE10hipError_tPvRmT1_T2_T3_mT4_P12ihipStream_tbEUlT_E1_NS1_11comp_targetILNS1_3genE5ELNS1_11target_archE942ELNS1_3gpuE9ELNS1_3repE0EEENS1_30default_config_static_selectorELNS0_4arch9wavefront6targetE0EEEvS14_,comdat
	.protected	_ZN7rocprim17ROCPRIM_400000_NS6detail17trampoline_kernelINS0_14default_configENS1_22reduce_config_selectorIN6thrust23THRUST_200600_302600_NS5tupleIblNS6_9null_typeES8_S8_S8_S8_S8_S8_S8_EEEEZNS1_11reduce_implILb1ES3_NS6_12zip_iteratorINS7_INS6_11hip_rocprim26transform_input_iterator_tIbNSD_35transform_pair_of_input_iterators_tIbNS6_6detail15normal_iteratorINS6_10device_ptrIKfEEEESL_NS6_8equal_toIfEEEENSG_9not_fun_tINSD_8identityEEEEENSD_19counting_iterator_tIlEES8_S8_S8_S8_S8_S8_S8_S8_EEEEPS9_S9_NSD_9__find_if7functorIS9_EEEE10hipError_tPvRmT1_T2_T3_mT4_P12ihipStream_tbEUlT_E1_NS1_11comp_targetILNS1_3genE5ELNS1_11target_archE942ELNS1_3gpuE9ELNS1_3repE0EEENS1_30default_config_static_selectorELNS0_4arch9wavefront6targetE0EEEvS14_ ; -- Begin function _ZN7rocprim17ROCPRIM_400000_NS6detail17trampoline_kernelINS0_14default_configENS1_22reduce_config_selectorIN6thrust23THRUST_200600_302600_NS5tupleIblNS6_9null_typeES8_S8_S8_S8_S8_S8_S8_EEEEZNS1_11reduce_implILb1ES3_NS6_12zip_iteratorINS7_INS6_11hip_rocprim26transform_input_iterator_tIbNSD_35transform_pair_of_input_iterators_tIbNS6_6detail15normal_iteratorINS6_10device_ptrIKfEEEESL_NS6_8equal_toIfEEEENSG_9not_fun_tINSD_8identityEEEEENSD_19counting_iterator_tIlEES8_S8_S8_S8_S8_S8_S8_S8_EEEEPS9_S9_NSD_9__find_if7functorIS9_EEEE10hipError_tPvRmT1_T2_T3_mT4_P12ihipStream_tbEUlT_E1_NS1_11comp_targetILNS1_3genE5ELNS1_11target_archE942ELNS1_3gpuE9ELNS1_3repE0EEENS1_30default_config_static_selectorELNS0_4arch9wavefront6targetE0EEEvS14_
	.globl	_ZN7rocprim17ROCPRIM_400000_NS6detail17trampoline_kernelINS0_14default_configENS1_22reduce_config_selectorIN6thrust23THRUST_200600_302600_NS5tupleIblNS6_9null_typeES8_S8_S8_S8_S8_S8_S8_EEEEZNS1_11reduce_implILb1ES3_NS6_12zip_iteratorINS7_INS6_11hip_rocprim26transform_input_iterator_tIbNSD_35transform_pair_of_input_iterators_tIbNS6_6detail15normal_iteratorINS6_10device_ptrIKfEEEESL_NS6_8equal_toIfEEEENSG_9not_fun_tINSD_8identityEEEEENSD_19counting_iterator_tIlEES8_S8_S8_S8_S8_S8_S8_S8_EEEEPS9_S9_NSD_9__find_if7functorIS9_EEEE10hipError_tPvRmT1_T2_T3_mT4_P12ihipStream_tbEUlT_E1_NS1_11comp_targetILNS1_3genE5ELNS1_11target_archE942ELNS1_3gpuE9ELNS1_3repE0EEENS1_30default_config_static_selectorELNS0_4arch9wavefront6targetE0EEEvS14_
	.p2align	8
	.type	_ZN7rocprim17ROCPRIM_400000_NS6detail17trampoline_kernelINS0_14default_configENS1_22reduce_config_selectorIN6thrust23THRUST_200600_302600_NS5tupleIblNS6_9null_typeES8_S8_S8_S8_S8_S8_S8_EEEEZNS1_11reduce_implILb1ES3_NS6_12zip_iteratorINS7_INS6_11hip_rocprim26transform_input_iterator_tIbNSD_35transform_pair_of_input_iterators_tIbNS6_6detail15normal_iteratorINS6_10device_ptrIKfEEEESL_NS6_8equal_toIfEEEENSG_9not_fun_tINSD_8identityEEEEENSD_19counting_iterator_tIlEES8_S8_S8_S8_S8_S8_S8_S8_EEEEPS9_S9_NSD_9__find_if7functorIS9_EEEE10hipError_tPvRmT1_T2_T3_mT4_P12ihipStream_tbEUlT_E1_NS1_11comp_targetILNS1_3genE5ELNS1_11target_archE942ELNS1_3gpuE9ELNS1_3repE0EEENS1_30default_config_static_selectorELNS0_4arch9wavefront6targetE0EEEvS14_,@function
_ZN7rocprim17ROCPRIM_400000_NS6detail17trampoline_kernelINS0_14default_configENS1_22reduce_config_selectorIN6thrust23THRUST_200600_302600_NS5tupleIblNS6_9null_typeES8_S8_S8_S8_S8_S8_S8_EEEEZNS1_11reduce_implILb1ES3_NS6_12zip_iteratorINS7_INS6_11hip_rocprim26transform_input_iterator_tIbNSD_35transform_pair_of_input_iterators_tIbNS6_6detail15normal_iteratorINS6_10device_ptrIKfEEEESL_NS6_8equal_toIfEEEENSG_9not_fun_tINSD_8identityEEEEENSD_19counting_iterator_tIlEES8_S8_S8_S8_S8_S8_S8_S8_EEEEPS9_S9_NSD_9__find_if7functorIS9_EEEE10hipError_tPvRmT1_T2_T3_mT4_P12ihipStream_tbEUlT_E1_NS1_11comp_targetILNS1_3genE5ELNS1_11target_archE942ELNS1_3gpuE9ELNS1_3repE0EEENS1_30default_config_static_selectorELNS0_4arch9wavefront6targetE0EEEvS14_: ; @_ZN7rocprim17ROCPRIM_400000_NS6detail17trampoline_kernelINS0_14default_configENS1_22reduce_config_selectorIN6thrust23THRUST_200600_302600_NS5tupleIblNS6_9null_typeES8_S8_S8_S8_S8_S8_S8_EEEEZNS1_11reduce_implILb1ES3_NS6_12zip_iteratorINS7_INS6_11hip_rocprim26transform_input_iterator_tIbNSD_35transform_pair_of_input_iterators_tIbNS6_6detail15normal_iteratorINS6_10device_ptrIKfEEEESL_NS6_8equal_toIfEEEENSG_9not_fun_tINSD_8identityEEEEENSD_19counting_iterator_tIlEES8_S8_S8_S8_S8_S8_S8_S8_EEEEPS9_S9_NSD_9__find_if7functorIS9_EEEE10hipError_tPvRmT1_T2_T3_mT4_P12ihipStream_tbEUlT_E1_NS1_11comp_targetILNS1_3genE5ELNS1_11target_archE942ELNS1_3gpuE9ELNS1_3repE0EEENS1_30default_config_static_selectorELNS0_4arch9wavefront6targetE0EEEvS14_
; %bb.0:
	.section	.rodata,"a",@progbits
	.p2align	6, 0x0
	.amdhsa_kernel _ZN7rocprim17ROCPRIM_400000_NS6detail17trampoline_kernelINS0_14default_configENS1_22reduce_config_selectorIN6thrust23THRUST_200600_302600_NS5tupleIblNS6_9null_typeES8_S8_S8_S8_S8_S8_S8_EEEEZNS1_11reduce_implILb1ES3_NS6_12zip_iteratorINS7_INS6_11hip_rocprim26transform_input_iterator_tIbNSD_35transform_pair_of_input_iterators_tIbNS6_6detail15normal_iteratorINS6_10device_ptrIKfEEEESL_NS6_8equal_toIfEEEENSG_9not_fun_tINSD_8identityEEEEENSD_19counting_iterator_tIlEES8_S8_S8_S8_S8_S8_S8_S8_EEEEPS9_S9_NSD_9__find_if7functorIS9_EEEE10hipError_tPvRmT1_T2_T3_mT4_P12ihipStream_tbEUlT_E1_NS1_11comp_targetILNS1_3genE5ELNS1_11target_archE942ELNS1_3gpuE9ELNS1_3repE0EEENS1_30default_config_static_selectorELNS0_4arch9wavefront6targetE0EEEvS14_
		.amdhsa_group_segment_fixed_size 0
		.amdhsa_private_segment_fixed_size 0
		.amdhsa_kernarg_size 88
		.amdhsa_user_sgpr_count 15
		.amdhsa_user_sgpr_dispatch_ptr 0
		.amdhsa_user_sgpr_queue_ptr 0
		.amdhsa_user_sgpr_kernarg_segment_ptr 1
		.amdhsa_user_sgpr_dispatch_id 0
		.amdhsa_user_sgpr_private_segment_size 0
		.amdhsa_wavefront_size32 1
		.amdhsa_uses_dynamic_stack 0
		.amdhsa_enable_private_segment 0
		.amdhsa_system_sgpr_workgroup_id_x 1
		.amdhsa_system_sgpr_workgroup_id_y 0
		.amdhsa_system_sgpr_workgroup_id_z 0
		.amdhsa_system_sgpr_workgroup_info 0
		.amdhsa_system_vgpr_workitem_id 0
		.amdhsa_next_free_vgpr 1
		.amdhsa_next_free_sgpr 1
		.amdhsa_reserve_vcc 0
		.amdhsa_float_round_mode_32 0
		.amdhsa_float_round_mode_16_64 0
		.amdhsa_float_denorm_mode_32 3
		.amdhsa_float_denorm_mode_16_64 3
		.amdhsa_dx10_clamp 1
		.amdhsa_ieee_mode 1
		.amdhsa_fp16_overflow 0
		.amdhsa_workgroup_processor_mode 1
		.amdhsa_memory_ordered 1
		.amdhsa_forward_progress 0
		.amdhsa_shared_vgpr_count 0
		.amdhsa_exception_fp_ieee_invalid_op 0
		.amdhsa_exception_fp_denorm_src 0
		.amdhsa_exception_fp_ieee_div_zero 0
		.amdhsa_exception_fp_ieee_overflow 0
		.amdhsa_exception_fp_ieee_underflow 0
		.amdhsa_exception_fp_ieee_inexact 0
		.amdhsa_exception_int_div_zero 0
	.end_amdhsa_kernel
	.section	.text._ZN7rocprim17ROCPRIM_400000_NS6detail17trampoline_kernelINS0_14default_configENS1_22reduce_config_selectorIN6thrust23THRUST_200600_302600_NS5tupleIblNS6_9null_typeES8_S8_S8_S8_S8_S8_S8_EEEEZNS1_11reduce_implILb1ES3_NS6_12zip_iteratorINS7_INS6_11hip_rocprim26transform_input_iterator_tIbNSD_35transform_pair_of_input_iterators_tIbNS6_6detail15normal_iteratorINS6_10device_ptrIKfEEEESL_NS6_8equal_toIfEEEENSG_9not_fun_tINSD_8identityEEEEENSD_19counting_iterator_tIlEES8_S8_S8_S8_S8_S8_S8_S8_EEEEPS9_S9_NSD_9__find_if7functorIS9_EEEE10hipError_tPvRmT1_T2_T3_mT4_P12ihipStream_tbEUlT_E1_NS1_11comp_targetILNS1_3genE5ELNS1_11target_archE942ELNS1_3gpuE9ELNS1_3repE0EEENS1_30default_config_static_selectorELNS0_4arch9wavefront6targetE0EEEvS14_,"axG",@progbits,_ZN7rocprim17ROCPRIM_400000_NS6detail17trampoline_kernelINS0_14default_configENS1_22reduce_config_selectorIN6thrust23THRUST_200600_302600_NS5tupleIblNS6_9null_typeES8_S8_S8_S8_S8_S8_S8_EEEEZNS1_11reduce_implILb1ES3_NS6_12zip_iteratorINS7_INS6_11hip_rocprim26transform_input_iterator_tIbNSD_35transform_pair_of_input_iterators_tIbNS6_6detail15normal_iteratorINS6_10device_ptrIKfEEEESL_NS6_8equal_toIfEEEENSG_9not_fun_tINSD_8identityEEEEENSD_19counting_iterator_tIlEES8_S8_S8_S8_S8_S8_S8_S8_EEEEPS9_S9_NSD_9__find_if7functorIS9_EEEE10hipError_tPvRmT1_T2_T3_mT4_P12ihipStream_tbEUlT_E1_NS1_11comp_targetILNS1_3genE5ELNS1_11target_archE942ELNS1_3gpuE9ELNS1_3repE0EEENS1_30default_config_static_selectorELNS0_4arch9wavefront6targetE0EEEvS14_,comdat
.Lfunc_end783:
	.size	_ZN7rocprim17ROCPRIM_400000_NS6detail17trampoline_kernelINS0_14default_configENS1_22reduce_config_selectorIN6thrust23THRUST_200600_302600_NS5tupleIblNS6_9null_typeES8_S8_S8_S8_S8_S8_S8_EEEEZNS1_11reduce_implILb1ES3_NS6_12zip_iteratorINS7_INS6_11hip_rocprim26transform_input_iterator_tIbNSD_35transform_pair_of_input_iterators_tIbNS6_6detail15normal_iteratorINS6_10device_ptrIKfEEEESL_NS6_8equal_toIfEEEENSG_9not_fun_tINSD_8identityEEEEENSD_19counting_iterator_tIlEES8_S8_S8_S8_S8_S8_S8_S8_EEEEPS9_S9_NSD_9__find_if7functorIS9_EEEE10hipError_tPvRmT1_T2_T3_mT4_P12ihipStream_tbEUlT_E1_NS1_11comp_targetILNS1_3genE5ELNS1_11target_archE942ELNS1_3gpuE9ELNS1_3repE0EEENS1_30default_config_static_selectorELNS0_4arch9wavefront6targetE0EEEvS14_, .Lfunc_end783-_ZN7rocprim17ROCPRIM_400000_NS6detail17trampoline_kernelINS0_14default_configENS1_22reduce_config_selectorIN6thrust23THRUST_200600_302600_NS5tupleIblNS6_9null_typeES8_S8_S8_S8_S8_S8_S8_EEEEZNS1_11reduce_implILb1ES3_NS6_12zip_iteratorINS7_INS6_11hip_rocprim26transform_input_iterator_tIbNSD_35transform_pair_of_input_iterators_tIbNS6_6detail15normal_iteratorINS6_10device_ptrIKfEEEESL_NS6_8equal_toIfEEEENSG_9not_fun_tINSD_8identityEEEEENSD_19counting_iterator_tIlEES8_S8_S8_S8_S8_S8_S8_S8_EEEEPS9_S9_NSD_9__find_if7functorIS9_EEEE10hipError_tPvRmT1_T2_T3_mT4_P12ihipStream_tbEUlT_E1_NS1_11comp_targetILNS1_3genE5ELNS1_11target_archE942ELNS1_3gpuE9ELNS1_3repE0EEENS1_30default_config_static_selectorELNS0_4arch9wavefront6targetE0EEEvS14_
                                        ; -- End function
	.section	.AMDGPU.csdata,"",@progbits
; Kernel info:
; codeLenInByte = 0
; NumSgprs: 0
; NumVgprs: 0
; ScratchSize: 0
; MemoryBound: 0
; FloatMode: 240
; IeeeMode: 1
; LDSByteSize: 0 bytes/workgroup (compile time only)
; SGPRBlocks: 0
; VGPRBlocks: 0
; NumSGPRsForWavesPerEU: 1
; NumVGPRsForWavesPerEU: 1
; Occupancy: 16
; WaveLimiterHint : 0
; COMPUTE_PGM_RSRC2:SCRATCH_EN: 0
; COMPUTE_PGM_RSRC2:USER_SGPR: 15
; COMPUTE_PGM_RSRC2:TRAP_HANDLER: 0
; COMPUTE_PGM_RSRC2:TGID_X_EN: 1
; COMPUTE_PGM_RSRC2:TGID_Y_EN: 0
; COMPUTE_PGM_RSRC2:TGID_Z_EN: 0
; COMPUTE_PGM_RSRC2:TIDIG_COMP_CNT: 0
	.section	.text._ZN7rocprim17ROCPRIM_400000_NS6detail17trampoline_kernelINS0_14default_configENS1_22reduce_config_selectorIN6thrust23THRUST_200600_302600_NS5tupleIblNS6_9null_typeES8_S8_S8_S8_S8_S8_S8_EEEEZNS1_11reduce_implILb1ES3_NS6_12zip_iteratorINS7_INS6_11hip_rocprim26transform_input_iterator_tIbNSD_35transform_pair_of_input_iterators_tIbNS6_6detail15normal_iteratorINS6_10device_ptrIKfEEEESL_NS6_8equal_toIfEEEENSG_9not_fun_tINSD_8identityEEEEENSD_19counting_iterator_tIlEES8_S8_S8_S8_S8_S8_S8_S8_EEEEPS9_S9_NSD_9__find_if7functorIS9_EEEE10hipError_tPvRmT1_T2_T3_mT4_P12ihipStream_tbEUlT_E1_NS1_11comp_targetILNS1_3genE4ELNS1_11target_archE910ELNS1_3gpuE8ELNS1_3repE0EEENS1_30default_config_static_selectorELNS0_4arch9wavefront6targetE0EEEvS14_,"axG",@progbits,_ZN7rocprim17ROCPRIM_400000_NS6detail17trampoline_kernelINS0_14default_configENS1_22reduce_config_selectorIN6thrust23THRUST_200600_302600_NS5tupleIblNS6_9null_typeES8_S8_S8_S8_S8_S8_S8_EEEEZNS1_11reduce_implILb1ES3_NS6_12zip_iteratorINS7_INS6_11hip_rocprim26transform_input_iterator_tIbNSD_35transform_pair_of_input_iterators_tIbNS6_6detail15normal_iteratorINS6_10device_ptrIKfEEEESL_NS6_8equal_toIfEEEENSG_9not_fun_tINSD_8identityEEEEENSD_19counting_iterator_tIlEES8_S8_S8_S8_S8_S8_S8_S8_EEEEPS9_S9_NSD_9__find_if7functorIS9_EEEE10hipError_tPvRmT1_T2_T3_mT4_P12ihipStream_tbEUlT_E1_NS1_11comp_targetILNS1_3genE4ELNS1_11target_archE910ELNS1_3gpuE8ELNS1_3repE0EEENS1_30default_config_static_selectorELNS0_4arch9wavefront6targetE0EEEvS14_,comdat
	.protected	_ZN7rocprim17ROCPRIM_400000_NS6detail17trampoline_kernelINS0_14default_configENS1_22reduce_config_selectorIN6thrust23THRUST_200600_302600_NS5tupleIblNS6_9null_typeES8_S8_S8_S8_S8_S8_S8_EEEEZNS1_11reduce_implILb1ES3_NS6_12zip_iteratorINS7_INS6_11hip_rocprim26transform_input_iterator_tIbNSD_35transform_pair_of_input_iterators_tIbNS6_6detail15normal_iteratorINS6_10device_ptrIKfEEEESL_NS6_8equal_toIfEEEENSG_9not_fun_tINSD_8identityEEEEENSD_19counting_iterator_tIlEES8_S8_S8_S8_S8_S8_S8_S8_EEEEPS9_S9_NSD_9__find_if7functorIS9_EEEE10hipError_tPvRmT1_T2_T3_mT4_P12ihipStream_tbEUlT_E1_NS1_11comp_targetILNS1_3genE4ELNS1_11target_archE910ELNS1_3gpuE8ELNS1_3repE0EEENS1_30default_config_static_selectorELNS0_4arch9wavefront6targetE0EEEvS14_ ; -- Begin function _ZN7rocprim17ROCPRIM_400000_NS6detail17trampoline_kernelINS0_14default_configENS1_22reduce_config_selectorIN6thrust23THRUST_200600_302600_NS5tupleIblNS6_9null_typeES8_S8_S8_S8_S8_S8_S8_EEEEZNS1_11reduce_implILb1ES3_NS6_12zip_iteratorINS7_INS6_11hip_rocprim26transform_input_iterator_tIbNSD_35transform_pair_of_input_iterators_tIbNS6_6detail15normal_iteratorINS6_10device_ptrIKfEEEESL_NS6_8equal_toIfEEEENSG_9not_fun_tINSD_8identityEEEEENSD_19counting_iterator_tIlEES8_S8_S8_S8_S8_S8_S8_S8_EEEEPS9_S9_NSD_9__find_if7functorIS9_EEEE10hipError_tPvRmT1_T2_T3_mT4_P12ihipStream_tbEUlT_E1_NS1_11comp_targetILNS1_3genE4ELNS1_11target_archE910ELNS1_3gpuE8ELNS1_3repE0EEENS1_30default_config_static_selectorELNS0_4arch9wavefront6targetE0EEEvS14_
	.globl	_ZN7rocprim17ROCPRIM_400000_NS6detail17trampoline_kernelINS0_14default_configENS1_22reduce_config_selectorIN6thrust23THRUST_200600_302600_NS5tupleIblNS6_9null_typeES8_S8_S8_S8_S8_S8_S8_EEEEZNS1_11reduce_implILb1ES3_NS6_12zip_iteratorINS7_INS6_11hip_rocprim26transform_input_iterator_tIbNSD_35transform_pair_of_input_iterators_tIbNS6_6detail15normal_iteratorINS6_10device_ptrIKfEEEESL_NS6_8equal_toIfEEEENSG_9not_fun_tINSD_8identityEEEEENSD_19counting_iterator_tIlEES8_S8_S8_S8_S8_S8_S8_S8_EEEEPS9_S9_NSD_9__find_if7functorIS9_EEEE10hipError_tPvRmT1_T2_T3_mT4_P12ihipStream_tbEUlT_E1_NS1_11comp_targetILNS1_3genE4ELNS1_11target_archE910ELNS1_3gpuE8ELNS1_3repE0EEENS1_30default_config_static_selectorELNS0_4arch9wavefront6targetE0EEEvS14_
	.p2align	8
	.type	_ZN7rocprim17ROCPRIM_400000_NS6detail17trampoline_kernelINS0_14default_configENS1_22reduce_config_selectorIN6thrust23THRUST_200600_302600_NS5tupleIblNS6_9null_typeES8_S8_S8_S8_S8_S8_S8_EEEEZNS1_11reduce_implILb1ES3_NS6_12zip_iteratorINS7_INS6_11hip_rocprim26transform_input_iterator_tIbNSD_35transform_pair_of_input_iterators_tIbNS6_6detail15normal_iteratorINS6_10device_ptrIKfEEEESL_NS6_8equal_toIfEEEENSG_9not_fun_tINSD_8identityEEEEENSD_19counting_iterator_tIlEES8_S8_S8_S8_S8_S8_S8_S8_EEEEPS9_S9_NSD_9__find_if7functorIS9_EEEE10hipError_tPvRmT1_T2_T3_mT4_P12ihipStream_tbEUlT_E1_NS1_11comp_targetILNS1_3genE4ELNS1_11target_archE910ELNS1_3gpuE8ELNS1_3repE0EEENS1_30default_config_static_selectorELNS0_4arch9wavefront6targetE0EEEvS14_,@function
_ZN7rocprim17ROCPRIM_400000_NS6detail17trampoline_kernelINS0_14default_configENS1_22reduce_config_selectorIN6thrust23THRUST_200600_302600_NS5tupleIblNS6_9null_typeES8_S8_S8_S8_S8_S8_S8_EEEEZNS1_11reduce_implILb1ES3_NS6_12zip_iteratorINS7_INS6_11hip_rocprim26transform_input_iterator_tIbNSD_35transform_pair_of_input_iterators_tIbNS6_6detail15normal_iteratorINS6_10device_ptrIKfEEEESL_NS6_8equal_toIfEEEENSG_9not_fun_tINSD_8identityEEEEENSD_19counting_iterator_tIlEES8_S8_S8_S8_S8_S8_S8_S8_EEEEPS9_S9_NSD_9__find_if7functorIS9_EEEE10hipError_tPvRmT1_T2_T3_mT4_P12ihipStream_tbEUlT_E1_NS1_11comp_targetILNS1_3genE4ELNS1_11target_archE910ELNS1_3gpuE8ELNS1_3repE0EEENS1_30default_config_static_selectorELNS0_4arch9wavefront6targetE0EEEvS14_: ; @_ZN7rocprim17ROCPRIM_400000_NS6detail17trampoline_kernelINS0_14default_configENS1_22reduce_config_selectorIN6thrust23THRUST_200600_302600_NS5tupleIblNS6_9null_typeES8_S8_S8_S8_S8_S8_S8_EEEEZNS1_11reduce_implILb1ES3_NS6_12zip_iteratorINS7_INS6_11hip_rocprim26transform_input_iterator_tIbNSD_35transform_pair_of_input_iterators_tIbNS6_6detail15normal_iteratorINS6_10device_ptrIKfEEEESL_NS6_8equal_toIfEEEENSG_9not_fun_tINSD_8identityEEEEENSD_19counting_iterator_tIlEES8_S8_S8_S8_S8_S8_S8_S8_EEEEPS9_S9_NSD_9__find_if7functorIS9_EEEE10hipError_tPvRmT1_T2_T3_mT4_P12ihipStream_tbEUlT_E1_NS1_11comp_targetILNS1_3genE4ELNS1_11target_archE910ELNS1_3gpuE8ELNS1_3repE0EEENS1_30default_config_static_selectorELNS0_4arch9wavefront6targetE0EEEvS14_
; %bb.0:
	.section	.rodata,"a",@progbits
	.p2align	6, 0x0
	.amdhsa_kernel _ZN7rocprim17ROCPRIM_400000_NS6detail17trampoline_kernelINS0_14default_configENS1_22reduce_config_selectorIN6thrust23THRUST_200600_302600_NS5tupleIblNS6_9null_typeES8_S8_S8_S8_S8_S8_S8_EEEEZNS1_11reduce_implILb1ES3_NS6_12zip_iteratorINS7_INS6_11hip_rocprim26transform_input_iterator_tIbNSD_35transform_pair_of_input_iterators_tIbNS6_6detail15normal_iteratorINS6_10device_ptrIKfEEEESL_NS6_8equal_toIfEEEENSG_9not_fun_tINSD_8identityEEEEENSD_19counting_iterator_tIlEES8_S8_S8_S8_S8_S8_S8_S8_EEEEPS9_S9_NSD_9__find_if7functorIS9_EEEE10hipError_tPvRmT1_T2_T3_mT4_P12ihipStream_tbEUlT_E1_NS1_11comp_targetILNS1_3genE4ELNS1_11target_archE910ELNS1_3gpuE8ELNS1_3repE0EEENS1_30default_config_static_selectorELNS0_4arch9wavefront6targetE0EEEvS14_
		.amdhsa_group_segment_fixed_size 0
		.amdhsa_private_segment_fixed_size 0
		.amdhsa_kernarg_size 88
		.amdhsa_user_sgpr_count 15
		.amdhsa_user_sgpr_dispatch_ptr 0
		.amdhsa_user_sgpr_queue_ptr 0
		.amdhsa_user_sgpr_kernarg_segment_ptr 1
		.amdhsa_user_sgpr_dispatch_id 0
		.amdhsa_user_sgpr_private_segment_size 0
		.amdhsa_wavefront_size32 1
		.amdhsa_uses_dynamic_stack 0
		.amdhsa_enable_private_segment 0
		.amdhsa_system_sgpr_workgroup_id_x 1
		.amdhsa_system_sgpr_workgroup_id_y 0
		.amdhsa_system_sgpr_workgroup_id_z 0
		.amdhsa_system_sgpr_workgroup_info 0
		.amdhsa_system_vgpr_workitem_id 0
		.amdhsa_next_free_vgpr 1
		.amdhsa_next_free_sgpr 1
		.amdhsa_reserve_vcc 0
		.amdhsa_float_round_mode_32 0
		.amdhsa_float_round_mode_16_64 0
		.amdhsa_float_denorm_mode_32 3
		.amdhsa_float_denorm_mode_16_64 3
		.amdhsa_dx10_clamp 1
		.amdhsa_ieee_mode 1
		.amdhsa_fp16_overflow 0
		.amdhsa_workgroup_processor_mode 1
		.amdhsa_memory_ordered 1
		.amdhsa_forward_progress 0
		.amdhsa_shared_vgpr_count 0
		.amdhsa_exception_fp_ieee_invalid_op 0
		.amdhsa_exception_fp_denorm_src 0
		.amdhsa_exception_fp_ieee_div_zero 0
		.amdhsa_exception_fp_ieee_overflow 0
		.amdhsa_exception_fp_ieee_underflow 0
		.amdhsa_exception_fp_ieee_inexact 0
		.amdhsa_exception_int_div_zero 0
	.end_amdhsa_kernel
	.section	.text._ZN7rocprim17ROCPRIM_400000_NS6detail17trampoline_kernelINS0_14default_configENS1_22reduce_config_selectorIN6thrust23THRUST_200600_302600_NS5tupleIblNS6_9null_typeES8_S8_S8_S8_S8_S8_S8_EEEEZNS1_11reduce_implILb1ES3_NS6_12zip_iteratorINS7_INS6_11hip_rocprim26transform_input_iterator_tIbNSD_35transform_pair_of_input_iterators_tIbNS6_6detail15normal_iteratorINS6_10device_ptrIKfEEEESL_NS6_8equal_toIfEEEENSG_9not_fun_tINSD_8identityEEEEENSD_19counting_iterator_tIlEES8_S8_S8_S8_S8_S8_S8_S8_EEEEPS9_S9_NSD_9__find_if7functorIS9_EEEE10hipError_tPvRmT1_T2_T3_mT4_P12ihipStream_tbEUlT_E1_NS1_11comp_targetILNS1_3genE4ELNS1_11target_archE910ELNS1_3gpuE8ELNS1_3repE0EEENS1_30default_config_static_selectorELNS0_4arch9wavefront6targetE0EEEvS14_,"axG",@progbits,_ZN7rocprim17ROCPRIM_400000_NS6detail17trampoline_kernelINS0_14default_configENS1_22reduce_config_selectorIN6thrust23THRUST_200600_302600_NS5tupleIblNS6_9null_typeES8_S8_S8_S8_S8_S8_S8_EEEEZNS1_11reduce_implILb1ES3_NS6_12zip_iteratorINS7_INS6_11hip_rocprim26transform_input_iterator_tIbNSD_35transform_pair_of_input_iterators_tIbNS6_6detail15normal_iteratorINS6_10device_ptrIKfEEEESL_NS6_8equal_toIfEEEENSG_9not_fun_tINSD_8identityEEEEENSD_19counting_iterator_tIlEES8_S8_S8_S8_S8_S8_S8_S8_EEEEPS9_S9_NSD_9__find_if7functorIS9_EEEE10hipError_tPvRmT1_T2_T3_mT4_P12ihipStream_tbEUlT_E1_NS1_11comp_targetILNS1_3genE4ELNS1_11target_archE910ELNS1_3gpuE8ELNS1_3repE0EEENS1_30default_config_static_selectorELNS0_4arch9wavefront6targetE0EEEvS14_,comdat
.Lfunc_end784:
	.size	_ZN7rocprim17ROCPRIM_400000_NS6detail17trampoline_kernelINS0_14default_configENS1_22reduce_config_selectorIN6thrust23THRUST_200600_302600_NS5tupleIblNS6_9null_typeES8_S8_S8_S8_S8_S8_S8_EEEEZNS1_11reduce_implILb1ES3_NS6_12zip_iteratorINS7_INS6_11hip_rocprim26transform_input_iterator_tIbNSD_35transform_pair_of_input_iterators_tIbNS6_6detail15normal_iteratorINS6_10device_ptrIKfEEEESL_NS6_8equal_toIfEEEENSG_9not_fun_tINSD_8identityEEEEENSD_19counting_iterator_tIlEES8_S8_S8_S8_S8_S8_S8_S8_EEEEPS9_S9_NSD_9__find_if7functorIS9_EEEE10hipError_tPvRmT1_T2_T3_mT4_P12ihipStream_tbEUlT_E1_NS1_11comp_targetILNS1_3genE4ELNS1_11target_archE910ELNS1_3gpuE8ELNS1_3repE0EEENS1_30default_config_static_selectorELNS0_4arch9wavefront6targetE0EEEvS14_, .Lfunc_end784-_ZN7rocprim17ROCPRIM_400000_NS6detail17trampoline_kernelINS0_14default_configENS1_22reduce_config_selectorIN6thrust23THRUST_200600_302600_NS5tupleIblNS6_9null_typeES8_S8_S8_S8_S8_S8_S8_EEEEZNS1_11reduce_implILb1ES3_NS6_12zip_iteratorINS7_INS6_11hip_rocprim26transform_input_iterator_tIbNSD_35transform_pair_of_input_iterators_tIbNS6_6detail15normal_iteratorINS6_10device_ptrIKfEEEESL_NS6_8equal_toIfEEEENSG_9not_fun_tINSD_8identityEEEEENSD_19counting_iterator_tIlEES8_S8_S8_S8_S8_S8_S8_S8_EEEEPS9_S9_NSD_9__find_if7functorIS9_EEEE10hipError_tPvRmT1_T2_T3_mT4_P12ihipStream_tbEUlT_E1_NS1_11comp_targetILNS1_3genE4ELNS1_11target_archE910ELNS1_3gpuE8ELNS1_3repE0EEENS1_30default_config_static_selectorELNS0_4arch9wavefront6targetE0EEEvS14_
                                        ; -- End function
	.section	.AMDGPU.csdata,"",@progbits
; Kernel info:
; codeLenInByte = 0
; NumSgprs: 0
; NumVgprs: 0
; ScratchSize: 0
; MemoryBound: 0
; FloatMode: 240
; IeeeMode: 1
; LDSByteSize: 0 bytes/workgroup (compile time only)
; SGPRBlocks: 0
; VGPRBlocks: 0
; NumSGPRsForWavesPerEU: 1
; NumVGPRsForWavesPerEU: 1
; Occupancy: 16
; WaveLimiterHint : 0
; COMPUTE_PGM_RSRC2:SCRATCH_EN: 0
; COMPUTE_PGM_RSRC2:USER_SGPR: 15
; COMPUTE_PGM_RSRC2:TRAP_HANDLER: 0
; COMPUTE_PGM_RSRC2:TGID_X_EN: 1
; COMPUTE_PGM_RSRC2:TGID_Y_EN: 0
; COMPUTE_PGM_RSRC2:TGID_Z_EN: 0
; COMPUTE_PGM_RSRC2:TIDIG_COMP_CNT: 0
	.section	.text._ZN7rocprim17ROCPRIM_400000_NS6detail17trampoline_kernelINS0_14default_configENS1_22reduce_config_selectorIN6thrust23THRUST_200600_302600_NS5tupleIblNS6_9null_typeES8_S8_S8_S8_S8_S8_S8_EEEEZNS1_11reduce_implILb1ES3_NS6_12zip_iteratorINS7_INS6_11hip_rocprim26transform_input_iterator_tIbNSD_35transform_pair_of_input_iterators_tIbNS6_6detail15normal_iteratorINS6_10device_ptrIKfEEEESL_NS6_8equal_toIfEEEENSG_9not_fun_tINSD_8identityEEEEENSD_19counting_iterator_tIlEES8_S8_S8_S8_S8_S8_S8_S8_EEEEPS9_S9_NSD_9__find_if7functorIS9_EEEE10hipError_tPvRmT1_T2_T3_mT4_P12ihipStream_tbEUlT_E1_NS1_11comp_targetILNS1_3genE3ELNS1_11target_archE908ELNS1_3gpuE7ELNS1_3repE0EEENS1_30default_config_static_selectorELNS0_4arch9wavefront6targetE0EEEvS14_,"axG",@progbits,_ZN7rocprim17ROCPRIM_400000_NS6detail17trampoline_kernelINS0_14default_configENS1_22reduce_config_selectorIN6thrust23THRUST_200600_302600_NS5tupleIblNS6_9null_typeES8_S8_S8_S8_S8_S8_S8_EEEEZNS1_11reduce_implILb1ES3_NS6_12zip_iteratorINS7_INS6_11hip_rocprim26transform_input_iterator_tIbNSD_35transform_pair_of_input_iterators_tIbNS6_6detail15normal_iteratorINS6_10device_ptrIKfEEEESL_NS6_8equal_toIfEEEENSG_9not_fun_tINSD_8identityEEEEENSD_19counting_iterator_tIlEES8_S8_S8_S8_S8_S8_S8_S8_EEEEPS9_S9_NSD_9__find_if7functorIS9_EEEE10hipError_tPvRmT1_T2_T3_mT4_P12ihipStream_tbEUlT_E1_NS1_11comp_targetILNS1_3genE3ELNS1_11target_archE908ELNS1_3gpuE7ELNS1_3repE0EEENS1_30default_config_static_selectorELNS0_4arch9wavefront6targetE0EEEvS14_,comdat
	.protected	_ZN7rocprim17ROCPRIM_400000_NS6detail17trampoline_kernelINS0_14default_configENS1_22reduce_config_selectorIN6thrust23THRUST_200600_302600_NS5tupleIblNS6_9null_typeES8_S8_S8_S8_S8_S8_S8_EEEEZNS1_11reduce_implILb1ES3_NS6_12zip_iteratorINS7_INS6_11hip_rocprim26transform_input_iterator_tIbNSD_35transform_pair_of_input_iterators_tIbNS6_6detail15normal_iteratorINS6_10device_ptrIKfEEEESL_NS6_8equal_toIfEEEENSG_9not_fun_tINSD_8identityEEEEENSD_19counting_iterator_tIlEES8_S8_S8_S8_S8_S8_S8_S8_EEEEPS9_S9_NSD_9__find_if7functorIS9_EEEE10hipError_tPvRmT1_T2_T3_mT4_P12ihipStream_tbEUlT_E1_NS1_11comp_targetILNS1_3genE3ELNS1_11target_archE908ELNS1_3gpuE7ELNS1_3repE0EEENS1_30default_config_static_selectorELNS0_4arch9wavefront6targetE0EEEvS14_ ; -- Begin function _ZN7rocprim17ROCPRIM_400000_NS6detail17trampoline_kernelINS0_14default_configENS1_22reduce_config_selectorIN6thrust23THRUST_200600_302600_NS5tupleIblNS6_9null_typeES8_S8_S8_S8_S8_S8_S8_EEEEZNS1_11reduce_implILb1ES3_NS6_12zip_iteratorINS7_INS6_11hip_rocprim26transform_input_iterator_tIbNSD_35transform_pair_of_input_iterators_tIbNS6_6detail15normal_iteratorINS6_10device_ptrIKfEEEESL_NS6_8equal_toIfEEEENSG_9not_fun_tINSD_8identityEEEEENSD_19counting_iterator_tIlEES8_S8_S8_S8_S8_S8_S8_S8_EEEEPS9_S9_NSD_9__find_if7functorIS9_EEEE10hipError_tPvRmT1_T2_T3_mT4_P12ihipStream_tbEUlT_E1_NS1_11comp_targetILNS1_3genE3ELNS1_11target_archE908ELNS1_3gpuE7ELNS1_3repE0EEENS1_30default_config_static_selectorELNS0_4arch9wavefront6targetE0EEEvS14_
	.globl	_ZN7rocprim17ROCPRIM_400000_NS6detail17trampoline_kernelINS0_14default_configENS1_22reduce_config_selectorIN6thrust23THRUST_200600_302600_NS5tupleIblNS6_9null_typeES8_S8_S8_S8_S8_S8_S8_EEEEZNS1_11reduce_implILb1ES3_NS6_12zip_iteratorINS7_INS6_11hip_rocprim26transform_input_iterator_tIbNSD_35transform_pair_of_input_iterators_tIbNS6_6detail15normal_iteratorINS6_10device_ptrIKfEEEESL_NS6_8equal_toIfEEEENSG_9not_fun_tINSD_8identityEEEEENSD_19counting_iterator_tIlEES8_S8_S8_S8_S8_S8_S8_S8_EEEEPS9_S9_NSD_9__find_if7functorIS9_EEEE10hipError_tPvRmT1_T2_T3_mT4_P12ihipStream_tbEUlT_E1_NS1_11comp_targetILNS1_3genE3ELNS1_11target_archE908ELNS1_3gpuE7ELNS1_3repE0EEENS1_30default_config_static_selectorELNS0_4arch9wavefront6targetE0EEEvS14_
	.p2align	8
	.type	_ZN7rocprim17ROCPRIM_400000_NS6detail17trampoline_kernelINS0_14default_configENS1_22reduce_config_selectorIN6thrust23THRUST_200600_302600_NS5tupleIblNS6_9null_typeES8_S8_S8_S8_S8_S8_S8_EEEEZNS1_11reduce_implILb1ES3_NS6_12zip_iteratorINS7_INS6_11hip_rocprim26transform_input_iterator_tIbNSD_35transform_pair_of_input_iterators_tIbNS6_6detail15normal_iteratorINS6_10device_ptrIKfEEEESL_NS6_8equal_toIfEEEENSG_9not_fun_tINSD_8identityEEEEENSD_19counting_iterator_tIlEES8_S8_S8_S8_S8_S8_S8_S8_EEEEPS9_S9_NSD_9__find_if7functorIS9_EEEE10hipError_tPvRmT1_T2_T3_mT4_P12ihipStream_tbEUlT_E1_NS1_11comp_targetILNS1_3genE3ELNS1_11target_archE908ELNS1_3gpuE7ELNS1_3repE0EEENS1_30default_config_static_selectorELNS0_4arch9wavefront6targetE0EEEvS14_,@function
_ZN7rocprim17ROCPRIM_400000_NS6detail17trampoline_kernelINS0_14default_configENS1_22reduce_config_selectorIN6thrust23THRUST_200600_302600_NS5tupleIblNS6_9null_typeES8_S8_S8_S8_S8_S8_S8_EEEEZNS1_11reduce_implILb1ES3_NS6_12zip_iteratorINS7_INS6_11hip_rocprim26transform_input_iterator_tIbNSD_35transform_pair_of_input_iterators_tIbNS6_6detail15normal_iteratorINS6_10device_ptrIKfEEEESL_NS6_8equal_toIfEEEENSG_9not_fun_tINSD_8identityEEEEENSD_19counting_iterator_tIlEES8_S8_S8_S8_S8_S8_S8_S8_EEEEPS9_S9_NSD_9__find_if7functorIS9_EEEE10hipError_tPvRmT1_T2_T3_mT4_P12ihipStream_tbEUlT_E1_NS1_11comp_targetILNS1_3genE3ELNS1_11target_archE908ELNS1_3gpuE7ELNS1_3repE0EEENS1_30default_config_static_selectorELNS0_4arch9wavefront6targetE0EEEvS14_: ; @_ZN7rocprim17ROCPRIM_400000_NS6detail17trampoline_kernelINS0_14default_configENS1_22reduce_config_selectorIN6thrust23THRUST_200600_302600_NS5tupleIblNS6_9null_typeES8_S8_S8_S8_S8_S8_S8_EEEEZNS1_11reduce_implILb1ES3_NS6_12zip_iteratorINS7_INS6_11hip_rocprim26transform_input_iterator_tIbNSD_35transform_pair_of_input_iterators_tIbNS6_6detail15normal_iteratorINS6_10device_ptrIKfEEEESL_NS6_8equal_toIfEEEENSG_9not_fun_tINSD_8identityEEEEENSD_19counting_iterator_tIlEES8_S8_S8_S8_S8_S8_S8_S8_EEEEPS9_S9_NSD_9__find_if7functorIS9_EEEE10hipError_tPvRmT1_T2_T3_mT4_P12ihipStream_tbEUlT_E1_NS1_11comp_targetILNS1_3genE3ELNS1_11target_archE908ELNS1_3gpuE7ELNS1_3repE0EEENS1_30default_config_static_selectorELNS0_4arch9wavefront6targetE0EEEvS14_
; %bb.0:
	.section	.rodata,"a",@progbits
	.p2align	6, 0x0
	.amdhsa_kernel _ZN7rocprim17ROCPRIM_400000_NS6detail17trampoline_kernelINS0_14default_configENS1_22reduce_config_selectorIN6thrust23THRUST_200600_302600_NS5tupleIblNS6_9null_typeES8_S8_S8_S8_S8_S8_S8_EEEEZNS1_11reduce_implILb1ES3_NS6_12zip_iteratorINS7_INS6_11hip_rocprim26transform_input_iterator_tIbNSD_35transform_pair_of_input_iterators_tIbNS6_6detail15normal_iteratorINS6_10device_ptrIKfEEEESL_NS6_8equal_toIfEEEENSG_9not_fun_tINSD_8identityEEEEENSD_19counting_iterator_tIlEES8_S8_S8_S8_S8_S8_S8_S8_EEEEPS9_S9_NSD_9__find_if7functorIS9_EEEE10hipError_tPvRmT1_T2_T3_mT4_P12ihipStream_tbEUlT_E1_NS1_11comp_targetILNS1_3genE3ELNS1_11target_archE908ELNS1_3gpuE7ELNS1_3repE0EEENS1_30default_config_static_selectorELNS0_4arch9wavefront6targetE0EEEvS14_
		.amdhsa_group_segment_fixed_size 0
		.amdhsa_private_segment_fixed_size 0
		.amdhsa_kernarg_size 88
		.amdhsa_user_sgpr_count 15
		.amdhsa_user_sgpr_dispatch_ptr 0
		.amdhsa_user_sgpr_queue_ptr 0
		.amdhsa_user_sgpr_kernarg_segment_ptr 1
		.amdhsa_user_sgpr_dispatch_id 0
		.amdhsa_user_sgpr_private_segment_size 0
		.amdhsa_wavefront_size32 1
		.amdhsa_uses_dynamic_stack 0
		.amdhsa_enable_private_segment 0
		.amdhsa_system_sgpr_workgroup_id_x 1
		.amdhsa_system_sgpr_workgroup_id_y 0
		.amdhsa_system_sgpr_workgroup_id_z 0
		.amdhsa_system_sgpr_workgroup_info 0
		.amdhsa_system_vgpr_workitem_id 0
		.amdhsa_next_free_vgpr 1
		.amdhsa_next_free_sgpr 1
		.amdhsa_reserve_vcc 0
		.amdhsa_float_round_mode_32 0
		.amdhsa_float_round_mode_16_64 0
		.amdhsa_float_denorm_mode_32 3
		.amdhsa_float_denorm_mode_16_64 3
		.amdhsa_dx10_clamp 1
		.amdhsa_ieee_mode 1
		.amdhsa_fp16_overflow 0
		.amdhsa_workgroup_processor_mode 1
		.amdhsa_memory_ordered 1
		.amdhsa_forward_progress 0
		.amdhsa_shared_vgpr_count 0
		.amdhsa_exception_fp_ieee_invalid_op 0
		.amdhsa_exception_fp_denorm_src 0
		.amdhsa_exception_fp_ieee_div_zero 0
		.amdhsa_exception_fp_ieee_overflow 0
		.amdhsa_exception_fp_ieee_underflow 0
		.amdhsa_exception_fp_ieee_inexact 0
		.amdhsa_exception_int_div_zero 0
	.end_amdhsa_kernel
	.section	.text._ZN7rocprim17ROCPRIM_400000_NS6detail17trampoline_kernelINS0_14default_configENS1_22reduce_config_selectorIN6thrust23THRUST_200600_302600_NS5tupleIblNS6_9null_typeES8_S8_S8_S8_S8_S8_S8_EEEEZNS1_11reduce_implILb1ES3_NS6_12zip_iteratorINS7_INS6_11hip_rocprim26transform_input_iterator_tIbNSD_35transform_pair_of_input_iterators_tIbNS6_6detail15normal_iteratorINS6_10device_ptrIKfEEEESL_NS6_8equal_toIfEEEENSG_9not_fun_tINSD_8identityEEEEENSD_19counting_iterator_tIlEES8_S8_S8_S8_S8_S8_S8_S8_EEEEPS9_S9_NSD_9__find_if7functorIS9_EEEE10hipError_tPvRmT1_T2_T3_mT4_P12ihipStream_tbEUlT_E1_NS1_11comp_targetILNS1_3genE3ELNS1_11target_archE908ELNS1_3gpuE7ELNS1_3repE0EEENS1_30default_config_static_selectorELNS0_4arch9wavefront6targetE0EEEvS14_,"axG",@progbits,_ZN7rocprim17ROCPRIM_400000_NS6detail17trampoline_kernelINS0_14default_configENS1_22reduce_config_selectorIN6thrust23THRUST_200600_302600_NS5tupleIblNS6_9null_typeES8_S8_S8_S8_S8_S8_S8_EEEEZNS1_11reduce_implILb1ES3_NS6_12zip_iteratorINS7_INS6_11hip_rocprim26transform_input_iterator_tIbNSD_35transform_pair_of_input_iterators_tIbNS6_6detail15normal_iteratorINS6_10device_ptrIKfEEEESL_NS6_8equal_toIfEEEENSG_9not_fun_tINSD_8identityEEEEENSD_19counting_iterator_tIlEES8_S8_S8_S8_S8_S8_S8_S8_EEEEPS9_S9_NSD_9__find_if7functorIS9_EEEE10hipError_tPvRmT1_T2_T3_mT4_P12ihipStream_tbEUlT_E1_NS1_11comp_targetILNS1_3genE3ELNS1_11target_archE908ELNS1_3gpuE7ELNS1_3repE0EEENS1_30default_config_static_selectorELNS0_4arch9wavefront6targetE0EEEvS14_,comdat
.Lfunc_end785:
	.size	_ZN7rocprim17ROCPRIM_400000_NS6detail17trampoline_kernelINS0_14default_configENS1_22reduce_config_selectorIN6thrust23THRUST_200600_302600_NS5tupleIblNS6_9null_typeES8_S8_S8_S8_S8_S8_S8_EEEEZNS1_11reduce_implILb1ES3_NS6_12zip_iteratorINS7_INS6_11hip_rocprim26transform_input_iterator_tIbNSD_35transform_pair_of_input_iterators_tIbNS6_6detail15normal_iteratorINS6_10device_ptrIKfEEEESL_NS6_8equal_toIfEEEENSG_9not_fun_tINSD_8identityEEEEENSD_19counting_iterator_tIlEES8_S8_S8_S8_S8_S8_S8_S8_EEEEPS9_S9_NSD_9__find_if7functorIS9_EEEE10hipError_tPvRmT1_T2_T3_mT4_P12ihipStream_tbEUlT_E1_NS1_11comp_targetILNS1_3genE3ELNS1_11target_archE908ELNS1_3gpuE7ELNS1_3repE0EEENS1_30default_config_static_selectorELNS0_4arch9wavefront6targetE0EEEvS14_, .Lfunc_end785-_ZN7rocprim17ROCPRIM_400000_NS6detail17trampoline_kernelINS0_14default_configENS1_22reduce_config_selectorIN6thrust23THRUST_200600_302600_NS5tupleIblNS6_9null_typeES8_S8_S8_S8_S8_S8_S8_EEEEZNS1_11reduce_implILb1ES3_NS6_12zip_iteratorINS7_INS6_11hip_rocprim26transform_input_iterator_tIbNSD_35transform_pair_of_input_iterators_tIbNS6_6detail15normal_iteratorINS6_10device_ptrIKfEEEESL_NS6_8equal_toIfEEEENSG_9not_fun_tINSD_8identityEEEEENSD_19counting_iterator_tIlEES8_S8_S8_S8_S8_S8_S8_S8_EEEEPS9_S9_NSD_9__find_if7functorIS9_EEEE10hipError_tPvRmT1_T2_T3_mT4_P12ihipStream_tbEUlT_E1_NS1_11comp_targetILNS1_3genE3ELNS1_11target_archE908ELNS1_3gpuE7ELNS1_3repE0EEENS1_30default_config_static_selectorELNS0_4arch9wavefront6targetE0EEEvS14_
                                        ; -- End function
	.section	.AMDGPU.csdata,"",@progbits
; Kernel info:
; codeLenInByte = 0
; NumSgprs: 0
; NumVgprs: 0
; ScratchSize: 0
; MemoryBound: 0
; FloatMode: 240
; IeeeMode: 1
; LDSByteSize: 0 bytes/workgroup (compile time only)
; SGPRBlocks: 0
; VGPRBlocks: 0
; NumSGPRsForWavesPerEU: 1
; NumVGPRsForWavesPerEU: 1
; Occupancy: 16
; WaveLimiterHint : 0
; COMPUTE_PGM_RSRC2:SCRATCH_EN: 0
; COMPUTE_PGM_RSRC2:USER_SGPR: 15
; COMPUTE_PGM_RSRC2:TRAP_HANDLER: 0
; COMPUTE_PGM_RSRC2:TGID_X_EN: 1
; COMPUTE_PGM_RSRC2:TGID_Y_EN: 0
; COMPUTE_PGM_RSRC2:TGID_Z_EN: 0
; COMPUTE_PGM_RSRC2:TIDIG_COMP_CNT: 0
	.section	.text._ZN7rocprim17ROCPRIM_400000_NS6detail17trampoline_kernelINS0_14default_configENS1_22reduce_config_selectorIN6thrust23THRUST_200600_302600_NS5tupleIblNS6_9null_typeES8_S8_S8_S8_S8_S8_S8_EEEEZNS1_11reduce_implILb1ES3_NS6_12zip_iteratorINS7_INS6_11hip_rocprim26transform_input_iterator_tIbNSD_35transform_pair_of_input_iterators_tIbNS6_6detail15normal_iteratorINS6_10device_ptrIKfEEEESL_NS6_8equal_toIfEEEENSG_9not_fun_tINSD_8identityEEEEENSD_19counting_iterator_tIlEES8_S8_S8_S8_S8_S8_S8_S8_EEEEPS9_S9_NSD_9__find_if7functorIS9_EEEE10hipError_tPvRmT1_T2_T3_mT4_P12ihipStream_tbEUlT_E1_NS1_11comp_targetILNS1_3genE2ELNS1_11target_archE906ELNS1_3gpuE6ELNS1_3repE0EEENS1_30default_config_static_selectorELNS0_4arch9wavefront6targetE0EEEvS14_,"axG",@progbits,_ZN7rocprim17ROCPRIM_400000_NS6detail17trampoline_kernelINS0_14default_configENS1_22reduce_config_selectorIN6thrust23THRUST_200600_302600_NS5tupleIblNS6_9null_typeES8_S8_S8_S8_S8_S8_S8_EEEEZNS1_11reduce_implILb1ES3_NS6_12zip_iteratorINS7_INS6_11hip_rocprim26transform_input_iterator_tIbNSD_35transform_pair_of_input_iterators_tIbNS6_6detail15normal_iteratorINS6_10device_ptrIKfEEEESL_NS6_8equal_toIfEEEENSG_9not_fun_tINSD_8identityEEEEENSD_19counting_iterator_tIlEES8_S8_S8_S8_S8_S8_S8_S8_EEEEPS9_S9_NSD_9__find_if7functorIS9_EEEE10hipError_tPvRmT1_T2_T3_mT4_P12ihipStream_tbEUlT_E1_NS1_11comp_targetILNS1_3genE2ELNS1_11target_archE906ELNS1_3gpuE6ELNS1_3repE0EEENS1_30default_config_static_selectorELNS0_4arch9wavefront6targetE0EEEvS14_,comdat
	.protected	_ZN7rocprim17ROCPRIM_400000_NS6detail17trampoline_kernelINS0_14default_configENS1_22reduce_config_selectorIN6thrust23THRUST_200600_302600_NS5tupleIblNS6_9null_typeES8_S8_S8_S8_S8_S8_S8_EEEEZNS1_11reduce_implILb1ES3_NS6_12zip_iteratorINS7_INS6_11hip_rocprim26transform_input_iterator_tIbNSD_35transform_pair_of_input_iterators_tIbNS6_6detail15normal_iteratorINS6_10device_ptrIKfEEEESL_NS6_8equal_toIfEEEENSG_9not_fun_tINSD_8identityEEEEENSD_19counting_iterator_tIlEES8_S8_S8_S8_S8_S8_S8_S8_EEEEPS9_S9_NSD_9__find_if7functorIS9_EEEE10hipError_tPvRmT1_T2_T3_mT4_P12ihipStream_tbEUlT_E1_NS1_11comp_targetILNS1_3genE2ELNS1_11target_archE906ELNS1_3gpuE6ELNS1_3repE0EEENS1_30default_config_static_selectorELNS0_4arch9wavefront6targetE0EEEvS14_ ; -- Begin function _ZN7rocprim17ROCPRIM_400000_NS6detail17trampoline_kernelINS0_14default_configENS1_22reduce_config_selectorIN6thrust23THRUST_200600_302600_NS5tupleIblNS6_9null_typeES8_S8_S8_S8_S8_S8_S8_EEEEZNS1_11reduce_implILb1ES3_NS6_12zip_iteratorINS7_INS6_11hip_rocprim26transform_input_iterator_tIbNSD_35transform_pair_of_input_iterators_tIbNS6_6detail15normal_iteratorINS6_10device_ptrIKfEEEESL_NS6_8equal_toIfEEEENSG_9not_fun_tINSD_8identityEEEEENSD_19counting_iterator_tIlEES8_S8_S8_S8_S8_S8_S8_S8_EEEEPS9_S9_NSD_9__find_if7functorIS9_EEEE10hipError_tPvRmT1_T2_T3_mT4_P12ihipStream_tbEUlT_E1_NS1_11comp_targetILNS1_3genE2ELNS1_11target_archE906ELNS1_3gpuE6ELNS1_3repE0EEENS1_30default_config_static_selectorELNS0_4arch9wavefront6targetE0EEEvS14_
	.globl	_ZN7rocprim17ROCPRIM_400000_NS6detail17trampoline_kernelINS0_14default_configENS1_22reduce_config_selectorIN6thrust23THRUST_200600_302600_NS5tupleIblNS6_9null_typeES8_S8_S8_S8_S8_S8_S8_EEEEZNS1_11reduce_implILb1ES3_NS6_12zip_iteratorINS7_INS6_11hip_rocprim26transform_input_iterator_tIbNSD_35transform_pair_of_input_iterators_tIbNS6_6detail15normal_iteratorINS6_10device_ptrIKfEEEESL_NS6_8equal_toIfEEEENSG_9not_fun_tINSD_8identityEEEEENSD_19counting_iterator_tIlEES8_S8_S8_S8_S8_S8_S8_S8_EEEEPS9_S9_NSD_9__find_if7functorIS9_EEEE10hipError_tPvRmT1_T2_T3_mT4_P12ihipStream_tbEUlT_E1_NS1_11comp_targetILNS1_3genE2ELNS1_11target_archE906ELNS1_3gpuE6ELNS1_3repE0EEENS1_30default_config_static_selectorELNS0_4arch9wavefront6targetE0EEEvS14_
	.p2align	8
	.type	_ZN7rocprim17ROCPRIM_400000_NS6detail17trampoline_kernelINS0_14default_configENS1_22reduce_config_selectorIN6thrust23THRUST_200600_302600_NS5tupleIblNS6_9null_typeES8_S8_S8_S8_S8_S8_S8_EEEEZNS1_11reduce_implILb1ES3_NS6_12zip_iteratorINS7_INS6_11hip_rocprim26transform_input_iterator_tIbNSD_35transform_pair_of_input_iterators_tIbNS6_6detail15normal_iteratorINS6_10device_ptrIKfEEEESL_NS6_8equal_toIfEEEENSG_9not_fun_tINSD_8identityEEEEENSD_19counting_iterator_tIlEES8_S8_S8_S8_S8_S8_S8_S8_EEEEPS9_S9_NSD_9__find_if7functorIS9_EEEE10hipError_tPvRmT1_T2_T3_mT4_P12ihipStream_tbEUlT_E1_NS1_11comp_targetILNS1_3genE2ELNS1_11target_archE906ELNS1_3gpuE6ELNS1_3repE0EEENS1_30default_config_static_selectorELNS0_4arch9wavefront6targetE0EEEvS14_,@function
_ZN7rocprim17ROCPRIM_400000_NS6detail17trampoline_kernelINS0_14default_configENS1_22reduce_config_selectorIN6thrust23THRUST_200600_302600_NS5tupleIblNS6_9null_typeES8_S8_S8_S8_S8_S8_S8_EEEEZNS1_11reduce_implILb1ES3_NS6_12zip_iteratorINS7_INS6_11hip_rocprim26transform_input_iterator_tIbNSD_35transform_pair_of_input_iterators_tIbNS6_6detail15normal_iteratorINS6_10device_ptrIKfEEEESL_NS6_8equal_toIfEEEENSG_9not_fun_tINSD_8identityEEEEENSD_19counting_iterator_tIlEES8_S8_S8_S8_S8_S8_S8_S8_EEEEPS9_S9_NSD_9__find_if7functorIS9_EEEE10hipError_tPvRmT1_T2_T3_mT4_P12ihipStream_tbEUlT_E1_NS1_11comp_targetILNS1_3genE2ELNS1_11target_archE906ELNS1_3gpuE6ELNS1_3repE0EEENS1_30default_config_static_selectorELNS0_4arch9wavefront6targetE0EEEvS14_: ; @_ZN7rocprim17ROCPRIM_400000_NS6detail17trampoline_kernelINS0_14default_configENS1_22reduce_config_selectorIN6thrust23THRUST_200600_302600_NS5tupleIblNS6_9null_typeES8_S8_S8_S8_S8_S8_S8_EEEEZNS1_11reduce_implILb1ES3_NS6_12zip_iteratorINS7_INS6_11hip_rocprim26transform_input_iterator_tIbNSD_35transform_pair_of_input_iterators_tIbNS6_6detail15normal_iteratorINS6_10device_ptrIKfEEEESL_NS6_8equal_toIfEEEENSG_9not_fun_tINSD_8identityEEEEENSD_19counting_iterator_tIlEES8_S8_S8_S8_S8_S8_S8_S8_EEEEPS9_S9_NSD_9__find_if7functorIS9_EEEE10hipError_tPvRmT1_T2_T3_mT4_P12ihipStream_tbEUlT_E1_NS1_11comp_targetILNS1_3genE2ELNS1_11target_archE906ELNS1_3gpuE6ELNS1_3repE0EEENS1_30default_config_static_selectorELNS0_4arch9wavefront6targetE0EEEvS14_
; %bb.0:
	.section	.rodata,"a",@progbits
	.p2align	6, 0x0
	.amdhsa_kernel _ZN7rocprim17ROCPRIM_400000_NS6detail17trampoline_kernelINS0_14default_configENS1_22reduce_config_selectorIN6thrust23THRUST_200600_302600_NS5tupleIblNS6_9null_typeES8_S8_S8_S8_S8_S8_S8_EEEEZNS1_11reduce_implILb1ES3_NS6_12zip_iteratorINS7_INS6_11hip_rocprim26transform_input_iterator_tIbNSD_35transform_pair_of_input_iterators_tIbNS6_6detail15normal_iteratorINS6_10device_ptrIKfEEEESL_NS6_8equal_toIfEEEENSG_9not_fun_tINSD_8identityEEEEENSD_19counting_iterator_tIlEES8_S8_S8_S8_S8_S8_S8_S8_EEEEPS9_S9_NSD_9__find_if7functorIS9_EEEE10hipError_tPvRmT1_T2_T3_mT4_P12ihipStream_tbEUlT_E1_NS1_11comp_targetILNS1_3genE2ELNS1_11target_archE906ELNS1_3gpuE6ELNS1_3repE0EEENS1_30default_config_static_selectorELNS0_4arch9wavefront6targetE0EEEvS14_
		.amdhsa_group_segment_fixed_size 0
		.amdhsa_private_segment_fixed_size 0
		.amdhsa_kernarg_size 88
		.amdhsa_user_sgpr_count 15
		.amdhsa_user_sgpr_dispatch_ptr 0
		.amdhsa_user_sgpr_queue_ptr 0
		.amdhsa_user_sgpr_kernarg_segment_ptr 1
		.amdhsa_user_sgpr_dispatch_id 0
		.amdhsa_user_sgpr_private_segment_size 0
		.amdhsa_wavefront_size32 1
		.amdhsa_uses_dynamic_stack 0
		.amdhsa_enable_private_segment 0
		.amdhsa_system_sgpr_workgroup_id_x 1
		.amdhsa_system_sgpr_workgroup_id_y 0
		.amdhsa_system_sgpr_workgroup_id_z 0
		.amdhsa_system_sgpr_workgroup_info 0
		.amdhsa_system_vgpr_workitem_id 0
		.amdhsa_next_free_vgpr 1
		.amdhsa_next_free_sgpr 1
		.amdhsa_reserve_vcc 0
		.amdhsa_float_round_mode_32 0
		.amdhsa_float_round_mode_16_64 0
		.amdhsa_float_denorm_mode_32 3
		.amdhsa_float_denorm_mode_16_64 3
		.amdhsa_dx10_clamp 1
		.amdhsa_ieee_mode 1
		.amdhsa_fp16_overflow 0
		.amdhsa_workgroup_processor_mode 1
		.amdhsa_memory_ordered 1
		.amdhsa_forward_progress 0
		.amdhsa_shared_vgpr_count 0
		.amdhsa_exception_fp_ieee_invalid_op 0
		.amdhsa_exception_fp_denorm_src 0
		.amdhsa_exception_fp_ieee_div_zero 0
		.amdhsa_exception_fp_ieee_overflow 0
		.amdhsa_exception_fp_ieee_underflow 0
		.amdhsa_exception_fp_ieee_inexact 0
		.amdhsa_exception_int_div_zero 0
	.end_amdhsa_kernel
	.section	.text._ZN7rocprim17ROCPRIM_400000_NS6detail17trampoline_kernelINS0_14default_configENS1_22reduce_config_selectorIN6thrust23THRUST_200600_302600_NS5tupleIblNS6_9null_typeES8_S8_S8_S8_S8_S8_S8_EEEEZNS1_11reduce_implILb1ES3_NS6_12zip_iteratorINS7_INS6_11hip_rocprim26transform_input_iterator_tIbNSD_35transform_pair_of_input_iterators_tIbNS6_6detail15normal_iteratorINS6_10device_ptrIKfEEEESL_NS6_8equal_toIfEEEENSG_9not_fun_tINSD_8identityEEEEENSD_19counting_iterator_tIlEES8_S8_S8_S8_S8_S8_S8_S8_EEEEPS9_S9_NSD_9__find_if7functorIS9_EEEE10hipError_tPvRmT1_T2_T3_mT4_P12ihipStream_tbEUlT_E1_NS1_11comp_targetILNS1_3genE2ELNS1_11target_archE906ELNS1_3gpuE6ELNS1_3repE0EEENS1_30default_config_static_selectorELNS0_4arch9wavefront6targetE0EEEvS14_,"axG",@progbits,_ZN7rocprim17ROCPRIM_400000_NS6detail17trampoline_kernelINS0_14default_configENS1_22reduce_config_selectorIN6thrust23THRUST_200600_302600_NS5tupleIblNS6_9null_typeES8_S8_S8_S8_S8_S8_S8_EEEEZNS1_11reduce_implILb1ES3_NS6_12zip_iteratorINS7_INS6_11hip_rocprim26transform_input_iterator_tIbNSD_35transform_pair_of_input_iterators_tIbNS6_6detail15normal_iteratorINS6_10device_ptrIKfEEEESL_NS6_8equal_toIfEEEENSG_9not_fun_tINSD_8identityEEEEENSD_19counting_iterator_tIlEES8_S8_S8_S8_S8_S8_S8_S8_EEEEPS9_S9_NSD_9__find_if7functorIS9_EEEE10hipError_tPvRmT1_T2_T3_mT4_P12ihipStream_tbEUlT_E1_NS1_11comp_targetILNS1_3genE2ELNS1_11target_archE906ELNS1_3gpuE6ELNS1_3repE0EEENS1_30default_config_static_selectorELNS0_4arch9wavefront6targetE0EEEvS14_,comdat
.Lfunc_end786:
	.size	_ZN7rocprim17ROCPRIM_400000_NS6detail17trampoline_kernelINS0_14default_configENS1_22reduce_config_selectorIN6thrust23THRUST_200600_302600_NS5tupleIblNS6_9null_typeES8_S8_S8_S8_S8_S8_S8_EEEEZNS1_11reduce_implILb1ES3_NS6_12zip_iteratorINS7_INS6_11hip_rocprim26transform_input_iterator_tIbNSD_35transform_pair_of_input_iterators_tIbNS6_6detail15normal_iteratorINS6_10device_ptrIKfEEEESL_NS6_8equal_toIfEEEENSG_9not_fun_tINSD_8identityEEEEENSD_19counting_iterator_tIlEES8_S8_S8_S8_S8_S8_S8_S8_EEEEPS9_S9_NSD_9__find_if7functorIS9_EEEE10hipError_tPvRmT1_T2_T3_mT4_P12ihipStream_tbEUlT_E1_NS1_11comp_targetILNS1_3genE2ELNS1_11target_archE906ELNS1_3gpuE6ELNS1_3repE0EEENS1_30default_config_static_selectorELNS0_4arch9wavefront6targetE0EEEvS14_, .Lfunc_end786-_ZN7rocprim17ROCPRIM_400000_NS6detail17trampoline_kernelINS0_14default_configENS1_22reduce_config_selectorIN6thrust23THRUST_200600_302600_NS5tupleIblNS6_9null_typeES8_S8_S8_S8_S8_S8_S8_EEEEZNS1_11reduce_implILb1ES3_NS6_12zip_iteratorINS7_INS6_11hip_rocprim26transform_input_iterator_tIbNSD_35transform_pair_of_input_iterators_tIbNS6_6detail15normal_iteratorINS6_10device_ptrIKfEEEESL_NS6_8equal_toIfEEEENSG_9not_fun_tINSD_8identityEEEEENSD_19counting_iterator_tIlEES8_S8_S8_S8_S8_S8_S8_S8_EEEEPS9_S9_NSD_9__find_if7functorIS9_EEEE10hipError_tPvRmT1_T2_T3_mT4_P12ihipStream_tbEUlT_E1_NS1_11comp_targetILNS1_3genE2ELNS1_11target_archE906ELNS1_3gpuE6ELNS1_3repE0EEENS1_30default_config_static_selectorELNS0_4arch9wavefront6targetE0EEEvS14_
                                        ; -- End function
	.section	.AMDGPU.csdata,"",@progbits
; Kernel info:
; codeLenInByte = 0
; NumSgprs: 0
; NumVgprs: 0
; ScratchSize: 0
; MemoryBound: 0
; FloatMode: 240
; IeeeMode: 1
; LDSByteSize: 0 bytes/workgroup (compile time only)
; SGPRBlocks: 0
; VGPRBlocks: 0
; NumSGPRsForWavesPerEU: 1
; NumVGPRsForWavesPerEU: 1
; Occupancy: 16
; WaveLimiterHint : 0
; COMPUTE_PGM_RSRC2:SCRATCH_EN: 0
; COMPUTE_PGM_RSRC2:USER_SGPR: 15
; COMPUTE_PGM_RSRC2:TRAP_HANDLER: 0
; COMPUTE_PGM_RSRC2:TGID_X_EN: 1
; COMPUTE_PGM_RSRC2:TGID_Y_EN: 0
; COMPUTE_PGM_RSRC2:TGID_Z_EN: 0
; COMPUTE_PGM_RSRC2:TIDIG_COMP_CNT: 0
	.section	.text._ZN7rocprim17ROCPRIM_400000_NS6detail17trampoline_kernelINS0_14default_configENS1_22reduce_config_selectorIN6thrust23THRUST_200600_302600_NS5tupleIblNS6_9null_typeES8_S8_S8_S8_S8_S8_S8_EEEEZNS1_11reduce_implILb1ES3_NS6_12zip_iteratorINS7_INS6_11hip_rocprim26transform_input_iterator_tIbNSD_35transform_pair_of_input_iterators_tIbNS6_6detail15normal_iteratorINS6_10device_ptrIKfEEEESL_NS6_8equal_toIfEEEENSG_9not_fun_tINSD_8identityEEEEENSD_19counting_iterator_tIlEES8_S8_S8_S8_S8_S8_S8_S8_EEEEPS9_S9_NSD_9__find_if7functorIS9_EEEE10hipError_tPvRmT1_T2_T3_mT4_P12ihipStream_tbEUlT_E1_NS1_11comp_targetILNS1_3genE10ELNS1_11target_archE1201ELNS1_3gpuE5ELNS1_3repE0EEENS1_30default_config_static_selectorELNS0_4arch9wavefront6targetE0EEEvS14_,"axG",@progbits,_ZN7rocprim17ROCPRIM_400000_NS6detail17trampoline_kernelINS0_14default_configENS1_22reduce_config_selectorIN6thrust23THRUST_200600_302600_NS5tupleIblNS6_9null_typeES8_S8_S8_S8_S8_S8_S8_EEEEZNS1_11reduce_implILb1ES3_NS6_12zip_iteratorINS7_INS6_11hip_rocprim26transform_input_iterator_tIbNSD_35transform_pair_of_input_iterators_tIbNS6_6detail15normal_iteratorINS6_10device_ptrIKfEEEESL_NS6_8equal_toIfEEEENSG_9not_fun_tINSD_8identityEEEEENSD_19counting_iterator_tIlEES8_S8_S8_S8_S8_S8_S8_S8_EEEEPS9_S9_NSD_9__find_if7functorIS9_EEEE10hipError_tPvRmT1_T2_T3_mT4_P12ihipStream_tbEUlT_E1_NS1_11comp_targetILNS1_3genE10ELNS1_11target_archE1201ELNS1_3gpuE5ELNS1_3repE0EEENS1_30default_config_static_selectorELNS0_4arch9wavefront6targetE0EEEvS14_,comdat
	.protected	_ZN7rocprim17ROCPRIM_400000_NS6detail17trampoline_kernelINS0_14default_configENS1_22reduce_config_selectorIN6thrust23THRUST_200600_302600_NS5tupleIblNS6_9null_typeES8_S8_S8_S8_S8_S8_S8_EEEEZNS1_11reduce_implILb1ES3_NS6_12zip_iteratorINS7_INS6_11hip_rocprim26transform_input_iterator_tIbNSD_35transform_pair_of_input_iterators_tIbNS6_6detail15normal_iteratorINS6_10device_ptrIKfEEEESL_NS6_8equal_toIfEEEENSG_9not_fun_tINSD_8identityEEEEENSD_19counting_iterator_tIlEES8_S8_S8_S8_S8_S8_S8_S8_EEEEPS9_S9_NSD_9__find_if7functorIS9_EEEE10hipError_tPvRmT1_T2_T3_mT4_P12ihipStream_tbEUlT_E1_NS1_11comp_targetILNS1_3genE10ELNS1_11target_archE1201ELNS1_3gpuE5ELNS1_3repE0EEENS1_30default_config_static_selectorELNS0_4arch9wavefront6targetE0EEEvS14_ ; -- Begin function _ZN7rocprim17ROCPRIM_400000_NS6detail17trampoline_kernelINS0_14default_configENS1_22reduce_config_selectorIN6thrust23THRUST_200600_302600_NS5tupleIblNS6_9null_typeES8_S8_S8_S8_S8_S8_S8_EEEEZNS1_11reduce_implILb1ES3_NS6_12zip_iteratorINS7_INS6_11hip_rocprim26transform_input_iterator_tIbNSD_35transform_pair_of_input_iterators_tIbNS6_6detail15normal_iteratorINS6_10device_ptrIKfEEEESL_NS6_8equal_toIfEEEENSG_9not_fun_tINSD_8identityEEEEENSD_19counting_iterator_tIlEES8_S8_S8_S8_S8_S8_S8_S8_EEEEPS9_S9_NSD_9__find_if7functorIS9_EEEE10hipError_tPvRmT1_T2_T3_mT4_P12ihipStream_tbEUlT_E1_NS1_11comp_targetILNS1_3genE10ELNS1_11target_archE1201ELNS1_3gpuE5ELNS1_3repE0EEENS1_30default_config_static_selectorELNS0_4arch9wavefront6targetE0EEEvS14_
	.globl	_ZN7rocprim17ROCPRIM_400000_NS6detail17trampoline_kernelINS0_14default_configENS1_22reduce_config_selectorIN6thrust23THRUST_200600_302600_NS5tupleIblNS6_9null_typeES8_S8_S8_S8_S8_S8_S8_EEEEZNS1_11reduce_implILb1ES3_NS6_12zip_iteratorINS7_INS6_11hip_rocprim26transform_input_iterator_tIbNSD_35transform_pair_of_input_iterators_tIbNS6_6detail15normal_iteratorINS6_10device_ptrIKfEEEESL_NS6_8equal_toIfEEEENSG_9not_fun_tINSD_8identityEEEEENSD_19counting_iterator_tIlEES8_S8_S8_S8_S8_S8_S8_S8_EEEEPS9_S9_NSD_9__find_if7functorIS9_EEEE10hipError_tPvRmT1_T2_T3_mT4_P12ihipStream_tbEUlT_E1_NS1_11comp_targetILNS1_3genE10ELNS1_11target_archE1201ELNS1_3gpuE5ELNS1_3repE0EEENS1_30default_config_static_selectorELNS0_4arch9wavefront6targetE0EEEvS14_
	.p2align	8
	.type	_ZN7rocprim17ROCPRIM_400000_NS6detail17trampoline_kernelINS0_14default_configENS1_22reduce_config_selectorIN6thrust23THRUST_200600_302600_NS5tupleIblNS6_9null_typeES8_S8_S8_S8_S8_S8_S8_EEEEZNS1_11reduce_implILb1ES3_NS6_12zip_iteratorINS7_INS6_11hip_rocprim26transform_input_iterator_tIbNSD_35transform_pair_of_input_iterators_tIbNS6_6detail15normal_iteratorINS6_10device_ptrIKfEEEESL_NS6_8equal_toIfEEEENSG_9not_fun_tINSD_8identityEEEEENSD_19counting_iterator_tIlEES8_S8_S8_S8_S8_S8_S8_S8_EEEEPS9_S9_NSD_9__find_if7functorIS9_EEEE10hipError_tPvRmT1_T2_T3_mT4_P12ihipStream_tbEUlT_E1_NS1_11comp_targetILNS1_3genE10ELNS1_11target_archE1201ELNS1_3gpuE5ELNS1_3repE0EEENS1_30default_config_static_selectorELNS0_4arch9wavefront6targetE0EEEvS14_,@function
_ZN7rocprim17ROCPRIM_400000_NS6detail17trampoline_kernelINS0_14default_configENS1_22reduce_config_selectorIN6thrust23THRUST_200600_302600_NS5tupleIblNS6_9null_typeES8_S8_S8_S8_S8_S8_S8_EEEEZNS1_11reduce_implILb1ES3_NS6_12zip_iteratorINS7_INS6_11hip_rocprim26transform_input_iterator_tIbNSD_35transform_pair_of_input_iterators_tIbNS6_6detail15normal_iteratorINS6_10device_ptrIKfEEEESL_NS6_8equal_toIfEEEENSG_9not_fun_tINSD_8identityEEEEENSD_19counting_iterator_tIlEES8_S8_S8_S8_S8_S8_S8_S8_EEEEPS9_S9_NSD_9__find_if7functorIS9_EEEE10hipError_tPvRmT1_T2_T3_mT4_P12ihipStream_tbEUlT_E1_NS1_11comp_targetILNS1_3genE10ELNS1_11target_archE1201ELNS1_3gpuE5ELNS1_3repE0EEENS1_30default_config_static_selectorELNS0_4arch9wavefront6targetE0EEEvS14_: ; @_ZN7rocprim17ROCPRIM_400000_NS6detail17trampoline_kernelINS0_14default_configENS1_22reduce_config_selectorIN6thrust23THRUST_200600_302600_NS5tupleIblNS6_9null_typeES8_S8_S8_S8_S8_S8_S8_EEEEZNS1_11reduce_implILb1ES3_NS6_12zip_iteratorINS7_INS6_11hip_rocprim26transform_input_iterator_tIbNSD_35transform_pair_of_input_iterators_tIbNS6_6detail15normal_iteratorINS6_10device_ptrIKfEEEESL_NS6_8equal_toIfEEEENSG_9not_fun_tINSD_8identityEEEEENSD_19counting_iterator_tIlEES8_S8_S8_S8_S8_S8_S8_S8_EEEEPS9_S9_NSD_9__find_if7functorIS9_EEEE10hipError_tPvRmT1_T2_T3_mT4_P12ihipStream_tbEUlT_E1_NS1_11comp_targetILNS1_3genE10ELNS1_11target_archE1201ELNS1_3gpuE5ELNS1_3repE0EEENS1_30default_config_static_selectorELNS0_4arch9wavefront6targetE0EEEvS14_
; %bb.0:
	.section	.rodata,"a",@progbits
	.p2align	6, 0x0
	.amdhsa_kernel _ZN7rocprim17ROCPRIM_400000_NS6detail17trampoline_kernelINS0_14default_configENS1_22reduce_config_selectorIN6thrust23THRUST_200600_302600_NS5tupleIblNS6_9null_typeES8_S8_S8_S8_S8_S8_S8_EEEEZNS1_11reduce_implILb1ES3_NS6_12zip_iteratorINS7_INS6_11hip_rocprim26transform_input_iterator_tIbNSD_35transform_pair_of_input_iterators_tIbNS6_6detail15normal_iteratorINS6_10device_ptrIKfEEEESL_NS6_8equal_toIfEEEENSG_9not_fun_tINSD_8identityEEEEENSD_19counting_iterator_tIlEES8_S8_S8_S8_S8_S8_S8_S8_EEEEPS9_S9_NSD_9__find_if7functorIS9_EEEE10hipError_tPvRmT1_T2_T3_mT4_P12ihipStream_tbEUlT_E1_NS1_11comp_targetILNS1_3genE10ELNS1_11target_archE1201ELNS1_3gpuE5ELNS1_3repE0EEENS1_30default_config_static_selectorELNS0_4arch9wavefront6targetE0EEEvS14_
		.amdhsa_group_segment_fixed_size 0
		.amdhsa_private_segment_fixed_size 0
		.amdhsa_kernarg_size 88
		.amdhsa_user_sgpr_count 15
		.amdhsa_user_sgpr_dispatch_ptr 0
		.amdhsa_user_sgpr_queue_ptr 0
		.amdhsa_user_sgpr_kernarg_segment_ptr 1
		.amdhsa_user_sgpr_dispatch_id 0
		.amdhsa_user_sgpr_private_segment_size 0
		.amdhsa_wavefront_size32 1
		.amdhsa_uses_dynamic_stack 0
		.amdhsa_enable_private_segment 0
		.amdhsa_system_sgpr_workgroup_id_x 1
		.amdhsa_system_sgpr_workgroup_id_y 0
		.amdhsa_system_sgpr_workgroup_id_z 0
		.amdhsa_system_sgpr_workgroup_info 0
		.amdhsa_system_vgpr_workitem_id 0
		.amdhsa_next_free_vgpr 1
		.amdhsa_next_free_sgpr 1
		.amdhsa_reserve_vcc 0
		.amdhsa_float_round_mode_32 0
		.amdhsa_float_round_mode_16_64 0
		.amdhsa_float_denorm_mode_32 3
		.amdhsa_float_denorm_mode_16_64 3
		.amdhsa_dx10_clamp 1
		.amdhsa_ieee_mode 1
		.amdhsa_fp16_overflow 0
		.amdhsa_workgroup_processor_mode 1
		.amdhsa_memory_ordered 1
		.amdhsa_forward_progress 0
		.amdhsa_shared_vgpr_count 0
		.amdhsa_exception_fp_ieee_invalid_op 0
		.amdhsa_exception_fp_denorm_src 0
		.amdhsa_exception_fp_ieee_div_zero 0
		.amdhsa_exception_fp_ieee_overflow 0
		.amdhsa_exception_fp_ieee_underflow 0
		.amdhsa_exception_fp_ieee_inexact 0
		.amdhsa_exception_int_div_zero 0
	.end_amdhsa_kernel
	.section	.text._ZN7rocprim17ROCPRIM_400000_NS6detail17trampoline_kernelINS0_14default_configENS1_22reduce_config_selectorIN6thrust23THRUST_200600_302600_NS5tupleIblNS6_9null_typeES8_S8_S8_S8_S8_S8_S8_EEEEZNS1_11reduce_implILb1ES3_NS6_12zip_iteratorINS7_INS6_11hip_rocprim26transform_input_iterator_tIbNSD_35transform_pair_of_input_iterators_tIbNS6_6detail15normal_iteratorINS6_10device_ptrIKfEEEESL_NS6_8equal_toIfEEEENSG_9not_fun_tINSD_8identityEEEEENSD_19counting_iterator_tIlEES8_S8_S8_S8_S8_S8_S8_S8_EEEEPS9_S9_NSD_9__find_if7functorIS9_EEEE10hipError_tPvRmT1_T2_T3_mT4_P12ihipStream_tbEUlT_E1_NS1_11comp_targetILNS1_3genE10ELNS1_11target_archE1201ELNS1_3gpuE5ELNS1_3repE0EEENS1_30default_config_static_selectorELNS0_4arch9wavefront6targetE0EEEvS14_,"axG",@progbits,_ZN7rocprim17ROCPRIM_400000_NS6detail17trampoline_kernelINS0_14default_configENS1_22reduce_config_selectorIN6thrust23THRUST_200600_302600_NS5tupleIblNS6_9null_typeES8_S8_S8_S8_S8_S8_S8_EEEEZNS1_11reduce_implILb1ES3_NS6_12zip_iteratorINS7_INS6_11hip_rocprim26transform_input_iterator_tIbNSD_35transform_pair_of_input_iterators_tIbNS6_6detail15normal_iteratorINS6_10device_ptrIKfEEEESL_NS6_8equal_toIfEEEENSG_9not_fun_tINSD_8identityEEEEENSD_19counting_iterator_tIlEES8_S8_S8_S8_S8_S8_S8_S8_EEEEPS9_S9_NSD_9__find_if7functorIS9_EEEE10hipError_tPvRmT1_T2_T3_mT4_P12ihipStream_tbEUlT_E1_NS1_11comp_targetILNS1_3genE10ELNS1_11target_archE1201ELNS1_3gpuE5ELNS1_3repE0EEENS1_30default_config_static_selectorELNS0_4arch9wavefront6targetE0EEEvS14_,comdat
.Lfunc_end787:
	.size	_ZN7rocprim17ROCPRIM_400000_NS6detail17trampoline_kernelINS0_14default_configENS1_22reduce_config_selectorIN6thrust23THRUST_200600_302600_NS5tupleIblNS6_9null_typeES8_S8_S8_S8_S8_S8_S8_EEEEZNS1_11reduce_implILb1ES3_NS6_12zip_iteratorINS7_INS6_11hip_rocprim26transform_input_iterator_tIbNSD_35transform_pair_of_input_iterators_tIbNS6_6detail15normal_iteratorINS6_10device_ptrIKfEEEESL_NS6_8equal_toIfEEEENSG_9not_fun_tINSD_8identityEEEEENSD_19counting_iterator_tIlEES8_S8_S8_S8_S8_S8_S8_S8_EEEEPS9_S9_NSD_9__find_if7functorIS9_EEEE10hipError_tPvRmT1_T2_T3_mT4_P12ihipStream_tbEUlT_E1_NS1_11comp_targetILNS1_3genE10ELNS1_11target_archE1201ELNS1_3gpuE5ELNS1_3repE0EEENS1_30default_config_static_selectorELNS0_4arch9wavefront6targetE0EEEvS14_, .Lfunc_end787-_ZN7rocprim17ROCPRIM_400000_NS6detail17trampoline_kernelINS0_14default_configENS1_22reduce_config_selectorIN6thrust23THRUST_200600_302600_NS5tupleIblNS6_9null_typeES8_S8_S8_S8_S8_S8_S8_EEEEZNS1_11reduce_implILb1ES3_NS6_12zip_iteratorINS7_INS6_11hip_rocprim26transform_input_iterator_tIbNSD_35transform_pair_of_input_iterators_tIbNS6_6detail15normal_iteratorINS6_10device_ptrIKfEEEESL_NS6_8equal_toIfEEEENSG_9not_fun_tINSD_8identityEEEEENSD_19counting_iterator_tIlEES8_S8_S8_S8_S8_S8_S8_S8_EEEEPS9_S9_NSD_9__find_if7functorIS9_EEEE10hipError_tPvRmT1_T2_T3_mT4_P12ihipStream_tbEUlT_E1_NS1_11comp_targetILNS1_3genE10ELNS1_11target_archE1201ELNS1_3gpuE5ELNS1_3repE0EEENS1_30default_config_static_selectorELNS0_4arch9wavefront6targetE0EEEvS14_
                                        ; -- End function
	.section	.AMDGPU.csdata,"",@progbits
; Kernel info:
; codeLenInByte = 0
; NumSgprs: 0
; NumVgprs: 0
; ScratchSize: 0
; MemoryBound: 0
; FloatMode: 240
; IeeeMode: 1
; LDSByteSize: 0 bytes/workgroup (compile time only)
; SGPRBlocks: 0
; VGPRBlocks: 0
; NumSGPRsForWavesPerEU: 1
; NumVGPRsForWavesPerEU: 1
; Occupancy: 16
; WaveLimiterHint : 0
; COMPUTE_PGM_RSRC2:SCRATCH_EN: 0
; COMPUTE_PGM_RSRC2:USER_SGPR: 15
; COMPUTE_PGM_RSRC2:TRAP_HANDLER: 0
; COMPUTE_PGM_RSRC2:TGID_X_EN: 1
; COMPUTE_PGM_RSRC2:TGID_Y_EN: 0
; COMPUTE_PGM_RSRC2:TGID_Z_EN: 0
; COMPUTE_PGM_RSRC2:TIDIG_COMP_CNT: 0
	.section	.text._ZN7rocprim17ROCPRIM_400000_NS6detail17trampoline_kernelINS0_14default_configENS1_22reduce_config_selectorIN6thrust23THRUST_200600_302600_NS5tupleIblNS6_9null_typeES8_S8_S8_S8_S8_S8_S8_EEEEZNS1_11reduce_implILb1ES3_NS6_12zip_iteratorINS7_INS6_11hip_rocprim26transform_input_iterator_tIbNSD_35transform_pair_of_input_iterators_tIbNS6_6detail15normal_iteratorINS6_10device_ptrIKfEEEESL_NS6_8equal_toIfEEEENSG_9not_fun_tINSD_8identityEEEEENSD_19counting_iterator_tIlEES8_S8_S8_S8_S8_S8_S8_S8_EEEEPS9_S9_NSD_9__find_if7functorIS9_EEEE10hipError_tPvRmT1_T2_T3_mT4_P12ihipStream_tbEUlT_E1_NS1_11comp_targetILNS1_3genE10ELNS1_11target_archE1200ELNS1_3gpuE4ELNS1_3repE0EEENS1_30default_config_static_selectorELNS0_4arch9wavefront6targetE0EEEvS14_,"axG",@progbits,_ZN7rocprim17ROCPRIM_400000_NS6detail17trampoline_kernelINS0_14default_configENS1_22reduce_config_selectorIN6thrust23THRUST_200600_302600_NS5tupleIblNS6_9null_typeES8_S8_S8_S8_S8_S8_S8_EEEEZNS1_11reduce_implILb1ES3_NS6_12zip_iteratorINS7_INS6_11hip_rocprim26transform_input_iterator_tIbNSD_35transform_pair_of_input_iterators_tIbNS6_6detail15normal_iteratorINS6_10device_ptrIKfEEEESL_NS6_8equal_toIfEEEENSG_9not_fun_tINSD_8identityEEEEENSD_19counting_iterator_tIlEES8_S8_S8_S8_S8_S8_S8_S8_EEEEPS9_S9_NSD_9__find_if7functorIS9_EEEE10hipError_tPvRmT1_T2_T3_mT4_P12ihipStream_tbEUlT_E1_NS1_11comp_targetILNS1_3genE10ELNS1_11target_archE1200ELNS1_3gpuE4ELNS1_3repE0EEENS1_30default_config_static_selectorELNS0_4arch9wavefront6targetE0EEEvS14_,comdat
	.protected	_ZN7rocprim17ROCPRIM_400000_NS6detail17trampoline_kernelINS0_14default_configENS1_22reduce_config_selectorIN6thrust23THRUST_200600_302600_NS5tupleIblNS6_9null_typeES8_S8_S8_S8_S8_S8_S8_EEEEZNS1_11reduce_implILb1ES3_NS6_12zip_iteratorINS7_INS6_11hip_rocprim26transform_input_iterator_tIbNSD_35transform_pair_of_input_iterators_tIbNS6_6detail15normal_iteratorINS6_10device_ptrIKfEEEESL_NS6_8equal_toIfEEEENSG_9not_fun_tINSD_8identityEEEEENSD_19counting_iterator_tIlEES8_S8_S8_S8_S8_S8_S8_S8_EEEEPS9_S9_NSD_9__find_if7functorIS9_EEEE10hipError_tPvRmT1_T2_T3_mT4_P12ihipStream_tbEUlT_E1_NS1_11comp_targetILNS1_3genE10ELNS1_11target_archE1200ELNS1_3gpuE4ELNS1_3repE0EEENS1_30default_config_static_selectorELNS0_4arch9wavefront6targetE0EEEvS14_ ; -- Begin function _ZN7rocprim17ROCPRIM_400000_NS6detail17trampoline_kernelINS0_14default_configENS1_22reduce_config_selectorIN6thrust23THRUST_200600_302600_NS5tupleIblNS6_9null_typeES8_S8_S8_S8_S8_S8_S8_EEEEZNS1_11reduce_implILb1ES3_NS6_12zip_iteratorINS7_INS6_11hip_rocprim26transform_input_iterator_tIbNSD_35transform_pair_of_input_iterators_tIbNS6_6detail15normal_iteratorINS6_10device_ptrIKfEEEESL_NS6_8equal_toIfEEEENSG_9not_fun_tINSD_8identityEEEEENSD_19counting_iterator_tIlEES8_S8_S8_S8_S8_S8_S8_S8_EEEEPS9_S9_NSD_9__find_if7functorIS9_EEEE10hipError_tPvRmT1_T2_T3_mT4_P12ihipStream_tbEUlT_E1_NS1_11comp_targetILNS1_3genE10ELNS1_11target_archE1200ELNS1_3gpuE4ELNS1_3repE0EEENS1_30default_config_static_selectorELNS0_4arch9wavefront6targetE0EEEvS14_
	.globl	_ZN7rocprim17ROCPRIM_400000_NS6detail17trampoline_kernelINS0_14default_configENS1_22reduce_config_selectorIN6thrust23THRUST_200600_302600_NS5tupleIblNS6_9null_typeES8_S8_S8_S8_S8_S8_S8_EEEEZNS1_11reduce_implILb1ES3_NS6_12zip_iteratorINS7_INS6_11hip_rocprim26transform_input_iterator_tIbNSD_35transform_pair_of_input_iterators_tIbNS6_6detail15normal_iteratorINS6_10device_ptrIKfEEEESL_NS6_8equal_toIfEEEENSG_9not_fun_tINSD_8identityEEEEENSD_19counting_iterator_tIlEES8_S8_S8_S8_S8_S8_S8_S8_EEEEPS9_S9_NSD_9__find_if7functorIS9_EEEE10hipError_tPvRmT1_T2_T3_mT4_P12ihipStream_tbEUlT_E1_NS1_11comp_targetILNS1_3genE10ELNS1_11target_archE1200ELNS1_3gpuE4ELNS1_3repE0EEENS1_30default_config_static_selectorELNS0_4arch9wavefront6targetE0EEEvS14_
	.p2align	8
	.type	_ZN7rocprim17ROCPRIM_400000_NS6detail17trampoline_kernelINS0_14default_configENS1_22reduce_config_selectorIN6thrust23THRUST_200600_302600_NS5tupleIblNS6_9null_typeES8_S8_S8_S8_S8_S8_S8_EEEEZNS1_11reduce_implILb1ES3_NS6_12zip_iteratorINS7_INS6_11hip_rocprim26transform_input_iterator_tIbNSD_35transform_pair_of_input_iterators_tIbNS6_6detail15normal_iteratorINS6_10device_ptrIKfEEEESL_NS6_8equal_toIfEEEENSG_9not_fun_tINSD_8identityEEEEENSD_19counting_iterator_tIlEES8_S8_S8_S8_S8_S8_S8_S8_EEEEPS9_S9_NSD_9__find_if7functorIS9_EEEE10hipError_tPvRmT1_T2_T3_mT4_P12ihipStream_tbEUlT_E1_NS1_11comp_targetILNS1_3genE10ELNS1_11target_archE1200ELNS1_3gpuE4ELNS1_3repE0EEENS1_30default_config_static_selectorELNS0_4arch9wavefront6targetE0EEEvS14_,@function
_ZN7rocprim17ROCPRIM_400000_NS6detail17trampoline_kernelINS0_14default_configENS1_22reduce_config_selectorIN6thrust23THRUST_200600_302600_NS5tupleIblNS6_9null_typeES8_S8_S8_S8_S8_S8_S8_EEEEZNS1_11reduce_implILb1ES3_NS6_12zip_iteratorINS7_INS6_11hip_rocprim26transform_input_iterator_tIbNSD_35transform_pair_of_input_iterators_tIbNS6_6detail15normal_iteratorINS6_10device_ptrIKfEEEESL_NS6_8equal_toIfEEEENSG_9not_fun_tINSD_8identityEEEEENSD_19counting_iterator_tIlEES8_S8_S8_S8_S8_S8_S8_S8_EEEEPS9_S9_NSD_9__find_if7functorIS9_EEEE10hipError_tPvRmT1_T2_T3_mT4_P12ihipStream_tbEUlT_E1_NS1_11comp_targetILNS1_3genE10ELNS1_11target_archE1200ELNS1_3gpuE4ELNS1_3repE0EEENS1_30default_config_static_selectorELNS0_4arch9wavefront6targetE0EEEvS14_: ; @_ZN7rocprim17ROCPRIM_400000_NS6detail17trampoline_kernelINS0_14default_configENS1_22reduce_config_selectorIN6thrust23THRUST_200600_302600_NS5tupleIblNS6_9null_typeES8_S8_S8_S8_S8_S8_S8_EEEEZNS1_11reduce_implILb1ES3_NS6_12zip_iteratorINS7_INS6_11hip_rocprim26transform_input_iterator_tIbNSD_35transform_pair_of_input_iterators_tIbNS6_6detail15normal_iteratorINS6_10device_ptrIKfEEEESL_NS6_8equal_toIfEEEENSG_9not_fun_tINSD_8identityEEEEENSD_19counting_iterator_tIlEES8_S8_S8_S8_S8_S8_S8_S8_EEEEPS9_S9_NSD_9__find_if7functorIS9_EEEE10hipError_tPvRmT1_T2_T3_mT4_P12ihipStream_tbEUlT_E1_NS1_11comp_targetILNS1_3genE10ELNS1_11target_archE1200ELNS1_3gpuE4ELNS1_3repE0EEENS1_30default_config_static_selectorELNS0_4arch9wavefront6targetE0EEEvS14_
; %bb.0:
	.section	.rodata,"a",@progbits
	.p2align	6, 0x0
	.amdhsa_kernel _ZN7rocprim17ROCPRIM_400000_NS6detail17trampoline_kernelINS0_14default_configENS1_22reduce_config_selectorIN6thrust23THRUST_200600_302600_NS5tupleIblNS6_9null_typeES8_S8_S8_S8_S8_S8_S8_EEEEZNS1_11reduce_implILb1ES3_NS6_12zip_iteratorINS7_INS6_11hip_rocprim26transform_input_iterator_tIbNSD_35transform_pair_of_input_iterators_tIbNS6_6detail15normal_iteratorINS6_10device_ptrIKfEEEESL_NS6_8equal_toIfEEEENSG_9not_fun_tINSD_8identityEEEEENSD_19counting_iterator_tIlEES8_S8_S8_S8_S8_S8_S8_S8_EEEEPS9_S9_NSD_9__find_if7functorIS9_EEEE10hipError_tPvRmT1_T2_T3_mT4_P12ihipStream_tbEUlT_E1_NS1_11comp_targetILNS1_3genE10ELNS1_11target_archE1200ELNS1_3gpuE4ELNS1_3repE0EEENS1_30default_config_static_selectorELNS0_4arch9wavefront6targetE0EEEvS14_
		.amdhsa_group_segment_fixed_size 0
		.amdhsa_private_segment_fixed_size 0
		.amdhsa_kernarg_size 88
		.amdhsa_user_sgpr_count 15
		.amdhsa_user_sgpr_dispatch_ptr 0
		.amdhsa_user_sgpr_queue_ptr 0
		.amdhsa_user_sgpr_kernarg_segment_ptr 1
		.amdhsa_user_sgpr_dispatch_id 0
		.amdhsa_user_sgpr_private_segment_size 0
		.amdhsa_wavefront_size32 1
		.amdhsa_uses_dynamic_stack 0
		.amdhsa_enable_private_segment 0
		.amdhsa_system_sgpr_workgroup_id_x 1
		.amdhsa_system_sgpr_workgroup_id_y 0
		.amdhsa_system_sgpr_workgroup_id_z 0
		.amdhsa_system_sgpr_workgroup_info 0
		.amdhsa_system_vgpr_workitem_id 0
		.amdhsa_next_free_vgpr 1
		.amdhsa_next_free_sgpr 1
		.amdhsa_reserve_vcc 0
		.amdhsa_float_round_mode_32 0
		.amdhsa_float_round_mode_16_64 0
		.amdhsa_float_denorm_mode_32 3
		.amdhsa_float_denorm_mode_16_64 3
		.amdhsa_dx10_clamp 1
		.amdhsa_ieee_mode 1
		.amdhsa_fp16_overflow 0
		.amdhsa_workgroup_processor_mode 1
		.amdhsa_memory_ordered 1
		.amdhsa_forward_progress 0
		.amdhsa_shared_vgpr_count 0
		.amdhsa_exception_fp_ieee_invalid_op 0
		.amdhsa_exception_fp_denorm_src 0
		.amdhsa_exception_fp_ieee_div_zero 0
		.amdhsa_exception_fp_ieee_overflow 0
		.amdhsa_exception_fp_ieee_underflow 0
		.amdhsa_exception_fp_ieee_inexact 0
		.amdhsa_exception_int_div_zero 0
	.end_amdhsa_kernel
	.section	.text._ZN7rocprim17ROCPRIM_400000_NS6detail17trampoline_kernelINS0_14default_configENS1_22reduce_config_selectorIN6thrust23THRUST_200600_302600_NS5tupleIblNS6_9null_typeES8_S8_S8_S8_S8_S8_S8_EEEEZNS1_11reduce_implILb1ES3_NS6_12zip_iteratorINS7_INS6_11hip_rocprim26transform_input_iterator_tIbNSD_35transform_pair_of_input_iterators_tIbNS6_6detail15normal_iteratorINS6_10device_ptrIKfEEEESL_NS6_8equal_toIfEEEENSG_9not_fun_tINSD_8identityEEEEENSD_19counting_iterator_tIlEES8_S8_S8_S8_S8_S8_S8_S8_EEEEPS9_S9_NSD_9__find_if7functorIS9_EEEE10hipError_tPvRmT1_T2_T3_mT4_P12ihipStream_tbEUlT_E1_NS1_11comp_targetILNS1_3genE10ELNS1_11target_archE1200ELNS1_3gpuE4ELNS1_3repE0EEENS1_30default_config_static_selectorELNS0_4arch9wavefront6targetE0EEEvS14_,"axG",@progbits,_ZN7rocprim17ROCPRIM_400000_NS6detail17trampoline_kernelINS0_14default_configENS1_22reduce_config_selectorIN6thrust23THRUST_200600_302600_NS5tupleIblNS6_9null_typeES8_S8_S8_S8_S8_S8_S8_EEEEZNS1_11reduce_implILb1ES3_NS6_12zip_iteratorINS7_INS6_11hip_rocprim26transform_input_iterator_tIbNSD_35transform_pair_of_input_iterators_tIbNS6_6detail15normal_iteratorINS6_10device_ptrIKfEEEESL_NS6_8equal_toIfEEEENSG_9not_fun_tINSD_8identityEEEEENSD_19counting_iterator_tIlEES8_S8_S8_S8_S8_S8_S8_S8_EEEEPS9_S9_NSD_9__find_if7functorIS9_EEEE10hipError_tPvRmT1_T2_T3_mT4_P12ihipStream_tbEUlT_E1_NS1_11comp_targetILNS1_3genE10ELNS1_11target_archE1200ELNS1_3gpuE4ELNS1_3repE0EEENS1_30default_config_static_selectorELNS0_4arch9wavefront6targetE0EEEvS14_,comdat
.Lfunc_end788:
	.size	_ZN7rocprim17ROCPRIM_400000_NS6detail17trampoline_kernelINS0_14default_configENS1_22reduce_config_selectorIN6thrust23THRUST_200600_302600_NS5tupleIblNS6_9null_typeES8_S8_S8_S8_S8_S8_S8_EEEEZNS1_11reduce_implILb1ES3_NS6_12zip_iteratorINS7_INS6_11hip_rocprim26transform_input_iterator_tIbNSD_35transform_pair_of_input_iterators_tIbNS6_6detail15normal_iteratorINS6_10device_ptrIKfEEEESL_NS6_8equal_toIfEEEENSG_9not_fun_tINSD_8identityEEEEENSD_19counting_iterator_tIlEES8_S8_S8_S8_S8_S8_S8_S8_EEEEPS9_S9_NSD_9__find_if7functorIS9_EEEE10hipError_tPvRmT1_T2_T3_mT4_P12ihipStream_tbEUlT_E1_NS1_11comp_targetILNS1_3genE10ELNS1_11target_archE1200ELNS1_3gpuE4ELNS1_3repE0EEENS1_30default_config_static_selectorELNS0_4arch9wavefront6targetE0EEEvS14_, .Lfunc_end788-_ZN7rocprim17ROCPRIM_400000_NS6detail17trampoline_kernelINS0_14default_configENS1_22reduce_config_selectorIN6thrust23THRUST_200600_302600_NS5tupleIblNS6_9null_typeES8_S8_S8_S8_S8_S8_S8_EEEEZNS1_11reduce_implILb1ES3_NS6_12zip_iteratorINS7_INS6_11hip_rocprim26transform_input_iterator_tIbNSD_35transform_pair_of_input_iterators_tIbNS6_6detail15normal_iteratorINS6_10device_ptrIKfEEEESL_NS6_8equal_toIfEEEENSG_9not_fun_tINSD_8identityEEEEENSD_19counting_iterator_tIlEES8_S8_S8_S8_S8_S8_S8_S8_EEEEPS9_S9_NSD_9__find_if7functorIS9_EEEE10hipError_tPvRmT1_T2_T3_mT4_P12ihipStream_tbEUlT_E1_NS1_11comp_targetILNS1_3genE10ELNS1_11target_archE1200ELNS1_3gpuE4ELNS1_3repE0EEENS1_30default_config_static_selectorELNS0_4arch9wavefront6targetE0EEEvS14_
                                        ; -- End function
	.section	.AMDGPU.csdata,"",@progbits
; Kernel info:
; codeLenInByte = 0
; NumSgprs: 0
; NumVgprs: 0
; ScratchSize: 0
; MemoryBound: 0
; FloatMode: 240
; IeeeMode: 1
; LDSByteSize: 0 bytes/workgroup (compile time only)
; SGPRBlocks: 0
; VGPRBlocks: 0
; NumSGPRsForWavesPerEU: 1
; NumVGPRsForWavesPerEU: 1
; Occupancy: 16
; WaveLimiterHint : 0
; COMPUTE_PGM_RSRC2:SCRATCH_EN: 0
; COMPUTE_PGM_RSRC2:USER_SGPR: 15
; COMPUTE_PGM_RSRC2:TRAP_HANDLER: 0
; COMPUTE_PGM_RSRC2:TGID_X_EN: 1
; COMPUTE_PGM_RSRC2:TGID_Y_EN: 0
; COMPUTE_PGM_RSRC2:TGID_Z_EN: 0
; COMPUTE_PGM_RSRC2:TIDIG_COMP_CNT: 0
	.section	.text._ZN7rocprim17ROCPRIM_400000_NS6detail17trampoline_kernelINS0_14default_configENS1_22reduce_config_selectorIN6thrust23THRUST_200600_302600_NS5tupleIblNS6_9null_typeES8_S8_S8_S8_S8_S8_S8_EEEEZNS1_11reduce_implILb1ES3_NS6_12zip_iteratorINS7_INS6_11hip_rocprim26transform_input_iterator_tIbNSD_35transform_pair_of_input_iterators_tIbNS6_6detail15normal_iteratorINS6_10device_ptrIKfEEEESL_NS6_8equal_toIfEEEENSG_9not_fun_tINSD_8identityEEEEENSD_19counting_iterator_tIlEES8_S8_S8_S8_S8_S8_S8_S8_EEEEPS9_S9_NSD_9__find_if7functorIS9_EEEE10hipError_tPvRmT1_T2_T3_mT4_P12ihipStream_tbEUlT_E1_NS1_11comp_targetILNS1_3genE9ELNS1_11target_archE1100ELNS1_3gpuE3ELNS1_3repE0EEENS1_30default_config_static_selectorELNS0_4arch9wavefront6targetE0EEEvS14_,"axG",@progbits,_ZN7rocprim17ROCPRIM_400000_NS6detail17trampoline_kernelINS0_14default_configENS1_22reduce_config_selectorIN6thrust23THRUST_200600_302600_NS5tupleIblNS6_9null_typeES8_S8_S8_S8_S8_S8_S8_EEEEZNS1_11reduce_implILb1ES3_NS6_12zip_iteratorINS7_INS6_11hip_rocprim26transform_input_iterator_tIbNSD_35transform_pair_of_input_iterators_tIbNS6_6detail15normal_iteratorINS6_10device_ptrIKfEEEESL_NS6_8equal_toIfEEEENSG_9not_fun_tINSD_8identityEEEEENSD_19counting_iterator_tIlEES8_S8_S8_S8_S8_S8_S8_S8_EEEEPS9_S9_NSD_9__find_if7functorIS9_EEEE10hipError_tPvRmT1_T2_T3_mT4_P12ihipStream_tbEUlT_E1_NS1_11comp_targetILNS1_3genE9ELNS1_11target_archE1100ELNS1_3gpuE3ELNS1_3repE0EEENS1_30default_config_static_selectorELNS0_4arch9wavefront6targetE0EEEvS14_,comdat
	.protected	_ZN7rocprim17ROCPRIM_400000_NS6detail17trampoline_kernelINS0_14default_configENS1_22reduce_config_selectorIN6thrust23THRUST_200600_302600_NS5tupleIblNS6_9null_typeES8_S8_S8_S8_S8_S8_S8_EEEEZNS1_11reduce_implILb1ES3_NS6_12zip_iteratorINS7_INS6_11hip_rocprim26transform_input_iterator_tIbNSD_35transform_pair_of_input_iterators_tIbNS6_6detail15normal_iteratorINS6_10device_ptrIKfEEEESL_NS6_8equal_toIfEEEENSG_9not_fun_tINSD_8identityEEEEENSD_19counting_iterator_tIlEES8_S8_S8_S8_S8_S8_S8_S8_EEEEPS9_S9_NSD_9__find_if7functorIS9_EEEE10hipError_tPvRmT1_T2_T3_mT4_P12ihipStream_tbEUlT_E1_NS1_11comp_targetILNS1_3genE9ELNS1_11target_archE1100ELNS1_3gpuE3ELNS1_3repE0EEENS1_30default_config_static_selectorELNS0_4arch9wavefront6targetE0EEEvS14_ ; -- Begin function _ZN7rocprim17ROCPRIM_400000_NS6detail17trampoline_kernelINS0_14default_configENS1_22reduce_config_selectorIN6thrust23THRUST_200600_302600_NS5tupleIblNS6_9null_typeES8_S8_S8_S8_S8_S8_S8_EEEEZNS1_11reduce_implILb1ES3_NS6_12zip_iteratorINS7_INS6_11hip_rocprim26transform_input_iterator_tIbNSD_35transform_pair_of_input_iterators_tIbNS6_6detail15normal_iteratorINS6_10device_ptrIKfEEEESL_NS6_8equal_toIfEEEENSG_9not_fun_tINSD_8identityEEEEENSD_19counting_iterator_tIlEES8_S8_S8_S8_S8_S8_S8_S8_EEEEPS9_S9_NSD_9__find_if7functorIS9_EEEE10hipError_tPvRmT1_T2_T3_mT4_P12ihipStream_tbEUlT_E1_NS1_11comp_targetILNS1_3genE9ELNS1_11target_archE1100ELNS1_3gpuE3ELNS1_3repE0EEENS1_30default_config_static_selectorELNS0_4arch9wavefront6targetE0EEEvS14_
	.globl	_ZN7rocprim17ROCPRIM_400000_NS6detail17trampoline_kernelINS0_14default_configENS1_22reduce_config_selectorIN6thrust23THRUST_200600_302600_NS5tupleIblNS6_9null_typeES8_S8_S8_S8_S8_S8_S8_EEEEZNS1_11reduce_implILb1ES3_NS6_12zip_iteratorINS7_INS6_11hip_rocprim26transform_input_iterator_tIbNSD_35transform_pair_of_input_iterators_tIbNS6_6detail15normal_iteratorINS6_10device_ptrIKfEEEESL_NS6_8equal_toIfEEEENSG_9not_fun_tINSD_8identityEEEEENSD_19counting_iterator_tIlEES8_S8_S8_S8_S8_S8_S8_S8_EEEEPS9_S9_NSD_9__find_if7functorIS9_EEEE10hipError_tPvRmT1_T2_T3_mT4_P12ihipStream_tbEUlT_E1_NS1_11comp_targetILNS1_3genE9ELNS1_11target_archE1100ELNS1_3gpuE3ELNS1_3repE0EEENS1_30default_config_static_selectorELNS0_4arch9wavefront6targetE0EEEvS14_
	.p2align	8
	.type	_ZN7rocprim17ROCPRIM_400000_NS6detail17trampoline_kernelINS0_14default_configENS1_22reduce_config_selectorIN6thrust23THRUST_200600_302600_NS5tupleIblNS6_9null_typeES8_S8_S8_S8_S8_S8_S8_EEEEZNS1_11reduce_implILb1ES3_NS6_12zip_iteratorINS7_INS6_11hip_rocprim26transform_input_iterator_tIbNSD_35transform_pair_of_input_iterators_tIbNS6_6detail15normal_iteratorINS6_10device_ptrIKfEEEESL_NS6_8equal_toIfEEEENSG_9not_fun_tINSD_8identityEEEEENSD_19counting_iterator_tIlEES8_S8_S8_S8_S8_S8_S8_S8_EEEEPS9_S9_NSD_9__find_if7functorIS9_EEEE10hipError_tPvRmT1_T2_T3_mT4_P12ihipStream_tbEUlT_E1_NS1_11comp_targetILNS1_3genE9ELNS1_11target_archE1100ELNS1_3gpuE3ELNS1_3repE0EEENS1_30default_config_static_selectorELNS0_4arch9wavefront6targetE0EEEvS14_,@function
_ZN7rocprim17ROCPRIM_400000_NS6detail17trampoline_kernelINS0_14default_configENS1_22reduce_config_selectorIN6thrust23THRUST_200600_302600_NS5tupleIblNS6_9null_typeES8_S8_S8_S8_S8_S8_S8_EEEEZNS1_11reduce_implILb1ES3_NS6_12zip_iteratorINS7_INS6_11hip_rocprim26transform_input_iterator_tIbNSD_35transform_pair_of_input_iterators_tIbNS6_6detail15normal_iteratorINS6_10device_ptrIKfEEEESL_NS6_8equal_toIfEEEENSG_9not_fun_tINSD_8identityEEEEENSD_19counting_iterator_tIlEES8_S8_S8_S8_S8_S8_S8_S8_EEEEPS9_S9_NSD_9__find_if7functorIS9_EEEE10hipError_tPvRmT1_T2_T3_mT4_P12ihipStream_tbEUlT_E1_NS1_11comp_targetILNS1_3genE9ELNS1_11target_archE1100ELNS1_3gpuE3ELNS1_3repE0EEENS1_30default_config_static_selectorELNS0_4arch9wavefront6targetE0EEEvS14_: ; @_ZN7rocprim17ROCPRIM_400000_NS6detail17trampoline_kernelINS0_14default_configENS1_22reduce_config_selectorIN6thrust23THRUST_200600_302600_NS5tupleIblNS6_9null_typeES8_S8_S8_S8_S8_S8_S8_EEEEZNS1_11reduce_implILb1ES3_NS6_12zip_iteratorINS7_INS6_11hip_rocprim26transform_input_iterator_tIbNSD_35transform_pair_of_input_iterators_tIbNS6_6detail15normal_iteratorINS6_10device_ptrIKfEEEESL_NS6_8equal_toIfEEEENSG_9not_fun_tINSD_8identityEEEEENSD_19counting_iterator_tIlEES8_S8_S8_S8_S8_S8_S8_S8_EEEEPS9_S9_NSD_9__find_if7functorIS9_EEEE10hipError_tPvRmT1_T2_T3_mT4_P12ihipStream_tbEUlT_E1_NS1_11comp_targetILNS1_3genE9ELNS1_11target_archE1100ELNS1_3gpuE3ELNS1_3repE0EEENS1_30default_config_static_selectorELNS0_4arch9wavefront6targetE0EEEvS14_
; %bb.0:
	s_mov_b32 s10, s15
	s_clause 0x4
	s_load_b32 s25, s[0:1], 0x4
	s_load_b128 s[16:19], s[0:1], 0x8
	s_load_b128 s[12:15], s[0:1], 0x28
	s_load_b32 s24, s[0:1], 0x40
	s_load_b64 s[20:21], s[0:1], 0x48
	s_waitcnt lgkmcnt(0)
	s_cmp_lt_i32 s25, 4
	s_cbranch_scc1 .LBB789_19
; %bb.1:
	s_cmp_gt_i32 s25, 7
	s_cbranch_scc0 .LBB789_20
; %bb.2:
	s_cmp_eq_u32 s25, 8
	s_mov_b32 s27, 0
	s_cbranch_scc0 .LBB789_21
; %bb.3:
	s_mov_b32 s11, 0
	s_lshl_b32 s6, s10, 11
	s_mov_b32 s7, s11
	s_lshr_b64 s[4:5], s[14:15], 11
	s_lshl_b64 s[2:3], s[6:7], 2
	s_delay_alu instid0(SALU_CYCLE_1)
	s_add_u32 s8, s16, s2
	s_addc_u32 s9, s17, s3
	s_add_u32 s22, s18, s2
	s_addc_u32 s23, s19, s3
	;; [unrolled: 2-line block ×3, first 2 shown]
	s_cmp_lg_u64 s[4:5], s[10:11]
	s_cbranch_scc0 .LBB789_40
; %bb.4:
	v_lshlrev_b32_e32 v1, 2, v0
	s_clause 0x7
	global_load_b32 v6, v1, s[8:9]
	global_load_b32 v7, v1, s[8:9] offset:1024
	global_load_b32 v8, v1, s[8:9] offset:2048
	;; [unrolled: 1-line block ×5, first 2 shown]
	global_load_b32 v12, v1, s[22:23]
	global_load_b32 v13, v1, s[8:9] offset:3072
	v_add_co_u32 v3, s2, s8, v1
	s_delay_alu instid0(VALU_DEP_1) | instskip(SKIP_1) | instid1(VALU_DEP_1)
	v_add_co_ci_u32_e64 v4, null, s9, 0, s2
	v_add_co_u32 v2, s2, s22, v1
	v_add_co_ci_u32_e64 v5, null, s23, 0, s2
	s_delay_alu instid0(VALU_DEP_2) | instskip(NEXT) | instid1(VALU_DEP_2)
	v_add_co_u32 v1, vcc_lo, 0x1000, v2
	v_add_co_ci_u32_e32 v2, vcc_lo, 0, v5, vcc_lo
	v_add_co_u32 v3, vcc_lo, 0x1000, v3
	v_add_co_ci_u32_e32 v4, vcc_lo, 0, v4, vcc_lo
	global_load_b32 v5, v[1:2], off
	s_clause 0x1
	global_load_b32 v14, v[3:4], off
	global_load_b32 v15, v[3:4], off offset:1024
	s_clause 0x1
	global_load_b32 v16, v[1:2], off offset:1024
	global_load_b32 v17, v[1:2], off offset:2048
	s_clause 0x1
	global_load_b32 v18, v[3:4], off offset:2048
	global_load_b32 v3, v[3:4], off offset:3072
	;; [unrolled: 1-line block ×3, first 2 shown]
	v_mov_b32_e32 v2, 0x100
	v_mov_b32_e32 v4, 0x300
	s_waitcnt vmcnt(12)
	v_cmp_neq_f32_e32 vcc_lo, v7, v9
	s_waitcnt vmcnt(11)
	v_cmp_neq_f32_e64 s3, v8, v10
	s_waitcnt vmcnt(9)
	v_cmp_neq_f32_e64 s2, v6, v12
	;; [unrolled: 2-line block ×3, first 2 shown]
	v_cndmask_b32_e32 v2, 0x200, v2, vcc_lo
	v_mov_b32_e32 v6, 0x500
	s_delay_alu instid0(VALU_DEP_3) | instskip(NEXT) | instid1(VALU_DEP_3)
	v_cndmask_b32_e64 v4, 0x400, v4, s4
	v_cndmask_b32_e64 v2, v2, 0, s2
	s_or_b32 s2, s2, vcc_lo
	s_delay_alu instid0(SALU_CYCLE_1) | instskip(NEXT) | instid1(SALU_CYCLE_1)
	s_or_b32 s2, s2, s3
	s_or_b32 s4, s2, s4
	s_delay_alu instid0(VALU_DEP_1)
	v_cndmask_b32_e64 v2, v4, v2, s2
	s_waitcnt vmcnt(6)
	v_cmp_neq_f32_e32 vcc_lo, v14, v5
	s_waitcnt vmcnt(4)
	v_cmp_neq_f32_e64 s3, v15, v16
	s_waitcnt vmcnt(2)
	v_cmp_neq_f32_e64 s2, v18, v17
	s_or_b32 vcc_lo, s4, vcc_lo
	s_waitcnt vmcnt(0)
	v_cmp_neq_f32_e64 s4, v3, v1
	v_cndmask_b32_e64 v4, 0x600, v6, s3
	s_or_b32 s3, vcc_lo, s3
	s_delay_alu instid0(VALU_DEP_1) | instskip(SKIP_1) | instid1(SALU_CYCLE_1)
	v_cndmask_b32_e32 v2, v4, v2, vcc_lo
	s_or_b32 vcc_lo, s3, s2
	s_or_b32 s3, vcc_lo, s4
	s_mov_b32 s4, exec_lo
	s_delay_alu instid0(VALU_DEP_1) | instskip(SKIP_3) | instid1(VALU_DEP_3)
	v_cndmask_b32_e32 v1, 0x700, v2, vcc_lo
	v_add_co_u32 v2, s2, s26, v0
	v_cndmask_b32_e64 v5, 0, 1, s3
	v_add_co_ci_u32_e64 v3, null, s28, 0, s2
	v_add_co_u32 v1, vcc_lo, v2, v1
	s_delay_alu instid0(VALU_DEP_3) | instskip(NEXT) | instid1(VALU_DEP_3)
	v_mov_b32_dpp v6, v5 quad_perm:[1,0,3,2] row_mask:0xf bank_mask:0xf
	v_add_co_ci_u32_e32 v2, vcc_lo, 0, v3, vcc_lo
	s_delay_alu instid0(VALU_DEP_3) | instskip(NEXT) | instid1(VALU_DEP_3)
	v_mov_b32_dpp v3, v1 quad_perm:[1,0,3,2] row_mask:0xf bank_mask:0xf
	v_and_b32_e32 v7, 1, v6
	s_delay_alu instid0(VALU_DEP_3) | instskip(NEXT) | instid1(VALU_DEP_2)
	v_mov_b32_dpp v4, v2 quad_perm:[1,0,3,2] row_mask:0xf bank_mask:0xf
	v_cmpx_eq_u32_e32 1, v7
; %bb.5:
	v_cndmask_b32_e64 v5, v6, 1, s3
	s_delay_alu instid0(VALU_DEP_3) | instskip(NEXT) | instid1(VALU_DEP_2)
	v_cmp_lt_i64_e32 vcc_lo, v[1:2], v[3:4]
	v_and_b32_e32 v6, 1, v5
	v_and_b32_e32 v5, 0xff, v5
	s_and_b32 vcc_lo, s3, vcc_lo
	s_and_not1_b32 s3, s3, exec_lo
	v_dual_cndmask_b32 v2, v4, v2 :: v_dual_cndmask_b32 v1, v3, v1
	v_cmp_eq_u32_e64 s2, 1, v6
	s_delay_alu instid0(VALU_DEP_1) | instskip(NEXT) | instid1(SALU_CYCLE_1)
	s_and_b32 s2, s2, exec_lo
	s_or_b32 s3, s3, s2
; %bb.6:
	s_or_b32 exec_lo, exec_lo, s4
	v_mov_b32_dpp v6, v5 quad_perm:[2,3,0,1] row_mask:0xf bank_mask:0xf
	v_mov_b32_dpp v3, v1 quad_perm:[2,3,0,1] row_mask:0xf bank_mask:0xf
	;; [unrolled: 1-line block ×3, first 2 shown]
	s_mov_b32 s4, exec_lo
	s_delay_alu instid0(VALU_DEP_3) | instskip(NEXT) | instid1(VALU_DEP_1)
	v_and_b32_e32 v7, 1, v6
	v_cmpx_eq_u32_e32 1, v7
; %bb.7:
	v_cndmask_b32_e64 v5, v6, 1, s3
	v_cmp_lt_i64_e32 vcc_lo, v[1:2], v[3:4]
	s_delay_alu instid0(VALU_DEP_2)
	v_and_b32_e32 v6, 1, v5
	v_and_b32_e32 v5, 0xff, v5
	s_and_b32 vcc_lo, s3, vcc_lo
	s_and_not1_b32 s3, s3, exec_lo
	v_dual_cndmask_b32 v2, v4, v2 :: v_dual_cndmask_b32 v1, v3, v1
	v_cmp_eq_u32_e64 s2, 1, v6
	s_delay_alu instid0(VALU_DEP_1) | instskip(NEXT) | instid1(SALU_CYCLE_1)
	s_and_b32 s2, s2, exec_lo
	s_or_b32 s3, s3, s2
; %bb.8:
	s_or_b32 exec_lo, exec_lo, s4
	v_mov_b32_dpp v6, v5 row_ror:4 row_mask:0xf bank_mask:0xf
	v_mov_b32_dpp v3, v1 row_ror:4 row_mask:0xf bank_mask:0xf
	;; [unrolled: 1-line block ×3, first 2 shown]
	s_mov_b32 s4, exec_lo
	s_delay_alu instid0(VALU_DEP_3) | instskip(NEXT) | instid1(VALU_DEP_1)
	v_and_b32_e32 v7, 1, v6
	v_cmpx_eq_u32_e32 1, v7
; %bb.9:
	v_cndmask_b32_e64 v5, v6, 1, s3
	v_cmp_lt_i64_e32 vcc_lo, v[1:2], v[3:4]
	s_delay_alu instid0(VALU_DEP_2)
	v_and_b32_e32 v6, 1, v5
	v_and_b32_e32 v5, 0xff, v5
	s_and_b32 vcc_lo, s3, vcc_lo
	s_and_not1_b32 s3, s3, exec_lo
	v_dual_cndmask_b32 v2, v4, v2 :: v_dual_cndmask_b32 v1, v3, v1
	v_cmp_eq_u32_e64 s2, 1, v6
	s_delay_alu instid0(VALU_DEP_1) | instskip(NEXT) | instid1(SALU_CYCLE_1)
	s_and_b32 s2, s2, exec_lo
	s_or_b32 s3, s3, s2
; %bb.10:
	s_or_b32 exec_lo, exec_lo, s4
	v_mov_b32_dpp v6, v5 row_ror:8 row_mask:0xf bank_mask:0xf
	v_mov_b32_dpp v3, v1 row_ror:8 row_mask:0xf bank_mask:0xf
	;; [unrolled: 1-line block ×3, first 2 shown]
	s_mov_b32 s4, exec_lo
	s_delay_alu instid0(VALU_DEP_3) | instskip(NEXT) | instid1(VALU_DEP_1)
	v_and_b32_e32 v7, 1, v6
	v_cmpx_eq_u32_e32 1, v7
; %bb.11:
	v_cndmask_b32_e64 v5, v6, 1, s3
	v_cmp_lt_i64_e32 vcc_lo, v[1:2], v[3:4]
	s_delay_alu instid0(VALU_DEP_2)
	v_and_b32_e32 v6, 1, v5
	v_and_b32_e32 v5, 0xff, v5
	s_and_b32 vcc_lo, s3, vcc_lo
	s_and_not1_b32 s3, s3, exec_lo
	v_dual_cndmask_b32 v2, v4, v2 :: v_dual_cndmask_b32 v1, v3, v1
	v_cmp_eq_u32_e64 s2, 1, v6
	s_delay_alu instid0(VALU_DEP_1) | instskip(NEXT) | instid1(SALU_CYCLE_1)
	s_and_b32 s2, s2, exec_lo
	s_or_b32 s3, s3, s2
; %bb.12:
	s_or_b32 exec_lo, exec_lo, s4
	ds_swizzle_b32 v6, v5 offset:swizzle(BROADCAST,32,15)
	ds_swizzle_b32 v3, v1 offset:swizzle(BROADCAST,32,15)
	;; [unrolled: 1-line block ×3, first 2 shown]
	s_mov_b32 s2, exec_lo
	s_waitcnt lgkmcnt(2)
	v_and_b32_e32 v7, 1, v6
	s_delay_alu instid0(VALU_DEP_1)
	v_cmpx_eq_u32_e32 1, v7
	s_cbranch_execz .LBB789_14
; %bb.13:
	s_waitcnt lgkmcnt(0)
	v_cmp_lt_i64_e32 vcc_lo, v[1:2], v[3:4]
	v_and_b32_e32 v5, 0xff, v6
	s_delay_alu instid0(VALU_DEP_1)
	v_cndmask_b32_e64 v5, v5, 1, s3
	s_and_b32 vcc_lo, s3, vcc_lo
	v_dual_cndmask_b32 v1, v3, v1 :: v_dual_cndmask_b32 v2, v4, v2
.LBB789_14:
	s_or_b32 exec_lo, exec_lo, s2
	s_waitcnt lgkmcnt(1)
	v_mov_b32_e32 v3, 0
	s_mov_b32 s2, exec_lo
	ds_bpermute_b32 v6, v3, v5 offset:124
	ds_bpermute_b32 v1, v3, v1 offset:124
	;; [unrolled: 1-line block ×3, first 2 shown]
	v_mbcnt_lo_u32_b32 v3, -1, 0
	s_delay_alu instid0(VALU_DEP_1)
	v_cmpx_eq_u32_e32 0, v3
	s_cbranch_execz .LBB789_16
; %bb.15:
	s_waitcnt lgkmcnt(3)
	v_lshrrev_b32_e32 v4, 1, v0
	s_delay_alu instid0(VALU_DEP_1)
	v_and_b32_e32 v4, 0x70, v4
	s_waitcnt lgkmcnt(2)
	ds_store_b8 v4, v6 offset:384
	s_waitcnt lgkmcnt(1)
	ds_store_b64 v4, v[1:2] offset:392
.LBB789_16:
	s_or_b32 exec_lo, exec_lo, s2
	s_delay_alu instid0(SALU_CYCLE_1)
	s_mov_b32 s4, exec_lo
	s_waitcnt lgkmcnt(0)
	s_barrier
	buffer_gl0_inv
	v_cmpx_gt_u32_e32 32, v0
	s_cbranch_execz .LBB789_18
; %bb.17:
	v_and_b32_e32 v6, 7, v3
	s_delay_alu instid0(VALU_DEP_1)
	v_lshlrev_b32_e32 v1, 4, v6
	v_cmp_ne_u32_e32 vcc_lo, 7, v6
	ds_load_u8 v7, v1 offset:384
	ds_load_b64 v[1:2], v1 offset:392
	v_add_co_ci_u32_e32 v4, vcc_lo, 0, v3, vcc_lo
	v_cmp_gt_u32_e32 vcc_lo, 6, v6
	s_delay_alu instid0(VALU_DEP_2)
	v_lshlrev_b32_e32 v5, 2, v4
	v_cndmask_b32_e64 v10, 0, 1, vcc_lo
	s_waitcnt lgkmcnt(1)
	v_and_b32_e32 v4, 0xff, v7
	v_and_b32_e32 v11, 1, v7
	ds_bpermute_b32 v8, v5, v4
	s_waitcnt lgkmcnt(1)
	ds_bpermute_b32 v4, v5, v1
	ds_bpermute_b32 v5, v5, v2
	v_cmp_eq_u32_e64 s3, 1, v11
	s_waitcnt lgkmcnt(2)
	v_and_b32_e32 v9, 1, v8
	s_waitcnt lgkmcnt(0)
	v_cmp_lt_i64_e64 s2, v[4:5], v[1:2]
	s_delay_alu instid0(VALU_DEP_2) | instskip(SKIP_2) | instid1(VALU_DEP_4)
	v_cmp_eq_u32_e32 vcc_lo, 1, v9
	v_lshlrev_b32_e32 v9, 1, v10
	v_cndmask_b32_e64 v7, v7, 1, vcc_lo
	s_and_b32 vcc_lo, vcc_lo, s2
	v_dual_cndmask_b32 v1, v1, v4 :: v_dual_cndmask_b32 v2, v2, v5
	s_delay_alu instid0(VALU_DEP_2) | instskip(SKIP_2) | instid1(VALU_DEP_4)
	v_cndmask_b32_e64 v7, v8, v7, s3
	v_add_lshl_u32 v8, v9, v3, 2
	v_cmp_gt_u32_e32 vcc_lo, 4, v6
	v_cndmask_b32_e64 v1, v4, v1, s3
	v_cndmask_b32_e64 v2, v5, v2, s3
	v_and_b32_e32 v9, 0xff, v7
	v_and_b32_e32 v10, 1, v7
	v_cndmask_b32_e64 v6, 0, 1, vcc_lo
	ds_bpermute_b32 v4, v8, v1
	ds_bpermute_b32 v5, v8, v2
	;; [unrolled: 1-line block ×3, first 2 shown]
	v_cmp_eq_u32_e64 s3, 1, v10
	s_waitcnt lgkmcnt(1)
	v_cmp_lt_i64_e64 s2, v[4:5], v[1:2]
	s_waitcnt lgkmcnt(0)
	v_and_b32_e32 v8, 1, v9
	s_delay_alu instid0(VALU_DEP_1) | instskip(SKIP_1) | instid1(VALU_DEP_4)
	v_cmp_eq_u32_e32 vcc_lo, 1, v8
	v_cndmask_b32_e64 v7, v7, 1, vcc_lo
	s_and_b32 vcc_lo, vcc_lo, s2
	v_dual_cndmask_b32 v1, v1, v4 :: v_dual_cndmask_b32 v2, v2, v5
	s_delay_alu instid0(VALU_DEP_2) | instskip(NEXT) | instid1(VALU_DEP_2)
	v_cndmask_b32_e64 v7, v9, v7, s3
	v_cndmask_b32_e64 v1, v4, v1, s3
	v_lshlrev_b32_e32 v6, 2, v6
	s_delay_alu instid0(VALU_DEP_4) | instskip(NEXT) | instid1(VALU_DEP_2)
	v_cndmask_b32_e64 v2, v5, v2, s3
	v_add_lshl_u32 v6, v6, v3, 2
	v_and_b32_e32 v3, 0xff, v7
	ds_bpermute_b32 v4, v6, v2
	ds_bpermute_b32 v5, v6, v3
	;; [unrolled: 1-line block ×3, first 2 shown]
	s_waitcnt lgkmcnt(1)
	v_and_b32_e32 v6, 1, v5
	s_waitcnt lgkmcnt(0)
	v_cmp_lt_i64_e32 vcc_lo, v[3:4], v[1:2]
	s_delay_alu instid0(VALU_DEP_2) | instskip(SKIP_1) | instid1(VALU_DEP_2)
	v_cmp_eq_u32_e64 s2, 1, v6
	v_and_b32_e32 v6, 1, v7
	v_cndmask_b32_e64 v7, v7, 1, s2
	s_and_b32 vcc_lo, s2, vcc_lo
	s_delay_alu instid0(VALU_DEP_2) | instskip(SKIP_1) | instid1(VALU_DEP_2)
	v_cmp_eq_u32_e64 s2, 1, v6
	v_dual_cndmask_b32 v1, v1, v3 :: v_dual_cndmask_b32 v2, v2, v4
	v_cndmask_b32_e64 v5, v5, v7, s2
	s_delay_alu instid0(VALU_DEP_2) | instskip(NEXT) | instid1(VALU_DEP_3)
	v_cndmask_b32_e64 v1, v3, v1, s2
	v_cndmask_b32_e64 v2, v4, v2, s2
	s_delay_alu instid0(VALU_DEP_3)
	v_and_b32_e32 v6, 0xff, v5
.LBB789_18:
	s_or_b32 exec_lo, exec_lo, s4
	s_branch .LBB789_85
.LBB789_19:
	s_mov_b32 s26, 0
                                        ; implicit-def: $vgpr3_vgpr4
                                        ; implicit-def: $vgpr5
	s_cbranch_execnz .LBB789_129
	s_branch .LBB789_200
.LBB789_20:
	s_mov_b32 s27, -1
.LBB789_21:
	s_mov_b32 s26, 0
                                        ; implicit-def: $vgpr3_vgpr4
                                        ; implicit-def: $vgpr5
	s_and_b32 vcc_lo, exec_lo, s27
	s_cbranch_vccz .LBB789_90
.LBB789_22:
	s_cmp_eq_u32 s25, 4
	s_cbranch_scc0 .LBB789_39
; %bb.23:
	s_mov_b32 s11, 0
	s_lshl_b32 s22, s10, 10
	s_mov_b32 s23, s11
	s_lshr_b64 s[28:29], s[14:15], 10
	s_lshl_b64 s[2:3], s[22:23], 2
	s_delay_alu instid0(SALU_CYCLE_1)
	s_add_u32 s6, s16, s2
	s_addc_u32 s7, s17, s3
	s_add_u32 s8, s18, s2
	s_addc_u32 s9, s19, s3
	;; [unrolled: 2-line block ×3, first 2 shown]
	s_cmp_lg_u64 s[28:29], s[10:11]
	s_cbranch_scc0 .LBB789_91
; %bb.24:
	v_mov_b32_e32 v9, 0x100
	v_lshlrev_b32_e32 v1, 2, v0
	global_load_b32 v2, v1, s[8:9] offset:1024
	s_waitcnt lgkmcnt(1)
	global_load_b32 v3, v1, s[6:7] offset:1024
	s_waitcnt lgkmcnt(0)
	s_clause 0x5
	global_load_b32 v4, v1, s[6:7]
	global_load_b32 v5, v1, s[8:9]
	global_load_b32 v6, v1, s[6:7] offset:2048
	global_load_b32 v7, v1, s[8:9] offset:2048
	;; [unrolled: 1-line block ×4, first 2 shown]
	s_waitcnt vmcnt(6)
	v_cmp_neq_f32_e32 vcc_lo, v3, v2
	s_waitcnt vmcnt(4)
	v_cmp_neq_f32_e64 s2, v4, v5
	s_waitcnt vmcnt(2)
	v_cmp_neq_f32_e64 s3, v6, v7
	v_cndmask_b32_e32 v2, 0x200, v9, vcc_lo
	s_waitcnt vmcnt(0)
	v_cmp_neq_f32_e64 s4, v1, v8
	s_delay_alu instid0(VALU_DEP_2) | instskip(SKIP_1) | instid1(SALU_CYCLE_1)
	v_cndmask_b32_e64 v2, v2, 0, s2
	s_or_b32 s2, s2, vcc_lo
	s_or_b32 vcc_lo, s2, s3
	s_delay_alu instid0(VALU_DEP_1) | instskip(SKIP_4) | instid1(VALU_DEP_3)
	v_cndmask_b32_e32 v1, 0x300, v2, vcc_lo
	s_or_b32 s3, vcc_lo, s4
	v_add_co_u32 v2, s2, s5, v0
	v_cndmask_b32_e64 v5, 0, 1, s3
	v_add_co_ci_u32_e64 v3, null, s23, 0, s2
	v_add_co_u32 v1, vcc_lo, v2, v1
	s_delay_alu instid0(VALU_DEP_3) | instskip(NEXT) | instid1(VALU_DEP_3)
	v_mov_b32_dpp v6, v5 quad_perm:[1,0,3,2] row_mask:0xf bank_mask:0xf
	v_add_co_ci_u32_e32 v2, vcc_lo, 0, v3, vcc_lo
	s_delay_alu instid0(VALU_DEP_3) | instskip(SKIP_1) | instid1(VALU_DEP_3)
	v_mov_b32_dpp v3, v1 quad_perm:[1,0,3,2] row_mask:0xf bank_mask:0xf
	s_mov_b32 s4, exec_lo
	v_and_b32_e32 v7, 1, v6
	s_delay_alu instid0(VALU_DEP_3) | instskip(NEXT) | instid1(VALU_DEP_2)
	v_mov_b32_dpp v4, v2 quad_perm:[1,0,3,2] row_mask:0xf bank_mask:0xf
	v_cmpx_eq_u32_e32 1, v7
; %bb.25:
	v_cndmask_b32_e64 v5, v6, 1, s3
	s_delay_alu instid0(VALU_DEP_3) | instskip(NEXT) | instid1(VALU_DEP_2)
	v_cmp_lt_i64_e32 vcc_lo, v[1:2], v[3:4]
	v_and_b32_e32 v6, 1, v5
	v_and_b32_e32 v5, 0xff, v5
	s_and_b32 vcc_lo, s3, vcc_lo
	s_and_not1_b32 s3, s3, exec_lo
	v_dual_cndmask_b32 v2, v4, v2 :: v_dual_cndmask_b32 v1, v3, v1
	v_cmp_eq_u32_e64 s2, 1, v6
	s_delay_alu instid0(VALU_DEP_1) | instskip(NEXT) | instid1(SALU_CYCLE_1)
	s_and_b32 s2, s2, exec_lo
	s_or_b32 s3, s3, s2
; %bb.26:
	s_or_b32 exec_lo, exec_lo, s4
	v_mov_b32_dpp v6, v5 quad_perm:[2,3,0,1] row_mask:0xf bank_mask:0xf
	v_mov_b32_dpp v3, v1 quad_perm:[2,3,0,1] row_mask:0xf bank_mask:0xf
	;; [unrolled: 1-line block ×3, first 2 shown]
	s_mov_b32 s4, exec_lo
	s_delay_alu instid0(VALU_DEP_3) | instskip(NEXT) | instid1(VALU_DEP_1)
	v_and_b32_e32 v7, 1, v6
	v_cmpx_eq_u32_e32 1, v7
; %bb.27:
	v_cndmask_b32_e64 v5, v6, 1, s3
	v_cmp_lt_i64_e32 vcc_lo, v[1:2], v[3:4]
	s_delay_alu instid0(VALU_DEP_2)
	v_and_b32_e32 v6, 1, v5
	v_and_b32_e32 v5, 0xff, v5
	s_and_b32 vcc_lo, s3, vcc_lo
	s_and_not1_b32 s3, s3, exec_lo
	v_dual_cndmask_b32 v2, v4, v2 :: v_dual_cndmask_b32 v1, v3, v1
	v_cmp_eq_u32_e64 s2, 1, v6
	s_delay_alu instid0(VALU_DEP_1) | instskip(NEXT) | instid1(SALU_CYCLE_1)
	s_and_b32 s2, s2, exec_lo
	s_or_b32 s3, s3, s2
; %bb.28:
	s_or_b32 exec_lo, exec_lo, s4
	v_mov_b32_dpp v6, v5 row_ror:4 row_mask:0xf bank_mask:0xf
	v_mov_b32_dpp v3, v1 row_ror:4 row_mask:0xf bank_mask:0xf
	;; [unrolled: 1-line block ×3, first 2 shown]
	s_mov_b32 s4, exec_lo
	s_delay_alu instid0(VALU_DEP_3) | instskip(NEXT) | instid1(VALU_DEP_1)
	v_and_b32_e32 v7, 1, v6
	v_cmpx_eq_u32_e32 1, v7
; %bb.29:
	v_cndmask_b32_e64 v5, v6, 1, s3
	v_cmp_lt_i64_e32 vcc_lo, v[1:2], v[3:4]
	s_delay_alu instid0(VALU_DEP_2)
	v_and_b32_e32 v6, 1, v5
	v_and_b32_e32 v5, 0xff, v5
	s_and_b32 vcc_lo, s3, vcc_lo
	s_and_not1_b32 s3, s3, exec_lo
	v_dual_cndmask_b32 v2, v4, v2 :: v_dual_cndmask_b32 v1, v3, v1
	v_cmp_eq_u32_e64 s2, 1, v6
	s_delay_alu instid0(VALU_DEP_1) | instskip(NEXT) | instid1(SALU_CYCLE_1)
	s_and_b32 s2, s2, exec_lo
	s_or_b32 s3, s3, s2
; %bb.30:
	s_or_b32 exec_lo, exec_lo, s4
	v_mov_b32_dpp v6, v5 row_ror:8 row_mask:0xf bank_mask:0xf
	v_mov_b32_dpp v3, v1 row_ror:8 row_mask:0xf bank_mask:0xf
	;; [unrolled: 1-line block ×3, first 2 shown]
	s_mov_b32 s4, exec_lo
	s_delay_alu instid0(VALU_DEP_3) | instskip(NEXT) | instid1(VALU_DEP_1)
	v_and_b32_e32 v7, 1, v6
	v_cmpx_eq_u32_e32 1, v7
; %bb.31:
	v_cndmask_b32_e64 v5, v6, 1, s3
	v_cmp_lt_i64_e32 vcc_lo, v[1:2], v[3:4]
	s_delay_alu instid0(VALU_DEP_2)
	v_and_b32_e32 v6, 1, v5
	v_and_b32_e32 v5, 0xff, v5
	s_and_b32 vcc_lo, s3, vcc_lo
	s_and_not1_b32 s3, s3, exec_lo
	v_dual_cndmask_b32 v2, v4, v2 :: v_dual_cndmask_b32 v1, v3, v1
	v_cmp_eq_u32_e64 s2, 1, v6
	s_delay_alu instid0(VALU_DEP_1) | instskip(NEXT) | instid1(SALU_CYCLE_1)
	s_and_b32 s2, s2, exec_lo
	s_or_b32 s3, s3, s2
; %bb.32:
	s_or_b32 exec_lo, exec_lo, s4
	ds_swizzle_b32 v6, v5 offset:swizzle(BROADCAST,32,15)
	ds_swizzle_b32 v3, v1 offset:swizzle(BROADCAST,32,15)
	;; [unrolled: 1-line block ×3, first 2 shown]
	s_mov_b32 s2, exec_lo
	s_waitcnt lgkmcnt(2)
	v_and_b32_e32 v7, 1, v6
	s_delay_alu instid0(VALU_DEP_1)
	v_cmpx_eq_u32_e32 1, v7
	s_cbranch_execz .LBB789_34
; %bb.33:
	s_waitcnt lgkmcnt(0)
	v_cmp_lt_i64_e32 vcc_lo, v[1:2], v[3:4]
	v_and_b32_e32 v5, 0xff, v6
	s_delay_alu instid0(VALU_DEP_1)
	v_cndmask_b32_e64 v5, v5, 1, s3
	s_and_b32 vcc_lo, s3, vcc_lo
	v_dual_cndmask_b32 v1, v3, v1 :: v_dual_cndmask_b32 v2, v4, v2
.LBB789_34:
	s_or_b32 exec_lo, exec_lo, s2
	s_waitcnt lgkmcnt(1)
	v_mov_b32_e32 v3, 0
	s_mov_b32 s2, exec_lo
	ds_bpermute_b32 v6, v3, v5 offset:124
	ds_bpermute_b32 v1, v3, v1 offset:124
	;; [unrolled: 1-line block ×3, first 2 shown]
	v_mbcnt_lo_u32_b32 v3, -1, 0
	s_delay_alu instid0(VALU_DEP_1)
	v_cmpx_eq_u32_e32 0, v3
	s_cbranch_execz .LBB789_36
; %bb.35:
	s_waitcnt lgkmcnt(3)
	v_lshrrev_b32_e32 v4, 1, v0
	s_delay_alu instid0(VALU_DEP_1)
	v_and_b32_e32 v4, 0x70, v4
	s_waitcnt lgkmcnt(2)
	ds_store_b8 v4, v6 offset:256
	s_waitcnt lgkmcnt(1)
	ds_store_b64 v4, v[1:2] offset:264
.LBB789_36:
	s_or_b32 exec_lo, exec_lo, s2
	s_delay_alu instid0(SALU_CYCLE_1)
	s_mov_b32 s4, exec_lo
	s_waitcnt lgkmcnt(0)
	s_barrier
	buffer_gl0_inv
	v_cmpx_gt_u32_e32 32, v0
	s_cbranch_execz .LBB789_38
; %bb.37:
	v_and_b32_e32 v6, 7, v3
	s_delay_alu instid0(VALU_DEP_1)
	v_lshlrev_b32_e32 v1, 4, v6
	v_cmp_ne_u32_e32 vcc_lo, 7, v6
	ds_load_u8 v7, v1 offset:256
	ds_load_b64 v[1:2], v1 offset:264
	v_add_co_ci_u32_e32 v4, vcc_lo, 0, v3, vcc_lo
	v_cmp_gt_u32_e32 vcc_lo, 6, v6
	s_delay_alu instid0(VALU_DEP_2)
	v_lshlrev_b32_e32 v5, 2, v4
	v_cndmask_b32_e64 v10, 0, 1, vcc_lo
	s_waitcnt lgkmcnt(1)
	v_and_b32_e32 v4, 0xff, v7
	v_and_b32_e32 v11, 1, v7
	ds_bpermute_b32 v8, v5, v4
	s_waitcnt lgkmcnt(1)
	ds_bpermute_b32 v4, v5, v1
	ds_bpermute_b32 v5, v5, v2
	v_cmp_eq_u32_e64 s3, 1, v11
	s_waitcnt lgkmcnt(2)
	v_and_b32_e32 v9, 1, v8
	s_waitcnt lgkmcnt(0)
	v_cmp_lt_i64_e64 s2, v[4:5], v[1:2]
	s_delay_alu instid0(VALU_DEP_2) | instskip(SKIP_2) | instid1(VALU_DEP_4)
	v_cmp_eq_u32_e32 vcc_lo, 1, v9
	v_lshlrev_b32_e32 v9, 1, v10
	v_cndmask_b32_e64 v7, v7, 1, vcc_lo
	s_and_b32 vcc_lo, vcc_lo, s2
	v_dual_cndmask_b32 v1, v1, v4 :: v_dual_cndmask_b32 v2, v2, v5
	s_delay_alu instid0(VALU_DEP_2) | instskip(SKIP_2) | instid1(VALU_DEP_4)
	v_cndmask_b32_e64 v7, v8, v7, s3
	v_add_lshl_u32 v8, v9, v3, 2
	v_cmp_gt_u32_e32 vcc_lo, 4, v6
	v_cndmask_b32_e64 v1, v4, v1, s3
	v_cndmask_b32_e64 v2, v5, v2, s3
	v_and_b32_e32 v9, 0xff, v7
	v_and_b32_e32 v10, 1, v7
	v_cndmask_b32_e64 v6, 0, 1, vcc_lo
	ds_bpermute_b32 v4, v8, v1
	ds_bpermute_b32 v5, v8, v2
	;; [unrolled: 1-line block ×3, first 2 shown]
	v_cmp_eq_u32_e64 s3, 1, v10
	s_waitcnt lgkmcnt(1)
	v_cmp_lt_i64_e64 s2, v[4:5], v[1:2]
	s_waitcnt lgkmcnt(0)
	v_and_b32_e32 v8, 1, v9
	s_delay_alu instid0(VALU_DEP_1) | instskip(SKIP_1) | instid1(VALU_DEP_4)
	v_cmp_eq_u32_e32 vcc_lo, 1, v8
	v_cndmask_b32_e64 v7, v7, 1, vcc_lo
	s_and_b32 vcc_lo, vcc_lo, s2
	v_dual_cndmask_b32 v1, v1, v4 :: v_dual_cndmask_b32 v2, v2, v5
	s_delay_alu instid0(VALU_DEP_2) | instskip(NEXT) | instid1(VALU_DEP_2)
	v_cndmask_b32_e64 v7, v9, v7, s3
	v_cndmask_b32_e64 v1, v4, v1, s3
	v_lshlrev_b32_e32 v6, 2, v6
	s_delay_alu instid0(VALU_DEP_4) | instskip(NEXT) | instid1(VALU_DEP_2)
	v_cndmask_b32_e64 v2, v5, v2, s3
	v_add_lshl_u32 v6, v6, v3, 2
	v_and_b32_e32 v3, 0xff, v7
	ds_bpermute_b32 v4, v6, v2
	ds_bpermute_b32 v5, v6, v3
	;; [unrolled: 1-line block ×3, first 2 shown]
	s_waitcnt lgkmcnt(1)
	v_and_b32_e32 v6, 1, v5
	s_waitcnt lgkmcnt(0)
	v_cmp_lt_i64_e32 vcc_lo, v[3:4], v[1:2]
	s_delay_alu instid0(VALU_DEP_2) | instskip(SKIP_1) | instid1(VALU_DEP_2)
	v_cmp_eq_u32_e64 s2, 1, v6
	v_and_b32_e32 v6, 1, v7
	v_cndmask_b32_e64 v7, v7, 1, s2
	s_and_b32 vcc_lo, s2, vcc_lo
	s_delay_alu instid0(VALU_DEP_2) | instskip(SKIP_1) | instid1(VALU_DEP_2)
	v_cmp_eq_u32_e64 s2, 1, v6
	v_dual_cndmask_b32 v1, v1, v3 :: v_dual_cndmask_b32 v2, v2, v4
	v_cndmask_b32_e64 v5, v5, v7, s2
	s_delay_alu instid0(VALU_DEP_2) | instskip(NEXT) | instid1(VALU_DEP_3)
	v_cndmask_b32_e64 v1, v3, v1, s2
	v_cndmask_b32_e64 v2, v4, v2, s2
	s_delay_alu instid0(VALU_DEP_3)
	v_and_b32_e32 v6, 0xff, v5
.LBB789_38:
	s_or_b32 exec_lo, exec_lo, s4
	s_branch .LBB789_124
.LBB789_39:
                                        ; implicit-def: $vgpr3_vgpr4
                                        ; implicit-def: $vgpr5
	s_branch .LBB789_200
.LBB789_40:
                                        ; implicit-def: $vgpr1_vgpr2
                                        ; implicit-def: $vgpr6
	s_cbranch_execz .LBB789_85
; %bb.41:
	v_mov_b32_e32 v9, 0
	v_dual_mov_b32 v10, 0 :: v_dual_mov_b32 v21, 0
	s_delay_alu instid0(VALU_DEP_2) | instskip(SKIP_2) | instid1(VALU_DEP_3)
	v_mov_b32_e32 v1, v9
	v_mov_b32_e32 v17, 0
	s_sub_i32 s29, s14, s6
	v_mov_b32_e32 v2, v10
	s_mov_b32 s2, exec_lo
	v_cmpx_gt_u32_e64 s29, v0
	s_cbranch_execz .LBB789_43
; %bb.42:
	v_lshlrev_b32_e32 v1, 2, v0
	s_clause 0x1
	global_load_b32 v3, v1, s[8:9]
	global_load_b32 v4, v1, s[22:23]
	v_add_co_u32 v1, s3, s26, v0
	s_delay_alu instid0(VALU_DEP_1)
	v_add_co_ci_u32_e64 v2, null, s28, 0, s3
	s_waitcnt vmcnt(0)
	v_cmp_neq_f32_e32 vcc_lo, v3, v4
	v_cndmask_b32_e64 v17, 0, 1, vcc_lo
.LBB789_43:
	s_or_b32 exec_lo, exec_lo, s2
	v_or_b32_e32 v3, 0x100, v0
	s_delay_alu instid0(VALU_DEP_1) | instskip(NEXT) | instid1(VALU_DEP_1)
	v_cmp_gt_u32_e64 s7, s29, v3
	s_and_saveexec_b32 s2, s7
	s_cbranch_execz .LBB789_45
; %bb.44:
	v_lshlrev_b32_e32 v4, 2, v0
	v_add_co_u32 v9, s3, s26, v3
	s_delay_alu instid0(VALU_DEP_1)
	v_add_co_ci_u32_e64 v10, null, s28, 0, s3
	s_clause 0x1
	global_load_b32 v5, v4, s[8:9] offset:1024
	global_load_b32 v4, v4, s[22:23] offset:1024
	s_waitcnt vmcnt(0)
	v_cmp_neq_f32_e32 vcc_lo, v5, v4
	v_cndmask_b32_e64 v21, 0, 1, vcc_lo
.LBB789_45:
	s_or_b32 exec_lo, exec_lo, s2
	v_dual_mov_b32 v7, 0 :: v_dual_mov_b32 v20, 0
	v_mov_b32_e32 v8, 0
	v_or_b32_e32 v3, 0x200, v0
	v_mov_b32_e32 v24, 0
	s_delay_alu instid0(VALU_DEP_3) | instskip(NEXT) | instid1(VALU_DEP_3)
	v_dual_mov_b32 v16, v8 :: v_dual_mov_b32 v15, v7
	v_cmp_gt_u32_e64 s6, s29, v3
	s_delay_alu instid0(VALU_DEP_1)
	s_and_saveexec_b32 s2, s6
	s_cbranch_execz .LBB789_47
; %bb.46:
	v_lshlrev_b32_e32 v4, 2, v0
	v_add_co_u32 v15, s3, s26, v3
	s_delay_alu instid0(VALU_DEP_1)
	v_add_co_ci_u32_e64 v16, null, s28, 0, s3
	s_clause 0x1
	global_load_b32 v5, v4, s[8:9] offset:2048
	global_load_b32 v4, v4, s[22:23] offset:2048
	s_waitcnt vmcnt(0)
	v_cmp_neq_f32_e32 vcc_lo, v5, v4
	v_cndmask_b32_e64 v24, 0, 1, vcc_lo
.LBB789_47:
	s_or_b32 exec_lo, exec_lo, s2
	v_or_b32_e32 v3, 0x300, v0
	s_delay_alu instid0(VALU_DEP_1) | instskip(NEXT) | instid1(VALU_DEP_1)
	v_cmp_gt_u32_e64 s5, s29, v3
	s_and_saveexec_b32 s2, s5
	s_cbranch_execz .LBB789_49
; %bb.48:
	v_lshlrev_b32_e32 v4, 2, v0
	v_add_co_u32 v7, s3, s26, v3
	s_delay_alu instid0(VALU_DEP_1)
	v_add_co_ci_u32_e64 v8, null, s28, 0, s3
	s_clause 0x1
	global_load_b32 v5, v4, s[8:9] offset:3072
	global_load_b32 v4, v4, s[22:23] offset:3072
	s_waitcnt vmcnt(0)
	v_cmp_neq_f32_e32 vcc_lo, v5, v4
	v_cndmask_b32_e64 v20, 0, 1, vcc_lo
.LBB789_49:
	s_or_b32 exec_lo, exec_lo, s2
	v_mov_b32_e32 v5, 0
	v_dual_mov_b32 v6, 0 :: v_dual_mov_b32 v19, 0
	v_or_b32_e32 v3, 0x400, v0
	s_delay_alu instid0(VALU_DEP_2) | instskip(NEXT) | instid1(VALU_DEP_4)
	v_dual_mov_b32 v23, 0 :: v_dual_mov_b32 v14, v6
	v_mov_b32_e32 v13, v5
	s_delay_alu instid0(VALU_DEP_3) | instskip(NEXT) | instid1(VALU_DEP_1)
	v_cmp_gt_u32_e64 s4, s29, v3
	s_and_saveexec_b32 s2, s4
	s_cbranch_execz .LBB789_51
; %bb.50:
	v_lshlrev_b32_e32 v4, 2, v3
	v_add_co_u32 v13, s3, s26, v3
	s_delay_alu instid0(VALU_DEP_1)
	v_add_co_ci_u32_e64 v14, null, s28, 0, s3
	s_clause 0x1
	global_load_b32 v11, v4, s[8:9]
	global_load_b32 v4, v4, s[22:23]
	s_waitcnt vmcnt(0)
	v_cmp_neq_f32_e32 vcc_lo, v11, v4
	v_cndmask_b32_e64 v23, 0, 1, vcc_lo
.LBB789_51:
	s_or_b32 exec_lo, exec_lo, s2
	v_or_b32_e32 v3, 0x500, v0
	s_delay_alu instid0(VALU_DEP_1) | instskip(NEXT) | instid1(VALU_DEP_1)
	v_cmp_gt_u32_e64 s3, s29, v3
	s_and_saveexec_b32 s2, s3
	s_cbranch_execz .LBB789_53
; %bb.52:
	v_lshlrev_b32_e32 v4, 2, v3
	v_add_co_u32 v5, s30, s26, v3
	s_delay_alu instid0(VALU_DEP_1)
	v_add_co_ci_u32_e64 v6, null, s28, 0, s30
	s_clause 0x1
	global_load_b32 v11, v4, s[8:9]
	global_load_b32 v4, v4, s[22:23]
	s_waitcnt vmcnt(0)
	v_cmp_neq_f32_e32 vcc_lo, v11, v4
	v_cndmask_b32_e64 v19, 0, 1, vcc_lo
.LBB789_53:
	s_or_b32 exec_lo, exec_lo, s2
	v_dual_mov_b32 v3, 0 :: v_dual_mov_b32 v18, 0
	v_mov_b32_e32 v4, 0
	v_or_b32_e32 v25, 0x600, v0
	v_mov_b32_e32 v22, 0
	s_delay_alu instid0(VALU_DEP_3) | instskip(NEXT) | instid1(VALU_DEP_3)
	v_dual_mov_b32 v12, v4 :: v_dual_mov_b32 v11, v3
	v_cmp_gt_u32_e64 s2, s29, v25
	s_delay_alu instid0(VALU_DEP_1)
	s_and_saveexec_b32 s30, s2
	s_cbranch_execz .LBB789_55
; %bb.54:
	v_lshlrev_b32_e32 v11, 2, v25
	s_clause 0x1
	global_load_b32 v22, v11, s[8:9]
	global_load_b32 v26, v11, s[22:23]
	v_add_co_u32 v11, s31, s26, v25
	s_delay_alu instid0(VALU_DEP_1)
	v_add_co_ci_u32_e64 v12, null, s28, 0, s31
	s_waitcnt vmcnt(0)
	v_cmp_neq_f32_e32 vcc_lo, v22, v26
	v_cndmask_b32_e64 v22, 0, 1, vcc_lo
.LBB789_55:
	s_or_b32 exec_lo, exec_lo, s30
	v_or_b32_e32 v25, 0x700, v0
	s_delay_alu instid0(VALU_DEP_1)
	v_cmp_gt_u32_e32 vcc_lo, s29, v25
	s_and_saveexec_b32 s30, vcc_lo
	s_cbranch_execnz .LBB789_232
; %bb.56:
	s_or_b32 exec_lo, exec_lo, s30
	s_and_saveexec_b32 s9, s7
	s_cbranch_execnz .LBB789_233
.LBB789_57:
	s_or_b32 exec_lo, exec_lo, s9
	s_and_saveexec_b32 s8, s6
	s_cbranch_execnz .LBB789_234
.LBB789_58:
	s_or_b32 exec_lo, exec_lo, s8
	s_and_saveexec_b32 s7, s5
	s_cbranch_execnz .LBB789_235
.LBB789_59:
	s_or_b32 exec_lo, exec_lo, s7
	s_and_saveexec_b32 s6, s4
	s_cbranch_execnz .LBB789_236
.LBB789_60:
	s_or_b32 exec_lo, exec_lo, s6
	s_and_saveexec_b32 s5, s3
	s_cbranch_execnz .LBB789_237
.LBB789_61:
	s_or_b32 exec_lo, exec_lo, s5
	s_and_saveexec_b32 s4, s2
	s_cbranch_execnz .LBB789_238
.LBB789_62:
	s_or_b32 exec_lo, exec_lo, s4
	s_and_saveexec_b32 s3, vcc_lo
.LBB789_63:
	v_and_b32_e32 v5, 1, v18
	v_cmp_lt_i64_e32 vcc_lo, v[3:4], v[1:2]
	s_delay_alu instid0(VALU_DEP_2) | instskip(NEXT) | instid1(VALU_DEP_1)
	v_cmp_eq_u32_e64 s2, 1, v5
	s_and_b32 vcc_lo, s2, vcc_lo
	v_cndmask_b32_e64 v6, v17, 1, s2
	v_dual_cndmask_b32 v2, v2, v4 :: v_dual_and_b32 v5, 1, v17
	v_cndmask_b32_e32 v1, v1, v3, vcc_lo
	s_delay_alu instid0(VALU_DEP_2) | instskip(NEXT) | instid1(VALU_DEP_3)
	v_cmp_eq_u32_e32 vcc_lo, 1, v5
	v_cndmask_b32_e32 v2, v4, v2, vcc_lo
	v_cndmask_b32_e32 v17, v18, v6, vcc_lo
	s_delay_alu instid0(VALU_DEP_4)
	v_cndmask_b32_e32 v1, v3, v1, vcc_lo
.LBB789_64:
	s_or_b32 exec_lo, exec_lo, s3
	v_mbcnt_lo_u32_b32 v5, -1, 0
	v_and_b32_e32 v7, 0xe0, v0
	s_min_u32 s3, s29, 0x100
	v_and_b32_e32 v6, 0xffff, v17
	s_delay_alu instid0(VALU_DEP_3) | instskip(NEXT) | instid1(VALU_DEP_3)
	v_cmp_ne_u32_e32 vcc_lo, 31, v5
	v_sub_nc_u32_e64 v8, s3, v7 clamp
	v_add_nc_u32_e32 v7, 1, v5
	v_add_co_ci_u32_e32 v3, vcc_lo, 0, v5, vcc_lo
	s_delay_alu instid0(VALU_DEP_2) | instskip(NEXT) | instid1(VALU_DEP_2)
	v_cmp_lt_u32_e32 vcc_lo, v7, v8
	v_dual_mov_b32 v7, v6 :: v_dual_lshlrev_b32 v4, 2, v3
	ds_bpermute_b32 v9, v4, v6
	ds_bpermute_b32 v3, v4, v1
	;; [unrolled: 1-line block ×3, first 2 shown]
	s_and_saveexec_b32 s2, vcc_lo
	s_delay_alu instid0(SALU_CYCLE_1)
	s_xor_b32 s4, exec_lo, s2
	s_cbranch_execz .LBB789_66
; %bb.65:
	s_waitcnt lgkmcnt(2)
	v_and_b32_e32 v7, 1, v9
	s_waitcnt lgkmcnt(0)
	v_cmp_lt_i64_e32 vcc_lo, v[3:4], v[1:2]
	s_delay_alu instid0(VALU_DEP_2) | instskip(SKIP_1) | instid1(VALU_DEP_2)
	v_cmp_eq_u32_e64 s2, 1, v7
	v_and_b32_e32 v7, 1, v17
	v_cndmask_b32_e64 v6, v6, 1, s2
	s_and_b32 vcc_lo, s2, vcc_lo
	s_delay_alu instid0(VALU_DEP_2) | instskip(SKIP_1) | instid1(VALU_DEP_2)
	v_cmp_eq_u32_e64 s2, 1, v7
	v_dual_cndmask_b32 v2, v2, v4 :: v_dual_cndmask_b32 v1, v1, v3
	v_cndmask_b32_e64 v7, v9, v6, s2
	s_delay_alu instid0(VALU_DEP_2) | instskip(NEXT) | instid1(VALU_DEP_3)
	v_cndmask_b32_e64 v2, v4, v2, s2
	v_cndmask_b32_e64 v1, v3, v1, s2
	s_delay_alu instid0(VALU_DEP_3)
	v_and_b32_e32 v6, 0xff, v7
.LBB789_66:
	s_or_b32 exec_lo, exec_lo, s4
	v_cmp_gt_u32_e32 vcc_lo, 30, v5
	v_add_nc_u32_e32 v10, 2, v5
	s_mov_b32 s4, exec_lo
	s_waitcnt lgkmcnt(1)
	v_cndmask_b32_e64 v3, 0, 1, vcc_lo
	s_delay_alu instid0(VALU_DEP_1) | instskip(SKIP_1) | instid1(VALU_DEP_1)
	v_lshlrev_b32_e32 v3, 1, v3
	s_waitcnt lgkmcnt(0)
	v_add_lshl_u32 v4, v3, v5, 2
	ds_bpermute_b32 v9, v4, v6
	ds_bpermute_b32 v3, v4, v1
	ds_bpermute_b32 v4, v4, v2
	v_cmpx_lt_u32_e64 v10, v8
	s_cbranch_execz .LBB789_68
; %bb.67:
	s_waitcnt lgkmcnt(2)
	v_and_b32_e32 v6, 1, v9
	s_waitcnt lgkmcnt(0)
	v_cmp_lt_i64_e32 vcc_lo, v[3:4], v[1:2]
	s_delay_alu instid0(VALU_DEP_2) | instskip(SKIP_1) | instid1(VALU_DEP_2)
	v_cmp_eq_u32_e64 s2, 1, v6
	v_and_b32_e32 v6, 1, v7
	v_cndmask_b32_e64 v7, v7, 1, s2
	s_and_b32 vcc_lo, s2, vcc_lo
	s_delay_alu instid0(VALU_DEP_2) | instskip(SKIP_1) | instid1(VALU_DEP_2)
	v_cmp_eq_u32_e64 s2, 1, v6
	v_dual_cndmask_b32 v1, v1, v3 :: v_dual_cndmask_b32 v2, v2, v4
	v_cndmask_b32_e64 v7, v9, v7, s2
	s_delay_alu instid0(VALU_DEP_2) | instskip(NEXT) | instid1(VALU_DEP_3)
	v_cndmask_b32_e64 v1, v3, v1, s2
	v_cndmask_b32_e64 v2, v4, v2, s2
	s_delay_alu instid0(VALU_DEP_3)
	v_and_b32_e32 v6, 0xff, v7
.LBB789_68:
	s_or_b32 exec_lo, exec_lo, s4
	v_cmp_gt_u32_e32 vcc_lo, 28, v5
	v_add_nc_u32_e32 v10, 4, v5
	s_mov_b32 s4, exec_lo
	s_waitcnt lgkmcnt(1)
	v_cndmask_b32_e64 v3, 0, 1, vcc_lo
	s_delay_alu instid0(VALU_DEP_1) | instskip(SKIP_1) | instid1(VALU_DEP_1)
	v_lshlrev_b32_e32 v3, 2, v3
	s_waitcnt lgkmcnt(0)
	v_add_lshl_u32 v4, v3, v5, 2
	ds_bpermute_b32 v9, v4, v6
	ds_bpermute_b32 v3, v4, v1
	ds_bpermute_b32 v4, v4, v2
	v_cmpx_lt_u32_e64 v10, v8
	;; [unrolled: 35-line block ×4, first 2 shown]
	s_cbranch_execz .LBB789_74
; %bb.73:
	s_waitcnt lgkmcnt(2)
	v_and_b32_e32 v6, 1, v9
	s_waitcnt lgkmcnt(0)
	v_cmp_lt_i64_e32 vcc_lo, v[3:4], v[1:2]
	s_delay_alu instid0(VALU_DEP_2) | instskip(SKIP_1) | instid1(VALU_DEP_2)
	v_cmp_eq_u32_e64 s2, 1, v6
	v_and_b32_e32 v6, 1, v7
	v_cndmask_b32_e64 v7, v7, 1, s2
	s_and_b32 vcc_lo, s2, vcc_lo
	s_delay_alu instid0(VALU_DEP_2) | instskip(SKIP_1) | instid1(VALU_DEP_2)
	v_cmp_eq_u32_e64 s2, 1, v6
	v_dual_cndmask_b32 v1, v1, v3 :: v_dual_cndmask_b32 v2, v2, v4
	v_cndmask_b32_e64 v7, v9, v7, s2
	s_delay_alu instid0(VALU_DEP_2) | instskip(NEXT) | instid1(VALU_DEP_3)
	v_cndmask_b32_e64 v1, v3, v1, s2
	v_cndmask_b32_e64 v2, v4, v2, s2
	s_delay_alu instid0(VALU_DEP_3)
	v_and_b32_e32 v6, 0xff, v7
.LBB789_74:
	s_or_b32 exec_lo, exec_lo, s4
	s_delay_alu instid0(SALU_CYCLE_1)
	s_mov_b32 s2, exec_lo
	v_cmpx_eq_u32_e32 0, v5
	s_cbranch_execz .LBB789_76
; %bb.75:
	s_waitcnt lgkmcnt(1)
	v_lshrrev_b32_e32 v3, 1, v0
	s_delay_alu instid0(VALU_DEP_1)
	v_and_b32_e32 v3, 0x70, v3
	ds_store_b8 v3, v7 offset:512
	ds_store_b64 v3, v[1:2] offset:520
.LBB789_76:
	s_or_b32 exec_lo, exec_lo, s2
	s_delay_alu instid0(SALU_CYCLE_1)
	s_mov_b32 s4, exec_lo
	s_waitcnt lgkmcnt(0)
	s_barrier
	buffer_gl0_inv
	v_cmpx_gt_u32_e32 8, v0
	s_cbranch_execz .LBB789_84
; %bb.77:
	v_lshlrev_b32_e32 v1, 4, v5
	v_and_b32_e32 v8, 7, v5
	s_add_i32 s3, s3, 31
	s_mov_b32 s5, exec_lo
	s_lshr_b32 s3, s3, 5
	ds_load_u8 v7, v1 offset:512
	ds_load_b64 v[1:2], v1 offset:520
	v_cmp_ne_u32_e32 vcc_lo, 7, v8
	v_add_nc_u32_e32 v10, 1, v8
	v_add_co_ci_u32_e32 v3, vcc_lo, 0, v5, vcc_lo
	s_delay_alu instid0(VALU_DEP_1)
	v_lshlrev_b32_e32 v4, 2, v3
	s_waitcnt lgkmcnt(1)
	v_and_b32_e32 v6, 0xff, v7
	s_waitcnt lgkmcnt(0)
	ds_bpermute_b32 v3, v4, v1
	ds_bpermute_b32 v9, v4, v6
	;; [unrolled: 1-line block ×3, first 2 shown]
	v_cmpx_gt_u32_e64 s3, v10
	s_cbranch_execz .LBB789_79
; %bb.78:
	s_waitcnt lgkmcnt(1)
	v_and_b32_e32 v6, 1, v9
	s_waitcnt lgkmcnt(0)
	v_cmp_lt_i64_e32 vcc_lo, v[3:4], v[1:2]
	s_delay_alu instid0(VALU_DEP_2) | instskip(SKIP_1) | instid1(VALU_DEP_2)
	v_cmp_eq_u32_e64 s2, 1, v6
	v_and_b32_e32 v6, 1, v7
	v_cndmask_b32_e64 v7, v7, 1, s2
	s_and_b32 vcc_lo, s2, vcc_lo
	s_delay_alu instid0(VALU_DEP_2) | instskip(SKIP_1) | instid1(VALU_DEP_2)
	v_cmp_eq_u32_e64 s2, 1, v6
	v_dual_cndmask_b32 v1, v1, v3 :: v_dual_cndmask_b32 v2, v2, v4
	v_cndmask_b32_e64 v7, v9, v7, s2
	s_delay_alu instid0(VALU_DEP_2) | instskip(NEXT) | instid1(VALU_DEP_3)
	v_cndmask_b32_e64 v1, v3, v1, s2
	v_cndmask_b32_e64 v2, v4, v2, s2
	s_delay_alu instid0(VALU_DEP_3)
	v_and_b32_e32 v6, 0xff, v7
.LBB789_79:
	s_or_b32 exec_lo, exec_lo, s5
	v_cmp_gt_u32_e32 vcc_lo, 6, v8
	v_add_nc_u32_e32 v10, 2, v8
	s_mov_b32 s5, exec_lo
	s_waitcnt lgkmcnt(2)
	v_cndmask_b32_e64 v3, 0, 1, vcc_lo
	s_delay_alu instid0(VALU_DEP_1) | instskip(SKIP_1) | instid1(VALU_DEP_1)
	v_lshlrev_b32_e32 v3, 1, v3
	s_waitcnt lgkmcnt(0)
	v_add_lshl_u32 v4, v3, v5, 2
	ds_bpermute_b32 v9, v4, v6
	ds_bpermute_b32 v3, v4, v1
	;; [unrolled: 1-line block ×3, first 2 shown]
	v_cmpx_gt_u32_e64 s3, v10
	s_cbranch_execz .LBB789_81
; %bb.80:
	s_waitcnt lgkmcnt(2)
	v_and_b32_e32 v6, 1, v9
	s_waitcnt lgkmcnt(0)
	v_cmp_lt_i64_e32 vcc_lo, v[3:4], v[1:2]
	s_delay_alu instid0(VALU_DEP_2) | instskip(SKIP_1) | instid1(VALU_DEP_2)
	v_cmp_eq_u32_e64 s2, 1, v6
	v_and_b32_e32 v6, 1, v7
	v_cndmask_b32_e64 v7, v7, 1, s2
	s_and_b32 vcc_lo, s2, vcc_lo
	s_delay_alu instid0(VALU_DEP_2) | instskip(SKIP_1) | instid1(VALU_DEP_2)
	v_cmp_eq_u32_e64 s2, 1, v6
	v_dual_cndmask_b32 v1, v1, v3 :: v_dual_cndmask_b32 v2, v2, v4
	v_cndmask_b32_e64 v7, v9, v7, s2
	s_delay_alu instid0(VALU_DEP_2) | instskip(NEXT) | instid1(VALU_DEP_3)
	v_cndmask_b32_e64 v1, v3, v1, s2
	v_cndmask_b32_e64 v2, v4, v2, s2
	s_delay_alu instid0(VALU_DEP_3)
	v_and_b32_e32 v6, 0xff, v7
.LBB789_81:
	s_or_b32 exec_lo, exec_lo, s5
	v_cmp_gt_u32_e32 vcc_lo, 4, v8
	v_add_nc_u32_e32 v8, 4, v8
	s_waitcnt lgkmcnt(1)
	v_cndmask_b32_e64 v3, 0, 1, vcc_lo
	s_delay_alu instid0(VALU_DEP_2) | instskip(NEXT) | instid1(VALU_DEP_2)
	v_cmp_gt_u32_e32 vcc_lo, s3, v8
	v_lshlrev_b32_e32 v3, 2, v3
	s_waitcnt lgkmcnt(0)
	s_delay_alu instid0(VALU_DEP_1)
	v_add_lshl_u32 v4, v3, v5, 2
	ds_bpermute_b32 v5, v4, v6
	ds_bpermute_b32 v3, v4, v1
	ds_bpermute_b32 v4, v4, v2
	s_and_saveexec_b32 s3, vcc_lo
	s_cbranch_execz .LBB789_83
; %bb.82:
	s_waitcnt lgkmcnt(2)
	v_and_b32_e32 v6, 1, v5
	s_waitcnt lgkmcnt(0)
	v_cmp_lt_i64_e32 vcc_lo, v[3:4], v[1:2]
	s_delay_alu instid0(VALU_DEP_2) | instskip(SKIP_1) | instid1(VALU_DEP_2)
	v_cmp_eq_u32_e64 s2, 1, v6
	v_and_b32_e32 v6, 1, v7
	v_cndmask_b32_e64 v7, v7, 1, s2
	s_and_b32 vcc_lo, s2, vcc_lo
	s_delay_alu instid0(VALU_DEP_2) | instskip(SKIP_1) | instid1(VALU_DEP_2)
	v_cmp_eq_u32_e64 s2, 1, v6
	v_dual_cndmask_b32 v1, v1, v3 :: v_dual_cndmask_b32 v2, v2, v4
	v_cndmask_b32_e64 v5, v5, v7, s2
	s_delay_alu instid0(VALU_DEP_2) | instskip(NEXT) | instid1(VALU_DEP_3)
	v_cndmask_b32_e64 v1, v3, v1, s2
	v_cndmask_b32_e64 v2, v4, v2, s2
	s_delay_alu instid0(VALU_DEP_3)
	v_and_b32_e32 v6, 0xff, v5
.LBB789_83:
	s_or_b32 exec_lo, exec_lo, s3
.LBB789_84:
	s_delay_alu instid0(SALU_CYCLE_1)
	s_or_b32 exec_lo, exec_lo, s4
.LBB789_85:
	s_mov_b32 s26, 0
                                        ; implicit-def: $vgpr3_vgpr4
                                        ; implicit-def: $vgpr5
	s_mov_b32 s2, exec_lo
	v_cmpx_eq_u32_e32 0, v0
	s_xor_b32 s4, exec_lo, s2
	s_cbranch_execz .LBB789_89
; %bb.86:
	s_waitcnt lgkmcnt(0)
	v_dual_mov_b32 v3, s20 :: v_dual_mov_b32 v4, s21
	v_mov_b32_e32 v5, s24
	s_cmp_eq_u64 s[14:15], 0
	s_cbranch_scc1 .LBB789_88
; %bb.87:
	v_and_b32_e32 v3, 1, v6
	v_cmp_gt_i64_e32 vcc_lo, s[20:21], v[1:2]
	s_bitcmp1_b32 s24, 0
	s_cselect_b32 s3, -1, 0
	s_delay_alu instid0(VALU_DEP_2) | instskip(NEXT) | instid1(VALU_DEP_1)
	v_cmp_eq_u32_e64 s2, 1, v3
	s_and_b32 vcc_lo, s2, vcc_lo
	v_cndmask_b32_e64 v3, s24, 1, s2
	v_cndmask_b32_e32 v7, s20, v1, vcc_lo
	v_cndmask_b32_e32 v4, s21, v2, vcc_lo
	s_delay_alu instid0(VALU_DEP_3) | instskip(NEXT) | instid1(VALU_DEP_3)
	v_cndmask_b32_e64 v5, v6, v3, s3
	v_cndmask_b32_e64 v3, v1, v7, s3
	s_delay_alu instid0(VALU_DEP_3)
	v_cndmask_b32_e64 v4, v2, v4, s3
.LBB789_88:
	s_mov_b32 s26, exec_lo
.LBB789_89:
	s_or_b32 exec_lo, exec_lo, s4
	s_delay_alu instid0(SALU_CYCLE_1)
	s_and_b32 vcc_lo, exec_lo, s27
	s_cbranch_vccnz .LBB789_22
.LBB789_90:
	s_branch .LBB789_200
.LBB789_91:
                                        ; implicit-def: $vgpr1_vgpr2
                                        ; implicit-def: $vgpr6
	s_cbranch_execz .LBB789_124
; %bb.92:
	s_waitcnt lgkmcnt(2)
	v_mov_b32_e32 v5, 0
	v_dual_mov_b32 v6, 0 :: v_dual_mov_b32 v11, 0
	s_delay_alu instid0(VALU_DEP_2) | instskip(SKIP_2) | instid1(VALU_DEP_3)
	v_mov_b32_e32 v1, v5
	v_mov_b32_e32 v9, 0
	s_sub_i32 s22, s14, s22
	v_mov_b32_e32 v2, v6
	s_mov_b32 s2, exec_lo
	v_cmpx_gt_u32_e64 s22, v0
	s_cbranch_execz .LBB789_94
; %bb.93:
	v_lshlrev_b32_e32 v1, 2, v0
	s_waitcnt lgkmcnt(1)
	global_load_b32 v3, v1, s[6:7]
	s_waitcnt lgkmcnt(0)
	global_load_b32 v4, v1, s[8:9]
	v_add_co_u32 v1, s3, s5, v0
	s_delay_alu instid0(VALU_DEP_1)
	v_add_co_ci_u32_e64 v2, null, s23, 0, s3
	s_waitcnt vmcnt(0)
	v_cmp_neq_f32_e32 vcc_lo, v3, v4
	v_cndmask_b32_e64 v9, 0, 1, vcc_lo
.LBB789_94:
	s_or_b32 exec_lo, exec_lo, s2
	s_waitcnt lgkmcnt(1)
	v_or_b32_e32 v3, 0x100, v0
	s_delay_alu instid0(VALU_DEP_1) | instskip(NEXT) | instid1(VALU_DEP_1)
	v_cmp_gt_u32_e64 s3, s22, v3
	s_and_saveexec_b32 s2, s3
	s_cbranch_execz .LBB789_96
; %bb.95:
	s_waitcnt lgkmcnt(0)
	v_lshlrev_b32_e32 v4, 2, v0
	v_add_co_u32 v5, s4, s5, v3
	s_delay_alu instid0(VALU_DEP_1)
	v_add_co_ci_u32_e64 v6, null, s23, 0, s4
	s_clause 0x1
	global_load_b32 v7, v4, s[6:7] offset:1024
	global_load_b32 v4, v4, s[8:9] offset:1024
	s_waitcnt vmcnt(0)
	v_cmp_neq_f32_e32 vcc_lo, v7, v4
	v_cndmask_b32_e64 v11, 0, 1, vcc_lo
.LBB789_96:
	s_or_b32 exec_lo, exec_lo, s2
	s_waitcnt lgkmcnt(0)
	v_dual_mov_b32 v3, 0 :: v_dual_mov_b32 v10, 0
	v_mov_b32_e32 v4, 0
	v_or_b32_e32 v13, 0x200, v0
	v_mov_b32_e32 v12, 0
	s_delay_alu instid0(VALU_DEP_3) | instskip(NEXT) | instid1(VALU_DEP_3)
	v_dual_mov_b32 v8, v4 :: v_dual_mov_b32 v7, v3
	v_cmp_gt_u32_e64 s2, s22, v13
	s_delay_alu instid0(VALU_DEP_1)
	s_and_saveexec_b32 s4, s2
	s_cbranch_execz .LBB789_98
; %bb.97:
	v_lshlrev_b32_e32 v7, 2, v0
	s_clause 0x1
	global_load_b32 v12, v7, s[6:7] offset:2048
	global_load_b32 v14, v7, s[8:9] offset:2048
	v_add_co_u32 v7, s27, s5, v13
	s_delay_alu instid0(VALU_DEP_1)
	v_add_co_ci_u32_e64 v8, null, s23, 0, s27
	s_waitcnt vmcnt(0)
	v_cmp_neq_f32_e32 vcc_lo, v12, v14
	v_cndmask_b32_e64 v12, 0, 1, vcc_lo
.LBB789_98:
	s_or_b32 exec_lo, exec_lo, s4
	v_or_b32_e32 v13, 0x300, v0
	s_delay_alu instid0(VALU_DEP_1)
	v_cmp_gt_u32_e32 vcc_lo, s22, v13
	s_and_saveexec_b32 s27, vcc_lo
	s_cbranch_execnz .LBB789_239
; %bb.99:
	s_or_b32 exec_lo, exec_lo, s27
	s_and_saveexec_b32 s5, s3
	s_cbranch_execnz .LBB789_240
.LBB789_100:
	s_or_b32 exec_lo, exec_lo, s5
	s_and_saveexec_b32 s4, s2
	s_cbranch_execnz .LBB789_241
.LBB789_101:
	s_or_b32 exec_lo, exec_lo, s4
	s_and_saveexec_b32 s3, vcc_lo
.LBB789_102:
	v_and_b32_e32 v5, 1, v10
	v_cmp_lt_i64_e32 vcc_lo, v[3:4], v[1:2]
	s_delay_alu instid0(VALU_DEP_2) | instskip(NEXT) | instid1(VALU_DEP_1)
	v_cmp_eq_u32_e64 s2, 1, v5
	s_and_b32 vcc_lo, s2, vcc_lo
	v_cndmask_b32_e64 v6, v9, 1, s2
	v_dual_cndmask_b32 v2, v2, v4 :: v_dual_and_b32 v5, 1, v9
	v_cndmask_b32_e32 v1, v1, v3, vcc_lo
	s_delay_alu instid0(VALU_DEP_2) | instskip(NEXT) | instid1(VALU_DEP_3)
	v_cmp_eq_u32_e32 vcc_lo, 1, v5
	v_cndmask_b32_e32 v2, v4, v2, vcc_lo
	v_cndmask_b32_e32 v9, v10, v6, vcc_lo
	s_delay_alu instid0(VALU_DEP_4)
	v_cndmask_b32_e32 v1, v3, v1, vcc_lo
.LBB789_103:
	s_or_b32 exec_lo, exec_lo, s3
	v_mbcnt_lo_u32_b32 v5, -1, 0
	v_and_b32_e32 v7, 0xe0, v0
	s_min_u32 s3, s22, 0x100
	v_and_b32_e32 v6, 0xffff, v9
	s_delay_alu instid0(VALU_DEP_3) | instskip(NEXT) | instid1(VALU_DEP_3)
	v_cmp_ne_u32_e32 vcc_lo, 31, v5
	v_sub_nc_u32_e64 v8, s3, v7 clamp
	v_add_nc_u32_e32 v7, 1, v5
	v_add_co_ci_u32_e32 v3, vcc_lo, 0, v5, vcc_lo
	s_delay_alu instid0(VALU_DEP_2) | instskip(NEXT) | instid1(VALU_DEP_2)
	v_cmp_lt_u32_e32 vcc_lo, v7, v8
	v_dual_mov_b32 v7, v6 :: v_dual_lshlrev_b32 v4, 2, v3
	ds_bpermute_b32 v10, v4, v6
	ds_bpermute_b32 v3, v4, v1
	ds_bpermute_b32 v4, v4, v2
	s_and_saveexec_b32 s2, vcc_lo
	s_delay_alu instid0(SALU_CYCLE_1)
	s_xor_b32 s4, exec_lo, s2
	s_cbranch_execz .LBB789_105
; %bb.104:
	s_waitcnt lgkmcnt(2)
	v_and_b32_e32 v7, 1, v10
	s_waitcnt lgkmcnt(0)
	v_cmp_lt_i64_e32 vcc_lo, v[3:4], v[1:2]
	s_delay_alu instid0(VALU_DEP_2) | instskip(SKIP_1) | instid1(VALU_DEP_2)
	v_cmp_eq_u32_e64 s2, 1, v7
	v_and_b32_e32 v7, 1, v9
	v_cndmask_b32_e64 v6, v6, 1, s2
	s_and_b32 vcc_lo, s2, vcc_lo
	s_delay_alu instid0(VALU_DEP_2) | instskip(SKIP_1) | instid1(VALU_DEP_2)
	v_cmp_eq_u32_e64 s2, 1, v7
	v_dual_cndmask_b32 v2, v2, v4 :: v_dual_cndmask_b32 v1, v1, v3
	v_cndmask_b32_e64 v7, v10, v6, s2
	s_delay_alu instid0(VALU_DEP_2) | instskip(NEXT) | instid1(VALU_DEP_3)
	v_cndmask_b32_e64 v2, v4, v2, s2
	v_cndmask_b32_e64 v1, v3, v1, s2
	s_delay_alu instid0(VALU_DEP_3)
	v_and_b32_e32 v6, 0xff, v7
.LBB789_105:
	s_or_b32 exec_lo, exec_lo, s4
	v_cmp_gt_u32_e32 vcc_lo, 30, v5
	s_waitcnt lgkmcnt(2)
	v_add_nc_u32_e32 v10, 2, v5
	s_mov_b32 s4, exec_lo
	s_waitcnt lgkmcnt(1)
	v_cndmask_b32_e64 v3, 0, 1, vcc_lo
	s_delay_alu instid0(VALU_DEP_1) | instskip(SKIP_1) | instid1(VALU_DEP_1)
	v_lshlrev_b32_e32 v3, 1, v3
	s_waitcnt lgkmcnt(0)
	v_add_lshl_u32 v4, v3, v5, 2
	ds_bpermute_b32 v9, v4, v6
	ds_bpermute_b32 v3, v4, v1
	ds_bpermute_b32 v4, v4, v2
	v_cmpx_lt_u32_e64 v10, v8
	s_cbranch_execz .LBB789_107
; %bb.106:
	s_waitcnt lgkmcnt(2)
	v_and_b32_e32 v6, 1, v9
	s_waitcnt lgkmcnt(0)
	v_cmp_lt_i64_e32 vcc_lo, v[3:4], v[1:2]
	s_delay_alu instid0(VALU_DEP_2) | instskip(SKIP_1) | instid1(VALU_DEP_2)
	v_cmp_eq_u32_e64 s2, 1, v6
	v_and_b32_e32 v6, 1, v7
	v_cndmask_b32_e64 v7, v7, 1, s2
	s_and_b32 vcc_lo, s2, vcc_lo
	s_delay_alu instid0(VALU_DEP_2) | instskip(SKIP_1) | instid1(VALU_DEP_2)
	v_cmp_eq_u32_e64 s2, 1, v6
	v_dual_cndmask_b32 v1, v1, v3 :: v_dual_cndmask_b32 v2, v2, v4
	v_cndmask_b32_e64 v7, v9, v7, s2
	s_delay_alu instid0(VALU_DEP_2) | instskip(NEXT) | instid1(VALU_DEP_3)
	v_cndmask_b32_e64 v1, v3, v1, s2
	v_cndmask_b32_e64 v2, v4, v2, s2
	s_delay_alu instid0(VALU_DEP_3)
	v_and_b32_e32 v6, 0xff, v7
.LBB789_107:
	s_or_b32 exec_lo, exec_lo, s4
	v_cmp_gt_u32_e32 vcc_lo, 28, v5
	v_add_nc_u32_e32 v10, 4, v5
	s_mov_b32 s4, exec_lo
	s_waitcnt lgkmcnt(1)
	v_cndmask_b32_e64 v3, 0, 1, vcc_lo
	s_delay_alu instid0(VALU_DEP_1) | instskip(SKIP_1) | instid1(VALU_DEP_1)
	v_lshlrev_b32_e32 v3, 2, v3
	s_waitcnt lgkmcnt(0)
	v_add_lshl_u32 v4, v3, v5, 2
	ds_bpermute_b32 v9, v4, v6
	ds_bpermute_b32 v3, v4, v1
	ds_bpermute_b32 v4, v4, v2
	v_cmpx_lt_u32_e64 v10, v8
	s_cbranch_execz .LBB789_109
; %bb.108:
	s_waitcnt lgkmcnt(2)
	v_and_b32_e32 v6, 1, v9
	s_waitcnt lgkmcnt(0)
	v_cmp_lt_i64_e32 vcc_lo, v[3:4], v[1:2]
	s_delay_alu instid0(VALU_DEP_2) | instskip(SKIP_1) | instid1(VALU_DEP_2)
	v_cmp_eq_u32_e64 s2, 1, v6
	v_and_b32_e32 v6, 1, v7
	v_cndmask_b32_e64 v7, v7, 1, s2
	s_and_b32 vcc_lo, s2, vcc_lo
	s_delay_alu instid0(VALU_DEP_2) | instskip(SKIP_1) | instid1(VALU_DEP_2)
	v_cmp_eq_u32_e64 s2, 1, v6
	v_dual_cndmask_b32 v1, v1, v3 :: v_dual_cndmask_b32 v2, v2, v4
	v_cndmask_b32_e64 v7, v9, v7, s2
	s_delay_alu instid0(VALU_DEP_2) | instskip(NEXT) | instid1(VALU_DEP_3)
	v_cndmask_b32_e64 v1, v3, v1, s2
	v_cndmask_b32_e64 v2, v4, v2, s2
	s_delay_alu instid0(VALU_DEP_3)
	v_and_b32_e32 v6, 0xff, v7
.LBB789_109:
	s_or_b32 exec_lo, exec_lo, s4
	v_cmp_gt_u32_e32 vcc_lo, 24, v5
	;; [unrolled: 35-line block ×3, first 2 shown]
	v_add_nc_u32_e32 v10, 16, v5
	s_mov_b32 s4, exec_lo
	s_waitcnt lgkmcnt(1)
	v_cndmask_b32_e64 v3, 0, 1, vcc_lo
	s_delay_alu instid0(VALU_DEP_1) | instskip(SKIP_1) | instid1(VALU_DEP_1)
	v_lshlrev_b32_e32 v3, 4, v3
	s_waitcnt lgkmcnt(0)
	v_add_lshl_u32 v4, v3, v5, 2
	ds_bpermute_b32 v9, v4, v6
	ds_bpermute_b32 v3, v4, v1
	;; [unrolled: 1-line block ×3, first 2 shown]
	v_cmpx_lt_u32_e64 v10, v8
	s_cbranch_execz .LBB789_113
; %bb.112:
	s_waitcnt lgkmcnt(2)
	v_and_b32_e32 v6, 1, v9
	s_waitcnt lgkmcnt(0)
	v_cmp_lt_i64_e32 vcc_lo, v[3:4], v[1:2]
	s_delay_alu instid0(VALU_DEP_2) | instskip(SKIP_1) | instid1(VALU_DEP_2)
	v_cmp_eq_u32_e64 s2, 1, v6
	v_and_b32_e32 v6, 1, v7
	v_cndmask_b32_e64 v7, v7, 1, s2
	s_and_b32 vcc_lo, s2, vcc_lo
	s_delay_alu instid0(VALU_DEP_2) | instskip(SKIP_1) | instid1(VALU_DEP_2)
	v_cmp_eq_u32_e64 s2, 1, v6
	v_dual_cndmask_b32 v1, v1, v3 :: v_dual_cndmask_b32 v2, v2, v4
	v_cndmask_b32_e64 v7, v9, v7, s2
	s_delay_alu instid0(VALU_DEP_2) | instskip(NEXT) | instid1(VALU_DEP_3)
	v_cndmask_b32_e64 v1, v3, v1, s2
	v_cndmask_b32_e64 v2, v4, v2, s2
	s_delay_alu instid0(VALU_DEP_3)
	v_and_b32_e32 v6, 0xff, v7
.LBB789_113:
	s_or_b32 exec_lo, exec_lo, s4
	s_delay_alu instid0(SALU_CYCLE_1)
	s_mov_b32 s2, exec_lo
	v_cmpx_eq_u32_e32 0, v5
	s_cbranch_execz .LBB789_115
; %bb.114:
	s_waitcnt lgkmcnt(1)
	v_lshrrev_b32_e32 v3, 1, v0
	s_delay_alu instid0(VALU_DEP_1)
	v_and_b32_e32 v3, 0x70, v3
	ds_store_b8 v3, v7 offset:512
	ds_store_b64 v3, v[1:2] offset:520
.LBB789_115:
	s_or_b32 exec_lo, exec_lo, s2
	s_delay_alu instid0(SALU_CYCLE_1)
	s_mov_b32 s4, exec_lo
	s_waitcnt lgkmcnt(0)
	s_barrier
	buffer_gl0_inv
	v_cmpx_gt_u32_e32 8, v0
	s_cbranch_execz .LBB789_123
; %bb.116:
	v_lshlrev_b32_e32 v1, 4, v5
	v_and_b32_e32 v8, 7, v5
	s_add_i32 s3, s3, 31
	s_mov_b32 s5, exec_lo
	s_lshr_b32 s3, s3, 5
	ds_load_u8 v7, v1 offset:512
	ds_load_b64 v[1:2], v1 offset:520
	v_cmp_ne_u32_e32 vcc_lo, 7, v8
	v_add_nc_u32_e32 v10, 1, v8
	v_add_co_ci_u32_e32 v3, vcc_lo, 0, v5, vcc_lo
	s_delay_alu instid0(VALU_DEP_1)
	v_lshlrev_b32_e32 v4, 2, v3
	s_waitcnt lgkmcnt(1)
	v_and_b32_e32 v6, 0xff, v7
	s_waitcnt lgkmcnt(0)
	ds_bpermute_b32 v3, v4, v1
	ds_bpermute_b32 v9, v4, v6
	;; [unrolled: 1-line block ×3, first 2 shown]
	v_cmpx_gt_u32_e64 s3, v10
	s_cbranch_execz .LBB789_118
; %bb.117:
	s_waitcnt lgkmcnt(1)
	v_and_b32_e32 v6, 1, v9
	s_waitcnt lgkmcnt(0)
	v_cmp_lt_i64_e32 vcc_lo, v[3:4], v[1:2]
	s_delay_alu instid0(VALU_DEP_2) | instskip(SKIP_1) | instid1(VALU_DEP_2)
	v_cmp_eq_u32_e64 s2, 1, v6
	v_and_b32_e32 v6, 1, v7
	v_cndmask_b32_e64 v7, v7, 1, s2
	s_and_b32 vcc_lo, s2, vcc_lo
	s_delay_alu instid0(VALU_DEP_2) | instskip(SKIP_1) | instid1(VALU_DEP_2)
	v_cmp_eq_u32_e64 s2, 1, v6
	v_dual_cndmask_b32 v1, v1, v3 :: v_dual_cndmask_b32 v2, v2, v4
	v_cndmask_b32_e64 v7, v9, v7, s2
	s_delay_alu instid0(VALU_DEP_2) | instskip(NEXT) | instid1(VALU_DEP_3)
	v_cndmask_b32_e64 v1, v3, v1, s2
	v_cndmask_b32_e64 v2, v4, v2, s2
	s_delay_alu instid0(VALU_DEP_3)
	v_and_b32_e32 v6, 0xff, v7
.LBB789_118:
	s_or_b32 exec_lo, exec_lo, s5
	v_cmp_gt_u32_e32 vcc_lo, 6, v8
	v_add_nc_u32_e32 v10, 2, v8
	s_mov_b32 s5, exec_lo
	s_waitcnt lgkmcnt(2)
	v_cndmask_b32_e64 v3, 0, 1, vcc_lo
	s_delay_alu instid0(VALU_DEP_1) | instskip(SKIP_1) | instid1(VALU_DEP_1)
	v_lshlrev_b32_e32 v3, 1, v3
	s_waitcnt lgkmcnt(0)
	v_add_lshl_u32 v4, v3, v5, 2
	ds_bpermute_b32 v9, v4, v6
	ds_bpermute_b32 v3, v4, v1
	;; [unrolled: 1-line block ×3, first 2 shown]
	v_cmpx_gt_u32_e64 s3, v10
	s_cbranch_execz .LBB789_120
; %bb.119:
	s_waitcnt lgkmcnt(2)
	v_and_b32_e32 v6, 1, v9
	s_waitcnt lgkmcnt(0)
	v_cmp_lt_i64_e32 vcc_lo, v[3:4], v[1:2]
	s_delay_alu instid0(VALU_DEP_2) | instskip(SKIP_1) | instid1(VALU_DEP_2)
	v_cmp_eq_u32_e64 s2, 1, v6
	v_and_b32_e32 v6, 1, v7
	v_cndmask_b32_e64 v7, v7, 1, s2
	s_and_b32 vcc_lo, s2, vcc_lo
	s_delay_alu instid0(VALU_DEP_2) | instskip(SKIP_1) | instid1(VALU_DEP_2)
	v_cmp_eq_u32_e64 s2, 1, v6
	v_dual_cndmask_b32 v1, v1, v3 :: v_dual_cndmask_b32 v2, v2, v4
	v_cndmask_b32_e64 v7, v9, v7, s2
	s_delay_alu instid0(VALU_DEP_2) | instskip(NEXT) | instid1(VALU_DEP_3)
	v_cndmask_b32_e64 v1, v3, v1, s2
	v_cndmask_b32_e64 v2, v4, v2, s2
	s_delay_alu instid0(VALU_DEP_3)
	v_and_b32_e32 v6, 0xff, v7
.LBB789_120:
	s_or_b32 exec_lo, exec_lo, s5
	v_cmp_gt_u32_e32 vcc_lo, 4, v8
	v_add_nc_u32_e32 v8, 4, v8
	s_waitcnt lgkmcnt(1)
	v_cndmask_b32_e64 v3, 0, 1, vcc_lo
	s_delay_alu instid0(VALU_DEP_2) | instskip(NEXT) | instid1(VALU_DEP_2)
	v_cmp_gt_u32_e32 vcc_lo, s3, v8
	v_lshlrev_b32_e32 v3, 2, v3
	s_waitcnt lgkmcnt(0)
	s_delay_alu instid0(VALU_DEP_1)
	v_add_lshl_u32 v4, v3, v5, 2
	ds_bpermute_b32 v5, v4, v6
	ds_bpermute_b32 v3, v4, v1
	;; [unrolled: 1-line block ×3, first 2 shown]
	s_and_saveexec_b32 s3, vcc_lo
	s_cbranch_execz .LBB789_122
; %bb.121:
	s_waitcnt lgkmcnt(2)
	v_and_b32_e32 v6, 1, v5
	s_waitcnt lgkmcnt(0)
	v_cmp_lt_i64_e32 vcc_lo, v[3:4], v[1:2]
	s_delay_alu instid0(VALU_DEP_2) | instskip(SKIP_1) | instid1(VALU_DEP_2)
	v_cmp_eq_u32_e64 s2, 1, v6
	v_and_b32_e32 v6, 1, v7
	v_cndmask_b32_e64 v7, v7, 1, s2
	s_and_b32 vcc_lo, s2, vcc_lo
	s_delay_alu instid0(VALU_DEP_2) | instskip(SKIP_1) | instid1(VALU_DEP_2)
	v_cmp_eq_u32_e64 s2, 1, v6
	v_dual_cndmask_b32 v1, v1, v3 :: v_dual_cndmask_b32 v2, v2, v4
	v_cndmask_b32_e64 v5, v5, v7, s2
	s_delay_alu instid0(VALU_DEP_2) | instskip(NEXT) | instid1(VALU_DEP_3)
	v_cndmask_b32_e64 v1, v3, v1, s2
	v_cndmask_b32_e64 v2, v4, v2, s2
	s_delay_alu instid0(VALU_DEP_3)
	v_and_b32_e32 v6, 0xff, v5
.LBB789_122:
	s_or_b32 exec_lo, exec_lo, s3
.LBB789_123:
	s_delay_alu instid0(SALU_CYCLE_1)
	s_or_b32 exec_lo, exec_lo, s4
.LBB789_124:
                                        ; implicit-def: $vgpr3_vgpr4
                                        ; implicit-def: $vgpr5
	s_delay_alu instid0(SALU_CYCLE_1)
	s_mov_b32 s2, exec_lo
	v_cmpx_eq_u32_e32 0, v0
	s_xor_b32 s4, exec_lo, s2
	s_cbranch_execz .LBB789_128
; %bb.125:
	s_waitcnt lgkmcnt(0)
	v_dual_mov_b32 v3, s20 :: v_dual_mov_b32 v4, s21
	v_mov_b32_e32 v5, s24
	s_cmp_eq_u64 s[14:15], 0
	s_cbranch_scc1 .LBB789_127
; %bb.126:
	v_and_b32_e32 v3, 1, v6
	v_cmp_gt_i64_e32 vcc_lo, s[20:21], v[1:2]
	s_bitcmp1_b32 s24, 0
	s_cselect_b32 s3, -1, 0
	s_delay_alu instid0(VALU_DEP_2) | instskip(NEXT) | instid1(VALU_DEP_1)
	v_cmp_eq_u32_e64 s2, 1, v3
	s_and_b32 vcc_lo, s2, vcc_lo
	v_cndmask_b32_e64 v3, s24, 1, s2
	v_cndmask_b32_e32 v7, s20, v1, vcc_lo
	v_cndmask_b32_e32 v4, s21, v2, vcc_lo
	s_delay_alu instid0(VALU_DEP_3) | instskip(NEXT) | instid1(VALU_DEP_3)
	v_cndmask_b32_e64 v5, v6, v3, s3
	v_cndmask_b32_e64 v3, v1, v7, s3
	s_delay_alu instid0(VALU_DEP_3)
	v_cndmask_b32_e64 v4, v2, v4, s3
.LBB789_127:
	s_or_b32 s26, s26, exec_lo
.LBB789_128:
	s_or_b32 exec_lo, exec_lo, s4
	s_branch .LBB789_200
.LBB789_129:
	s_cmp_gt_i32 s25, 1
	s_cbranch_scc0 .LBB789_147
; %bb.130:
	s_cmp_eq_u32 s25, 2
	s_cbranch_scc0 .LBB789_148
; %bb.131:
	s_mov_b32 s11, 0
	s_lshl_b32 s8, s10, 9
	s_mov_b32 s9, s11
	s_lshr_b64 s[28:29], s[14:15], 9
	s_lshl_b64 s[2:3], s[8:9], 2
	s_delay_alu instid0(SALU_CYCLE_1)
	s_add_u32 s4, s16, s2
	s_addc_u32 s5, s17, s3
	s_add_u32 s6, s18, s2
	s_addc_u32 s7, s19, s3
	;; [unrolled: 2-line block ×3, first 2 shown]
	s_cmp_lg_u64 s[28:29], s[10:11]
	s_cbranch_scc0 .LBB789_149
; %bb.132:
	v_lshlrev_b32_e32 v1, 2, v0
	v_add_co_u32 v7, s2, s9, v0
	s_waitcnt lgkmcnt(2)
	v_add_co_ci_u32_e64 v5, null, s22, 0, s2
	global_load_b32 v2, v1, s[6:7] offset:1024
	s_waitcnt lgkmcnt(1)
	global_load_b32 v3, v1, s[6:7]
	s_waitcnt lgkmcnt(0)
	s_clause 0x1
	global_load_b32 v4, v1, s[4:5] offset:1024
	global_load_b32 v1, v1, s[4:5]
	v_add_co_u32 v8, vcc_lo, 0x100, v7
	v_add_co_ci_u32_e32 v6, vcc_lo, 0, v5, vcc_lo
	s_mov_b32 s23, exec_lo
	s_waitcnt vmcnt(1)
	v_cmp_neq_f32_e32 vcc_lo, v4, v2
	s_waitcnt vmcnt(0)
	v_cmp_neq_f32_e64 s2, v1, v3
	s_delay_alu instid0(VALU_DEP_1) | instskip(SKIP_3) | instid1(VALU_DEP_3)
	s_or_b32 s3, s2, vcc_lo
	v_cndmask_b32_e64 v2, v6, v5, s2
	v_cndmask_b32_e64 v5, 0, 1, s3
	;; [unrolled: 1-line block ×3, first 2 shown]
	v_mov_b32_dpp v4, v2 quad_perm:[1,0,3,2] row_mask:0xf bank_mask:0xf
	s_delay_alu instid0(VALU_DEP_3) | instskip(NEXT) | instid1(VALU_DEP_3)
	v_mov_b32_dpp v6, v5 quad_perm:[1,0,3,2] row_mask:0xf bank_mask:0xf
	v_mov_b32_dpp v3, v1 quad_perm:[1,0,3,2] row_mask:0xf bank_mask:0xf
	s_delay_alu instid0(VALU_DEP_2) | instskip(NEXT) | instid1(VALU_DEP_1)
	v_and_b32_e32 v7, 1, v6
	v_cmpx_eq_u32_e32 1, v7
; %bb.133:
	v_cndmask_b32_e64 v5, v6, 1, s3
	s_delay_alu instid0(VALU_DEP_4) | instskip(NEXT) | instid1(VALU_DEP_2)
	v_cmp_lt_i64_e32 vcc_lo, v[1:2], v[3:4]
	v_and_b32_e32 v6, 1, v5
	v_and_b32_e32 v5, 0xff, v5
	s_and_b32 vcc_lo, s3, vcc_lo
	s_and_not1_b32 s3, s3, exec_lo
	v_dual_cndmask_b32 v2, v4, v2 :: v_dual_cndmask_b32 v1, v3, v1
	v_cmp_eq_u32_e64 s2, 1, v6
	s_delay_alu instid0(VALU_DEP_1) | instskip(NEXT) | instid1(SALU_CYCLE_1)
	s_and_b32 s2, s2, exec_lo
	s_or_b32 s3, s3, s2
; %bb.134:
	s_or_b32 exec_lo, exec_lo, s23
	v_mov_b32_dpp v6, v5 quad_perm:[2,3,0,1] row_mask:0xf bank_mask:0xf
	v_mov_b32_dpp v3, v1 quad_perm:[2,3,0,1] row_mask:0xf bank_mask:0xf
	;; [unrolled: 1-line block ×3, first 2 shown]
	s_mov_b32 s23, exec_lo
	s_delay_alu instid0(VALU_DEP_3) | instskip(NEXT) | instid1(VALU_DEP_1)
	v_and_b32_e32 v7, 1, v6
	v_cmpx_eq_u32_e32 1, v7
; %bb.135:
	v_cndmask_b32_e64 v5, v6, 1, s3
	v_cmp_lt_i64_e32 vcc_lo, v[1:2], v[3:4]
	s_delay_alu instid0(VALU_DEP_2)
	v_and_b32_e32 v6, 1, v5
	v_and_b32_e32 v5, 0xff, v5
	s_and_b32 vcc_lo, s3, vcc_lo
	s_and_not1_b32 s3, s3, exec_lo
	v_dual_cndmask_b32 v2, v4, v2 :: v_dual_cndmask_b32 v1, v3, v1
	v_cmp_eq_u32_e64 s2, 1, v6
	s_delay_alu instid0(VALU_DEP_1) | instskip(NEXT) | instid1(SALU_CYCLE_1)
	s_and_b32 s2, s2, exec_lo
	s_or_b32 s3, s3, s2
; %bb.136:
	s_or_b32 exec_lo, exec_lo, s23
	v_mov_b32_dpp v6, v5 row_ror:4 row_mask:0xf bank_mask:0xf
	v_mov_b32_dpp v3, v1 row_ror:4 row_mask:0xf bank_mask:0xf
	;; [unrolled: 1-line block ×3, first 2 shown]
	s_mov_b32 s23, exec_lo
	s_delay_alu instid0(VALU_DEP_3) | instskip(NEXT) | instid1(VALU_DEP_1)
	v_and_b32_e32 v7, 1, v6
	v_cmpx_eq_u32_e32 1, v7
; %bb.137:
	v_cndmask_b32_e64 v5, v6, 1, s3
	v_cmp_lt_i64_e32 vcc_lo, v[1:2], v[3:4]
	s_delay_alu instid0(VALU_DEP_2)
	v_and_b32_e32 v6, 1, v5
	v_and_b32_e32 v5, 0xff, v5
	s_and_b32 vcc_lo, s3, vcc_lo
	s_and_not1_b32 s3, s3, exec_lo
	v_dual_cndmask_b32 v2, v4, v2 :: v_dual_cndmask_b32 v1, v3, v1
	v_cmp_eq_u32_e64 s2, 1, v6
	s_delay_alu instid0(VALU_DEP_1) | instskip(NEXT) | instid1(SALU_CYCLE_1)
	s_and_b32 s2, s2, exec_lo
	s_or_b32 s3, s3, s2
; %bb.138:
	s_or_b32 exec_lo, exec_lo, s23
	v_mov_b32_dpp v6, v5 row_ror:8 row_mask:0xf bank_mask:0xf
	v_mov_b32_dpp v3, v1 row_ror:8 row_mask:0xf bank_mask:0xf
	v_mov_b32_dpp v4, v2 row_ror:8 row_mask:0xf bank_mask:0xf
	s_mov_b32 s23, exec_lo
	s_delay_alu instid0(VALU_DEP_3) | instskip(NEXT) | instid1(VALU_DEP_1)
	v_and_b32_e32 v7, 1, v6
	v_cmpx_eq_u32_e32 1, v7
; %bb.139:
	v_cndmask_b32_e64 v5, v6, 1, s3
	v_cmp_lt_i64_e32 vcc_lo, v[1:2], v[3:4]
	s_delay_alu instid0(VALU_DEP_2)
	v_and_b32_e32 v6, 1, v5
	v_and_b32_e32 v5, 0xff, v5
	s_and_b32 vcc_lo, s3, vcc_lo
	s_and_not1_b32 s3, s3, exec_lo
	v_dual_cndmask_b32 v2, v4, v2 :: v_dual_cndmask_b32 v1, v3, v1
	v_cmp_eq_u32_e64 s2, 1, v6
	s_delay_alu instid0(VALU_DEP_1) | instskip(NEXT) | instid1(SALU_CYCLE_1)
	s_and_b32 s2, s2, exec_lo
	s_or_b32 s3, s3, s2
; %bb.140:
	s_or_b32 exec_lo, exec_lo, s23
	ds_swizzle_b32 v6, v5 offset:swizzle(BROADCAST,32,15)
	ds_swizzle_b32 v3, v1 offset:swizzle(BROADCAST,32,15)
	;; [unrolled: 1-line block ×3, first 2 shown]
	s_mov_b32 s2, exec_lo
	s_waitcnt lgkmcnt(2)
	v_and_b32_e32 v7, 1, v6
	s_delay_alu instid0(VALU_DEP_1)
	v_cmpx_eq_u32_e32 1, v7
	s_cbranch_execz .LBB789_142
; %bb.141:
	s_waitcnt lgkmcnt(0)
	v_cmp_lt_i64_e32 vcc_lo, v[1:2], v[3:4]
	v_and_b32_e32 v5, 0xff, v6
	s_delay_alu instid0(VALU_DEP_1)
	v_cndmask_b32_e64 v5, v5, 1, s3
	s_and_b32 vcc_lo, s3, vcc_lo
	v_dual_cndmask_b32 v1, v3, v1 :: v_dual_cndmask_b32 v2, v4, v2
.LBB789_142:
	s_or_b32 exec_lo, exec_lo, s2
	s_waitcnt lgkmcnt(1)
	v_mov_b32_e32 v3, 0
	s_mov_b32 s2, exec_lo
	ds_bpermute_b32 v6, v3, v5 offset:124
	ds_bpermute_b32 v1, v3, v1 offset:124
	;; [unrolled: 1-line block ×3, first 2 shown]
	v_mbcnt_lo_u32_b32 v3, -1, 0
	s_delay_alu instid0(VALU_DEP_1)
	v_cmpx_eq_u32_e32 0, v3
	s_cbranch_execz .LBB789_144
; %bb.143:
	s_waitcnt lgkmcnt(3)
	v_lshrrev_b32_e32 v4, 1, v0
	s_delay_alu instid0(VALU_DEP_1)
	v_and_b32_e32 v4, 0x70, v4
	s_waitcnt lgkmcnt(2)
	ds_store_b8 v4, v6 offset:128
	s_waitcnt lgkmcnt(1)
	ds_store_b64 v4, v[1:2] offset:136
.LBB789_144:
	s_or_b32 exec_lo, exec_lo, s2
	s_delay_alu instid0(SALU_CYCLE_1)
	s_mov_b32 s23, exec_lo
	s_waitcnt lgkmcnt(0)
	s_barrier
	buffer_gl0_inv
	v_cmpx_gt_u32_e32 32, v0
	s_cbranch_execz .LBB789_146
; %bb.145:
	v_and_b32_e32 v6, 7, v3
	s_delay_alu instid0(VALU_DEP_1)
	v_lshlrev_b32_e32 v1, 4, v6
	v_cmp_ne_u32_e32 vcc_lo, 7, v6
	ds_load_u8 v7, v1 offset:128
	ds_load_b64 v[1:2], v1 offset:136
	v_add_co_ci_u32_e32 v4, vcc_lo, 0, v3, vcc_lo
	v_cmp_gt_u32_e32 vcc_lo, 6, v6
	s_delay_alu instid0(VALU_DEP_2)
	v_lshlrev_b32_e32 v5, 2, v4
	v_cndmask_b32_e64 v10, 0, 1, vcc_lo
	s_waitcnt lgkmcnt(1)
	v_and_b32_e32 v4, 0xff, v7
	v_and_b32_e32 v11, 1, v7
	ds_bpermute_b32 v8, v5, v4
	s_waitcnt lgkmcnt(1)
	ds_bpermute_b32 v4, v5, v1
	ds_bpermute_b32 v5, v5, v2
	v_cmp_eq_u32_e64 s3, 1, v11
	s_waitcnt lgkmcnt(2)
	v_and_b32_e32 v9, 1, v8
	s_waitcnt lgkmcnt(0)
	v_cmp_lt_i64_e64 s2, v[4:5], v[1:2]
	s_delay_alu instid0(VALU_DEP_2) | instskip(SKIP_2) | instid1(VALU_DEP_4)
	v_cmp_eq_u32_e32 vcc_lo, 1, v9
	v_lshlrev_b32_e32 v9, 1, v10
	v_cndmask_b32_e64 v7, v7, 1, vcc_lo
	s_and_b32 vcc_lo, vcc_lo, s2
	v_dual_cndmask_b32 v1, v1, v4 :: v_dual_cndmask_b32 v2, v2, v5
	s_delay_alu instid0(VALU_DEP_2) | instskip(SKIP_2) | instid1(VALU_DEP_4)
	v_cndmask_b32_e64 v7, v8, v7, s3
	v_add_lshl_u32 v8, v9, v3, 2
	v_cmp_gt_u32_e32 vcc_lo, 4, v6
	v_cndmask_b32_e64 v1, v4, v1, s3
	v_cndmask_b32_e64 v2, v5, v2, s3
	v_and_b32_e32 v9, 0xff, v7
	v_and_b32_e32 v10, 1, v7
	v_cndmask_b32_e64 v6, 0, 1, vcc_lo
	ds_bpermute_b32 v4, v8, v1
	ds_bpermute_b32 v5, v8, v2
	;; [unrolled: 1-line block ×3, first 2 shown]
	v_cmp_eq_u32_e64 s3, 1, v10
	s_waitcnt lgkmcnt(1)
	v_cmp_lt_i64_e64 s2, v[4:5], v[1:2]
	s_waitcnt lgkmcnt(0)
	v_and_b32_e32 v8, 1, v9
	s_delay_alu instid0(VALU_DEP_1) | instskip(SKIP_1) | instid1(VALU_DEP_4)
	v_cmp_eq_u32_e32 vcc_lo, 1, v8
	v_cndmask_b32_e64 v7, v7, 1, vcc_lo
	s_and_b32 vcc_lo, vcc_lo, s2
	v_dual_cndmask_b32 v1, v1, v4 :: v_dual_cndmask_b32 v2, v2, v5
	s_delay_alu instid0(VALU_DEP_2) | instskip(NEXT) | instid1(VALU_DEP_2)
	v_cndmask_b32_e64 v7, v9, v7, s3
	v_cndmask_b32_e64 v1, v4, v1, s3
	v_lshlrev_b32_e32 v6, 2, v6
	s_delay_alu instid0(VALU_DEP_4) | instskip(NEXT) | instid1(VALU_DEP_2)
	v_cndmask_b32_e64 v2, v5, v2, s3
	v_add_lshl_u32 v6, v6, v3, 2
	v_and_b32_e32 v3, 0xff, v7
	ds_bpermute_b32 v4, v6, v2
	ds_bpermute_b32 v5, v6, v3
	;; [unrolled: 1-line block ×3, first 2 shown]
	s_waitcnt lgkmcnt(1)
	v_and_b32_e32 v6, 1, v5
	s_waitcnt lgkmcnt(0)
	v_cmp_lt_i64_e32 vcc_lo, v[3:4], v[1:2]
	s_delay_alu instid0(VALU_DEP_2) | instskip(SKIP_1) | instid1(VALU_DEP_2)
	v_cmp_eq_u32_e64 s2, 1, v6
	v_and_b32_e32 v6, 1, v7
	v_cndmask_b32_e64 v7, v7, 1, s2
	s_and_b32 vcc_lo, s2, vcc_lo
	s_delay_alu instid0(VALU_DEP_2) | instskip(SKIP_1) | instid1(VALU_DEP_2)
	v_cmp_eq_u32_e64 s2, 1, v6
	v_dual_cndmask_b32 v1, v1, v3 :: v_dual_cndmask_b32 v2, v2, v4
	v_cndmask_b32_e64 v5, v5, v7, s2
	s_delay_alu instid0(VALU_DEP_2) | instskip(NEXT) | instid1(VALU_DEP_3)
	v_cndmask_b32_e64 v1, v3, v1, s2
	v_cndmask_b32_e64 v2, v4, v2, s2
	s_delay_alu instid0(VALU_DEP_3)
	v_and_b32_e32 v6, 0xff, v5
.LBB789_146:
	s_or_b32 exec_lo, exec_lo, s23
	s_branch .LBB789_177
.LBB789_147:
                                        ; implicit-def: $vgpr3_vgpr4
                                        ; implicit-def: $vgpr5
	s_cbranch_execnz .LBB789_182
	s_branch .LBB789_200
.LBB789_148:
                                        ; implicit-def: $vgpr3_vgpr4
                                        ; implicit-def: $vgpr5
	s_branch .LBB789_200
.LBB789_149:
                                        ; implicit-def: $vgpr1_vgpr2
                                        ; implicit-def: $vgpr6
	s_cbranch_execz .LBB789_177
; %bb.150:
	s_waitcnt lgkmcnt(0)
	v_mov_b32_e32 v3, 0
	v_dual_mov_b32 v4, 0 :: v_dual_mov_b32 v5, 0
	s_delay_alu instid0(VALU_DEP_2) | instskip(SKIP_2) | instid1(VALU_DEP_3)
	v_mov_b32_e32 v1, v3
	v_mov_b32_e32 v7, 0
	s_sub_i32 s3, s14, s8
	v_mov_b32_e32 v2, v4
	s_mov_b32 s2, exec_lo
	v_cmpx_gt_u32_e64 s3, v0
	s_cbranch_execz .LBB789_152
; %bb.151:
	v_lshlrev_b32_e32 v1, 2, v0
	s_clause 0x1
	global_load_b32 v6, v1, s[4:5]
	global_load_b32 v7, v1, s[6:7]
	v_add_co_u32 v1, s8, s9, v0
	s_delay_alu instid0(VALU_DEP_1)
	v_add_co_ci_u32_e64 v2, null, s22, 0, s8
	s_waitcnt vmcnt(0)
	v_cmp_neq_f32_e32 vcc_lo, v6, v7
	v_cndmask_b32_e64 v7, 0, 1, vcc_lo
.LBB789_152:
	s_or_b32 exec_lo, exec_lo, s2
	v_or_b32_e32 v6, 0x100, v0
	s_delay_alu instid0(VALU_DEP_1)
	v_cmp_gt_u32_e32 vcc_lo, s3, v6
	s_and_saveexec_b32 s8, vcc_lo
	s_cbranch_execz .LBB789_154
; %bb.153:
	v_lshlrev_b32_e32 v3, 2, v0
	s_clause 0x1
	global_load_b32 v5, v3, s[4:5] offset:1024
	global_load_b32 v8, v3, s[6:7] offset:1024
	v_add_co_u32 v3, s2, s9, v6
	s_delay_alu instid0(VALU_DEP_1) | instskip(SKIP_2) | instid1(VALU_DEP_1)
	v_add_co_ci_u32_e64 v4, null, s22, 0, s2
	s_waitcnt vmcnt(0)
	v_cmp_neq_f32_e64 s2, v5, v8
	v_cndmask_b32_e64 v5, 0, 1, s2
.LBB789_154:
	s_or_b32 exec_lo, exec_lo, s8
	s_and_saveexec_b32 s4, vcc_lo
; %bb.155:
	s_delay_alu instid0(VALU_DEP_1) | instskip(SKIP_1) | instid1(VALU_DEP_2)
	v_and_b32_e32 v6, 1, v5
	v_cmp_lt_i64_e32 vcc_lo, v[3:4], v[1:2]
	v_cmp_eq_u32_e64 s2, 1, v6
	s_delay_alu instid0(VALU_DEP_1) | instskip(SKIP_4) | instid1(VALU_DEP_3)
	s_and_b32 vcc_lo, s2, vcc_lo
	v_cndmask_b32_e32 v1, v1, v3, vcc_lo
	v_and_b32_e32 v6, 1, v7
	v_cndmask_b32_e64 v7, v7, 1, s2
	v_cndmask_b32_e32 v2, v2, v4, vcc_lo
	v_cmp_eq_u32_e32 vcc_lo, 1, v6
	s_delay_alu instid0(VALU_DEP_2)
	v_dual_cndmask_b32 v7, v5, v7 :: v_dual_cndmask_b32 v2, v4, v2
	v_cndmask_b32_e32 v1, v3, v1, vcc_lo
; %bb.156:
	s_or_b32 exec_lo, exec_lo, s4
	v_mbcnt_lo_u32_b32 v5, -1, 0
	s_delay_alu instid0(VALU_DEP_3)
	v_and_b32_e32 v6, 0xffff, v7
	v_and_b32_e32 v8, 0xe0, v0
	s_min_u32 s3, s3, 0x100
	s_mov_b32 s4, exec_lo
	v_cmp_ne_u32_e32 vcc_lo, 31, v5
	v_add_nc_u32_e32 v10, 1, v5
	v_sub_nc_u32_e64 v8, s3, v8 clamp
	v_add_co_ci_u32_e32 v3, vcc_lo, 0, v5, vcc_lo
	s_delay_alu instid0(VALU_DEP_1)
	v_lshlrev_b32_e32 v4, 2, v3
	ds_bpermute_b32 v9, v4, v6
	ds_bpermute_b32 v3, v4, v1
	ds_bpermute_b32 v4, v4, v2
	v_cmpx_lt_u32_e64 v10, v8
	s_cbranch_execz .LBB789_158
; %bb.157:
	s_waitcnt lgkmcnt(2)
	v_and_b32_e32 v6, 1, v9
	s_waitcnt lgkmcnt(0)
	v_cmp_lt_i64_e32 vcc_lo, v[3:4], v[1:2]
	s_delay_alu instid0(VALU_DEP_2) | instskip(SKIP_1) | instid1(VALU_DEP_2)
	v_cmp_eq_u32_e64 s2, 1, v6
	v_and_b32_e32 v6, 1, v7
	v_cndmask_b32_e64 v7, v7, 1, s2
	s_and_b32 vcc_lo, s2, vcc_lo
	s_delay_alu instid0(VALU_DEP_2) | instskip(SKIP_1) | instid1(VALU_DEP_2)
	v_cmp_eq_u32_e64 s2, 1, v6
	v_dual_cndmask_b32 v1, v1, v3 :: v_dual_cndmask_b32 v2, v2, v4
	v_cndmask_b32_e64 v7, v9, v7, s2
	s_delay_alu instid0(VALU_DEP_2) | instskip(NEXT) | instid1(VALU_DEP_3)
	v_cndmask_b32_e64 v1, v3, v1, s2
	v_cndmask_b32_e64 v2, v4, v2, s2
	s_delay_alu instid0(VALU_DEP_3)
	v_and_b32_e32 v6, 0xff, v7
.LBB789_158:
	s_or_b32 exec_lo, exec_lo, s4
	v_cmp_gt_u32_e32 vcc_lo, 30, v5
	v_add_nc_u32_e32 v10, 2, v5
	s_mov_b32 s4, exec_lo
	s_waitcnt lgkmcnt(1)
	v_cndmask_b32_e64 v3, 0, 1, vcc_lo
	s_delay_alu instid0(VALU_DEP_1) | instskip(SKIP_1) | instid1(VALU_DEP_1)
	v_lshlrev_b32_e32 v3, 1, v3
	s_waitcnt lgkmcnt(0)
	v_add_lshl_u32 v4, v3, v5, 2
	ds_bpermute_b32 v9, v4, v6
	ds_bpermute_b32 v3, v4, v1
	ds_bpermute_b32 v4, v4, v2
	v_cmpx_lt_u32_e64 v10, v8
	s_cbranch_execz .LBB789_160
; %bb.159:
	s_waitcnt lgkmcnt(2)
	v_and_b32_e32 v6, 1, v9
	s_waitcnt lgkmcnt(0)
	v_cmp_lt_i64_e32 vcc_lo, v[3:4], v[1:2]
	s_delay_alu instid0(VALU_DEP_2) | instskip(SKIP_1) | instid1(VALU_DEP_2)
	v_cmp_eq_u32_e64 s2, 1, v6
	v_and_b32_e32 v6, 1, v7
	v_cndmask_b32_e64 v7, v7, 1, s2
	s_and_b32 vcc_lo, s2, vcc_lo
	s_delay_alu instid0(VALU_DEP_2) | instskip(SKIP_1) | instid1(VALU_DEP_2)
	v_cmp_eq_u32_e64 s2, 1, v6
	v_dual_cndmask_b32 v1, v1, v3 :: v_dual_cndmask_b32 v2, v2, v4
	v_cndmask_b32_e64 v7, v9, v7, s2
	s_delay_alu instid0(VALU_DEP_2) | instskip(NEXT) | instid1(VALU_DEP_3)
	v_cndmask_b32_e64 v1, v3, v1, s2
	v_cndmask_b32_e64 v2, v4, v2, s2
	s_delay_alu instid0(VALU_DEP_3)
	v_and_b32_e32 v6, 0xff, v7
.LBB789_160:
	s_or_b32 exec_lo, exec_lo, s4
	v_cmp_gt_u32_e32 vcc_lo, 28, v5
	v_add_nc_u32_e32 v10, 4, v5
	s_mov_b32 s4, exec_lo
	s_waitcnt lgkmcnt(1)
	v_cndmask_b32_e64 v3, 0, 1, vcc_lo
	s_delay_alu instid0(VALU_DEP_1) | instskip(SKIP_1) | instid1(VALU_DEP_1)
	v_lshlrev_b32_e32 v3, 2, v3
	s_waitcnt lgkmcnt(0)
	v_add_lshl_u32 v4, v3, v5, 2
	ds_bpermute_b32 v9, v4, v6
	ds_bpermute_b32 v3, v4, v1
	ds_bpermute_b32 v4, v4, v2
	v_cmpx_lt_u32_e64 v10, v8
	s_cbranch_execz .LBB789_162
; %bb.161:
	s_waitcnt lgkmcnt(2)
	v_and_b32_e32 v6, 1, v9
	s_waitcnt lgkmcnt(0)
	v_cmp_lt_i64_e32 vcc_lo, v[3:4], v[1:2]
	s_delay_alu instid0(VALU_DEP_2) | instskip(SKIP_1) | instid1(VALU_DEP_2)
	v_cmp_eq_u32_e64 s2, 1, v6
	v_and_b32_e32 v6, 1, v7
	v_cndmask_b32_e64 v7, v7, 1, s2
	s_and_b32 vcc_lo, s2, vcc_lo
	s_delay_alu instid0(VALU_DEP_2) | instskip(SKIP_1) | instid1(VALU_DEP_2)
	v_cmp_eq_u32_e64 s2, 1, v6
	v_dual_cndmask_b32 v1, v1, v3 :: v_dual_cndmask_b32 v2, v2, v4
	v_cndmask_b32_e64 v7, v9, v7, s2
	s_delay_alu instid0(VALU_DEP_2) | instskip(NEXT) | instid1(VALU_DEP_3)
	v_cndmask_b32_e64 v1, v3, v1, s2
	v_cndmask_b32_e64 v2, v4, v2, s2
	s_delay_alu instid0(VALU_DEP_3)
	v_and_b32_e32 v6, 0xff, v7
.LBB789_162:
	s_or_b32 exec_lo, exec_lo, s4
	v_cmp_gt_u32_e32 vcc_lo, 24, v5
	v_add_nc_u32_e32 v10, 8, v5
	s_mov_b32 s4, exec_lo
	s_waitcnt lgkmcnt(1)
	v_cndmask_b32_e64 v3, 0, 1, vcc_lo
	s_delay_alu instid0(VALU_DEP_1) | instskip(SKIP_1) | instid1(VALU_DEP_1)
	v_lshlrev_b32_e32 v3, 3, v3
	s_waitcnt lgkmcnt(0)
	v_add_lshl_u32 v4, v3, v5, 2
	ds_bpermute_b32 v9, v4, v6
	ds_bpermute_b32 v3, v4, v1
	ds_bpermute_b32 v4, v4, v2
	v_cmpx_lt_u32_e64 v10, v8
	s_cbranch_execz .LBB789_164
; %bb.163:
	s_waitcnt lgkmcnt(2)
	v_and_b32_e32 v6, 1, v9
	s_waitcnt lgkmcnt(0)
	v_cmp_lt_i64_e32 vcc_lo, v[3:4], v[1:2]
	s_delay_alu instid0(VALU_DEP_2) | instskip(SKIP_1) | instid1(VALU_DEP_2)
	v_cmp_eq_u32_e64 s2, 1, v6
	v_and_b32_e32 v6, 1, v7
	v_cndmask_b32_e64 v7, v7, 1, s2
	s_and_b32 vcc_lo, s2, vcc_lo
	s_delay_alu instid0(VALU_DEP_2) | instskip(SKIP_1) | instid1(VALU_DEP_2)
	v_cmp_eq_u32_e64 s2, 1, v6
	v_dual_cndmask_b32 v1, v1, v3 :: v_dual_cndmask_b32 v2, v2, v4
	v_cndmask_b32_e64 v7, v9, v7, s2
	s_delay_alu instid0(VALU_DEP_2) | instskip(NEXT) | instid1(VALU_DEP_3)
	v_cndmask_b32_e64 v1, v3, v1, s2
	v_cndmask_b32_e64 v2, v4, v2, s2
	s_delay_alu instid0(VALU_DEP_3)
	v_and_b32_e32 v6, 0xff, v7
.LBB789_164:
	s_or_b32 exec_lo, exec_lo, s4
	v_cmp_gt_u32_e32 vcc_lo, 16, v5
	v_add_nc_u32_e32 v10, 16, v5
	s_mov_b32 s4, exec_lo
	s_waitcnt lgkmcnt(1)
	v_cndmask_b32_e64 v3, 0, 1, vcc_lo
	s_delay_alu instid0(VALU_DEP_1) | instskip(SKIP_1) | instid1(VALU_DEP_1)
	v_lshlrev_b32_e32 v3, 4, v3
	s_waitcnt lgkmcnt(0)
	v_add_lshl_u32 v4, v3, v5, 2
	ds_bpermute_b32 v9, v4, v6
	ds_bpermute_b32 v3, v4, v1
	;; [unrolled: 1-line block ×3, first 2 shown]
	v_cmpx_lt_u32_e64 v10, v8
	s_cbranch_execz .LBB789_166
; %bb.165:
	s_waitcnt lgkmcnt(2)
	v_and_b32_e32 v6, 1, v9
	s_waitcnt lgkmcnt(0)
	v_cmp_lt_i64_e32 vcc_lo, v[3:4], v[1:2]
	s_delay_alu instid0(VALU_DEP_2) | instskip(SKIP_1) | instid1(VALU_DEP_2)
	v_cmp_eq_u32_e64 s2, 1, v6
	v_and_b32_e32 v6, 1, v7
	v_cndmask_b32_e64 v7, v7, 1, s2
	s_and_b32 vcc_lo, s2, vcc_lo
	s_delay_alu instid0(VALU_DEP_2) | instskip(SKIP_1) | instid1(VALU_DEP_2)
	v_cmp_eq_u32_e64 s2, 1, v6
	v_dual_cndmask_b32 v1, v1, v3 :: v_dual_cndmask_b32 v2, v2, v4
	v_cndmask_b32_e64 v7, v9, v7, s2
	s_delay_alu instid0(VALU_DEP_2) | instskip(NEXT) | instid1(VALU_DEP_3)
	v_cndmask_b32_e64 v1, v3, v1, s2
	v_cndmask_b32_e64 v2, v4, v2, s2
	s_delay_alu instid0(VALU_DEP_3)
	v_and_b32_e32 v6, 0xff, v7
.LBB789_166:
	s_or_b32 exec_lo, exec_lo, s4
	s_delay_alu instid0(SALU_CYCLE_1)
	s_mov_b32 s2, exec_lo
	v_cmpx_eq_u32_e32 0, v5
	s_cbranch_execz .LBB789_168
; %bb.167:
	s_waitcnt lgkmcnt(1)
	v_lshrrev_b32_e32 v3, 1, v0
	s_delay_alu instid0(VALU_DEP_1)
	v_and_b32_e32 v3, 0x70, v3
	ds_store_b8 v3, v7 offset:512
	ds_store_b64 v3, v[1:2] offset:520
.LBB789_168:
	s_or_b32 exec_lo, exec_lo, s2
	s_delay_alu instid0(SALU_CYCLE_1)
	s_mov_b32 s4, exec_lo
	s_waitcnt lgkmcnt(0)
	s_barrier
	buffer_gl0_inv
	v_cmpx_gt_u32_e32 8, v0
	s_cbranch_execz .LBB789_176
; %bb.169:
	v_lshlrev_b32_e32 v1, 4, v5
	v_and_b32_e32 v8, 7, v5
	s_add_i32 s3, s3, 31
	s_mov_b32 s5, exec_lo
	s_lshr_b32 s3, s3, 5
	ds_load_u8 v7, v1 offset:512
	ds_load_b64 v[1:2], v1 offset:520
	v_cmp_ne_u32_e32 vcc_lo, 7, v8
	v_add_nc_u32_e32 v10, 1, v8
	v_add_co_ci_u32_e32 v3, vcc_lo, 0, v5, vcc_lo
	s_delay_alu instid0(VALU_DEP_1)
	v_lshlrev_b32_e32 v4, 2, v3
	s_waitcnt lgkmcnt(1)
	v_and_b32_e32 v6, 0xff, v7
	s_waitcnt lgkmcnt(0)
	ds_bpermute_b32 v3, v4, v1
	ds_bpermute_b32 v9, v4, v6
	;; [unrolled: 1-line block ×3, first 2 shown]
	v_cmpx_gt_u32_e64 s3, v10
	s_cbranch_execz .LBB789_171
; %bb.170:
	s_waitcnt lgkmcnt(1)
	v_and_b32_e32 v6, 1, v9
	s_waitcnt lgkmcnt(0)
	v_cmp_lt_i64_e32 vcc_lo, v[3:4], v[1:2]
	s_delay_alu instid0(VALU_DEP_2) | instskip(SKIP_1) | instid1(VALU_DEP_2)
	v_cmp_eq_u32_e64 s2, 1, v6
	v_and_b32_e32 v6, 1, v7
	v_cndmask_b32_e64 v7, v7, 1, s2
	s_and_b32 vcc_lo, s2, vcc_lo
	s_delay_alu instid0(VALU_DEP_2) | instskip(SKIP_1) | instid1(VALU_DEP_2)
	v_cmp_eq_u32_e64 s2, 1, v6
	v_dual_cndmask_b32 v1, v1, v3 :: v_dual_cndmask_b32 v2, v2, v4
	v_cndmask_b32_e64 v7, v9, v7, s2
	s_delay_alu instid0(VALU_DEP_2) | instskip(NEXT) | instid1(VALU_DEP_3)
	v_cndmask_b32_e64 v1, v3, v1, s2
	v_cndmask_b32_e64 v2, v4, v2, s2
	s_delay_alu instid0(VALU_DEP_3)
	v_and_b32_e32 v6, 0xff, v7
.LBB789_171:
	s_or_b32 exec_lo, exec_lo, s5
	v_cmp_gt_u32_e32 vcc_lo, 6, v8
	v_add_nc_u32_e32 v10, 2, v8
	s_mov_b32 s5, exec_lo
	s_waitcnt lgkmcnt(2)
	v_cndmask_b32_e64 v3, 0, 1, vcc_lo
	s_delay_alu instid0(VALU_DEP_1) | instskip(SKIP_1) | instid1(VALU_DEP_1)
	v_lshlrev_b32_e32 v3, 1, v3
	s_waitcnt lgkmcnt(0)
	v_add_lshl_u32 v4, v3, v5, 2
	ds_bpermute_b32 v9, v4, v6
	ds_bpermute_b32 v3, v4, v1
	;; [unrolled: 1-line block ×3, first 2 shown]
	v_cmpx_gt_u32_e64 s3, v10
	s_cbranch_execz .LBB789_173
; %bb.172:
	s_waitcnt lgkmcnt(2)
	v_and_b32_e32 v6, 1, v9
	s_waitcnt lgkmcnt(0)
	v_cmp_lt_i64_e32 vcc_lo, v[3:4], v[1:2]
	s_delay_alu instid0(VALU_DEP_2) | instskip(SKIP_1) | instid1(VALU_DEP_2)
	v_cmp_eq_u32_e64 s2, 1, v6
	v_and_b32_e32 v6, 1, v7
	v_cndmask_b32_e64 v7, v7, 1, s2
	s_and_b32 vcc_lo, s2, vcc_lo
	s_delay_alu instid0(VALU_DEP_2) | instskip(SKIP_1) | instid1(VALU_DEP_2)
	v_cmp_eq_u32_e64 s2, 1, v6
	v_dual_cndmask_b32 v1, v1, v3 :: v_dual_cndmask_b32 v2, v2, v4
	v_cndmask_b32_e64 v7, v9, v7, s2
	s_delay_alu instid0(VALU_DEP_2) | instskip(NEXT) | instid1(VALU_DEP_3)
	v_cndmask_b32_e64 v1, v3, v1, s2
	v_cndmask_b32_e64 v2, v4, v2, s2
	s_delay_alu instid0(VALU_DEP_3)
	v_and_b32_e32 v6, 0xff, v7
.LBB789_173:
	s_or_b32 exec_lo, exec_lo, s5
	v_cmp_gt_u32_e32 vcc_lo, 4, v8
	v_add_nc_u32_e32 v8, 4, v8
	s_waitcnt lgkmcnt(1)
	v_cndmask_b32_e64 v3, 0, 1, vcc_lo
	s_delay_alu instid0(VALU_DEP_2) | instskip(NEXT) | instid1(VALU_DEP_2)
	v_cmp_gt_u32_e32 vcc_lo, s3, v8
	v_lshlrev_b32_e32 v3, 2, v3
	s_waitcnt lgkmcnt(0)
	s_delay_alu instid0(VALU_DEP_1)
	v_add_lshl_u32 v4, v3, v5, 2
	ds_bpermute_b32 v5, v4, v6
	ds_bpermute_b32 v3, v4, v1
	;; [unrolled: 1-line block ×3, first 2 shown]
	s_and_saveexec_b32 s3, vcc_lo
	s_cbranch_execz .LBB789_175
; %bb.174:
	s_waitcnt lgkmcnt(2)
	v_and_b32_e32 v6, 1, v5
	s_waitcnt lgkmcnt(0)
	v_cmp_lt_i64_e32 vcc_lo, v[3:4], v[1:2]
	s_delay_alu instid0(VALU_DEP_2) | instskip(SKIP_1) | instid1(VALU_DEP_2)
	v_cmp_eq_u32_e64 s2, 1, v6
	v_and_b32_e32 v6, 1, v7
	v_cndmask_b32_e64 v7, v7, 1, s2
	s_and_b32 vcc_lo, s2, vcc_lo
	s_delay_alu instid0(VALU_DEP_2) | instskip(SKIP_1) | instid1(VALU_DEP_2)
	v_cmp_eq_u32_e64 s2, 1, v6
	v_dual_cndmask_b32 v1, v1, v3 :: v_dual_cndmask_b32 v2, v2, v4
	v_cndmask_b32_e64 v5, v5, v7, s2
	s_delay_alu instid0(VALU_DEP_2) | instskip(NEXT) | instid1(VALU_DEP_3)
	v_cndmask_b32_e64 v1, v3, v1, s2
	v_cndmask_b32_e64 v2, v4, v2, s2
	s_delay_alu instid0(VALU_DEP_3)
	v_and_b32_e32 v6, 0xff, v5
.LBB789_175:
	s_or_b32 exec_lo, exec_lo, s3
.LBB789_176:
	s_delay_alu instid0(SALU_CYCLE_1)
	s_or_b32 exec_lo, exec_lo, s4
.LBB789_177:
                                        ; implicit-def: $vgpr3_vgpr4
                                        ; implicit-def: $vgpr5
	s_delay_alu instid0(SALU_CYCLE_1)
	s_mov_b32 s2, exec_lo
	v_cmpx_eq_u32_e32 0, v0
	s_xor_b32 s4, exec_lo, s2
	s_cbranch_execz .LBB789_181
; %bb.178:
	s_waitcnt lgkmcnt(0)
	v_dual_mov_b32 v3, s20 :: v_dual_mov_b32 v4, s21
	v_mov_b32_e32 v5, s24
	s_cmp_eq_u64 s[14:15], 0
	s_cbranch_scc1 .LBB789_180
; %bb.179:
	v_and_b32_e32 v3, 1, v6
	v_cmp_gt_i64_e32 vcc_lo, s[20:21], v[1:2]
	s_bitcmp1_b32 s24, 0
	s_cselect_b32 s3, -1, 0
	s_delay_alu instid0(VALU_DEP_2) | instskip(NEXT) | instid1(VALU_DEP_1)
	v_cmp_eq_u32_e64 s2, 1, v3
	s_and_b32 vcc_lo, s2, vcc_lo
	v_cndmask_b32_e64 v3, s24, 1, s2
	v_cndmask_b32_e32 v7, s20, v1, vcc_lo
	v_cndmask_b32_e32 v4, s21, v2, vcc_lo
	s_delay_alu instid0(VALU_DEP_3) | instskip(NEXT) | instid1(VALU_DEP_3)
	v_cndmask_b32_e64 v5, v6, v3, s3
	v_cndmask_b32_e64 v3, v1, v7, s3
	s_delay_alu instid0(VALU_DEP_3)
	v_cndmask_b32_e64 v4, v2, v4, s3
.LBB789_180:
	s_or_b32 s26, s26, exec_lo
.LBB789_181:
	s_or_b32 exec_lo, exec_lo, s4
	s_branch .LBB789_200
.LBB789_182:
	s_cmp_eq_u32 s25, 1
	s_cbranch_scc0 .LBB789_199
; %bb.183:
	s_mov_b32 s5, 0
	s_lshr_b64 s[2:3], s[14:15], 8
	s_mov_b32 s11, s5
	s_lshl_b32 s4, s10, 8
	s_cmp_lg_u64 s[2:3], s[10:11]
	s_cbranch_scc0 .LBB789_203
; %bb.184:
	s_lshl_b64 s[2:3], s[4:5], 2
	v_lshlrev_b32_e32 v1, 2, v0
	s_add_u32 s6, s16, s2
	s_addc_u32 s7, s17, s3
	s_add_u32 s2, s18, s2
	s_addc_u32 s3, s19, s3
	s_clause 0x1
	global_load_b32 v2, v1, s[6:7]
	global_load_b32 v1, v1, s[2:3]
	s_add_u32 s2, s12, s4
	s_addc_u32 s3, s13, 0
	s_waitcnt vmcnt(0)
	v_cmp_neq_f32_e32 vcc_lo, v2, v1
	v_cndmask_b32_e64 v1, 0, 1, vcc_lo
	v_cndmask_b32_e64 v6, 0, 1, vcc_lo
	s_waitcnt lgkmcnt(2)
	s_delay_alu instid0(VALU_DEP_2) | instskip(SKIP_1) | instid1(VALU_DEP_1)
	v_mov_b32_dpp v5, v1 quad_perm:[1,0,3,2] row_mask:0xf bank_mask:0xf
	v_add_co_u32 v1, s2, s2, v0
	v_add_co_ci_u32_e64 v2, null, s3, 0, s2
	s_delay_alu instid0(VALU_DEP_3) | instskip(SKIP_1) | instid1(VALU_DEP_3)
	v_and_b32_e32 v7, 1, v5
	s_waitcnt lgkmcnt(1)
	v_mov_b32_dpp v3, v1 quad_perm:[1,0,3,2] row_mask:0xf bank_mask:0xf
	s_mov_b32 s3, exec_lo
	s_waitcnt lgkmcnt(0)
	v_mov_b32_dpp v4, v2 quad_perm:[1,0,3,2] row_mask:0xf bank_mask:0xf
	v_cmpx_eq_u32_e32 1, v7
; %bb.185:
	s_delay_alu instid0(VALU_DEP_2) | instskip(SKIP_1) | instid1(VALU_DEP_2)
	v_cmp_lt_i64_e64 s2, v[1:2], v[3:4]
	v_cndmask_b32_e64 v6, v5, 1, vcc_lo
	s_and_b32 vcc_lo, vcc_lo, s2
	v_dual_cndmask_b32 v2, v4, v2 :: v_dual_cndmask_b32 v1, v3, v1
; %bb.186:
	s_or_b32 exec_lo, exec_lo, s3
	s_delay_alu instid0(VALU_DEP_2) | instskip(SKIP_1) | instid1(VALU_DEP_3)
	v_and_b32_e32 v5, 0xff, v6
	v_and_b32_e32 v6, 1, v6
	v_mov_b32_dpp v3, v1 quad_perm:[2,3,0,1] row_mask:0xf bank_mask:0xf
	v_mov_b32_dpp v4, v2 quad_perm:[2,3,0,1] row_mask:0xf bank_mask:0xf
	s_mov_b32 s6, exec_lo
	v_mov_b32_dpp v7, v5 quad_perm:[2,3,0,1] row_mask:0xf bank_mask:0xf
	v_cmp_eq_u32_e64 s3, 1, v6
	s_delay_alu instid0(VALU_DEP_2) | instskip(NEXT) | instid1(VALU_DEP_1)
	v_and_b32_e32 v8, 1, v7
	v_cmpx_eq_u32_e32 1, v8
; %bb.187:
	s_delay_alu instid0(VALU_DEP_3) | instskip(SKIP_1) | instid1(VALU_DEP_2)
	v_cndmask_b32_e64 v5, v7, 1, s3
	v_cmp_lt_i64_e32 vcc_lo, v[1:2], v[3:4]
	v_and_b32_e32 v6, 1, v5
	v_and_b32_e32 v5, 0xff, v5
	s_and_b32 vcc_lo, s3, vcc_lo
	s_and_not1_b32 s3, s3, exec_lo
	v_dual_cndmask_b32 v2, v4, v2 :: v_dual_cndmask_b32 v1, v3, v1
	v_cmp_eq_u32_e64 s2, 1, v6
	s_delay_alu instid0(VALU_DEP_1) | instskip(NEXT) | instid1(SALU_CYCLE_1)
	s_and_b32 s2, s2, exec_lo
	s_or_b32 s3, s3, s2
; %bb.188:
	s_or_b32 exec_lo, exec_lo, s6
	v_mov_b32_dpp v6, v5 row_ror:4 row_mask:0xf bank_mask:0xf
	v_mov_b32_dpp v3, v1 row_ror:4 row_mask:0xf bank_mask:0xf
	v_mov_b32_dpp v4, v2 row_ror:4 row_mask:0xf bank_mask:0xf
	s_mov_b32 s6, exec_lo
	s_delay_alu instid0(VALU_DEP_3) | instskip(NEXT) | instid1(VALU_DEP_1)
	v_and_b32_e32 v7, 1, v6
	v_cmpx_eq_u32_e32 1, v7
; %bb.189:
	v_cndmask_b32_e64 v5, v6, 1, s3
	v_cmp_lt_i64_e32 vcc_lo, v[1:2], v[3:4]
	s_delay_alu instid0(VALU_DEP_2)
	v_and_b32_e32 v6, 1, v5
	v_and_b32_e32 v5, 0xff, v5
	s_and_b32 vcc_lo, s3, vcc_lo
	s_and_not1_b32 s3, s3, exec_lo
	v_dual_cndmask_b32 v2, v4, v2 :: v_dual_cndmask_b32 v1, v3, v1
	v_cmp_eq_u32_e64 s2, 1, v6
	s_delay_alu instid0(VALU_DEP_1) | instskip(NEXT) | instid1(SALU_CYCLE_1)
	s_and_b32 s2, s2, exec_lo
	s_or_b32 s3, s3, s2
; %bb.190:
	s_or_b32 exec_lo, exec_lo, s6
	v_mov_b32_dpp v6, v5 row_ror:8 row_mask:0xf bank_mask:0xf
	v_mov_b32_dpp v3, v1 row_ror:8 row_mask:0xf bank_mask:0xf
	v_mov_b32_dpp v4, v2 row_ror:8 row_mask:0xf bank_mask:0xf
	s_mov_b32 s6, exec_lo
	s_delay_alu instid0(VALU_DEP_3) | instskip(NEXT) | instid1(VALU_DEP_1)
	v_and_b32_e32 v7, 1, v6
	v_cmpx_eq_u32_e32 1, v7
; %bb.191:
	v_cndmask_b32_e64 v5, v6, 1, s3
	v_cmp_lt_i64_e32 vcc_lo, v[1:2], v[3:4]
	s_delay_alu instid0(VALU_DEP_2)
	v_and_b32_e32 v6, 1, v5
	v_and_b32_e32 v5, 0xff, v5
	s_and_b32 vcc_lo, s3, vcc_lo
	s_and_not1_b32 s3, s3, exec_lo
	v_dual_cndmask_b32 v2, v4, v2 :: v_dual_cndmask_b32 v1, v3, v1
	v_cmp_eq_u32_e64 s2, 1, v6
	s_delay_alu instid0(VALU_DEP_1) | instskip(NEXT) | instid1(SALU_CYCLE_1)
	s_and_b32 s2, s2, exec_lo
	s_or_b32 s3, s3, s2
; %bb.192:
	s_or_b32 exec_lo, exec_lo, s6
	ds_swizzle_b32 v6, v5 offset:swizzle(BROADCAST,32,15)
	ds_swizzle_b32 v3, v1 offset:swizzle(BROADCAST,32,15)
	;; [unrolled: 1-line block ×3, first 2 shown]
	s_mov_b32 s2, exec_lo
	s_waitcnt lgkmcnt(2)
	v_and_b32_e32 v7, 1, v6
	s_delay_alu instid0(VALU_DEP_1)
	v_cmpx_eq_u32_e32 1, v7
	s_cbranch_execz .LBB789_194
; %bb.193:
	s_waitcnt lgkmcnt(0)
	v_cmp_lt_i64_e32 vcc_lo, v[1:2], v[3:4]
	v_and_b32_e32 v5, 0xff, v6
	s_delay_alu instid0(VALU_DEP_1)
	v_cndmask_b32_e64 v5, v5, 1, s3
	s_and_b32 vcc_lo, s3, vcc_lo
	v_dual_cndmask_b32 v1, v3, v1 :: v_dual_cndmask_b32 v2, v4, v2
.LBB789_194:
	s_or_b32 exec_lo, exec_lo, s2
	s_waitcnt lgkmcnt(1)
	v_mov_b32_e32 v3, 0
	s_mov_b32 s2, exec_lo
	ds_bpermute_b32 v6, v3, v5 offset:124
	ds_bpermute_b32 v1, v3, v1 offset:124
	;; [unrolled: 1-line block ×3, first 2 shown]
	v_mbcnt_lo_u32_b32 v3, -1, 0
	s_delay_alu instid0(VALU_DEP_1)
	v_cmpx_eq_u32_e32 0, v3
	s_cbranch_execz .LBB789_196
; %bb.195:
	s_waitcnt lgkmcnt(3)
	v_lshrrev_b32_e32 v4, 1, v0
	s_delay_alu instid0(VALU_DEP_1)
	v_and_b32_e32 v4, 0x70, v4
	s_waitcnt lgkmcnt(2)
	ds_store_b8 v4, v6
	s_waitcnt lgkmcnt(1)
	ds_store_b64 v4, v[1:2] offset:8
.LBB789_196:
	s_or_b32 exec_lo, exec_lo, s2
	s_delay_alu instid0(SALU_CYCLE_1)
	s_mov_b32 s6, exec_lo
	s_waitcnt lgkmcnt(0)
	s_barrier
	buffer_gl0_inv
	v_cmpx_gt_u32_e32 32, v0
	s_cbranch_execz .LBB789_198
; %bb.197:
	v_and_b32_e32 v6, 7, v3
	s_delay_alu instid0(VALU_DEP_1)
	v_lshlrev_b32_e32 v1, 4, v6
	v_cmp_ne_u32_e32 vcc_lo, 7, v6
	ds_load_u8 v7, v1
	ds_load_b64 v[1:2], v1 offset:8
	v_add_co_ci_u32_e32 v4, vcc_lo, 0, v3, vcc_lo
	v_cmp_gt_u32_e32 vcc_lo, 6, v6
	s_delay_alu instid0(VALU_DEP_2)
	v_lshlrev_b32_e32 v5, 2, v4
	v_cndmask_b32_e64 v10, 0, 1, vcc_lo
	s_waitcnt lgkmcnt(1)
	v_and_b32_e32 v4, 0xff, v7
	v_and_b32_e32 v11, 1, v7
	ds_bpermute_b32 v8, v5, v4
	s_waitcnt lgkmcnt(1)
	ds_bpermute_b32 v4, v5, v1
	ds_bpermute_b32 v5, v5, v2
	v_cmp_eq_u32_e64 s3, 1, v11
	s_waitcnt lgkmcnt(2)
	v_and_b32_e32 v9, 1, v8
	s_waitcnt lgkmcnt(0)
	v_cmp_lt_i64_e64 s2, v[4:5], v[1:2]
	s_delay_alu instid0(VALU_DEP_2) | instskip(SKIP_2) | instid1(VALU_DEP_4)
	v_cmp_eq_u32_e32 vcc_lo, 1, v9
	v_lshlrev_b32_e32 v9, 1, v10
	v_cndmask_b32_e64 v7, v7, 1, vcc_lo
	s_and_b32 vcc_lo, vcc_lo, s2
	v_dual_cndmask_b32 v1, v1, v4 :: v_dual_cndmask_b32 v2, v2, v5
	s_delay_alu instid0(VALU_DEP_2) | instskip(SKIP_2) | instid1(VALU_DEP_4)
	v_cndmask_b32_e64 v7, v8, v7, s3
	v_add_lshl_u32 v8, v9, v3, 2
	v_cmp_gt_u32_e32 vcc_lo, 4, v6
	v_cndmask_b32_e64 v1, v4, v1, s3
	v_cndmask_b32_e64 v2, v5, v2, s3
	v_and_b32_e32 v9, 0xff, v7
	v_and_b32_e32 v10, 1, v7
	v_cndmask_b32_e64 v6, 0, 1, vcc_lo
	ds_bpermute_b32 v4, v8, v1
	ds_bpermute_b32 v5, v8, v2
	;; [unrolled: 1-line block ×3, first 2 shown]
	v_cmp_eq_u32_e64 s3, 1, v10
	s_waitcnt lgkmcnt(1)
	v_cmp_lt_i64_e64 s2, v[4:5], v[1:2]
	s_waitcnt lgkmcnt(0)
	v_and_b32_e32 v8, 1, v9
	s_delay_alu instid0(VALU_DEP_1) | instskip(SKIP_1) | instid1(VALU_DEP_4)
	v_cmp_eq_u32_e32 vcc_lo, 1, v8
	v_cndmask_b32_e64 v7, v7, 1, vcc_lo
	s_and_b32 vcc_lo, vcc_lo, s2
	v_dual_cndmask_b32 v1, v1, v4 :: v_dual_cndmask_b32 v2, v2, v5
	s_delay_alu instid0(VALU_DEP_2) | instskip(NEXT) | instid1(VALU_DEP_2)
	v_cndmask_b32_e64 v7, v9, v7, s3
	v_cndmask_b32_e64 v1, v4, v1, s3
	v_lshlrev_b32_e32 v6, 2, v6
	s_delay_alu instid0(VALU_DEP_4) | instskip(NEXT) | instid1(VALU_DEP_2)
	v_cndmask_b32_e64 v2, v5, v2, s3
	v_add_lshl_u32 v6, v6, v3, 2
	v_and_b32_e32 v3, 0xff, v7
	ds_bpermute_b32 v4, v6, v2
	ds_bpermute_b32 v5, v6, v3
	;; [unrolled: 1-line block ×3, first 2 shown]
	s_waitcnt lgkmcnt(1)
	v_and_b32_e32 v6, 1, v5
	s_waitcnt lgkmcnt(0)
	v_cmp_lt_i64_e32 vcc_lo, v[3:4], v[1:2]
	s_delay_alu instid0(VALU_DEP_2) | instskip(SKIP_1) | instid1(VALU_DEP_2)
	v_cmp_eq_u32_e64 s2, 1, v6
	v_and_b32_e32 v6, 1, v7
	v_cndmask_b32_e64 v7, v7, 1, s2
	s_and_b32 vcc_lo, s2, vcc_lo
	s_delay_alu instid0(VALU_DEP_2) | instskip(SKIP_1) | instid1(VALU_DEP_2)
	v_cmp_eq_u32_e64 s2, 1, v6
	v_dual_cndmask_b32 v1, v1, v3 :: v_dual_cndmask_b32 v2, v2, v4
	v_cndmask_b32_e64 v5, v5, v7, s2
	s_delay_alu instid0(VALU_DEP_2) | instskip(NEXT) | instid1(VALU_DEP_3)
	v_cndmask_b32_e64 v1, v3, v1, s2
	v_cndmask_b32_e64 v2, v4, v2, s2
	s_delay_alu instid0(VALU_DEP_3)
	v_and_b32_e32 v6, 0xff, v5
.LBB789_198:
	s_or_b32 exec_lo, exec_lo, s6
	s_branch .LBB789_227
.LBB789_199:
                                        ; implicit-def: $vgpr3_vgpr4
                                        ; implicit-def: $vgpr5
                                        ; implicit-def: $sgpr10_sgpr11
.LBB789_200:
	s_and_saveexec_b32 s2, s26
	s_cbranch_execz .LBB789_202
.LBB789_201:
	s_load_b64 s[0:1], s[0:1], 0x38
	s_lshl_b64 s[2:3], s[10:11], 4
	v_mov_b32_e32 v0, 0
	s_waitcnt lgkmcnt(0)
	s_add_u32 s0, s0, s2
	s_addc_u32 s1, s1, s3
	s_clause 0x1
	global_store_b8 v0, v5, s[0:1]
	global_store_b64 v0, v[3:4], s[0:1] offset:8
.LBB789_202:
	s_nop 0
	s_sendmsg sendmsg(MSG_DEALLOC_VGPRS)
	s_endpgm
.LBB789_203:
                                        ; implicit-def: $vgpr1_vgpr2
                                        ; implicit-def: $vgpr6
	s_cbranch_execz .LBB789_227
; %bb.204:
	v_mov_b32_e32 v1, 0
	v_dual_mov_b32 v2, 0 :: v_dual_mov_b32 v7, 0
	s_sub_i32 s2, s14, s4
	s_mov_b32 s3, exec_lo
	v_cmpx_gt_u32_e64 s2, v0
	s_cbranch_execz .LBB789_206
; %bb.205:
	s_lshl_b64 s[6:7], s[4:5], 2
	v_lshlrev_b32_e32 v1, 2, v0
	s_add_u32 s8, s18, s6
	s_addc_u32 s9, s19, s7
	s_add_u32 s6, s16, s6
	s_addc_u32 s7, s17, s7
	s_add_u32 s4, s12, s4
	s_waitcnt lgkmcnt(1)
	global_load_b32 v3, v1, s[6:7]
	s_waitcnt lgkmcnt(0)
	global_load_b32 v4, v1, s[8:9]
	s_addc_u32 s5, s13, 0
	v_add_co_u32 v1, s4, s4, v0
	s_delay_alu instid0(VALU_DEP_1)
	v_add_co_ci_u32_e64 v2, null, s5, 0, s4
	s_waitcnt vmcnt(0)
	v_cmp_neq_f32_e32 vcc_lo, v3, v4
	v_cndmask_b32_e64 v7, 0, 1, vcc_lo
.LBB789_206:
	s_or_b32 exec_lo, exec_lo, s3
	s_waitcnt lgkmcnt(2)
	v_mbcnt_lo_u32_b32 v5, -1, 0
	s_delay_alu instid0(VALU_DEP_2)
	v_and_b32_e32 v6, 0xffff, v7
	v_and_b32_e32 v8, 0xe0, v0
	s_min_u32 s3, s2, 0x100
	s_mov_b32 s4, exec_lo
	v_cmp_ne_u32_e32 vcc_lo, 31, v5
	v_add_nc_u32_e32 v10, 1, v5
	v_sub_nc_u32_e64 v8, s3, v8 clamp
	s_waitcnt lgkmcnt(1)
	v_add_co_ci_u32_e32 v3, vcc_lo, 0, v5, vcc_lo
	s_waitcnt lgkmcnt(0)
	s_delay_alu instid0(VALU_DEP_1)
	v_lshlrev_b32_e32 v4, 2, v3
	ds_bpermute_b32 v9, v4, v6
	ds_bpermute_b32 v3, v4, v1
	ds_bpermute_b32 v4, v4, v2
	v_cmpx_lt_u32_e64 v10, v8
	s_cbranch_execz .LBB789_208
; %bb.207:
	s_waitcnt lgkmcnt(2)
	v_and_b32_e32 v6, 1, v9
	s_waitcnt lgkmcnt(0)
	v_cmp_lt_i64_e32 vcc_lo, v[3:4], v[1:2]
	s_delay_alu instid0(VALU_DEP_2) | instskip(SKIP_1) | instid1(VALU_DEP_2)
	v_cmp_eq_u32_e64 s2, 1, v6
	v_and_b32_e32 v6, 1, v7
	v_cndmask_b32_e64 v7, v7, 1, s2
	s_and_b32 vcc_lo, s2, vcc_lo
	s_delay_alu instid0(VALU_DEP_2) | instskip(SKIP_1) | instid1(VALU_DEP_2)
	v_cmp_eq_u32_e64 s2, 1, v6
	v_dual_cndmask_b32 v1, v1, v3 :: v_dual_cndmask_b32 v2, v2, v4
	v_cndmask_b32_e64 v7, v9, v7, s2
	s_delay_alu instid0(VALU_DEP_2) | instskip(NEXT) | instid1(VALU_DEP_3)
	v_cndmask_b32_e64 v1, v3, v1, s2
	v_cndmask_b32_e64 v2, v4, v2, s2
	s_delay_alu instid0(VALU_DEP_3)
	v_and_b32_e32 v6, 0xff, v7
.LBB789_208:
	s_or_b32 exec_lo, exec_lo, s4
	v_cmp_gt_u32_e32 vcc_lo, 30, v5
	v_add_nc_u32_e32 v10, 2, v5
	s_mov_b32 s4, exec_lo
	s_waitcnt lgkmcnt(1)
	v_cndmask_b32_e64 v3, 0, 1, vcc_lo
	s_delay_alu instid0(VALU_DEP_1) | instskip(SKIP_1) | instid1(VALU_DEP_1)
	v_lshlrev_b32_e32 v3, 1, v3
	s_waitcnt lgkmcnt(0)
	v_add_lshl_u32 v4, v3, v5, 2
	ds_bpermute_b32 v9, v4, v6
	ds_bpermute_b32 v3, v4, v1
	ds_bpermute_b32 v4, v4, v2
	v_cmpx_lt_u32_e64 v10, v8
	s_cbranch_execz .LBB789_210
; %bb.209:
	s_waitcnt lgkmcnt(2)
	v_and_b32_e32 v6, 1, v9
	s_waitcnt lgkmcnt(0)
	v_cmp_lt_i64_e32 vcc_lo, v[3:4], v[1:2]
	s_delay_alu instid0(VALU_DEP_2) | instskip(SKIP_1) | instid1(VALU_DEP_2)
	v_cmp_eq_u32_e64 s2, 1, v6
	v_and_b32_e32 v6, 1, v7
	v_cndmask_b32_e64 v7, v7, 1, s2
	s_and_b32 vcc_lo, s2, vcc_lo
	s_delay_alu instid0(VALU_DEP_2) | instskip(SKIP_1) | instid1(VALU_DEP_2)
	v_cmp_eq_u32_e64 s2, 1, v6
	v_dual_cndmask_b32 v1, v1, v3 :: v_dual_cndmask_b32 v2, v2, v4
	v_cndmask_b32_e64 v7, v9, v7, s2
	s_delay_alu instid0(VALU_DEP_2) | instskip(NEXT) | instid1(VALU_DEP_3)
	v_cndmask_b32_e64 v1, v3, v1, s2
	v_cndmask_b32_e64 v2, v4, v2, s2
	s_delay_alu instid0(VALU_DEP_3)
	v_and_b32_e32 v6, 0xff, v7
.LBB789_210:
	s_or_b32 exec_lo, exec_lo, s4
	v_cmp_gt_u32_e32 vcc_lo, 28, v5
	v_add_nc_u32_e32 v10, 4, v5
	s_mov_b32 s4, exec_lo
	s_waitcnt lgkmcnt(1)
	v_cndmask_b32_e64 v3, 0, 1, vcc_lo
	s_delay_alu instid0(VALU_DEP_1) | instskip(SKIP_1) | instid1(VALU_DEP_1)
	v_lshlrev_b32_e32 v3, 2, v3
	s_waitcnt lgkmcnt(0)
	v_add_lshl_u32 v4, v3, v5, 2
	ds_bpermute_b32 v9, v4, v6
	ds_bpermute_b32 v3, v4, v1
	ds_bpermute_b32 v4, v4, v2
	v_cmpx_lt_u32_e64 v10, v8
	s_cbranch_execz .LBB789_212
; %bb.211:
	s_waitcnt lgkmcnt(2)
	v_and_b32_e32 v6, 1, v9
	s_waitcnt lgkmcnt(0)
	v_cmp_lt_i64_e32 vcc_lo, v[3:4], v[1:2]
	s_delay_alu instid0(VALU_DEP_2) | instskip(SKIP_1) | instid1(VALU_DEP_2)
	v_cmp_eq_u32_e64 s2, 1, v6
	v_and_b32_e32 v6, 1, v7
	v_cndmask_b32_e64 v7, v7, 1, s2
	s_and_b32 vcc_lo, s2, vcc_lo
	s_delay_alu instid0(VALU_DEP_2) | instskip(SKIP_1) | instid1(VALU_DEP_2)
	v_cmp_eq_u32_e64 s2, 1, v6
	v_dual_cndmask_b32 v1, v1, v3 :: v_dual_cndmask_b32 v2, v2, v4
	v_cndmask_b32_e64 v7, v9, v7, s2
	s_delay_alu instid0(VALU_DEP_2) | instskip(NEXT) | instid1(VALU_DEP_3)
	v_cndmask_b32_e64 v1, v3, v1, s2
	v_cndmask_b32_e64 v2, v4, v2, s2
	s_delay_alu instid0(VALU_DEP_3)
	v_and_b32_e32 v6, 0xff, v7
.LBB789_212:
	s_or_b32 exec_lo, exec_lo, s4
	v_cmp_gt_u32_e32 vcc_lo, 24, v5
	v_add_nc_u32_e32 v10, 8, v5
	s_mov_b32 s4, exec_lo
	s_waitcnt lgkmcnt(1)
	v_cndmask_b32_e64 v3, 0, 1, vcc_lo
	s_delay_alu instid0(VALU_DEP_1) | instskip(SKIP_1) | instid1(VALU_DEP_1)
	v_lshlrev_b32_e32 v3, 3, v3
	s_waitcnt lgkmcnt(0)
	v_add_lshl_u32 v4, v3, v5, 2
	ds_bpermute_b32 v9, v4, v6
	ds_bpermute_b32 v3, v4, v1
	ds_bpermute_b32 v4, v4, v2
	v_cmpx_lt_u32_e64 v10, v8
	s_cbranch_execz .LBB789_214
; %bb.213:
	s_waitcnt lgkmcnt(2)
	v_and_b32_e32 v6, 1, v9
	s_waitcnt lgkmcnt(0)
	v_cmp_lt_i64_e32 vcc_lo, v[3:4], v[1:2]
	s_delay_alu instid0(VALU_DEP_2) | instskip(SKIP_1) | instid1(VALU_DEP_2)
	v_cmp_eq_u32_e64 s2, 1, v6
	v_and_b32_e32 v6, 1, v7
	v_cndmask_b32_e64 v7, v7, 1, s2
	s_and_b32 vcc_lo, s2, vcc_lo
	s_delay_alu instid0(VALU_DEP_2) | instskip(SKIP_1) | instid1(VALU_DEP_2)
	v_cmp_eq_u32_e64 s2, 1, v6
	v_dual_cndmask_b32 v1, v1, v3 :: v_dual_cndmask_b32 v2, v2, v4
	v_cndmask_b32_e64 v7, v9, v7, s2
	s_delay_alu instid0(VALU_DEP_2) | instskip(NEXT) | instid1(VALU_DEP_3)
	v_cndmask_b32_e64 v1, v3, v1, s2
	v_cndmask_b32_e64 v2, v4, v2, s2
	s_delay_alu instid0(VALU_DEP_3)
	v_and_b32_e32 v6, 0xff, v7
.LBB789_214:
	s_or_b32 exec_lo, exec_lo, s4
	v_cmp_gt_u32_e32 vcc_lo, 16, v5
	v_add_nc_u32_e32 v10, 16, v5
	s_mov_b32 s4, exec_lo
	s_waitcnt lgkmcnt(1)
	v_cndmask_b32_e64 v3, 0, 1, vcc_lo
	s_delay_alu instid0(VALU_DEP_1) | instskip(SKIP_1) | instid1(VALU_DEP_1)
	v_lshlrev_b32_e32 v3, 4, v3
	s_waitcnt lgkmcnt(0)
	v_add_lshl_u32 v4, v3, v5, 2
	ds_bpermute_b32 v9, v4, v6
	ds_bpermute_b32 v3, v4, v1
	;; [unrolled: 1-line block ×3, first 2 shown]
	v_cmpx_lt_u32_e64 v10, v8
	s_cbranch_execz .LBB789_216
; %bb.215:
	s_waitcnt lgkmcnt(2)
	v_and_b32_e32 v6, 1, v9
	s_waitcnt lgkmcnt(0)
	v_cmp_lt_i64_e32 vcc_lo, v[3:4], v[1:2]
	s_delay_alu instid0(VALU_DEP_2) | instskip(SKIP_1) | instid1(VALU_DEP_2)
	v_cmp_eq_u32_e64 s2, 1, v6
	v_and_b32_e32 v6, 1, v7
	v_cndmask_b32_e64 v7, v7, 1, s2
	s_and_b32 vcc_lo, s2, vcc_lo
	s_delay_alu instid0(VALU_DEP_2) | instskip(SKIP_1) | instid1(VALU_DEP_2)
	v_cmp_eq_u32_e64 s2, 1, v6
	v_dual_cndmask_b32 v1, v1, v3 :: v_dual_cndmask_b32 v2, v2, v4
	v_cndmask_b32_e64 v7, v9, v7, s2
	s_delay_alu instid0(VALU_DEP_2) | instskip(NEXT) | instid1(VALU_DEP_3)
	v_cndmask_b32_e64 v1, v3, v1, s2
	v_cndmask_b32_e64 v2, v4, v2, s2
	s_delay_alu instid0(VALU_DEP_3)
	v_and_b32_e32 v6, 0xff, v7
.LBB789_216:
	s_or_b32 exec_lo, exec_lo, s4
	s_delay_alu instid0(SALU_CYCLE_1)
	s_mov_b32 s2, exec_lo
	v_cmpx_eq_u32_e32 0, v5
	s_cbranch_execz .LBB789_218
; %bb.217:
	s_waitcnt lgkmcnt(1)
	v_lshrrev_b32_e32 v3, 1, v0
	s_delay_alu instid0(VALU_DEP_1)
	v_and_b32_e32 v3, 0x70, v3
	ds_store_b8 v3, v7 offset:512
	ds_store_b64 v3, v[1:2] offset:520
.LBB789_218:
	s_or_b32 exec_lo, exec_lo, s2
	s_delay_alu instid0(SALU_CYCLE_1)
	s_mov_b32 s4, exec_lo
	s_waitcnt lgkmcnt(0)
	s_barrier
	buffer_gl0_inv
	v_cmpx_gt_u32_e32 8, v0
	s_cbranch_execz .LBB789_226
; %bb.219:
	v_lshlrev_b32_e32 v1, 4, v5
	v_and_b32_e32 v8, 7, v5
	s_add_i32 s3, s3, 31
	s_mov_b32 s5, exec_lo
	s_lshr_b32 s3, s3, 5
	ds_load_u8 v7, v1 offset:512
	ds_load_b64 v[1:2], v1 offset:520
	v_cmp_ne_u32_e32 vcc_lo, 7, v8
	v_add_nc_u32_e32 v10, 1, v8
	v_add_co_ci_u32_e32 v3, vcc_lo, 0, v5, vcc_lo
	s_delay_alu instid0(VALU_DEP_1)
	v_lshlrev_b32_e32 v4, 2, v3
	s_waitcnt lgkmcnt(1)
	v_and_b32_e32 v6, 0xff, v7
	s_waitcnt lgkmcnt(0)
	ds_bpermute_b32 v3, v4, v1
	ds_bpermute_b32 v9, v4, v6
	;; [unrolled: 1-line block ×3, first 2 shown]
	v_cmpx_gt_u32_e64 s3, v10
	s_cbranch_execz .LBB789_221
; %bb.220:
	s_waitcnt lgkmcnt(1)
	v_and_b32_e32 v6, 1, v9
	s_waitcnt lgkmcnt(0)
	v_cmp_lt_i64_e32 vcc_lo, v[3:4], v[1:2]
	s_delay_alu instid0(VALU_DEP_2) | instskip(SKIP_1) | instid1(VALU_DEP_2)
	v_cmp_eq_u32_e64 s2, 1, v6
	v_and_b32_e32 v6, 1, v7
	v_cndmask_b32_e64 v7, v7, 1, s2
	s_and_b32 vcc_lo, s2, vcc_lo
	s_delay_alu instid0(VALU_DEP_2) | instskip(SKIP_1) | instid1(VALU_DEP_2)
	v_cmp_eq_u32_e64 s2, 1, v6
	v_dual_cndmask_b32 v1, v1, v3 :: v_dual_cndmask_b32 v2, v2, v4
	v_cndmask_b32_e64 v7, v9, v7, s2
	s_delay_alu instid0(VALU_DEP_2) | instskip(NEXT) | instid1(VALU_DEP_3)
	v_cndmask_b32_e64 v1, v3, v1, s2
	v_cndmask_b32_e64 v2, v4, v2, s2
	s_delay_alu instid0(VALU_DEP_3)
	v_and_b32_e32 v6, 0xff, v7
.LBB789_221:
	s_or_b32 exec_lo, exec_lo, s5
	v_cmp_gt_u32_e32 vcc_lo, 6, v8
	v_add_nc_u32_e32 v10, 2, v8
	s_mov_b32 s5, exec_lo
	s_waitcnt lgkmcnt(2)
	v_cndmask_b32_e64 v3, 0, 1, vcc_lo
	s_delay_alu instid0(VALU_DEP_1) | instskip(SKIP_1) | instid1(VALU_DEP_1)
	v_lshlrev_b32_e32 v3, 1, v3
	s_waitcnt lgkmcnt(0)
	v_add_lshl_u32 v4, v3, v5, 2
	ds_bpermute_b32 v9, v4, v6
	ds_bpermute_b32 v3, v4, v1
	;; [unrolled: 1-line block ×3, first 2 shown]
	v_cmpx_gt_u32_e64 s3, v10
	s_cbranch_execz .LBB789_223
; %bb.222:
	s_waitcnt lgkmcnt(2)
	v_and_b32_e32 v6, 1, v9
	s_waitcnt lgkmcnt(0)
	v_cmp_lt_i64_e32 vcc_lo, v[3:4], v[1:2]
	s_delay_alu instid0(VALU_DEP_2) | instskip(SKIP_1) | instid1(VALU_DEP_2)
	v_cmp_eq_u32_e64 s2, 1, v6
	v_and_b32_e32 v6, 1, v7
	v_cndmask_b32_e64 v7, v7, 1, s2
	s_and_b32 vcc_lo, s2, vcc_lo
	s_delay_alu instid0(VALU_DEP_2) | instskip(SKIP_1) | instid1(VALU_DEP_2)
	v_cmp_eq_u32_e64 s2, 1, v6
	v_dual_cndmask_b32 v1, v1, v3 :: v_dual_cndmask_b32 v2, v2, v4
	v_cndmask_b32_e64 v7, v9, v7, s2
	s_delay_alu instid0(VALU_DEP_2) | instskip(NEXT) | instid1(VALU_DEP_3)
	v_cndmask_b32_e64 v1, v3, v1, s2
	v_cndmask_b32_e64 v2, v4, v2, s2
	s_delay_alu instid0(VALU_DEP_3)
	v_and_b32_e32 v6, 0xff, v7
.LBB789_223:
	s_or_b32 exec_lo, exec_lo, s5
	v_cmp_gt_u32_e32 vcc_lo, 4, v8
	v_add_nc_u32_e32 v8, 4, v8
	s_waitcnt lgkmcnt(1)
	v_cndmask_b32_e64 v3, 0, 1, vcc_lo
	s_delay_alu instid0(VALU_DEP_2) | instskip(NEXT) | instid1(VALU_DEP_2)
	v_cmp_gt_u32_e32 vcc_lo, s3, v8
	v_lshlrev_b32_e32 v3, 2, v3
	s_waitcnt lgkmcnt(0)
	s_delay_alu instid0(VALU_DEP_1)
	v_add_lshl_u32 v4, v3, v5, 2
	ds_bpermute_b32 v5, v4, v6
	ds_bpermute_b32 v3, v4, v1
	;; [unrolled: 1-line block ×3, first 2 shown]
	s_and_saveexec_b32 s3, vcc_lo
	s_cbranch_execz .LBB789_225
; %bb.224:
	s_waitcnt lgkmcnt(2)
	v_and_b32_e32 v6, 1, v5
	s_waitcnt lgkmcnt(0)
	v_cmp_lt_i64_e32 vcc_lo, v[3:4], v[1:2]
	s_delay_alu instid0(VALU_DEP_2) | instskip(SKIP_1) | instid1(VALU_DEP_2)
	v_cmp_eq_u32_e64 s2, 1, v6
	v_and_b32_e32 v6, 1, v7
	v_cndmask_b32_e64 v7, v7, 1, s2
	s_and_b32 vcc_lo, s2, vcc_lo
	s_delay_alu instid0(VALU_DEP_2) | instskip(SKIP_1) | instid1(VALU_DEP_2)
	v_cmp_eq_u32_e64 s2, 1, v6
	v_dual_cndmask_b32 v1, v1, v3 :: v_dual_cndmask_b32 v2, v2, v4
	v_cndmask_b32_e64 v5, v5, v7, s2
	s_delay_alu instid0(VALU_DEP_2) | instskip(NEXT) | instid1(VALU_DEP_3)
	v_cndmask_b32_e64 v1, v3, v1, s2
	v_cndmask_b32_e64 v2, v4, v2, s2
	s_delay_alu instid0(VALU_DEP_3)
	v_and_b32_e32 v6, 0xff, v5
.LBB789_225:
	s_or_b32 exec_lo, exec_lo, s3
.LBB789_226:
	s_delay_alu instid0(SALU_CYCLE_1)
	s_or_b32 exec_lo, exec_lo, s4
.LBB789_227:
	s_delay_alu instid0(SALU_CYCLE_1)
	s_mov_b32 s4, exec_lo
                                        ; implicit-def: $vgpr3_vgpr4
                                        ; implicit-def: $vgpr5
	v_cmpx_eq_u32_e32 0, v0
	s_cbranch_execz .LBB789_231
; %bb.228:
	s_waitcnt lgkmcnt(0)
	v_dual_mov_b32 v3, s20 :: v_dual_mov_b32 v4, s21
	v_mov_b32_e32 v5, s24
	s_cmp_eq_u64 s[14:15], 0
	s_cbranch_scc1 .LBB789_230
; %bb.229:
	v_and_b32_e32 v0, 1, v6
	v_cmp_gt_i64_e32 vcc_lo, s[20:21], v[1:2]
	s_bitcmp1_b32 s24, 0
	s_cselect_b32 s3, -1, 0
	s_delay_alu instid0(VALU_DEP_2) | instskip(NEXT) | instid1(VALU_DEP_1)
	v_cmp_eq_u32_e64 s2, 1, v0
	s_and_b32 vcc_lo, s2, vcc_lo
	v_cndmask_b32_e64 v0, s24, 1, s2
	v_cndmask_b32_e32 v3, s20, v1, vcc_lo
	v_cndmask_b32_e32 v4, s21, v2, vcc_lo
	s_delay_alu instid0(VALU_DEP_3) | instskip(NEXT) | instid1(VALU_DEP_3)
	v_cndmask_b32_e64 v5, v6, v0, s3
	v_cndmask_b32_e64 v3, v1, v3, s3
	s_delay_alu instid0(VALU_DEP_3)
	v_cndmask_b32_e64 v4, v2, v4, s3
.LBB789_230:
	s_or_b32 s26, s26, exec_lo
.LBB789_231:
	s_or_b32 exec_lo, exec_lo, s4
	s_and_saveexec_b32 s2, s26
	s_cbranch_execnz .LBB789_201
	s_branch .LBB789_202
.LBB789_232:
	v_lshlrev_b32_e32 v3, 2, v25
	s_clause 0x1
	global_load_b32 v18, v3, s[8:9]
	global_load_b32 v26, v3, s[22:23]
	v_add_co_u32 v3, s8, s26, v25
	s_delay_alu instid0(VALU_DEP_1) | instskip(SKIP_2) | instid1(VALU_DEP_1)
	v_add_co_ci_u32_e64 v4, null, s28, 0, s8
	s_waitcnt vmcnt(0)
	v_cmp_neq_f32_e64 s8, v18, v26
	v_cndmask_b32_e64 v18, 0, 1, s8
	s_or_b32 exec_lo, exec_lo, s30
	s_and_saveexec_b32 s9, s7
	s_cbranch_execz .LBB789_57
.LBB789_233:
	v_and_b32_e32 v25, 1, v21
	v_cmp_lt_i64_e64 s7, v[9:10], v[1:2]
	s_delay_alu instid0(VALU_DEP_2) | instskip(SKIP_1) | instid1(VALU_DEP_2)
	v_cmp_eq_u32_e64 s8, 1, v25
	v_and_b32_e32 v25, 1, v17
	s_and_b32 s7, s8, s7
	v_cndmask_b32_e64 v17, v17, 1, s8
	v_cndmask_b32_e64 v1, v1, v9, s7
	;; [unrolled: 1-line block ×3, first 2 shown]
	v_cmp_eq_u32_e64 s7, 1, v25
	s_delay_alu instid0(VALU_DEP_1) | instskip(NEXT) | instid1(VALU_DEP_3)
	v_cndmask_b32_e64 v17, v21, v17, s7
	v_cndmask_b32_e64 v2, v10, v2, s7
	;; [unrolled: 1-line block ×3, first 2 shown]
	s_or_b32 exec_lo, exec_lo, s9
	s_and_saveexec_b32 s8, s6
	s_cbranch_execz .LBB789_58
.LBB789_234:
	v_and_b32_e32 v9, 1, v24
	v_cmp_lt_i64_e64 s6, v[15:16], v[1:2]
	s_delay_alu instid0(VALU_DEP_2) | instskip(SKIP_1) | instid1(VALU_DEP_2)
	v_cmp_eq_u32_e64 s7, 1, v9
	v_and_b32_e32 v9, 1, v17
	s_and_b32 s6, s7, s6
	v_cndmask_b32_e64 v10, v17, 1, s7
	v_cndmask_b32_e64 v1, v1, v15, s6
	;; [unrolled: 1-line block ×3, first 2 shown]
	v_cmp_eq_u32_e64 s6, 1, v9
	s_delay_alu instid0(VALU_DEP_1) | instskip(NEXT) | instid1(VALU_DEP_3)
	v_cndmask_b32_e64 v17, v24, v10, s6
	v_cndmask_b32_e64 v2, v16, v2, s6
	;; [unrolled: 1-line block ×3, first 2 shown]
	s_or_b32 exec_lo, exec_lo, s8
	s_and_saveexec_b32 s7, s5
	s_cbranch_execz .LBB789_59
.LBB789_235:
	v_and_b32_e32 v9, 1, v20
	v_cmp_lt_i64_e64 s5, v[7:8], v[1:2]
	s_delay_alu instid0(VALU_DEP_2) | instskip(SKIP_1) | instid1(VALU_DEP_2)
	v_cmp_eq_u32_e64 s6, 1, v9
	v_and_b32_e32 v9, 1, v17
	s_and_b32 s5, s6, s5
	v_cndmask_b32_e64 v10, v17, 1, s6
	v_cndmask_b32_e64 v1, v1, v7, s5
	;; [unrolled: 1-line block ×3, first 2 shown]
	v_cmp_eq_u32_e64 s5, 1, v9
	s_delay_alu instid0(VALU_DEP_1) | instskip(NEXT) | instid1(VALU_DEP_3)
	v_cndmask_b32_e64 v17, v20, v10, s5
	v_cndmask_b32_e64 v2, v8, v2, s5
	;; [unrolled: 1-line block ×3, first 2 shown]
	s_or_b32 exec_lo, exec_lo, s7
	s_and_saveexec_b32 s6, s4
	s_cbranch_execz .LBB789_60
.LBB789_236:
	v_and_b32_e32 v7, 1, v23
	v_cmp_lt_i64_e64 s4, v[13:14], v[1:2]
	s_delay_alu instid0(VALU_DEP_2) | instskip(SKIP_1) | instid1(VALU_DEP_2)
	v_cmp_eq_u32_e64 s5, 1, v7
	v_and_b32_e32 v7, 1, v17
	s_and_b32 s4, s5, s4
	v_cndmask_b32_e64 v8, v17, 1, s5
	v_cndmask_b32_e64 v1, v1, v13, s4
	;; [unrolled: 1-line block ×3, first 2 shown]
	v_cmp_eq_u32_e64 s4, 1, v7
	s_delay_alu instid0(VALU_DEP_1) | instskip(NEXT) | instid1(VALU_DEP_3)
	v_cndmask_b32_e64 v17, v23, v8, s4
	v_cndmask_b32_e64 v2, v14, v2, s4
	v_cndmask_b32_e64 v1, v13, v1, s4
	s_or_b32 exec_lo, exec_lo, s6
	s_and_saveexec_b32 s5, s3
	s_cbranch_execz .LBB789_61
.LBB789_237:
	v_and_b32_e32 v7, 1, v19
	v_cmp_lt_i64_e64 s3, v[5:6], v[1:2]
	s_delay_alu instid0(VALU_DEP_2) | instskip(SKIP_1) | instid1(VALU_DEP_2)
	v_cmp_eq_u32_e64 s4, 1, v7
	v_and_b32_e32 v7, 1, v17
	s_and_b32 s3, s4, s3
	v_cndmask_b32_e64 v8, v17, 1, s4
	v_cndmask_b32_e64 v1, v1, v5, s3
	;; [unrolled: 1-line block ×3, first 2 shown]
	v_cmp_eq_u32_e64 s3, 1, v7
	s_delay_alu instid0(VALU_DEP_1) | instskip(NEXT) | instid1(VALU_DEP_3)
	v_cndmask_b32_e64 v17, v19, v8, s3
	v_cndmask_b32_e64 v2, v6, v2, s3
	;; [unrolled: 1-line block ×3, first 2 shown]
	s_or_b32 exec_lo, exec_lo, s5
	s_and_saveexec_b32 s4, s2
	s_cbranch_execz .LBB789_62
.LBB789_238:
	v_and_b32_e32 v5, 1, v22
	v_cmp_lt_i64_e64 s2, v[11:12], v[1:2]
	s_delay_alu instid0(VALU_DEP_2) | instskip(SKIP_1) | instid1(VALU_DEP_2)
	v_cmp_eq_u32_e64 s3, 1, v5
	v_and_b32_e32 v5, 1, v17
	s_and_b32 s2, s3, s2
	v_cndmask_b32_e64 v6, v17, 1, s3
	v_cndmask_b32_e64 v1, v1, v11, s2
	;; [unrolled: 1-line block ×3, first 2 shown]
	v_cmp_eq_u32_e64 s2, 1, v5
	s_delay_alu instid0(VALU_DEP_1) | instskip(NEXT) | instid1(VALU_DEP_3)
	v_cndmask_b32_e64 v17, v22, v6, s2
	v_cndmask_b32_e64 v2, v12, v2, s2
	v_cndmask_b32_e64 v1, v11, v1, s2
	s_or_b32 exec_lo, exec_lo, s4
	s_and_saveexec_b32 s3, vcc_lo
	s_cbranch_execnz .LBB789_63
	s_branch .LBB789_64
.LBB789_239:
	v_lshlrev_b32_e32 v3, 2, v0
	s_clause 0x1
	global_load_b32 v10, v3, s[6:7] offset:3072
	global_load_b32 v14, v3, s[8:9] offset:3072
	v_add_co_u32 v3, s4, s5, v13
	s_delay_alu instid0(VALU_DEP_1) | instskip(SKIP_2) | instid1(VALU_DEP_1)
	v_add_co_ci_u32_e64 v4, null, s23, 0, s4
	s_waitcnt vmcnt(0)
	v_cmp_neq_f32_e64 s4, v10, v14
	v_cndmask_b32_e64 v10, 0, 1, s4
	s_or_b32 exec_lo, exec_lo, s27
	s_and_saveexec_b32 s5, s3
	s_cbranch_execz .LBB789_100
.LBB789_240:
	v_and_b32_e32 v13, 1, v11
	v_cmp_lt_i64_e64 s3, v[5:6], v[1:2]
	s_delay_alu instid0(VALU_DEP_2) | instskip(SKIP_1) | instid1(VALU_DEP_2)
	v_cmp_eq_u32_e64 s4, 1, v13
	v_and_b32_e32 v13, 1, v9
	s_and_b32 s3, s4, s3
	v_cndmask_b32_e64 v9, v9, 1, s4
	v_cndmask_b32_e64 v1, v1, v5, s3
	;; [unrolled: 1-line block ×3, first 2 shown]
	v_cmp_eq_u32_e64 s3, 1, v13
	s_delay_alu instid0(VALU_DEP_1) | instskip(NEXT) | instid1(VALU_DEP_3)
	v_cndmask_b32_e64 v9, v11, v9, s3
	v_cndmask_b32_e64 v2, v6, v2, s3
	;; [unrolled: 1-line block ×3, first 2 shown]
	s_or_b32 exec_lo, exec_lo, s5
	s_and_saveexec_b32 s4, s2
	s_cbranch_execz .LBB789_101
.LBB789_241:
	v_and_b32_e32 v5, 1, v12
	v_cmp_lt_i64_e64 s2, v[7:8], v[1:2]
	s_delay_alu instid0(VALU_DEP_2) | instskip(SKIP_1) | instid1(VALU_DEP_2)
	v_cmp_eq_u32_e64 s3, 1, v5
	v_and_b32_e32 v5, 1, v9
	s_and_b32 s2, s3, s2
	v_cndmask_b32_e64 v6, v9, 1, s3
	v_cndmask_b32_e64 v1, v1, v7, s2
	;; [unrolled: 1-line block ×3, first 2 shown]
	v_cmp_eq_u32_e64 s2, 1, v5
	s_delay_alu instid0(VALU_DEP_1) | instskip(NEXT) | instid1(VALU_DEP_3)
	v_cndmask_b32_e64 v9, v12, v6, s2
	v_cndmask_b32_e64 v2, v8, v2, s2
	;; [unrolled: 1-line block ×3, first 2 shown]
	s_or_b32 exec_lo, exec_lo, s4
	s_and_saveexec_b32 s3, vcc_lo
	s_cbranch_execnz .LBB789_102
	s_branch .LBB789_103
	.section	.rodata,"a",@progbits
	.p2align	6, 0x0
	.amdhsa_kernel _ZN7rocprim17ROCPRIM_400000_NS6detail17trampoline_kernelINS0_14default_configENS1_22reduce_config_selectorIN6thrust23THRUST_200600_302600_NS5tupleIblNS6_9null_typeES8_S8_S8_S8_S8_S8_S8_EEEEZNS1_11reduce_implILb1ES3_NS6_12zip_iteratorINS7_INS6_11hip_rocprim26transform_input_iterator_tIbNSD_35transform_pair_of_input_iterators_tIbNS6_6detail15normal_iteratorINS6_10device_ptrIKfEEEESL_NS6_8equal_toIfEEEENSG_9not_fun_tINSD_8identityEEEEENSD_19counting_iterator_tIlEES8_S8_S8_S8_S8_S8_S8_S8_EEEEPS9_S9_NSD_9__find_if7functorIS9_EEEE10hipError_tPvRmT1_T2_T3_mT4_P12ihipStream_tbEUlT_E1_NS1_11comp_targetILNS1_3genE9ELNS1_11target_archE1100ELNS1_3gpuE3ELNS1_3repE0EEENS1_30default_config_static_selectorELNS0_4arch9wavefront6targetE0EEEvS14_
		.amdhsa_group_segment_fixed_size 640
		.amdhsa_private_segment_fixed_size 0
		.amdhsa_kernarg_size 88
		.amdhsa_user_sgpr_count 15
		.amdhsa_user_sgpr_dispatch_ptr 0
		.amdhsa_user_sgpr_queue_ptr 0
		.amdhsa_user_sgpr_kernarg_segment_ptr 1
		.amdhsa_user_sgpr_dispatch_id 0
		.amdhsa_user_sgpr_private_segment_size 0
		.amdhsa_wavefront_size32 1
		.amdhsa_uses_dynamic_stack 0
		.amdhsa_enable_private_segment 0
		.amdhsa_system_sgpr_workgroup_id_x 1
		.amdhsa_system_sgpr_workgroup_id_y 0
		.amdhsa_system_sgpr_workgroup_id_z 0
		.amdhsa_system_sgpr_workgroup_info 0
		.amdhsa_system_vgpr_workitem_id 0
		.amdhsa_next_free_vgpr 27
		.amdhsa_next_free_sgpr 32
		.amdhsa_reserve_vcc 1
		.amdhsa_float_round_mode_32 0
		.amdhsa_float_round_mode_16_64 0
		.amdhsa_float_denorm_mode_32 3
		.amdhsa_float_denorm_mode_16_64 3
		.amdhsa_dx10_clamp 1
		.amdhsa_ieee_mode 1
		.amdhsa_fp16_overflow 0
		.amdhsa_workgroup_processor_mode 1
		.amdhsa_memory_ordered 1
		.amdhsa_forward_progress 0
		.amdhsa_shared_vgpr_count 0
		.amdhsa_exception_fp_ieee_invalid_op 0
		.amdhsa_exception_fp_denorm_src 0
		.amdhsa_exception_fp_ieee_div_zero 0
		.amdhsa_exception_fp_ieee_overflow 0
		.amdhsa_exception_fp_ieee_underflow 0
		.amdhsa_exception_fp_ieee_inexact 0
		.amdhsa_exception_int_div_zero 0
	.end_amdhsa_kernel
	.section	.text._ZN7rocprim17ROCPRIM_400000_NS6detail17trampoline_kernelINS0_14default_configENS1_22reduce_config_selectorIN6thrust23THRUST_200600_302600_NS5tupleIblNS6_9null_typeES8_S8_S8_S8_S8_S8_S8_EEEEZNS1_11reduce_implILb1ES3_NS6_12zip_iteratorINS7_INS6_11hip_rocprim26transform_input_iterator_tIbNSD_35transform_pair_of_input_iterators_tIbNS6_6detail15normal_iteratorINS6_10device_ptrIKfEEEESL_NS6_8equal_toIfEEEENSG_9not_fun_tINSD_8identityEEEEENSD_19counting_iterator_tIlEES8_S8_S8_S8_S8_S8_S8_S8_EEEEPS9_S9_NSD_9__find_if7functorIS9_EEEE10hipError_tPvRmT1_T2_T3_mT4_P12ihipStream_tbEUlT_E1_NS1_11comp_targetILNS1_3genE9ELNS1_11target_archE1100ELNS1_3gpuE3ELNS1_3repE0EEENS1_30default_config_static_selectorELNS0_4arch9wavefront6targetE0EEEvS14_,"axG",@progbits,_ZN7rocprim17ROCPRIM_400000_NS6detail17trampoline_kernelINS0_14default_configENS1_22reduce_config_selectorIN6thrust23THRUST_200600_302600_NS5tupleIblNS6_9null_typeES8_S8_S8_S8_S8_S8_S8_EEEEZNS1_11reduce_implILb1ES3_NS6_12zip_iteratorINS7_INS6_11hip_rocprim26transform_input_iterator_tIbNSD_35transform_pair_of_input_iterators_tIbNS6_6detail15normal_iteratorINS6_10device_ptrIKfEEEESL_NS6_8equal_toIfEEEENSG_9not_fun_tINSD_8identityEEEEENSD_19counting_iterator_tIlEES8_S8_S8_S8_S8_S8_S8_S8_EEEEPS9_S9_NSD_9__find_if7functorIS9_EEEE10hipError_tPvRmT1_T2_T3_mT4_P12ihipStream_tbEUlT_E1_NS1_11comp_targetILNS1_3genE9ELNS1_11target_archE1100ELNS1_3gpuE3ELNS1_3repE0EEENS1_30default_config_static_selectorELNS0_4arch9wavefront6targetE0EEEvS14_,comdat
.Lfunc_end789:
	.size	_ZN7rocprim17ROCPRIM_400000_NS6detail17trampoline_kernelINS0_14default_configENS1_22reduce_config_selectorIN6thrust23THRUST_200600_302600_NS5tupleIblNS6_9null_typeES8_S8_S8_S8_S8_S8_S8_EEEEZNS1_11reduce_implILb1ES3_NS6_12zip_iteratorINS7_INS6_11hip_rocprim26transform_input_iterator_tIbNSD_35transform_pair_of_input_iterators_tIbNS6_6detail15normal_iteratorINS6_10device_ptrIKfEEEESL_NS6_8equal_toIfEEEENSG_9not_fun_tINSD_8identityEEEEENSD_19counting_iterator_tIlEES8_S8_S8_S8_S8_S8_S8_S8_EEEEPS9_S9_NSD_9__find_if7functorIS9_EEEE10hipError_tPvRmT1_T2_T3_mT4_P12ihipStream_tbEUlT_E1_NS1_11comp_targetILNS1_3genE9ELNS1_11target_archE1100ELNS1_3gpuE3ELNS1_3repE0EEENS1_30default_config_static_selectorELNS0_4arch9wavefront6targetE0EEEvS14_, .Lfunc_end789-_ZN7rocprim17ROCPRIM_400000_NS6detail17trampoline_kernelINS0_14default_configENS1_22reduce_config_selectorIN6thrust23THRUST_200600_302600_NS5tupleIblNS6_9null_typeES8_S8_S8_S8_S8_S8_S8_EEEEZNS1_11reduce_implILb1ES3_NS6_12zip_iteratorINS7_INS6_11hip_rocprim26transform_input_iterator_tIbNSD_35transform_pair_of_input_iterators_tIbNS6_6detail15normal_iteratorINS6_10device_ptrIKfEEEESL_NS6_8equal_toIfEEEENSG_9not_fun_tINSD_8identityEEEEENSD_19counting_iterator_tIlEES8_S8_S8_S8_S8_S8_S8_S8_EEEEPS9_S9_NSD_9__find_if7functorIS9_EEEE10hipError_tPvRmT1_T2_T3_mT4_P12ihipStream_tbEUlT_E1_NS1_11comp_targetILNS1_3genE9ELNS1_11target_archE1100ELNS1_3gpuE3ELNS1_3repE0EEENS1_30default_config_static_selectorELNS0_4arch9wavefront6targetE0EEEvS14_
                                        ; -- End function
	.section	.AMDGPU.csdata,"",@progbits
; Kernel info:
; codeLenInByte = 15968
; NumSgprs: 34
; NumVgprs: 27
; ScratchSize: 0
; MemoryBound: 0
; FloatMode: 240
; IeeeMode: 1
; LDSByteSize: 640 bytes/workgroup (compile time only)
; SGPRBlocks: 4
; VGPRBlocks: 3
; NumSGPRsForWavesPerEU: 34
; NumVGPRsForWavesPerEU: 27
; Occupancy: 16
; WaveLimiterHint : 0
; COMPUTE_PGM_RSRC2:SCRATCH_EN: 0
; COMPUTE_PGM_RSRC2:USER_SGPR: 15
; COMPUTE_PGM_RSRC2:TRAP_HANDLER: 0
; COMPUTE_PGM_RSRC2:TGID_X_EN: 1
; COMPUTE_PGM_RSRC2:TGID_Y_EN: 0
; COMPUTE_PGM_RSRC2:TGID_Z_EN: 0
; COMPUTE_PGM_RSRC2:TIDIG_COMP_CNT: 0
	.section	.text._ZN7rocprim17ROCPRIM_400000_NS6detail17trampoline_kernelINS0_14default_configENS1_22reduce_config_selectorIN6thrust23THRUST_200600_302600_NS5tupleIblNS6_9null_typeES8_S8_S8_S8_S8_S8_S8_EEEEZNS1_11reduce_implILb1ES3_NS6_12zip_iteratorINS7_INS6_11hip_rocprim26transform_input_iterator_tIbNSD_35transform_pair_of_input_iterators_tIbNS6_6detail15normal_iteratorINS6_10device_ptrIKfEEEESL_NS6_8equal_toIfEEEENSG_9not_fun_tINSD_8identityEEEEENSD_19counting_iterator_tIlEES8_S8_S8_S8_S8_S8_S8_S8_EEEEPS9_S9_NSD_9__find_if7functorIS9_EEEE10hipError_tPvRmT1_T2_T3_mT4_P12ihipStream_tbEUlT_E1_NS1_11comp_targetILNS1_3genE8ELNS1_11target_archE1030ELNS1_3gpuE2ELNS1_3repE0EEENS1_30default_config_static_selectorELNS0_4arch9wavefront6targetE0EEEvS14_,"axG",@progbits,_ZN7rocprim17ROCPRIM_400000_NS6detail17trampoline_kernelINS0_14default_configENS1_22reduce_config_selectorIN6thrust23THRUST_200600_302600_NS5tupleIblNS6_9null_typeES8_S8_S8_S8_S8_S8_S8_EEEEZNS1_11reduce_implILb1ES3_NS6_12zip_iteratorINS7_INS6_11hip_rocprim26transform_input_iterator_tIbNSD_35transform_pair_of_input_iterators_tIbNS6_6detail15normal_iteratorINS6_10device_ptrIKfEEEESL_NS6_8equal_toIfEEEENSG_9not_fun_tINSD_8identityEEEEENSD_19counting_iterator_tIlEES8_S8_S8_S8_S8_S8_S8_S8_EEEEPS9_S9_NSD_9__find_if7functorIS9_EEEE10hipError_tPvRmT1_T2_T3_mT4_P12ihipStream_tbEUlT_E1_NS1_11comp_targetILNS1_3genE8ELNS1_11target_archE1030ELNS1_3gpuE2ELNS1_3repE0EEENS1_30default_config_static_selectorELNS0_4arch9wavefront6targetE0EEEvS14_,comdat
	.protected	_ZN7rocprim17ROCPRIM_400000_NS6detail17trampoline_kernelINS0_14default_configENS1_22reduce_config_selectorIN6thrust23THRUST_200600_302600_NS5tupleIblNS6_9null_typeES8_S8_S8_S8_S8_S8_S8_EEEEZNS1_11reduce_implILb1ES3_NS6_12zip_iteratorINS7_INS6_11hip_rocprim26transform_input_iterator_tIbNSD_35transform_pair_of_input_iterators_tIbNS6_6detail15normal_iteratorINS6_10device_ptrIKfEEEESL_NS6_8equal_toIfEEEENSG_9not_fun_tINSD_8identityEEEEENSD_19counting_iterator_tIlEES8_S8_S8_S8_S8_S8_S8_S8_EEEEPS9_S9_NSD_9__find_if7functorIS9_EEEE10hipError_tPvRmT1_T2_T3_mT4_P12ihipStream_tbEUlT_E1_NS1_11comp_targetILNS1_3genE8ELNS1_11target_archE1030ELNS1_3gpuE2ELNS1_3repE0EEENS1_30default_config_static_selectorELNS0_4arch9wavefront6targetE0EEEvS14_ ; -- Begin function _ZN7rocprim17ROCPRIM_400000_NS6detail17trampoline_kernelINS0_14default_configENS1_22reduce_config_selectorIN6thrust23THRUST_200600_302600_NS5tupleIblNS6_9null_typeES8_S8_S8_S8_S8_S8_S8_EEEEZNS1_11reduce_implILb1ES3_NS6_12zip_iteratorINS7_INS6_11hip_rocprim26transform_input_iterator_tIbNSD_35transform_pair_of_input_iterators_tIbNS6_6detail15normal_iteratorINS6_10device_ptrIKfEEEESL_NS6_8equal_toIfEEEENSG_9not_fun_tINSD_8identityEEEEENSD_19counting_iterator_tIlEES8_S8_S8_S8_S8_S8_S8_S8_EEEEPS9_S9_NSD_9__find_if7functorIS9_EEEE10hipError_tPvRmT1_T2_T3_mT4_P12ihipStream_tbEUlT_E1_NS1_11comp_targetILNS1_3genE8ELNS1_11target_archE1030ELNS1_3gpuE2ELNS1_3repE0EEENS1_30default_config_static_selectorELNS0_4arch9wavefront6targetE0EEEvS14_
	.globl	_ZN7rocprim17ROCPRIM_400000_NS6detail17trampoline_kernelINS0_14default_configENS1_22reduce_config_selectorIN6thrust23THRUST_200600_302600_NS5tupleIblNS6_9null_typeES8_S8_S8_S8_S8_S8_S8_EEEEZNS1_11reduce_implILb1ES3_NS6_12zip_iteratorINS7_INS6_11hip_rocprim26transform_input_iterator_tIbNSD_35transform_pair_of_input_iterators_tIbNS6_6detail15normal_iteratorINS6_10device_ptrIKfEEEESL_NS6_8equal_toIfEEEENSG_9not_fun_tINSD_8identityEEEEENSD_19counting_iterator_tIlEES8_S8_S8_S8_S8_S8_S8_S8_EEEEPS9_S9_NSD_9__find_if7functorIS9_EEEE10hipError_tPvRmT1_T2_T3_mT4_P12ihipStream_tbEUlT_E1_NS1_11comp_targetILNS1_3genE8ELNS1_11target_archE1030ELNS1_3gpuE2ELNS1_3repE0EEENS1_30default_config_static_selectorELNS0_4arch9wavefront6targetE0EEEvS14_
	.p2align	8
	.type	_ZN7rocprim17ROCPRIM_400000_NS6detail17trampoline_kernelINS0_14default_configENS1_22reduce_config_selectorIN6thrust23THRUST_200600_302600_NS5tupleIblNS6_9null_typeES8_S8_S8_S8_S8_S8_S8_EEEEZNS1_11reduce_implILb1ES3_NS6_12zip_iteratorINS7_INS6_11hip_rocprim26transform_input_iterator_tIbNSD_35transform_pair_of_input_iterators_tIbNS6_6detail15normal_iteratorINS6_10device_ptrIKfEEEESL_NS6_8equal_toIfEEEENSG_9not_fun_tINSD_8identityEEEEENSD_19counting_iterator_tIlEES8_S8_S8_S8_S8_S8_S8_S8_EEEEPS9_S9_NSD_9__find_if7functorIS9_EEEE10hipError_tPvRmT1_T2_T3_mT4_P12ihipStream_tbEUlT_E1_NS1_11comp_targetILNS1_3genE8ELNS1_11target_archE1030ELNS1_3gpuE2ELNS1_3repE0EEENS1_30default_config_static_selectorELNS0_4arch9wavefront6targetE0EEEvS14_,@function
_ZN7rocprim17ROCPRIM_400000_NS6detail17trampoline_kernelINS0_14default_configENS1_22reduce_config_selectorIN6thrust23THRUST_200600_302600_NS5tupleIblNS6_9null_typeES8_S8_S8_S8_S8_S8_S8_EEEEZNS1_11reduce_implILb1ES3_NS6_12zip_iteratorINS7_INS6_11hip_rocprim26transform_input_iterator_tIbNSD_35transform_pair_of_input_iterators_tIbNS6_6detail15normal_iteratorINS6_10device_ptrIKfEEEESL_NS6_8equal_toIfEEEENSG_9not_fun_tINSD_8identityEEEEENSD_19counting_iterator_tIlEES8_S8_S8_S8_S8_S8_S8_S8_EEEEPS9_S9_NSD_9__find_if7functorIS9_EEEE10hipError_tPvRmT1_T2_T3_mT4_P12ihipStream_tbEUlT_E1_NS1_11comp_targetILNS1_3genE8ELNS1_11target_archE1030ELNS1_3gpuE2ELNS1_3repE0EEENS1_30default_config_static_selectorELNS0_4arch9wavefront6targetE0EEEvS14_: ; @_ZN7rocprim17ROCPRIM_400000_NS6detail17trampoline_kernelINS0_14default_configENS1_22reduce_config_selectorIN6thrust23THRUST_200600_302600_NS5tupleIblNS6_9null_typeES8_S8_S8_S8_S8_S8_S8_EEEEZNS1_11reduce_implILb1ES3_NS6_12zip_iteratorINS7_INS6_11hip_rocprim26transform_input_iterator_tIbNSD_35transform_pair_of_input_iterators_tIbNS6_6detail15normal_iteratorINS6_10device_ptrIKfEEEESL_NS6_8equal_toIfEEEENSG_9not_fun_tINSD_8identityEEEEENSD_19counting_iterator_tIlEES8_S8_S8_S8_S8_S8_S8_S8_EEEEPS9_S9_NSD_9__find_if7functorIS9_EEEE10hipError_tPvRmT1_T2_T3_mT4_P12ihipStream_tbEUlT_E1_NS1_11comp_targetILNS1_3genE8ELNS1_11target_archE1030ELNS1_3gpuE2ELNS1_3repE0EEENS1_30default_config_static_selectorELNS0_4arch9wavefront6targetE0EEEvS14_
; %bb.0:
	.section	.rodata,"a",@progbits
	.p2align	6, 0x0
	.amdhsa_kernel _ZN7rocprim17ROCPRIM_400000_NS6detail17trampoline_kernelINS0_14default_configENS1_22reduce_config_selectorIN6thrust23THRUST_200600_302600_NS5tupleIblNS6_9null_typeES8_S8_S8_S8_S8_S8_S8_EEEEZNS1_11reduce_implILb1ES3_NS6_12zip_iteratorINS7_INS6_11hip_rocprim26transform_input_iterator_tIbNSD_35transform_pair_of_input_iterators_tIbNS6_6detail15normal_iteratorINS6_10device_ptrIKfEEEESL_NS6_8equal_toIfEEEENSG_9not_fun_tINSD_8identityEEEEENSD_19counting_iterator_tIlEES8_S8_S8_S8_S8_S8_S8_S8_EEEEPS9_S9_NSD_9__find_if7functorIS9_EEEE10hipError_tPvRmT1_T2_T3_mT4_P12ihipStream_tbEUlT_E1_NS1_11comp_targetILNS1_3genE8ELNS1_11target_archE1030ELNS1_3gpuE2ELNS1_3repE0EEENS1_30default_config_static_selectorELNS0_4arch9wavefront6targetE0EEEvS14_
		.amdhsa_group_segment_fixed_size 0
		.amdhsa_private_segment_fixed_size 0
		.amdhsa_kernarg_size 88
		.amdhsa_user_sgpr_count 15
		.amdhsa_user_sgpr_dispatch_ptr 0
		.amdhsa_user_sgpr_queue_ptr 0
		.amdhsa_user_sgpr_kernarg_segment_ptr 1
		.amdhsa_user_sgpr_dispatch_id 0
		.amdhsa_user_sgpr_private_segment_size 0
		.amdhsa_wavefront_size32 1
		.amdhsa_uses_dynamic_stack 0
		.amdhsa_enable_private_segment 0
		.amdhsa_system_sgpr_workgroup_id_x 1
		.amdhsa_system_sgpr_workgroup_id_y 0
		.amdhsa_system_sgpr_workgroup_id_z 0
		.amdhsa_system_sgpr_workgroup_info 0
		.amdhsa_system_vgpr_workitem_id 0
		.amdhsa_next_free_vgpr 1
		.amdhsa_next_free_sgpr 1
		.amdhsa_reserve_vcc 0
		.amdhsa_float_round_mode_32 0
		.amdhsa_float_round_mode_16_64 0
		.amdhsa_float_denorm_mode_32 3
		.amdhsa_float_denorm_mode_16_64 3
		.amdhsa_dx10_clamp 1
		.amdhsa_ieee_mode 1
		.amdhsa_fp16_overflow 0
		.amdhsa_workgroup_processor_mode 1
		.amdhsa_memory_ordered 1
		.amdhsa_forward_progress 0
		.amdhsa_shared_vgpr_count 0
		.amdhsa_exception_fp_ieee_invalid_op 0
		.amdhsa_exception_fp_denorm_src 0
		.amdhsa_exception_fp_ieee_div_zero 0
		.amdhsa_exception_fp_ieee_overflow 0
		.amdhsa_exception_fp_ieee_underflow 0
		.amdhsa_exception_fp_ieee_inexact 0
		.amdhsa_exception_int_div_zero 0
	.end_amdhsa_kernel
	.section	.text._ZN7rocprim17ROCPRIM_400000_NS6detail17trampoline_kernelINS0_14default_configENS1_22reduce_config_selectorIN6thrust23THRUST_200600_302600_NS5tupleIblNS6_9null_typeES8_S8_S8_S8_S8_S8_S8_EEEEZNS1_11reduce_implILb1ES3_NS6_12zip_iteratorINS7_INS6_11hip_rocprim26transform_input_iterator_tIbNSD_35transform_pair_of_input_iterators_tIbNS6_6detail15normal_iteratorINS6_10device_ptrIKfEEEESL_NS6_8equal_toIfEEEENSG_9not_fun_tINSD_8identityEEEEENSD_19counting_iterator_tIlEES8_S8_S8_S8_S8_S8_S8_S8_EEEEPS9_S9_NSD_9__find_if7functorIS9_EEEE10hipError_tPvRmT1_T2_T3_mT4_P12ihipStream_tbEUlT_E1_NS1_11comp_targetILNS1_3genE8ELNS1_11target_archE1030ELNS1_3gpuE2ELNS1_3repE0EEENS1_30default_config_static_selectorELNS0_4arch9wavefront6targetE0EEEvS14_,"axG",@progbits,_ZN7rocprim17ROCPRIM_400000_NS6detail17trampoline_kernelINS0_14default_configENS1_22reduce_config_selectorIN6thrust23THRUST_200600_302600_NS5tupleIblNS6_9null_typeES8_S8_S8_S8_S8_S8_S8_EEEEZNS1_11reduce_implILb1ES3_NS6_12zip_iteratorINS7_INS6_11hip_rocprim26transform_input_iterator_tIbNSD_35transform_pair_of_input_iterators_tIbNS6_6detail15normal_iteratorINS6_10device_ptrIKfEEEESL_NS6_8equal_toIfEEEENSG_9not_fun_tINSD_8identityEEEEENSD_19counting_iterator_tIlEES8_S8_S8_S8_S8_S8_S8_S8_EEEEPS9_S9_NSD_9__find_if7functorIS9_EEEE10hipError_tPvRmT1_T2_T3_mT4_P12ihipStream_tbEUlT_E1_NS1_11comp_targetILNS1_3genE8ELNS1_11target_archE1030ELNS1_3gpuE2ELNS1_3repE0EEENS1_30default_config_static_selectorELNS0_4arch9wavefront6targetE0EEEvS14_,comdat
.Lfunc_end790:
	.size	_ZN7rocprim17ROCPRIM_400000_NS6detail17trampoline_kernelINS0_14default_configENS1_22reduce_config_selectorIN6thrust23THRUST_200600_302600_NS5tupleIblNS6_9null_typeES8_S8_S8_S8_S8_S8_S8_EEEEZNS1_11reduce_implILb1ES3_NS6_12zip_iteratorINS7_INS6_11hip_rocprim26transform_input_iterator_tIbNSD_35transform_pair_of_input_iterators_tIbNS6_6detail15normal_iteratorINS6_10device_ptrIKfEEEESL_NS6_8equal_toIfEEEENSG_9not_fun_tINSD_8identityEEEEENSD_19counting_iterator_tIlEES8_S8_S8_S8_S8_S8_S8_S8_EEEEPS9_S9_NSD_9__find_if7functorIS9_EEEE10hipError_tPvRmT1_T2_T3_mT4_P12ihipStream_tbEUlT_E1_NS1_11comp_targetILNS1_3genE8ELNS1_11target_archE1030ELNS1_3gpuE2ELNS1_3repE0EEENS1_30default_config_static_selectorELNS0_4arch9wavefront6targetE0EEEvS14_, .Lfunc_end790-_ZN7rocprim17ROCPRIM_400000_NS6detail17trampoline_kernelINS0_14default_configENS1_22reduce_config_selectorIN6thrust23THRUST_200600_302600_NS5tupleIblNS6_9null_typeES8_S8_S8_S8_S8_S8_S8_EEEEZNS1_11reduce_implILb1ES3_NS6_12zip_iteratorINS7_INS6_11hip_rocprim26transform_input_iterator_tIbNSD_35transform_pair_of_input_iterators_tIbNS6_6detail15normal_iteratorINS6_10device_ptrIKfEEEESL_NS6_8equal_toIfEEEENSG_9not_fun_tINSD_8identityEEEEENSD_19counting_iterator_tIlEES8_S8_S8_S8_S8_S8_S8_S8_EEEEPS9_S9_NSD_9__find_if7functorIS9_EEEE10hipError_tPvRmT1_T2_T3_mT4_P12ihipStream_tbEUlT_E1_NS1_11comp_targetILNS1_3genE8ELNS1_11target_archE1030ELNS1_3gpuE2ELNS1_3repE0EEENS1_30default_config_static_selectorELNS0_4arch9wavefront6targetE0EEEvS14_
                                        ; -- End function
	.section	.AMDGPU.csdata,"",@progbits
; Kernel info:
; codeLenInByte = 0
; NumSgprs: 0
; NumVgprs: 0
; ScratchSize: 0
; MemoryBound: 0
; FloatMode: 240
; IeeeMode: 1
; LDSByteSize: 0 bytes/workgroup (compile time only)
; SGPRBlocks: 0
; VGPRBlocks: 0
; NumSGPRsForWavesPerEU: 1
; NumVGPRsForWavesPerEU: 1
; Occupancy: 16
; WaveLimiterHint : 0
; COMPUTE_PGM_RSRC2:SCRATCH_EN: 0
; COMPUTE_PGM_RSRC2:USER_SGPR: 15
; COMPUTE_PGM_RSRC2:TRAP_HANDLER: 0
; COMPUTE_PGM_RSRC2:TGID_X_EN: 1
; COMPUTE_PGM_RSRC2:TGID_Y_EN: 0
; COMPUTE_PGM_RSRC2:TGID_Z_EN: 0
; COMPUTE_PGM_RSRC2:TIDIG_COMP_CNT: 0
	.section	.text._ZN6thrust23THRUST_200600_302600_NS11hip_rocprim14__parallel_for6kernelILj256ENS1_11__transform17unary_transform_fINS0_12zip_iteratorINS0_5tupleINS0_6detail15normal_iteratorINS0_10device_ptrIyEEEESC_NS0_9null_typeESD_SD_SD_SD_SD_SD_SD_EEEESF_NS4_14no_stencil_tagENS0_8identityINS7_IyySD_SD_SD_SD_SD_SD_SD_SD_EEEENS4_21always_true_predicateEEElLj1EEEvT0_T1_SN_,"axG",@progbits,_ZN6thrust23THRUST_200600_302600_NS11hip_rocprim14__parallel_for6kernelILj256ENS1_11__transform17unary_transform_fINS0_12zip_iteratorINS0_5tupleINS0_6detail15normal_iteratorINS0_10device_ptrIyEEEESC_NS0_9null_typeESD_SD_SD_SD_SD_SD_SD_EEEESF_NS4_14no_stencil_tagENS0_8identityINS7_IyySD_SD_SD_SD_SD_SD_SD_SD_EEEENS4_21always_true_predicateEEElLj1EEEvT0_T1_SN_,comdat
	.protected	_ZN6thrust23THRUST_200600_302600_NS11hip_rocprim14__parallel_for6kernelILj256ENS1_11__transform17unary_transform_fINS0_12zip_iteratorINS0_5tupleINS0_6detail15normal_iteratorINS0_10device_ptrIyEEEESC_NS0_9null_typeESD_SD_SD_SD_SD_SD_SD_EEEESF_NS4_14no_stencil_tagENS0_8identityINS7_IyySD_SD_SD_SD_SD_SD_SD_SD_EEEENS4_21always_true_predicateEEElLj1EEEvT0_T1_SN_ ; -- Begin function _ZN6thrust23THRUST_200600_302600_NS11hip_rocprim14__parallel_for6kernelILj256ENS1_11__transform17unary_transform_fINS0_12zip_iteratorINS0_5tupleINS0_6detail15normal_iteratorINS0_10device_ptrIyEEEESC_NS0_9null_typeESD_SD_SD_SD_SD_SD_SD_EEEESF_NS4_14no_stencil_tagENS0_8identityINS7_IyySD_SD_SD_SD_SD_SD_SD_SD_EEEENS4_21always_true_predicateEEElLj1EEEvT0_T1_SN_
	.globl	_ZN6thrust23THRUST_200600_302600_NS11hip_rocprim14__parallel_for6kernelILj256ENS1_11__transform17unary_transform_fINS0_12zip_iteratorINS0_5tupleINS0_6detail15normal_iteratorINS0_10device_ptrIyEEEESC_NS0_9null_typeESD_SD_SD_SD_SD_SD_SD_EEEESF_NS4_14no_stencil_tagENS0_8identityINS7_IyySD_SD_SD_SD_SD_SD_SD_SD_EEEENS4_21always_true_predicateEEElLj1EEEvT0_T1_SN_
	.p2align	8
	.type	_ZN6thrust23THRUST_200600_302600_NS11hip_rocprim14__parallel_for6kernelILj256ENS1_11__transform17unary_transform_fINS0_12zip_iteratorINS0_5tupleINS0_6detail15normal_iteratorINS0_10device_ptrIyEEEESC_NS0_9null_typeESD_SD_SD_SD_SD_SD_SD_EEEESF_NS4_14no_stencil_tagENS0_8identityINS7_IyySD_SD_SD_SD_SD_SD_SD_SD_EEEENS4_21always_true_predicateEEElLj1EEEvT0_T1_SN_,@function
_ZN6thrust23THRUST_200600_302600_NS11hip_rocprim14__parallel_for6kernelILj256ENS1_11__transform17unary_transform_fINS0_12zip_iteratorINS0_5tupleINS0_6detail15normal_iteratorINS0_10device_ptrIyEEEESC_NS0_9null_typeESD_SD_SD_SD_SD_SD_SD_EEEESF_NS4_14no_stencil_tagENS0_8identityINS7_IyySD_SD_SD_SD_SD_SD_SD_SD_EEEENS4_21always_true_predicateEEElLj1EEEvT0_T1_SN_: ; @_ZN6thrust23THRUST_200600_302600_NS11hip_rocprim14__parallel_for6kernelILj256ENS1_11__transform17unary_transform_fINS0_12zip_iteratorINS0_5tupleINS0_6detail15normal_iteratorINS0_10device_ptrIyEEEESC_NS0_9null_typeESD_SD_SD_SD_SD_SD_SD_EEEESF_NS4_14no_stencil_tagENS0_8identityINS7_IyySD_SD_SD_SD_SD_SD_SD_SD_EEEENS4_21always_true_predicateEEElLj1EEEvT0_T1_SN_
; %bb.0:
	s_clause 0x1
	s_load_b128 s[16:19], s[0:1], 0x28
	s_load_b256 s[0:7], s[0:1], 0x0
	s_lshl_b32 s8, s15, 8
	s_waitcnt lgkmcnt(0)
	s_add_u32 s8, s8, s18
	s_addc_u32 s9, 0, s19
	s_sub_u32 s10, s16, s8
	s_subb_u32 s11, s17, s9
	s_delay_alu instid0(SALU_CYCLE_1) | instskip(NEXT) | instid1(VALU_DEP_1)
	v_cmp_gt_i64_e64 s11, 0x100, s[10:11]
	s_and_b32 s11, s11, exec_lo
	s_cselect_b32 s11, s10, 0x100
	s_mov_b32 s10, -1
	s_cmpk_lg_i32 s11, 0x100
	s_cbranch_scc1 .LBB791_3
; %bb.1:
	s_and_not1_b32 vcc_lo, exec_lo, s10
	s_cbranch_vccz .LBB791_6
.LBB791_2:
	s_nop 0
	s_sendmsg sendmsg(MSG_DEALLOC_VGPRS)
	s_endpgm
.LBB791_3:
	s_mov_b32 s10, exec_lo
	v_cmpx_gt_u32_e64 s11, v0
	s_cbranch_execz .LBB791_5
; %bb.4:
	v_add_co_u32 v1, s11, s8, v0
	s_delay_alu instid0(VALU_DEP_1) | instskip(NEXT) | instid1(VALU_DEP_1)
	v_add_co_ci_u32_e64 v2, null, s9, 0, s11
	v_lshlrev_b64 v[1:2], 3, v[1:2]
	s_delay_alu instid0(VALU_DEP_1) | instskip(NEXT) | instid1(VALU_DEP_2)
	v_add_co_u32 v3, vcc_lo, s0, v1
	v_add_co_ci_u32_e32 v4, vcc_lo, s1, v2, vcc_lo
	v_add_co_u32 v5, vcc_lo, s2, v1
	v_add_co_ci_u32_e32 v6, vcc_lo, s3, v2, vcc_lo
	v_add_co_u32 v7, vcc_lo, s4, v1
	global_load_b64 v[3:4], v[3:4], off
	global_load_b64 v[5:6], v[5:6], off
	v_add_co_ci_u32_e32 v8, vcc_lo, s5, v2, vcc_lo
	v_add_co_u32 v1, vcc_lo, s6, v1
	v_add_co_ci_u32_e32 v2, vcc_lo, s7, v2, vcc_lo
	s_waitcnt vmcnt(1)
	global_store_b64 v[7:8], v[3:4], off
	s_waitcnt vmcnt(0)
	global_store_b64 v[1:2], v[5:6], off
.LBB791_5:
	s_or_b32 exec_lo, exec_lo, s10
	s_cbranch_execnz .LBB791_2
.LBB791_6:
	v_add_co_u32 v0, s8, s8, v0
	s_delay_alu instid0(VALU_DEP_1) | instskip(NEXT) | instid1(VALU_DEP_1)
	v_add_co_ci_u32_e64 v1, null, s9, 0, s8
	v_lshlrev_b64 v[0:1], 3, v[0:1]
	s_delay_alu instid0(VALU_DEP_1) | instskip(NEXT) | instid1(VALU_DEP_2)
	v_add_co_u32 v2, vcc_lo, s0, v0
	v_add_co_ci_u32_e32 v3, vcc_lo, s1, v1, vcc_lo
	v_add_co_u32 v4, vcc_lo, s2, v0
	v_add_co_ci_u32_e32 v5, vcc_lo, s3, v1, vcc_lo
	v_add_co_u32 v6, vcc_lo, s4, v0
	global_load_b64 v[2:3], v[2:3], off
	global_load_b64 v[4:5], v[4:5], off
	v_add_co_ci_u32_e32 v7, vcc_lo, s5, v1, vcc_lo
	v_add_co_u32 v0, vcc_lo, s6, v0
	v_add_co_ci_u32_e32 v1, vcc_lo, s7, v1, vcc_lo
	s_waitcnt vmcnt(1)
	global_store_b64 v[6:7], v[2:3], off
	s_waitcnt vmcnt(0)
	global_store_b64 v[0:1], v[4:5], off
	s_nop 0
	s_sendmsg sendmsg(MSG_DEALLOC_VGPRS)
	s_endpgm
	.section	.rodata,"a",@progbits
	.p2align	6, 0x0
	.amdhsa_kernel _ZN6thrust23THRUST_200600_302600_NS11hip_rocprim14__parallel_for6kernelILj256ENS1_11__transform17unary_transform_fINS0_12zip_iteratorINS0_5tupleINS0_6detail15normal_iteratorINS0_10device_ptrIyEEEESC_NS0_9null_typeESD_SD_SD_SD_SD_SD_SD_EEEESF_NS4_14no_stencil_tagENS0_8identityINS7_IyySD_SD_SD_SD_SD_SD_SD_SD_EEEENS4_21always_true_predicateEEElLj1EEEvT0_T1_SN_
		.amdhsa_group_segment_fixed_size 0
		.amdhsa_private_segment_fixed_size 0
		.amdhsa_kernarg_size 56
		.amdhsa_user_sgpr_count 15
		.amdhsa_user_sgpr_dispatch_ptr 0
		.amdhsa_user_sgpr_queue_ptr 0
		.amdhsa_user_sgpr_kernarg_segment_ptr 1
		.amdhsa_user_sgpr_dispatch_id 0
		.amdhsa_user_sgpr_private_segment_size 0
		.amdhsa_wavefront_size32 1
		.amdhsa_uses_dynamic_stack 0
		.amdhsa_enable_private_segment 0
		.amdhsa_system_sgpr_workgroup_id_x 1
		.amdhsa_system_sgpr_workgroup_id_y 0
		.amdhsa_system_sgpr_workgroup_id_z 0
		.amdhsa_system_sgpr_workgroup_info 0
		.amdhsa_system_vgpr_workitem_id 0
		.amdhsa_next_free_vgpr 9
		.amdhsa_next_free_sgpr 20
		.amdhsa_reserve_vcc 1
		.amdhsa_float_round_mode_32 0
		.amdhsa_float_round_mode_16_64 0
		.amdhsa_float_denorm_mode_32 3
		.amdhsa_float_denorm_mode_16_64 3
		.amdhsa_dx10_clamp 1
		.amdhsa_ieee_mode 1
		.amdhsa_fp16_overflow 0
		.amdhsa_workgroup_processor_mode 1
		.amdhsa_memory_ordered 1
		.amdhsa_forward_progress 0
		.amdhsa_shared_vgpr_count 0
		.amdhsa_exception_fp_ieee_invalid_op 0
		.amdhsa_exception_fp_denorm_src 0
		.amdhsa_exception_fp_ieee_div_zero 0
		.amdhsa_exception_fp_ieee_overflow 0
		.amdhsa_exception_fp_ieee_underflow 0
		.amdhsa_exception_fp_ieee_inexact 0
		.amdhsa_exception_int_div_zero 0
	.end_amdhsa_kernel
	.section	.text._ZN6thrust23THRUST_200600_302600_NS11hip_rocprim14__parallel_for6kernelILj256ENS1_11__transform17unary_transform_fINS0_12zip_iteratorINS0_5tupleINS0_6detail15normal_iteratorINS0_10device_ptrIyEEEESC_NS0_9null_typeESD_SD_SD_SD_SD_SD_SD_EEEESF_NS4_14no_stencil_tagENS0_8identityINS7_IyySD_SD_SD_SD_SD_SD_SD_SD_EEEENS4_21always_true_predicateEEElLj1EEEvT0_T1_SN_,"axG",@progbits,_ZN6thrust23THRUST_200600_302600_NS11hip_rocprim14__parallel_for6kernelILj256ENS1_11__transform17unary_transform_fINS0_12zip_iteratorINS0_5tupleINS0_6detail15normal_iteratorINS0_10device_ptrIyEEEESC_NS0_9null_typeESD_SD_SD_SD_SD_SD_SD_EEEESF_NS4_14no_stencil_tagENS0_8identityINS7_IyySD_SD_SD_SD_SD_SD_SD_SD_EEEENS4_21always_true_predicateEEElLj1EEEvT0_T1_SN_,comdat
.Lfunc_end791:
	.size	_ZN6thrust23THRUST_200600_302600_NS11hip_rocprim14__parallel_for6kernelILj256ENS1_11__transform17unary_transform_fINS0_12zip_iteratorINS0_5tupleINS0_6detail15normal_iteratorINS0_10device_ptrIyEEEESC_NS0_9null_typeESD_SD_SD_SD_SD_SD_SD_EEEESF_NS4_14no_stencil_tagENS0_8identityINS7_IyySD_SD_SD_SD_SD_SD_SD_SD_EEEENS4_21always_true_predicateEEElLj1EEEvT0_T1_SN_, .Lfunc_end791-_ZN6thrust23THRUST_200600_302600_NS11hip_rocprim14__parallel_for6kernelILj256ENS1_11__transform17unary_transform_fINS0_12zip_iteratorINS0_5tupleINS0_6detail15normal_iteratorINS0_10device_ptrIyEEEESC_NS0_9null_typeESD_SD_SD_SD_SD_SD_SD_EEEESF_NS4_14no_stencil_tagENS0_8identityINS7_IyySD_SD_SD_SD_SD_SD_SD_SD_EEEENS4_21always_true_predicateEEElLj1EEEvT0_T1_SN_
                                        ; -- End function
	.section	.AMDGPU.csdata,"",@progbits
; Kernel info:
; codeLenInByte = 380
; NumSgprs: 22
; NumVgprs: 9
; ScratchSize: 0
; MemoryBound: 0
; FloatMode: 240
; IeeeMode: 1
; LDSByteSize: 0 bytes/workgroup (compile time only)
; SGPRBlocks: 2
; VGPRBlocks: 1
; NumSGPRsForWavesPerEU: 22
; NumVGPRsForWavesPerEU: 9
; Occupancy: 16
; WaveLimiterHint : 0
; COMPUTE_PGM_RSRC2:SCRATCH_EN: 0
; COMPUTE_PGM_RSRC2:USER_SGPR: 15
; COMPUTE_PGM_RSRC2:TRAP_HANDLER: 0
; COMPUTE_PGM_RSRC2:TGID_X_EN: 1
; COMPUTE_PGM_RSRC2:TGID_Y_EN: 0
; COMPUTE_PGM_RSRC2:TGID_Z_EN: 0
; COMPUTE_PGM_RSRC2:TIDIG_COMP_CNT: 0
	.section	.text._ZN7rocprim17ROCPRIM_400000_NS6detail17trampoline_kernelINS0_14default_configENS1_22reduce_config_selectorIN6thrust23THRUST_200600_302600_NS5tupleIblNS6_9null_typeES8_S8_S8_S8_S8_S8_S8_EEEEZNS1_11reduce_implILb1ES3_NS6_12zip_iteratorINS7_INS6_11hip_rocprim26transform_input_iterator_tIbNSD_35transform_pair_of_input_iterators_tIbNS6_6detail15normal_iteratorINS6_10device_ptrIKyEEEESL_NS6_8equal_toIyEEEENSG_9not_fun_tINSD_8identityEEEEENSD_19counting_iterator_tIlEES8_S8_S8_S8_S8_S8_S8_S8_EEEEPS9_S9_NSD_9__find_if7functorIS9_EEEE10hipError_tPvRmT1_T2_T3_mT4_P12ihipStream_tbEUlT_E0_NS1_11comp_targetILNS1_3genE0ELNS1_11target_archE4294967295ELNS1_3gpuE0ELNS1_3repE0EEENS1_30default_config_static_selectorELNS0_4arch9wavefront6targetE0EEEvS14_,"axG",@progbits,_ZN7rocprim17ROCPRIM_400000_NS6detail17trampoline_kernelINS0_14default_configENS1_22reduce_config_selectorIN6thrust23THRUST_200600_302600_NS5tupleIblNS6_9null_typeES8_S8_S8_S8_S8_S8_S8_EEEEZNS1_11reduce_implILb1ES3_NS6_12zip_iteratorINS7_INS6_11hip_rocprim26transform_input_iterator_tIbNSD_35transform_pair_of_input_iterators_tIbNS6_6detail15normal_iteratorINS6_10device_ptrIKyEEEESL_NS6_8equal_toIyEEEENSG_9not_fun_tINSD_8identityEEEEENSD_19counting_iterator_tIlEES8_S8_S8_S8_S8_S8_S8_S8_EEEEPS9_S9_NSD_9__find_if7functorIS9_EEEE10hipError_tPvRmT1_T2_T3_mT4_P12ihipStream_tbEUlT_E0_NS1_11comp_targetILNS1_3genE0ELNS1_11target_archE4294967295ELNS1_3gpuE0ELNS1_3repE0EEENS1_30default_config_static_selectorELNS0_4arch9wavefront6targetE0EEEvS14_,comdat
	.protected	_ZN7rocprim17ROCPRIM_400000_NS6detail17trampoline_kernelINS0_14default_configENS1_22reduce_config_selectorIN6thrust23THRUST_200600_302600_NS5tupleIblNS6_9null_typeES8_S8_S8_S8_S8_S8_S8_EEEEZNS1_11reduce_implILb1ES3_NS6_12zip_iteratorINS7_INS6_11hip_rocprim26transform_input_iterator_tIbNSD_35transform_pair_of_input_iterators_tIbNS6_6detail15normal_iteratorINS6_10device_ptrIKyEEEESL_NS6_8equal_toIyEEEENSG_9not_fun_tINSD_8identityEEEEENSD_19counting_iterator_tIlEES8_S8_S8_S8_S8_S8_S8_S8_EEEEPS9_S9_NSD_9__find_if7functorIS9_EEEE10hipError_tPvRmT1_T2_T3_mT4_P12ihipStream_tbEUlT_E0_NS1_11comp_targetILNS1_3genE0ELNS1_11target_archE4294967295ELNS1_3gpuE0ELNS1_3repE0EEENS1_30default_config_static_selectorELNS0_4arch9wavefront6targetE0EEEvS14_ ; -- Begin function _ZN7rocprim17ROCPRIM_400000_NS6detail17trampoline_kernelINS0_14default_configENS1_22reduce_config_selectorIN6thrust23THRUST_200600_302600_NS5tupleIblNS6_9null_typeES8_S8_S8_S8_S8_S8_S8_EEEEZNS1_11reduce_implILb1ES3_NS6_12zip_iteratorINS7_INS6_11hip_rocprim26transform_input_iterator_tIbNSD_35transform_pair_of_input_iterators_tIbNS6_6detail15normal_iteratorINS6_10device_ptrIKyEEEESL_NS6_8equal_toIyEEEENSG_9not_fun_tINSD_8identityEEEEENSD_19counting_iterator_tIlEES8_S8_S8_S8_S8_S8_S8_S8_EEEEPS9_S9_NSD_9__find_if7functorIS9_EEEE10hipError_tPvRmT1_T2_T3_mT4_P12ihipStream_tbEUlT_E0_NS1_11comp_targetILNS1_3genE0ELNS1_11target_archE4294967295ELNS1_3gpuE0ELNS1_3repE0EEENS1_30default_config_static_selectorELNS0_4arch9wavefront6targetE0EEEvS14_
	.globl	_ZN7rocprim17ROCPRIM_400000_NS6detail17trampoline_kernelINS0_14default_configENS1_22reduce_config_selectorIN6thrust23THRUST_200600_302600_NS5tupleIblNS6_9null_typeES8_S8_S8_S8_S8_S8_S8_EEEEZNS1_11reduce_implILb1ES3_NS6_12zip_iteratorINS7_INS6_11hip_rocprim26transform_input_iterator_tIbNSD_35transform_pair_of_input_iterators_tIbNS6_6detail15normal_iteratorINS6_10device_ptrIKyEEEESL_NS6_8equal_toIyEEEENSG_9not_fun_tINSD_8identityEEEEENSD_19counting_iterator_tIlEES8_S8_S8_S8_S8_S8_S8_S8_EEEEPS9_S9_NSD_9__find_if7functorIS9_EEEE10hipError_tPvRmT1_T2_T3_mT4_P12ihipStream_tbEUlT_E0_NS1_11comp_targetILNS1_3genE0ELNS1_11target_archE4294967295ELNS1_3gpuE0ELNS1_3repE0EEENS1_30default_config_static_selectorELNS0_4arch9wavefront6targetE0EEEvS14_
	.p2align	8
	.type	_ZN7rocprim17ROCPRIM_400000_NS6detail17trampoline_kernelINS0_14default_configENS1_22reduce_config_selectorIN6thrust23THRUST_200600_302600_NS5tupleIblNS6_9null_typeES8_S8_S8_S8_S8_S8_S8_EEEEZNS1_11reduce_implILb1ES3_NS6_12zip_iteratorINS7_INS6_11hip_rocprim26transform_input_iterator_tIbNSD_35transform_pair_of_input_iterators_tIbNS6_6detail15normal_iteratorINS6_10device_ptrIKyEEEESL_NS6_8equal_toIyEEEENSG_9not_fun_tINSD_8identityEEEEENSD_19counting_iterator_tIlEES8_S8_S8_S8_S8_S8_S8_S8_EEEEPS9_S9_NSD_9__find_if7functorIS9_EEEE10hipError_tPvRmT1_T2_T3_mT4_P12ihipStream_tbEUlT_E0_NS1_11comp_targetILNS1_3genE0ELNS1_11target_archE4294967295ELNS1_3gpuE0ELNS1_3repE0EEENS1_30default_config_static_selectorELNS0_4arch9wavefront6targetE0EEEvS14_,@function
_ZN7rocprim17ROCPRIM_400000_NS6detail17trampoline_kernelINS0_14default_configENS1_22reduce_config_selectorIN6thrust23THRUST_200600_302600_NS5tupleIblNS6_9null_typeES8_S8_S8_S8_S8_S8_S8_EEEEZNS1_11reduce_implILb1ES3_NS6_12zip_iteratorINS7_INS6_11hip_rocprim26transform_input_iterator_tIbNSD_35transform_pair_of_input_iterators_tIbNS6_6detail15normal_iteratorINS6_10device_ptrIKyEEEESL_NS6_8equal_toIyEEEENSG_9not_fun_tINSD_8identityEEEEENSD_19counting_iterator_tIlEES8_S8_S8_S8_S8_S8_S8_S8_EEEEPS9_S9_NSD_9__find_if7functorIS9_EEEE10hipError_tPvRmT1_T2_T3_mT4_P12ihipStream_tbEUlT_E0_NS1_11comp_targetILNS1_3genE0ELNS1_11target_archE4294967295ELNS1_3gpuE0ELNS1_3repE0EEENS1_30default_config_static_selectorELNS0_4arch9wavefront6targetE0EEEvS14_: ; @_ZN7rocprim17ROCPRIM_400000_NS6detail17trampoline_kernelINS0_14default_configENS1_22reduce_config_selectorIN6thrust23THRUST_200600_302600_NS5tupleIblNS6_9null_typeES8_S8_S8_S8_S8_S8_S8_EEEEZNS1_11reduce_implILb1ES3_NS6_12zip_iteratorINS7_INS6_11hip_rocprim26transform_input_iterator_tIbNSD_35transform_pair_of_input_iterators_tIbNS6_6detail15normal_iteratorINS6_10device_ptrIKyEEEESL_NS6_8equal_toIyEEEENSG_9not_fun_tINSD_8identityEEEEENSD_19counting_iterator_tIlEES8_S8_S8_S8_S8_S8_S8_S8_EEEEPS9_S9_NSD_9__find_if7functorIS9_EEEE10hipError_tPvRmT1_T2_T3_mT4_P12ihipStream_tbEUlT_E0_NS1_11comp_targetILNS1_3genE0ELNS1_11target_archE4294967295ELNS1_3gpuE0ELNS1_3repE0EEENS1_30default_config_static_selectorELNS0_4arch9wavefront6targetE0EEEvS14_
; %bb.0:
	.section	.rodata,"a",@progbits
	.p2align	6, 0x0
	.amdhsa_kernel _ZN7rocprim17ROCPRIM_400000_NS6detail17trampoline_kernelINS0_14default_configENS1_22reduce_config_selectorIN6thrust23THRUST_200600_302600_NS5tupleIblNS6_9null_typeES8_S8_S8_S8_S8_S8_S8_EEEEZNS1_11reduce_implILb1ES3_NS6_12zip_iteratorINS7_INS6_11hip_rocprim26transform_input_iterator_tIbNSD_35transform_pair_of_input_iterators_tIbNS6_6detail15normal_iteratorINS6_10device_ptrIKyEEEESL_NS6_8equal_toIyEEEENSG_9not_fun_tINSD_8identityEEEEENSD_19counting_iterator_tIlEES8_S8_S8_S8_S8_S8_S8_S8_EEEEPS9_S9_NSD_9__find_if7functorIS9_EEEE10hipError_tPvRmT1_T2_T3_mT4_P12ihipStream_tbEUlT_E0_NS1_11comp_targetILNS1_3genE0ELNS1_11target_archE4294967295ELNS1_3gpuE0ELNS1_3repE0EEENS1_30default_config_static_selectorELNS0_4arch9wavefront6targetE0EEEvS14_
		.amdhsa_group_segment_fixed_size 0
		.amdhsa_private_segment_fixed_size 0
		.amdhsa_kernarg_size 104
		.amdhsa_user_sgpr_count 15
		.amdhsa_user_sgpr_dispatch_ptr 0
		.amdhsa_user_sgpr_queue_ptr 0
		.amdhsa_user_sgpr_kernarg_segment_ptr 1
		.amdhsa_user_sgpr_dispatch_id 0
		.amdhsa_user_sgpr_private_segment_size 0
		.amdhsa_wavefront_size32 1
		.amdhsa_uses_dynamic_stack 0
		.amdhsa_enable_private_segment 0
		.amdhsa_system_sgpr_workgroup_id_x 1
		.amdhsa_system_sgpr_workgroup_id_y 0
		.amdhsa_system_sgpr_workgroup_id_z 0
		.amdhsa_system_sgpr_workgroup_info 0
		.amdhsa_system_vgpr_workitem_id 0
		.amdhsa_next_free_vgpr 1
		.amdhsa_next_free_sgpr 1
		.amdhsa_reserve_vcc 0
		.amdhsa_float_round_mode_32 0
		.amdhsa_float_round_mode_16_64 0
		.amdhsa_float_denorm_mode_32 3
		.amdhsa_float_denorm_mode_16_64 3
		.amdhsa_dx10_clamp 1
		.amdhsa_ieee_mode 1
		.amdhsa_fp16_overflow 0
		.amdhsa_workgroup_processor_mode 1
		.amdhsa_memory_ordered 1
		.amdhsa_forward_progress 0
		.amdhsa_shared_vgpr_count 0
		.amdhsa_exception_fp_ieee_invalid_op 0
		.amdhsa_exception_fp_denorm_src 0
		.amdhsa_exception_fp_ieee_div_zero 0
		.amdhsa_exception_fp_ieee_overflow 0
		.amdhsa_exception_fp_ieee_underflow 0
		.amdhsa_exception_fp_ieee_inexact 0
		.amdhsa_exception_int_div_zero 0
	.end_amdhsa_kernel
	.section	.text._ZN7rocprim17ROCPRIM_400000_NS6detail17trampoline_kernelINS0_14default_configENS1_22reduce_config_selectorIN6thrust23THRUST_200600_302600_NS5tupleIblNS6_9null_typeES8_S8_S8_S8_S8_S8_S8_EEEEZNS1_11reduce_implILb1ES3_NS6_12zip_iteratorINS7_INS6_11hip_rocprim26transform_input_iterator_tIbNSD_35transform_pair_of_input_iterators_tIbNS6_6detail15normal_iteratorINS6_10device_ptrIKyEEEESL_NS6_8equal_toIyEEEENSG_9not_fun_tINSD_8identityEEEEENSD_19counting_iterator_tIlEES8_S8_S8_S8_S8_S8_S8_S8_EEEEPS9_S9_NSD_9__find_if7functorIS9_EEEE10hipError_tPvRmT1_T2_T3_mT4_P12ihipStream_tbEUlT_E0_NS1_11comp_targetILNS1_3genE0ELNS1_11target_archE4294967295ELNS1_3gpuE0ELNS1_3repE0EEENS1_30default_config_static_selectorELNS0_4arch9wavefront6targetE0EEEvS14_,"axG",@progbits,_ZN7rocprim17ROCPRIM_400000_NS6detail17trampoline_kernelINS0_14default_configENS1_22reduce_config_selectorIN6thrust23THRUST_200600_302600_NS5tupleIblNS6_9null_typeES8_S8_S8_S8_S8_S8_S8_EEEEZNS1_11reduce_implILb1ES3_NS6_12zip_iteratorINS7_INS6_11hip_rocprim26transform_input_iterator_tIbNSD_35transform_pair_of_input_iterators_tIbNS6_6detail15normal_iteratorINS6_10device_ptrIKyEEEESL_NS6_8equal_toIyEEEENSG_9not_fun_tINSD_8identityEEEEENSD_19counting_iterator_tIlEES8_S8_S8_S8_S8_S8_S8_S8_EEEEPS9_S9_NSD_9__find_if7functorIS9_EEEE10hipError_tPvRmT1_T2_T3_mT4_P12ihipStream_tbEUlT_E0_NS1_11comp_targetILNS1_3genE0ELNS1_11target_archE4294967295ELNS1_3gpuE0ELNS1_3repE0EEENS1_30default_config_static_selectorELNS0_4arch9wavefront6targetE0EEEvS14_,comdat
.Lfunc_end792:
	.size	_ZN7rocprim17ROCPRIM_400000_NS6detail17trampoline_kernelINS0_14default_configENS1_22reduce_config_selectorIN6thrust23THRUST_200600_302600_NS5tupleIblNS6_9null_typeES8_S8_S8_S8_S8_S8_S8_EEEEZNS1_11reduce_implILb1ES3_NS6_12zip_iteratorINS7_INS6_11hip_rocprim26transform_input_iterator_tIbNSD_35transform_pair_of_input_iterators_tIbNS6_6detail15normal_iteratorINS6_10device_ptrIKyEEEESL_NS6_8equal_toIyEEEENSG_9not_fun_tINSD_8identityEEEEENSD_19counting_iterator_tIlEES8_S8_S8_S8_S8_S8_S8_S8_EEEEPS9_S9_NSD_9__find_if7functorIS9_EEEE10hipError_tPvRmT1_T2_T3_mT4_P12ihipStream_tbEUlT_E0_NS1_11comp_targetILNS1_3genE0ELNS1_11target_archE4294967295ELNS1_3gpuE0ELNS1_3repE0EEENS1_30default_config_static_selectorELNS0_4arch9wavefront6targetE0EEEvS14_, .Lfunc_end792-_ZN7rocprim17ROCPRIM_400000_NS6detail17trampoline_kernelINS0_14default_configENS1_22reduce_config_selectorIN6thrust23THRUST_200600_302600_NS5tupleIblNS6_9null_typeES8_S8_S8_S8_S8_S8_S8_EEEEZNS1_11reduce_implILb1ES3_NS6_12zip_iteratorINS7_INS6_11hip_rocprim26transform_input_iterator_tIbNSD_35transform_pair_of_input_iterators_tIbNS6_6detail15normal_iteratorINS6_10device_ptrIKyEEEESL_NS6_8equal_toIyEEEENSG_9not_fun_tINSD_8identityEEEEENSD_19counting_iterator_tIlEES8_S8_S8_S8_S8_S8_S8_S8_EEEEPS9_S9_NSD_9__find_if7functorIS9_EEEE10hipError_tPvRmT1_T2_T3_mT4_P12ihipStream_tbEUlT_E0_NS1_11comp_targetILNS1_3genE0ELNS1_11target_archE4294967295ELNS1_3gpuE0ELNS1_3repE0EEENS1_30default_config_static_selectorELNS0_4arch9wavefront6targetE0EEEvS14_
                                        ; -- End function
	.section	.AMDGPU.csdata,"",@progbits
; Kernel info:
; codeLenInByte = 0
; NumSgprs: 0
; NumVgprs: 0
; ScratchSize: 0
; MemoryBound: 0
; FloatMode: 240
; IeeeMode: 1
; LDSByteSize: 0 bytes/workgroup (compile time only)
; SGPRBlocks: 0
; VGPRBlocks: 0
; NumSGPRsForWavesPerEU: 1
; NumVGPRsForWavesPerEU: 1
; Occupancy: 16
; WaveLimiterHint : 0
; COMPUTE_PGM_RSRC2:SCRATCH_EN: 0
; COMPUTE_PGM_RSRC2:USER_SGPR: 15
; COMPUTE_PGM_RSRC2:TRAP_HANDLER: 0
; COMPUTE_PGM_RSRC2:TGID_X_EN: 1
; COMPUTE_PGM_RSRC2:TGID_Y_EN: 0
; COMPUTE_PGM_RSRC2:TGID_Z_EN: 0
; COMPUTE_PGM_RSRC2:TIDIG_COMP_CNT: 0
	.section	.text._ZN7rocprim17ROCPRIM_400000_NS6detail17trampoline_kernelINS0_14default_configENS1_22reduce_config_selectorIN6thrust23THRUST_200600_302600_NS5tupleIblNS6_9null_typeES8_S8_S8_S8_S8_S8_S8_EEEEZNS1_11reduce_implILb1ES3_NS6_12zip_iteratorINS7_INS6_11hip_rocprim26transform_input_iterator_tIbNSD_35transform_pair_of_input_iterators_tIbNS6_6detail15normal_iteratorINS6_10device_ptrIKyEEEESL_NS6_8equal_toIyEEEENSG_9not_fun_tINSD_8identityEEEEENSD_19counting_iterator_tIlEES8_S8_S8_S8_S8_S8_S8_S8_EEEEPS9_S9_NSD_9__find_if7functorIS9_EEEE10hipError_tPvRmT1_T2_T3_mT4_P12ihipStream_tbEUlT_E0_NS1_11comp_targetILNS1_3genE5ELNS1_11target_archE942ELNS1_3gpuE9ELNS1_3repE0EEENS1_30default_config_static_selectorELNS0_4arch9wavefront6targetE0EEEvS14_,"axG",@progbits,_ZN7rocprim17ROCPRIM_400000_NS6detail17trampoline_kernelINS0_14default_configENS1_22reduce_config_selectorIN6thrust23THRUST_200600_302600_NS5tupleIblNS6_9null_typeES8_S8_S8_S8_S8_S8_S8_EEEEZNS1_11reduce_implILb1ES3_NS6_12zip_iteratorINS7_INS6_11hip_rocprim26transform_input_iterator_tIbNSD_35transform_pair_of_input_iterators_tIbNS6_6detail15normal_iteratorINS6_10device_ptrIKyEEEESL_NS6_8equal_toIyEEEENSG_9not_fun_tINSD_8identityEEEEENSD_19counting_iterator_tIlEES8_S8_S8_S8_S8_S8_S8_S8_EEEEPS9_S9_NSD_9__find_if7functorIS9_EEEE10hipError_tPvRmT1_T2_T3_mT4_P12ihipStream_tbEUlT_E0_NS1_11comp_targetILNS1_3genE5ELNS1_11target_archE942ELNS1_3gpuE9ELNS1_3repE0EEENS1_30default_config_static_selectorELNS0_4arch9wavefront6targetE0EEEvS14_,comdat
	.protected	_ZN7rocprim17ROCPRIM_400000_NS6detail17trampoline_kernelINS0_14default_configENS1_22reduce_config_selectorIN6thrust23THRUST_200600_302600_NS5tupleIblNS6_9null_typeES8_S8_S8_S8_S8_S8_S8_EEEEZNS1_11reduce_implILb1ES3_NS6_12zip_iteratorINS7_INS6_11hip_rocprim26transform_input_iterator_tIbNSD_35transform_pair_of_input_iterators_tIbNS6_6detail15normal_iteratorINS6_10device_ptrIKyEEEESL_NS6_8equal_toIyEEEENSG_9not_fun_tINSD_8identityEEEEENSD_19counting_iterator_tIlEES8_S8_S8_S8_S8_S8_S8_S8_EEEEPS9_S9_NSD_9__find_if7functorIS9_EEEE10hipError_tPvRmT1_T2_T3_mT4_P12ihipStream_tbEUlT_E0_NS1_11comp_targetILNS1_3genE5ELNS1_11target_archE942ELNS1_3gpuE9ELNS1_3repE0EEENS1_30default_config_static_selectorELNS0_4arch9wavefront6targetE0EEEvS14_ ; -- Begin function _ZN7rocprim17ROCPRIM_400000_NS6detail17trampoline_kernelINS0_14default_configENS1_22reduce_config_selectorIN6thrust23THRUST_200600_302600_NS5tupleIblNS6_9null_typeES8_S8_S8_S8_S8_S8_S8_EEEEZNS1_11reduce_implILb1ES3_NS6_12zip_iteratorINS7_INS6_11hip_rocprim26transform_input_iterator_tIbNSD_35transform_pair_of_input_iterators_tIbNS6_6detail15normal_iteratorINS6_10device_ptrIKyEEEESL_NS6_8equal_toIyEEEENSG_9not_fun_tINSD_8identityEEEEENSD_19counting_iterator_tIlEES8_S8_S8_S8_S8_S8_S8_S8_EEEEPS9_S9_NSD_9__find_if7functorIS9_EEEE10hipError_tPvRmT1_T2_T3_mT4_P12ihipStream_tbEUlT_E0_NS1_11comp_targetILNS1_3genE5ELNS1_11target_archE942ELNS1_3gpuE9ELNS1_3repE0EEENS1_30default_config_static_selectorELNS0_4arch9wavefront6targetE0EEEvS14_
	.globl	_ZN7rocprim17ROCPRIM_400000_NS6detail17trampoline_kernelINS0_14default_configENS1_22reduce_config_selectorIN6thrust23THRUST_200600_302600_NS5tupleIblNS6_9null_typeES8_S8_S8_S8_S8_S8_S8_EEEEZNS1_11reduce_implILb1ES3_NS6_12zip_iteratorINS7_INS6_11hip_rocprim26transform_input_iterator_tIbNSD_35transform_pair_of_input_iterators_tIbNS6_6detail15normal_iteratorINS6_10device_ptrIKyEEEESL_NS6_8equal_toIyEEEENSG_9not_fun_tINSD_8identityEEEEENSD_19counting_iterator_tIlEES8_S8_S8_S8_S8_S8_S8_S8_EEEEPS9_S9_NSD_9__find_if7functorIS9_EEEE10hipError_tPvRmT1_T2_T3_mT4_P12ihipStream_tbEUlT_E0_NS1_11comp_targetILNS1_3genE5ELNS1_11target_archE942ELNS1_3gpuE9ELNS1_3repE0EEENS1_30default_config_static_selectorELNS0_4arch9wavefront6targetE0EEEvS14_
	.p2align	8
	.type	_ZN7rocprim17ROCPRIM_400000_NS6detail17trampoline_kernelINS0_14default_configENS1_22reduce_config_selectorIN6thrust23THRUST_200600_302600_NS5tupleIblNS6_9null_typeES8_S8_S8_S8_S8_S8_S8_EEEEZNS1_11reduce_implILb1ES3_NS6_12zip_iteratorINS7_INS6_11hip_rocprim26transform_input_iterator_tIbNSD_35transform_pair_of_input_iterators_tIbNS6_6detail15normal_iteratorINS6_10device_ptrIKyEEEESL_NS6_8equal_toIyEEEENSG_9not_fun_tINSD_8identityEEEEENSD_19counting_iterator_tIlEES8_S8_S8_S8_S8_S8_S8_S8_EEEEPS9_S9_NSD_9__find_if7functorIS9_EEEE10hipError_tPvRmT1_T2_T3_mT4_P12ihipStream_tbEUlT_E0_NS1_11comp_targetILNS1_3genE5ELNS1_11target_archE942ELNS1_3gpuE9ELNS1_3repE0EEENS1_30default_config_static_selectorELNS0_4arch9wavefront6targetE0EEEvS14_,@function
_ZN7rocprim17ROCPRIM_400000_NS6detail17trampoline_kernelINS0_14default_configENS1_22reduce_config_selectorIN6thrust23THRUST_200600_302600_NS5tupleIblNS6_9null_typeES8_S8_S8_S8_S8_S8_S8_EEEEZNS1_11reduce_implILb1ES3_NS6_12zip_iteratorINS7_INS6_11hip_rocprim26transform_input_iterator_tIbNSD_35transform_pair_of_input_iterators_tIbNS6_6detail15normal_iteratorINS6_10device_ptrIKyEEEESL_NS6_8equal_toIyEEEENSG_9not_fun_tINSD_8identityEEEEENSD_19counting_iterator_tIlEES8_S8_S8_S8_S8_S8_S8_S8_EEEEPS9_S9_NSD_9__find_if7functorIS9_EEEE10hipError_tPvRmT1_T2_T3_mT4_P12ihipStream_tbEUlT_E0_NS1_11comp_targetILNS1_3genE5ELNS1_11target_archE942ELNS1_3gpuE9ELNS1_3repE0EEENS1_30default_config_static_selectorELNS0_4arch9wavefront6targetE0EEEvS14_: ; @_ZN7rocprim17ROCPRIM_400000_NS6detail17trampoline_kernelINS0_14default_configENS1_22reduce_config_selectorIN6thrust23THRUST_200600_302600_NS5tupleIblNS6_9null_typeES8_S8_S8_S8_S8_S8_S8_EEEEZNS1_11reduce_implILb1ES3_NS6_12zip_iteratorINS7_INS6_11hip_rocprim26transform_input_iterator_tIbNSD_35transform_pair_of_input_iterators_tIbNS6_6detail15normal_iteratorINS6_10device_ptrIKyEEEESL_NS6_8equal_toIyEEEENSG_9not_fun_tINSD_8identityEEEEENSD_19counting_iterator_tIlEES8_S8_S8_S8_S8_S8_S8_S8_EEEEPS9_S9_NSD_9__find_if7functorIS9_EEEE10hipError_tPvRmT1_T2_T3_mT4_P12ihipStream_tbEUlT_E0_NS1_11comp_targetILNS1_3genE5ELNS1_11target_archE942ELNS1_3gpuE9ELNS1_3repE0EEENS1_30default_config_static_selectorELNS0_4arch9wavefront6targetE0EEEvS14_
; %bb.0:
	.section	.rodata,"a",@progbits
	.p2align	6, 0x0
	.amdhsa_kernel _ZN7rocprim17ROCPRIM_400000_NS6detail17trampoline_kernelINS0_14default_configENS1_22reduce_config_selectorIN6thrust23THRUST_200600_302600_NS5tupleIblNS6_9null_typeES8_S8_S8_S8_S8_S8_S8_EEEEZNS1_11reduce_implILb1ES3_NS6_12zip_iteratorINS7_INS6_11hip_rocprim26transform_input_iterator_tIbNSD_35transform_pair_of_input_iterators_tIbNS6_6detail15normal_iteratorINS6_10device_ptrIKyEEEESL_NS6_8equal_toIyEEEENSG_9not_fun_tINSD_8identityEEEEENSD_19counting_iterator_tIlEES8_S8_S8_S8_S8_S8_S8_S8_EEEEPS9_S9_NSD_9__find_if7functorIS9_EEEE10hipError_tPvRmT1_T2_T3_mT4_P12ihipStream_tbEUlT_E0_NS1_11comp_targetILNS1_3genE5ELNS1_11target_archE942ELNS1_3gpuE9ELNS1_3repE0EEENS1_30default_config_static_selectorELNS0_4arch9wavefront6targetE0EEEvS14_
		.amdhsa_group_segment_fixed_size 0
		.amdhsa_private_segment_fixed_size 0
		.amdhsa_kernarg_size 104
		.amdhsa_user_sgpr_count 15
		.amdhsa_user_sgpr_dispatch_ptr 0
		.amdhsa_user_sgpr_queue_ptr 0
		.amdhsa_user_sgpr_kernarg_segment_ptr 1
		.amdhsa_user_sgpr_dispatch_id 0
		.amdhsa_user_sgpr_private_segment_size 0
		.amdhsa_wavefront_size32 1
		.amdhsa_uses_dynamic_stack 0
		.amdhsa_enable_private_segment 0
		.amdhsa_system_sgpr_workgroup_id_x 1
		.amdhsa_system_sgpr_workgroup_id_y 0
		.amdhsa_system_sgpr_workgroup_id_z 0
		.amdhsa_system_sgpr_workgroup_info 0
		.amdhsa_system_vgpr_workitem_id 0
		.amdhsa_next_free_vgpr 1
		.amdhsa_next_free_sgpr 1
		.amdhsa_reserve_vcc 0
		.amdhsa_float_round_mode_32 0
		.amdhsa_float_round_mode_16_64 0
		.amdhsa_float_denorm_mode_32 3
		.amdhsa_float_denorm_mode_16_64 3
		.amdhsa_dx10_clamp 1
		.amdhsa_ieee_mode 1
		.amdhsa_fp16_overflow 0
		.amdhsa_workgroup_processor_mode 1
		.amdhsa_memory_ordered 1
		.amdhsa_forward_progress 0
		.amdhsa_shared_vgpr_count 0
		.amdhsa_exception_fp_ieee_invalid_op 0
		.amdhsa_exception_fp_denorm_src 0
		.amdhsa_exception_fp_ieee_div_zero 0
		.amdhsa_exception_fp_ieee_overflow 0
		.amdhsa_exception_fp_ieee_underflow 0
		.amdhsa_exception_fp_ieee_inexact 0
		.amdhsa_exception_int_div_zero 0
	.end_amdhsa_kernel
	.section	.text._ZN7rocprim17ROCPRIM_400000_NS6detail17trampoline_kernelINS0_14default_configENS1_22reduce_config_selectorIN6thrust23THRUST_200600_302600_NS5tupleIblNS6_9null_typeES8_S8_S8_S8_S8_S8_S8_EEEEZNS1_11reduce_implILb1ES3_NS6_12zip_iteratorINS7_INS6_11hip_rocprim26transform_input_iterator_tIbNSD_35transform_pair_of_input_iterators_tIbNS6_6detail15normal_iteratorINS6_10device_ptrIKyEEEESL_NS6_8equal_toIyEEEENSG_9not_fun_tINSD_8identityEEEEENSD_19counting_iterator_tIlEES8_S8_S8_S8_S8_S8_S8_S8_EEEEPS9_S9_NSD_9__find_if7functorIS9_EEEE10hipError_tPvRmT1_T2_T3_mT4_P12ihipStream_tbEUlT_E0_NS1_11comp_targetILNS1_3genE5ELNS1_11target_archE942ELNS1_3gpuE9ELNS1_3repE0EEENS1_30default_config_static_selectorELNS0_4arch9wavefront6targetE0EEEvS14_,"axG",@progbits,_ZN7rocprim17ROCPRIM_400000_NS6detail17trampoline_kernelINS0_14default_configENS1_22reduce_config_selectorIN6thrust23THRUST_200600_302600_NS5tupleIblNS6_9null_typeES8_S8_S8_S8_S8_S8_S8_EEEEZNS1_11reduce_implILb1ES3_NS6_12zip_iteratorINS7_INS6_11hip_rocprim26transform_input_iterator_tIbNSD_35transform_pair_of_input_iterators_tIbNS6_6detail15normal_iteratorINS6_10device_ptrIKyEEEESL_NS6_8equal_toIyEEEENSG_9not_fun_tINSD_8identityEEEEENSD_19counting_iterator_tIlEES8_S8_S8_S8_S8_S8_S8_S8_EEEEPS9_S9_NSD_9__find_if7functorIS9_EEEE10hipError_tPvRmT1_T2_T3_mT4_P12ihipStream_tbEUlT_E0_NS1_11comp_targetILNS1_3genE5ELNS1_11target_archE942ELNS1_3gpuE9ELNS1_3repE0EEENS1_30default_config_static_selectorELNS0_4arch9wavefront6targetE0EEEvS14_,comdat
.Lfunc_end793:
	.size	_ZN7rocprim17ROCPRIM_400000_NS6detail17trampoline_kernelINS0_14default_configENS1_22reduce_config_selectorIN6thrust23THRUST_200600_302600_NS5tupleIblNS6_9null_typeES8_S8_S8_S8_S8_S8_S8_EEEEZNS1_11reduce_implILb1ES3_NS6_12zip_iteratorINS7_INS6_11hip_rocprim26transform_input_iterator_tIbNSD_35transform_pair_of_input_iterators_tIbNS6_6detail15normal_iteratorINS6_10device_ptrIKyEEEESL_NS6_8equal_toIyEEEENSG_9not_fun_tINSD_8identityEEEEENSD_19counting_iterator_tIlEES8_S8_S8_S8_S8_S8_S8_S8_EEEEPS9_S9_NSD_9__find_if7functorIS9_EEEE10hipError_tPvRmT1_T2_T3_mT4_P12ihipStream_tbEUlT_E0_NS1_11comp_targetILNS1_3genE5ELNS1_11target_archE942ELNS1_3gpuE9ELNS1_3repE0EEENS1_30default_config_static_selectorELNS0_4arch9wavefront6targetE0EEEvS14_, .Lfunc_end793-_ZN7rocprim17ROCPRIM_400000_NS6detail17trampoline_kernelINS0_14default_configENS1_22reduce_config_selectorIN6thrust23THRUST_200600_302600_NS5tupleIblNS6_9null_typeES8_S8_S8_S8_S8_S8_S8_EEEEZNS1_11reduce_implILb1ES3_NS6_12zip_iteratorINS7_INS6_11hip_rocprim26transform_input_iterator_tIbNSD_35transform_pair_of_input_iterators_tIbNS6_6detail15normal_iteratorINS6_10device_ptrIKyEEEESL_NS6_8equal_toIyEEEENSG_9not_fun_tINSD_8identityEEEEENSD_19counting_iterator_tIlEES8_S8_S8_S8_S8_S8_S8_S8_EEEEPS9_S9_NSD_9__find_if7functorIS9_EEEE10hipError_tPvRmT1_T2_T3_mT4_P12ihipStream_tbEUlT_E0_NS1_11comp_targetILNS1_3genE5ELNS1_11target_archE942ELNS1_3gpuE9ELNS1_3repE0EEENS1_30default_config_static_selectorELNS0_4arch9wavefront6targetE0EEEvS14_
                                        ; -- End function
	.section	.AMDGPU.csdata,"",@progbits
; Kernel info:
; codeLenInByte = 0
; NumSgprs: 0
; NumVgprs: 0
; ScratchSize: 0
; MemoryBound: 0
; FloatMode: 240
; IeeeMode: 1
; LDSByteSize: 0 bytes/workgroup (compile time only)
; SGPRBlocks: 0
; VGPRBlocks: 0
; NumSGPRsForWavesPerEU: 1
; NumVGPRsForWavesPerEU: 1
; Occupancy: 16
; WaveLimiterHint : 0
; COMPUTE_PGM_RSRC2:SCRATCH_EN: 0
; COMPUTE_PGM_RSRC2:USER_SGPR: 15
; COMPUTE_PGM_RSRC2:TRAP_HANDLER: 0
; COMPUTE_PGM_RSRC2:TGID_X_EN: 1
; COMPUTE_PGM_RSRC2:TGID_Y_EN: 0
; COMPUTE_PGM_RSRC2:TGID_Z_EN: 0
; COMPUTE_PGM_RSRC2:TIDIG_COMP_CNT: 0
	.section	.text._ZN7rocprim17ROCPRIM_400000_NS6detail17trampoline_kernelINS0_14default_configENS1_22reduce_config_selectorIN6thrust23THRUST_200600_302600_NS5tupleIblNS6_9null_typeES8_S8_S8_S8_S8_S8_S8_EEEEZNS1_11reduce_implILb1ES3_NS6_12zip_iteratorINS7_INS6_11hip_rocprim26transform_input_iterator_tIbNSD_35transform_pair_of_input_iterators_tIbNS6_6detail15normal_iteratorINS6_10device_ptrIKyEEEESL_NS6_8equal_toIyEEEENSG_9not_fun_tINSD_8identityEEEEENSD_19counting_iterator_tIlEES8_S8_S8_S8_S8_S8_S8_S8_EEEEPS9_S9_NSD_9__find_if7functorIS9_EEEE10hipError_tPvRmT1_T2_T3_mT4_P12ihipStream_tbEUlT_E0_NS1_11comp_targetILNS1_3genE4ELNS1_11target_archE910ELNS1_3gpuE8ELNS1_3repE0EEENS1_30default_config_static_selectorELNS0_4arch9wavefront6targetE0EEEvS14_,"axG",@progbits,_ZN7rocprim17ROCPRIM_400000_NS6detail17trampoline_kernelINS0_14default_configENS1_22reduce_config_selectorIN6thrust23THRUST_200600_302600_NS5tupleIblNS6_9null_typeES8_S8_S8_S8_S8_S8_S8_EEEEZNS1_11reduce_implILb1ES3_NS6_12zip_iteratorINS7_INS6_11hip_rocprim26transform_input_iterator_tIbNSD_35transform_pair_of_input_iterators_tIbNS6_6detail15normal_iteratorINS6_10device_ptrIKyEEEESL_NS6_8equal_toIyEEEENSG_9not_fun_tINSD_8identityEEEEENSD_19counting_iterator_tIlEES8_S8_S8_S8_S8_S8_S8_S8_EEEEPS9_S9_NSD_9__find_if7functorIS9_EEEE10hipError_tPvRmT1_T2_T3_mT4_P12ihipStream_tbEUlT_E0_NS1_11comp_targetILNS1_3genE4ELNS1_11target_archE910ELNS1_3gpuE8ELNS1_3repE0EEENS1_30default_config_static_selectorELNS0_4arch9wavefront6targetE0EEEvS14_,comdat
	.protected	_ZN7rocprim17ROCPRIM_400000_NS6detail17trampoline_kernelINS0_14default_configENS1_22reduce_config_selectorIN6thrust23THRUST_200600_302600_NS5tupleIblNS6_9null_typeES8_S8_S8_S8_S8_S8_S8_EEEEZNS1_11reduce_implILb1ES3_NS6_12zip_iteratorINS7_INS6_11hip_rocprim26transform_input_iterator_tIbNSD_35transform_pair_of_input_iterators_tIbNS6_6detail15normal_iteratorINS6_10device_ptrIKyEEEESL_NS6_8equal_toIyEEEENSG_9not_fun_tINSD_8identityEEEEENSD_19counting_iterator_tIlEES8_S8_S8_S8_S8_S8_S8_S8_EEEEPS9_S9_NSD_9__find_if7functorIS9_EEEE10hipError_tPvRmT1_T2_T3_mT4_P12ihipStream_tbEUlT_E0_NS1_11comp_targetILNS1_3genE4ELNS1_11target_archE910ELNS1_3gpuE8ELNS1_3repE0EEENS1_30default_config_static_selectorELNS0_4arch9wavefront6targetE0EEEvS14_ ; -- Begin function _ZN7rocprim17ROCPRIM_400000_NS6detail17trampoline_kernelINS0_14default_configENS1_22reduce_config_selectorIN6thrust23THRUST_200600_302600_NS5tupleIblNS6_9null_typeES8_S8_S8_S8_S8_S8_S8_EEEEZNS1_11reduce_implILb1ES3_NS6_12zip_iteratorINS7_INS6_11hip_rocprim26transform_input_iterator_tIbNSD_35transform_pair_of_input_iterators_tIbNS6_6detail15normal_iteratorINS6_10device_ptrIKyEEEESL_NS6_8equal_toIyEEEENSG_9not_fun_tINSD_8identityEEEEENSD_19counting_iterator_tIlEES8_S8_S8_S8_S8_S8_S8_S8_EEEEPS9_S9_NSD_9__find_if7functorIS9_EEEE10hipError_tPvRmT1_T2_T3_mT4_P12ihipStream_tbEUlT_E0_NS1_11comp_targetILNS1_3genE4ELNS1_11target_archE910ELNS1_3gpuE8ELNS1_3repE0EEENS1_30default_config_static_selectorELNS0_4arch9wavefront6targetE0EEEvS14_
	.globl	_ZN7rocprim17ROCPRIM_400000_NS6detail17trampoline_kernelINS0_14default_configENS1_22reduce_config_selectorIN6thrust23THRUST_200600_302600_NS5tupleIblNS6_9null_typeES8_S8_S8_S8_S8_S8_S8_EEEEZNS1_11reduce_implILb1ES3_NS6_12zip_iteratorINS7_INS6_11hip_rocprim26transform_input_iterator_tIbNSD_35transform_pair_of_input_iterators_tIbNS6_6detail15normal_iteratorINS6_10device_ptrIKyEEEESL_NS6_8equal_toIyEEEENSG_9not_fun_tINSD_8identityEEEEENSD_19counting_iterator_tIlEES8_S8_S8_S8_S8_S8_S8_S8_EEEEPS9_S9_NSD_9__find_if7functorIS9_EEEE10hipError_tPvRmT1_T2_T3_mT4_P12ihipStream_tbEUlT_E0_NS1_11comp_targetILNS1_3genE4ELNS1_11target_archE910ELNS1_3gpuE8ELNS1_3repE0EEENS1_30default_config_static_selectorELNS0_4arch9wavefront6targetE0EEEvS14_
	.p2align	8
	.type	_ZN7rocprim17ROCPRIM_400000_NS6detail17trampoline_kernelINS0_14default_configENS1_22reduce_config_selectorIN6thrust23THRUST_200600_302600_NS5tupleIblNS6_9null_typeES8_S8_S8_S8_S8_S8_S8_EEEEZNS1_11reduce_implILb1ES3_NS6_12zip_iteratorINS7_INS6_11hip_rocprim26transform_input_iterator_tIbNSD_35transform_pair_of_input_iterators_tIbNS6_6detail15normal_iteratorINS6_10device_ptrIKyEEEESL_NS6_8equal_toIyEEEENSG_9not_fun_tINSD_8identityEEEEENSD_19counting_iterator_tIlEES8_S8_S8_S8_S8_S8_S8_S8_EEEEPS9_S9_NSD_9__find_if7functorIS9_EEEE10hipError_tPvRmT1_T2_T3_mT4_P12ihipStream_tbEUlT_E0_NS1_11comp_targetILNS1_3genE4ELNS1_11target_archE910ELNS1_3gpuE8ELNS1_3repE0EEENS1_30default_config_static_selectorELNS0_4arch9wavefront6targetE0EEEvS14_,@function
_ZN7rocprim17ROCPRIM_400000_NS6detail17trampoline_kernelINS0_14default_configENS1_22reduce_config_selectorIN6thrust23THRUST_200600_302600_NS5tupleIblNS6_9null_typeES8_S8_S8_S8_S8_S8_S8_EEEEZNS1_11reduce_implILb1ES3_NS6_12zip_iteratorINS7_INS6_11hip_rocprim26transform_input_iterator_tIbNSD_35transform_pair_of_input_iterators_tIbNS6_6detail15normal_iteratorINS6_10device_ptrIKyEEEESL_NS6_8equal_toIyEEEENSG_9not_fun_tINSD_8identityEEEEENSD_19counting_iterator_tIlEES8_S8_S8_S8_S8_S8_S8_S8_EEEEPS9_S9_NSD_9__find_if7functorIS9_EEEE10hipError_tPvRmT1_T2_T3_mT4_P12ihipStream_tbEUlT_E0_NS1_11comp_targetILNS1_3genE4ELNS1_11target_archE910ELNS1_3gpuE8ELNS1_3repE0EEENS1_30default_config_static_selectorELNS0_4arch9wavefront6targetE0EEEvS14_: ; @_ZN7rocprim17ROCPRIM_400000_NS6detail17trampoline_kernelINS0_14default_configENS1_22reduce_config_selectorIN6thrust23THRUST_200600_302600_NS5tupleIblNS6_9null_typeES8_S8_S8_S8_S8_S8_S8_EEEEZNS1_11reduce_implILb1ES3_NS6_12zip_iteratorINS7_INS6_11hip_rocprim26transform_input_iterator_tIbNSD_35transform_pair_of_input_iterators_tIbNS6_6detail15normal_iteratorINS6_10device_ptrIKyEEEESL_NS6_8equal_toIyEEEENSG_9not_fun_tINSD_8identityEEEEENSD_19counting_iterator_tIlEES8_S8_S8_S8_S8_S8_S8_S8_EEEEPS9_S9_NSD_9__find_if7functorIS9_EEEE10hipError_tPvRmT1_T2_T3_mT4_P12ihipStream_tbEUlT_E0_NS1_11comp_targetILNS1_3genE4ELNS1_11target_archE910ELNS1_3gpuE8ELNS1_3repE0EEENS1_30default_config_static_selectorELNS0_4arch9wavefront6targetE0EEEvS14_
; %bb.0:
	.section	.rodata,"a",@progbits
	.p2align	6, 0x0
	.amdhsa_kernel _ZN7rocprim17ROCPRIM_400000_NS6detail17trampoline_kernelINS0_14default_configENS1_22reduce_config_selectorIN6thrust23THRUST_200600_302600_NS5tupleIblNS6_9null_typeES8_S8_S8_S8_S8_S8_S8_EEEEZNS1_11reduce_implILb1ES3_NS6_12zip_iteratorINS7_INS6_11hip_rocprim26transform_input_iterator_tIbNSD_35transform_pair_of_input_iterators_tIbNS6_6detail15normal_iteratorINS6_10device_ptrIKyEEEESL_NS6_8equal_toIyEEEENSG_9not_fun_tINSD_8identityEEEEENSD_19counting_iterator_tIlEES8_S8_S8_S8_S8_S8_S8_S8_EEEEPS9_S9_NSD_9__find_if7functorIS9_EEEE10hipError_tPvRmT1_T2_T3_mT4_P12ihipStream_tbEUlT_E0_NS1_11comp_targetILNS1_3genE4ELNS1_11target_archE910ELNS1_3gpuE8ELNS1_3repE0EEENS1_30default_config_static_selectorELNS0_4arch9wavefront6targetE0EEEvS14_
		.amdhsa_group_segment_fixed_size 0
		.amdhsa_private_segment_fixed_size 0
		.amdhsa_kernarg_size 104
		.amdhsa_user_sgpr_count 15
		.amdhsa_user_sgpr_dispatch_ptr 0
		.amdhsa_user_sgpr_queue_ptr 0
		.amdhsa_user_sgpr_kernarg_segment_ptr 1
		.amdhsa_user_sgpr_dispatch_id 0
		.amdhsa_user_sgpr_private_segment_size 0
		.amdhsa_wavefront_size32 1
		.amdhsa_uses_dynamic_stack 0
		.amdhsa_enable_private_segment 0
		.amdhsa_system_sgpr_workgroup_id_x 1
		.amdhsa_system_sgpr_workgroup_id_y 0
		.amdhsa_system_sgpr_workgroup_id_z 0
		.amdhsa_system_sgpr_workgroup_info 0
		.amdhsa_system_vgpr_workitem_id 0
		.amdhsa_next_free_vgpr 1
		.amdhsa_next_free_sgpr 1
		.amdhsa_reserve_vcc 0
		.amdhsa_float_round_mode_32 0
		.amdhsa_float_round_mode_16_64 0
		.amdhsa_float_denorm_mode_32 3
		.amdhsa_float_denorm_mode_16_64 3
		.amdhsa_dx10_clamp 1
		.amdhsa_ieee_mode 1
		.amdhsa_fp16_overflow 0
		.amdhsa_workgroup_processor_mode 1
		.amdhsa_memory_ordered 1
		.amdhsa_forward_progress 0
		.amdhsa_shared_vgpr_count 0
		.amdhsa_exception_fp_ieee_invalid_op 0
		.amdhsa_exception_fp_denorm_src 0
		.amdhsa_exception_fp_ieee_div_zero 0
		.amdhsa_exception_fp_ieee_overflow 0
		.amdhsa_exception_fp_ieee_underflow 0
		.amdhsa_exception_fp_ieee_inexact 0
		.amdhsa_exception_int_div_zero 0
	.end_amdhsa_kernel
	.section	.text._ZN7rocprim17ROCPRIM_400000_NS6detail17trampoline_kernelINS0_14default_configENS1_22reduce_config_selectorIN6thrust23THRUST_200600_302600_NS5tupleIblNS6_9null_typeES8_S8_S8_S8_S8_S8_S8_EEEEZNS1_11reduce_implILb1ES3_NS6_12zip_iteratorINS7_INS6_11hip_rocprim26transform_input_iterator_tIbNSD_35transform_pair_of_input_iterators_tIbNS6_6detail15normal_iteratorINS6_10device_ptrIKyEEEESL_NS6_8equal_toIyEEEENSG_9not_fun_tINSD_8identityEEEEENSD_19counting_iterator_tIlEES8_S8_S8_S8_S8_S8_S8_S8_EEEEPS9_S9_NSD_9__find_if7functorIS9_EEEE10hipError_tPvRmT1_T2_T3_mT4_P12ihipStream_tbEUlT_E0_NS1_11comp_targetILNS1_3genE4ELNS1_11target_archE910ELNS1_3gpuE8ELNS1_3repE0EEENS1_30default_config_static_selectorELNS0_4arch9wavefront6targetE0EEEvS14_,"axG",@progbits,_ZN7rocprim17ROCPRIM_400000_NS6detail17trampoline_kernelINS0_14default_configENS1_22reduce_config_selectorIN6thrust23THRUST_200600_302600_NS5tupleIblNS6_9null_typeES8_S8_S8_S8_S8_S8_S8_EEEEZNS1_11reduce_implILb1ES3_NS6_12zip_iteratorINS7_INS6_11hip_rocprim26transform_input_iterator_tIbNSD_35transform_pair_of_input_iterators_tIbNS6_6detail15normal_iteratorINS6_10device_ptrIKyEEEESL_NS6_8equal_toIyEEEENSG_9not_fun_tINSD_8identityEEEEENSD_19counting_iterator_tIlEES8_S8_S8_S8_S8_S8_S8_S8_EEEEPS9_S9_NSD_9__find_if7functorIS9_EEEE10hipError_tPvRmT1_T2_T3_mT4_P12ihipStream_tbEUlT_E0_NS1_11comp_targetILNS1_3genE4ELNS1_11target_archE910ELNS1_3gpuE8ELNS1_3repE0EEENS1_30default_config_static_selectorELNS0_4arch9wavefront6targetE0EEEvS14_,comdat
.Lfunc_end794:
	.size	_ZN7rocprim17ROCPRIM_400000_NS6detail17trampoline_kernelINS0_14default_configENS1_22reduce_config_selectorIN6thrust23THRUST_200600_302600_NS5tupleIblNS6_9null_typeES8_S8_S8_S8_S8_S8_S8_EEEEZNS1_11reduce_implILb1ES3_NS6_12zip_iteratorINS7_INS6_11hip_rocprim26transform_input_iterator_tIbNSD_35transform_pair_of_input_iterators_tIbNS6_6detail15normal_iteratorINS6_10device_ptrIKyEEEESL_NS6_8equal_toIyEEEENSG_9not_fun_tINSD_8identityEEEEENSD_19counting_iterator_tIlEES8_S8_S8_S8_S8_S8_S8_S8_EEEEPS9_S9_NSD_9__find_if7functorIS9_EEEE10hipError_tPvRmT1_T2_T3_mT4_P12ihipStream_tbEUlT_E0_NS1_11comp_targetILNS1_3genE4ELNS1_11target_archE910ELNS1_3gpuE8ELNS1_3repE0EEENS1_30default_config_static_selectorELNS0_4arch9wavefront6targetE0EEEvS14_, .Lfunc_end794-_ZN7rocprim17ROCPRIM_400000_NS6detail17trampoline_kernelINS0_14default_configENS1_22reduce_config_selectorIN6thrust23THRUST_200600_302600_NS5tupleIblNS6_9null_typeES8_S8_S8_S8_S8_S8_S8_EEEEZNS1_11reduce_implILb1ES3_NS6_12zip_iteratorINS7_INS6_11hip_rocprim26transform_input_iterator_tIbNSD_35transform_pair_of_input_iterators_tIbNS6_6detail15normal_iteratorINS6_10device_ptrIKyEEEESL_NS6_8equal_toIyEEEENSG_9not_fun_tINSD_8identityEEEEENSD_19counting_iterator_tIlEES8_S8_S8_S8_S8_S8_S8_S8_EEEEPS9_S9_NSD_9__find_if7functorIS9_EEEE10hipError_tPvRmT1_T2_T3_mT4_P12ihipStream_tbEUlT_E0_NS1_11comp_targetILNS1_3genE4ELNS1_11target_archE910ELNS1_3gpuE8ELNS1_3repE0EEENS1_30default_config_static_selectorELNS0_4arch9wavefront6targetE0EEEvS14_
                                        ; -- End function
	.section	.AMDGPU.csdata,"",@progbits
; Kernel info:
; codeLenInByte = 0
; NumSgprs: 0
; NumVgprs: 0
; ScratchSize: 0
; MemoryBound: 0
; FloatMode: 240
; IeeeMode: 1
; LDSByteSize: 0 bytes/workgroup (compile time only)
; SGPRBlocks: 0
; VGPRBlocks: 0
; NumSGPRsForWavesPerEU: 1
; NumVGPRsForWavesPerEU: 1
; Occupancy: 16
; WaveLimiterHint : 0
; COMPUTE_PGM_RSRC2:SCRATCH_EN: 0
; COMPUTE_PGM_RSRC2:USER_SGPR: 15
; COMPUTE_PGM_RSRC2:TRAP_HANDLER: 0
; COMPUTE_PGM_RSRC2:TGID_X_EN: 1
; COMPUTE_PGM_RSRC2:TGID_Y_EN: 0
; COMPUTE_PGM_RSRC2:TGID_Z_EN: 0
; COMPUTE_PGM_RSRC2:TIDIG_COMP_CNT: 0
	.section	.text._ZN7rocprim17ROCPRIM_400000_NS6detail17trampoline_kernelINS0_14default_configENS1_22reduce_config_selectorIN6thrust23THRUST_200600_302600_NS5tupleIblNS6_9null_typeES8_S8_S8_S8_S8_S8_S8_EEEEZNS1_11reduce_implILb1ES3_NS6_12zip_iteratorINS7_INS6_11hip_rocprim26transform_input_iterator_tIbNSD_35transform_pair_of_input_iterators_tIbNS6_6detail15normal_iteratorINS6_10device_ptrIKyEEEESL_NS6_8equal_toIyEEEENSG_9not_fun_tINSD_8identityEEEEENSD_19counting_iterator_tIlEES8_S8_S8_S8_S8_S8_S8_S8_EEEEPS9_S9_NSD_9__find_if7functorIS9_EEEE10hipError_tPvRmT1_T2_T3_mT4_P12ihipStream_tbEUlT_E0_NS1_11comp_targetILNS1_3genE3ELNS1_11target_archE908ELNS1_3gpuE7ELNS1_3repE0EEENS1_30default_config_static_selectorELNS0_4arch9wavefront6targetE0EEEvS14_,"axG",@progbits,_ZN7rocprim17ROCPRIM_400000_NS6detail17trampoline_kernelINS0_14default_configENS1_22reduce_config_selectorIN6thrust23THRUST_200600_302600_NS5tupleIblNS6_9null_typeES8_S8_S8_S8_S8_S8_S8_EEEEZNS1_11reduce_implILb1ES3_NS6_12zip_iteratorINS7_INS6_11hip_rocprim26transform_input_iterator_tIbNSD_35transform_pair_of_input_iterators_tIbNS6_6detail15normal_iteratorINS6_10device_ptrIKyEEEESL_NS6_8equal_toIyEEEENSG_9not_fun_tINSD_8identityEEEEENSD_19counting_iterator_tIlEES8_S8_S8_S8_S8_S8_S8_S8_EEEEPS9_S9_NSD_9__find_if7functorIS9_EEEE10hipError_tPvRmT1_T2_T3_mT4_P12ihipStream_tbEUlT_E0_NS1_11comp_targetILNS1_3genE3ELNS1_11target_archE908ELNS1_3gpuE7ELNS1_3repE0EEENS1_30default_config_static_selectorELNS0_4arch9wavefront6targetE0EEEvS14_,comdat
	.protected	_ZN7rocprim17ROCPRIM_400000_NS6detail17trampoline_kernelINS0_14default_configENS1_22reduce_config_selectorIN6thrust23THRUST_200600_302600_NS5tupleIblNS6_9null_typeES8_S8_S8_S8_S8_S8_S8_EEEEZNS1_11reduce_implILb1ES3_NS6_12zip_iteratorINS7_INS6_11hip_rocprim26transform_input_iterator_tIbNSD_35transform_pair_of_input_iterators_tIbNS6_6detail15normal_iteratorINS6_10device_ptrIKyEEEESL_NS6_8equal_toIyEEEENSG_9not_fun_tINSD_8identityEEEEENSD_19counting_iterator_tIlEES8_S8_S8_S8_S8_S8_S8_S8_EEEEPS9_S9_NSD_9__find_if7functorIS9_EEEE10hipError_tPvRmT1_T2_T3_mT4_P12ihipStream_tbEUlT_E0_NS1_11comp_targetILNS1_3genE3ELNS1_11target_archE908ELNS1_3gpuE7ELNS1_3repE0EEENS1_30default_config_static_selectorELNS0_4arch9wavefront6targetE0EEEvS14_ ; -- Begin function _ZN7rocprim17ROCPRIM_400000_NS6detail17trampoline_kernelINS0_14default_configENS1_22reduce_config_selectorIN6thrust23THRUST_200600_302600_NS5tupleIblNS6_9null_typeES8_S8_S8_S8_S8_S8_S8_EEEEZNS1_11reduce_implILb1ES3_NS6_12zip_iteratorINS7_INS6_11hip_rocprim26transform_input_iterator_tIbNSD_35transform_pair_of_input_iterators_tIbNS6_6detail15normal_iteratorINS6_10device_ptrIKyEEEESL_NS6_8equal_toIyEEEENSG_9not_fun_tINSD_8identityEEEEENSD_19counting_iterator_tIlEES8_S8_S8_S8_S8_S8_S8_S8_EEEEPS9_S9_NSD_9__find_if7functorIS9_EEEE10hipError_tPvRmT1_T2_T3_mT4_P12ihipStream_tbEUlT_E0_NS1_11comp_targetILNS1_3genE3ELNS1_11target_archE908ELNS1_3gpuE7ELNS1_3repE0EEENS1_30default_config_static_selectorELNS0_4arch9wavefront6targetE0EEEvS14_
	.globl	_ZN7rocprim17ROCPRIM_400000_NS6detail17trampoline_kernelINS0_14default_configENS1_22reduce_config_selectorIN6thrust23THRUST_200600_302600_NS5tupleIblNS6_9null_typeES8_S8_S8_S8_S8_S8_S8_EEEEZNS1_11reduce_implILb1ES3_NS6_12zip_iteratorINS7_INS6_11hip_rocprim26transform_input_iterator_tIbNSD_35transform_pair_of_input_iterators_tIbNS6_6detail15normal_iteratorINS6_10device_ptrIKyEEEESL_NS6_8equal_toIyEEEENSG_9not_fun_tINSD_8identityEEEEENSD_19counting_iterator_tIlEES8_S8_S8_S8_S8_S8_S8_S8_EEEEPS9_S9_NSD_9__find_if7functorIS9_EEEE10hipError_tPvRmT1_T2_T3_mT4_P12ihipStream_tbEUlT_E0_NS1_11comp_targetILNS1_3genE3ELNS1_11target_archE908ELNS1_3gpuE7ELNS1_3repE0EEENS1_30default_config_static_selectorELNS0_4arch9wavefront6targetE0EEEvS14_
	.p2align	8
	.type	_ZN7rocprim17ROCPRIM_400000_NS6detail17trampoline_kernelINS0_14default_configENS1_22reduce_config_selectorIN6thrust23THRUST_200600_302600_NS5tupleIblNS6_9null_typeES8_S8_S8_S8_S8_S8_S8_EEEEZNS1_11reduce_implILb1ES3_NS6_12zip_iteratorINS7_INS6_11hip_rocprim26transform_input_iterator_tIbNSD_35transform_pair_of_input_iterators_tIbNS6_6detail15normal_iteratorINS6_10device_ptrIKyEEEESL_NS6_8equal_toIyEEEENSG_9not_fun_tINSD_8identityEEEEENSD_19counting_iterator_tIlEES8_S8_S8_S8_S8_S8_S8_S8_EEEEPS9_S9_NSD_9__find_if7functorIS9_EEEE10hipError_tPvRmT1_T2_T3_mT4_P12ihipStream_tbEUlT_E0_NS1_11comp_targetILNS1_3genE3ELNS1_11target_archE908ELNS1_3gpuE7ELNS1_3repE0EEENS1_30default_config_static_selectorELNS0_4arch9wavefront6targetE0EEEvS14_,@function
_ZN7rocprim17ROCPRIM_400000_NS6detail17trampoline_kernelINS0_14default_configENS1_22reduce_config_selectorIN6thrust23THRUST_200600_302600_NS5tupleIblNS6_9null_typeES8_S8_S8_S8_S8_S8_S8_EEEEZNS1_11reduce_implILb1ES3_NS6_12zip_iteratorINS7_INS6_11hip_rocprim26transform_input_iterator_tIbNSD_35transform_pair_of_input_iterators_tIbNS6_6detail15normal_iteratorINS6_10device_ptrIKyEEEESL_NS6_8equal_toIyEEEENSG_9not_fun_tINSD_8identityEEEEENSD_19counting_iterator_tIlEES8_S8_S8_S8_S8_S8_S8_S8_EEEEPS9_S9_NSD_9__find_if7functorIS9_EEEE10hipError_tPvRmT1_T2_T3_mT4_P12ihipStream_tbEUlT_E0_NS1_11comp_targetILNS1_3genE3ELNS1_11target_archE908ELNS1_3gpuE7ELNS1_3repE0EEENS1_30default_config_static_selectorELNS0_4arch9wavefront6targetE0EEEvS14_: ; @_ZN7rocprim17ROCPRIM_400000_NS6detail17trampoline_kernelINS0_14default_configENS1_22reduce_config_selectorIN6thrust23THRUST_200600_302600_NS5tupleIblNS6_9null_typeES8_S8_S8_S8_S8_S8_S8_EEEEZNS1_11reduce_implILb1ES3_NS6_12zip_iteratorINS7_INS6_11hip_rocprim26transform_input_iterator_tIbNSD_35transform_pair_of_input_iterators_tIbNS6_6detail15normal_iteratorINS6_10device_ptrIKyEEEESL_NS6_8equal_toIyEEEENSG_9not_fun_tINSD_8identityEEEEENSD_19counting_iterator_tIlEES8_S8_S8_S8_S8_S8_S8_S8_EEEEPS9_S9_NSD_9__find_if7functorIS9_EEEE10hipError_tPvRmT1_T2_T3_mT4_P12ihipStream_tbEUlT_E0_NS1_11comp_targetILNS1_3genE3ELNS1_11target_archE908ELNS1_3gpuE7ELNS1_3repE0EEENS1_30default_config_static_selectorELNS0_4arch9wavefront6targetE0EEEvS14_
; %bb.0:
	.section	.rodata,"a",@progbits
	.p2align	6, 0x0
	.amdhsa_kernel _ZN7rocprim17ROCPRIM_400000_NS6detail17trampoline_kernelINS0_14default_configENS1_22reduce_config_selectorIN6thrust23THRUST_200600_302600_NS5tupleIblNS6_9null_typeES8_S8_S8_S8_S8_S8_S8_EEEEZNS1_11reduce_implILb1ES3_NS6_12zip_iteratorINS7_INS6_11hip_rocprim26transform_input_iterator_tIbNSD_35transform_pair_of_input_iterators_tIbNS6_6detail15normal_iteratorINS6_10device_ptrIKyEEEESL_NS6_8equal_toIyEEEENSG_9not_fun_tINSD_8identityEEEEENSD_19counting_iterator_tIlEES8_S8_S8_S8_S8_S8_S8_S8_EEEEPS9_S9_NSD_9__find_if7functorIS9_EEEE10hipError_tPvRmT1_T2_T3_mT4_P12ihipStream_tbEUlT_E0_NS1_11comp_targetILNS1_3genE3ELNS1_11target_archE908ELNS1_3gpuE7ELNS1_3repE0EEENS1_30default_config_static_selectorELNS0_4arch9wavefront6targetE0EEEvS14_
		.amdhsa_group_segment_fixed_size 0
		.amdhsa_private_segment_fixed_size 0
		.amdhsa_kernarg_size 104
		.amdhsa_user_sgpr_count 15
		.amdhsa_user_sgpr_dispatch_ptr 0
		.amdhsa_user_sgpr_queue_ptr 0
		.amdhsa_user_sgpr_kernarg_segment_ptr 1
		.amdhsa_user_sgpr_dispatch_id 0
		.amdhsa_user_sgpr_private_segment_size 0
		.amdhsa_wavefront_size32 1
		.amdhsa_uses_dynamic_stack 0
		.amdhsa_enable_private_segment 0
		.amdhsa_system_sgpr_workgroup_id_x 1
		.amdhsa_system_sgpr_workgroup_id_y 0
		.amdhsa_system_sgpr_workgroup_id_z 0
		.amdhsa_system_sgpr_workgroup_info 0
		.amdhsa_system_vgpr_workitem_id 0
		.amdhsa_next_free_vgpr 1
		.amdhsa_next_free_sgpr 1
		.amdhsa_reserve_vcc 0
		.amdhsa_float_round_mode_32 0
		.amdhsa_float_round_mode_16_64 0
		.amdhsa_float_denorm_mode_32 3
		.amdhsa_float_denorm_mode_16_64 3
		.amdhsa_dx10_clamp 1
		.amdhsa_ieee_mode 1
		.amdhsa_fp16_overflow 0
		.amdhsa_workgroup_processor_mode 1
		.amdhsa_memory_ordered 1
		.amdhsa_forward_progress 0
		.amdhsa_shared_vgpr_count 0
		.amdhsa_exception_fp_ieee_invalid_op 0
		.amdhsa_exception_fp_denorm_src 0
		.amdhsa_exception_fp_ieee_div_zero 0
		.amdhsa_exception_fp_ieee_overflow 0
		.amdhsa_exception_fp_ieee_underflow 0
		.amdhsa_exception_fp_ieee_inexact 0
		.amdhsa_exception_int_div_zero 0
	.end_amdhsa_kernel
	.section	.text._ZN7rocprim17ROCPRIM_400000_NS6detail17trampoline_kernelINS0_14default_configENS1_22reduce_config_selectorIN6thrust23THRUST_200600_302600_NS5tupleIblNS6_9null_typeES8_S8_S8_S8_S8_S8_S8_EEEEZNS1_11reduce_implILb1ES3_NS6_12zip_iteratorINS7_INS6_11hip_rocprim26transform_input_iterator_tIbNSD_35transform_pair_of_input_iterators_tIbNS6_6detail15normal_iteratorINS6_10device_ptrIKyEEEESL_NS6_8equal_toIyEEEENSG_9not_fun_tINSD_8identityEEEEENSD_19counting_iterator_tIlEES8_S8_S8_S8_S8_S8_S8_S8_EEEEPS9_S9_NSD_9__find_if7functorIS9_EEEE10hipError_tPvRmT1_T2_T3_mT4_P12ihipStream_tbEUlT_E0_NS1_11comp_targetILNS1_3genE3ELNS1_11target_archE908ELNS1_3gpuE7ELNS1_3repE0EEENS1_30default_config_static_selectorELNS0_4arch9wavefront6targetE0EEEvS14_,"axG",@progbits,_ZN7rocprim17ROCPRIM_400000_NS6detail17trampoline_kernelINS0_14default_configENS1_22reduce_config_selectorIN6thrust23THRUST_200600_302600_NS5tupleIblNS6_9null_typeES8_S8_S8_S8_S8_S8_S8_EEEEZNS1_11reduce_implILb1ES3_NS6_12zip_iteratorINS7_INS6_11hip_rocprim26transform_input_iterator_tIbNSD_35transform_pair_of_input_iterators_tIbNS6_6detail15normal_iteratorINS6_10device_ptrIKyEEEESL_NS6_8equal_toIyEEEENSG_9not_fun_tINSD_8identityEEEEENSD_19counting_iterator_tIlEES8_S8_S8_S8_S8_S8_S8_S8_EEEEPS9_S9_NSD_9__find_if7functorIS9_EEEE10hipError_tPvRmT1_T2_T3_mT4_P12ihipStream_tbEUlT_E0_NS1_11comp_targetILNS1_3genE3ELNS1_11target_archE908ELNS1_3gpuE7ELNS1_3repE0EEENS1_30default_config_static_selectorELNS0_4arch9wavefront6targetE0EEEvS14_,comdat
.Lfunc_end795:
	.size	_ZN7rocprim17ROCPRIM_400000_NS6detail17trampoline_kernelINS0_14default_configENS1_22reduce_config_selectorIN6thrust23THRUST_200600_302600_NS5tupleIblNS6_9null_typeES8_S8_S8_S8_S8_S8_S8_EEEEZNS1_11reduce_implILb1ES3_NS6_12zip_iteratorINS7_INS6_11hip_rocprim26transform_input_iterator_tIbNSD_35transform_pair_of_input_iterators_tIbNS6_6detail15normal_iteratorINS6_10device_ptrIKyEEEESL_NS6_8equal_toIyEEEENSG_9not_fun_tINSD_8identityEEEEENSD_19counting_iterator_tIlEES8_S8_S8_S8_S8_S8_S8_S8_EEEEPS9_S9_NSD_9__find_if7functorIS9_EEEE10hipError_tPvRmT1_T2_T3_mT4_P12ihipStream_tbEUlT_E0_NS1_11comp_targetILNS1_3genE3ELNS1_11target_archE908ELNS1_3gpuE7ELNS1_3repE0EEENS1_30default_config_static_selectorELNS0_4arch9wavefront6targetE0EEEvS14_, .Lfunc_end795-_ZN7rocprim17ROCPRIM_400000_NS6detail17trampoline_kernelINS0_14default_configENS1_22reduce_config_selectorIN6thrust23THRUST_200600_302600_NS5tupleIblNS6_9null_typeES8_S8_S8_S8_S8_S8_S8_EEEEZNS1_11reduce_implILb1ES3_NS6_12zip_iteratorINS7_INS6_11hip_rocprim26transform_input_iterator_tIbNSD_35transform_pair_of_input_iterators_tIbNS6_6detail15normal_iteratorINS6_10device_ptrIKyEEEESL_NS6_8equal_toIyEEEENSG_9not_fun_tINSD_8identityEEEEENSD_19counting_iterator_tIlEES8_S8_S8_S8_S8_S8_S8_S8_EEEEPS9_S9_NSD_9__find_if7functorIS9_EEEE10hipError_tPvRmT1_T2_T3_mT4_P12ihipStream_tbEUlT_E0_NS1_11comp_targetILNS1_3genE3ELNS1_11target_archE908ELNS1_3gpuE7ELNS1_3repE0EEENS1_30default_config_static_selectorELNS0_4arch9wavefront6targetE0EEEvS14_
                                        ; -- End function
	.section	.AMDGPU.csdata,"",@progbits
; Kernel info:
; codeLenInByte = 0
; NumSgprs: 0
; NumVgprs: 0
; ScratchSize: 0
; MemoryBound: 0
; FloatMode: 240
; IeeeMode: 1
; LDSByteSize: 0 bytes/workgroup (compile time only)
; SGPRBlocks: 0
; VGPRBlocks: 0
; NumSGPRsForWavesPerEU: 1
; NumVGPRsForWavesPerEU: 1
; Occupancy: 16
; WaveLimiterHint : 0
; COMPUTE_PGM_RSRC2:SCRATCH_EN: 0
; COMPUTE_PGM_RSRC2:USER_SGPR: 15
; COMPUTE_PGM_RSRC2:TRAP_HANDLER: 0
; COMPUTE_PGM_RSRC2:TGID_X_EN: 1
; COMPUTE_PGM_RSRC2:TGID_Y_EN: 0
; COMPUTE_PGM_RSRC2:TGID_Z_EN: 0
; COMPUTE_PGM_RSRC2:TIDIG_COMP_CNT: 0
	.section	.text._ZN7rocprim17ROCPRIM_400000_NS6detail17trampoline_kernelINS0_14default_configENS1_22reduce_config_selectorIN6thrust23THRUST_200600_302600_NS5tupleIblNS6_9null_typeES8_S8_S8_S8_S8_S8_S8_EEEEZNS1_11reduce_implILb1ES3_NS6_12zip_iteratorINS7_INS6_11hip_rocprim26transform_input_iterator_tIbNSD_35transform_pair_of_input_iterators_tIbNS6_6detail15normal_iteratorINS6_10device_ptrIKyEEEESL_NS6_8equal_toIyEEEENSG_9not_fun_tINSD_8identityEEEEENSD_19counting_iterator_tIlEES8_S8_S8_S8_S8_S8_S8_S8_EEEEPS9_S9_NSD_9__find_if7functorIS9_EEEE10hipError_tPvRmT1_T2_T3_mT4_P12ihipStream_tbEUlT_E0_NS1_11comp_targetILNS1_3genE2ELNS1_11target_archE906ELNS1_3gpuE6ELNS1_3repE0EEENS1_30default_config_static_selectorELNS0_4arch9wavefront6targetE0EEEvS14_,"axG",@progbits,_ZN7rocprim17ROCPRIM_400000_NS6detail17trampoline_kernelINS0_14default_configENS1_22reduce_config_selectorIN6thrust23THRUST_200600_302600_NS5tupleIblNS6_9null_typeES8_S8_S8_S8_S8_S8_S8_EEEEZNS1_11reduce_implILb1ES3_NS6_12zip_iteratorINS7_INS6_11hip_rocprim26transform_input_iterator_tIbNSD_35transform_pair_of_input_iterators_tIbNS6_6detail15normal_iteratorINS6_10device_ptrIKyEEEESL_NS6_8equal_toIyEEEENSG_9not_fun_tINSD_8identityEEEEENSD_19counting_iterator_tIlEES8_S8_S8_S8_S8_S8_S8_S8_EEEEPS9_S9_NSD_9__find_if7functorIS9_EEEE10hipError_tPvRmT1_T2_T3_mT4_P12ihipStream_tbEUlT_E0_NS1_11comp_targetILNS1_3genE2ELNS1_11target_archE906ELNS1_3gpuE6ELNS1_3repE0EEENS1_30default_config_static_selectorELNS0_4arch9wavefront6targetE0EEEvS14_,comdat
	.protected	_ZN7rocprim17ROCPRIM_400000_NS6detail17trampoline_kernelINS0_14default_configENS1_22reduce_config_selectorIN6thrust23THRUST_200600_302600_NS5tupleIblNS6_9null_typeES8_S8_S8_S8_S8_S8_S8_EEEEZNS1_11reduce_implILb1ES3_NS6_12zip_iteratorINS7_INS6_11hip_rocprim26transform_input_iterator_tIbNSD_35transform_pair_of_input_iterators_tIbNS6_6detail15normal_iteratorINS6_10device_ptrIKyEEEESL_NS6_8equal_toIyEEEENSG_9not_fun_tINSD_8identityEEEEENSD_19counting_iterator_tIlEES8_S8_S8_S8_S8_S8_S8_S8_EEEEPS9_S9_NSD_9__find_if7functorIS9_EEEE10hipError_tPvRmT1_T2_T3_mT4_P12ihipStream_tbEUlT_E0_NS1_11comp_targetILNS1_3genE2ELNS1_11target_archE906ELNS1_3gpuE6ELNS1_3repE0EEENS1_30default_config_static_selectorELNS0_4arch9wavefront6targetE0EEEvS14_ ; -- Begin function _ZN7rocprim17ROCPRIM_400000_NS6detail17trampoline_kernelINS0_14default_configENS1_22reduce_config_selectorIN6thrust23THRUST_200600_302600_NS5tupleIblNS6_9null_typeES8_S8_S8_S8_S8_S8_S8_EEEEZNS1_11reduce_implILb1ES3_NS6_12zip_iteratorINS7_INS6_11hip_rocprim26transform_input_iterator_tIbNSD_35transform_pair_of_input_iterators_tIbNS6_6detail15normal_iteratorINS6_10device_ptrIKyEEEESL_NS6_8equal_toIyEEEENSG_9not_fun_tINSD_8identityEEEEENSD_19counting_iterator_tIlEES8_S8_S8_S8_S8_S8_S8_S8_EEEEPS9_S9_NSD_9__find_if7functorIS9_EEEE10hipError_tPvRmT1_T2_T3_mT4_P12ihipStream_tbEUlT_E0_NS1_11comp_targetILNS1_3genE2ELNS1_11target_archE906ELNS1_3gpuE6ELNS1_3repE0EEENS1_30default_config_static_selectorELNS0_4arch9wavefront6targetE0EEEvS14_
	.globl	_ZN7rocprim17ROCPRIM_400000_NS6detail17trampoline_kernelINS0_14default_configENS1_22reduce_config_selectorIN6thrust23THRUST_200600_302600_NS5tupleIblNS6_9null_typeES8_S8_S8_S8_S8_S8_S8_EEEEZNS1_11reduce_implILb1ES3_NS6_12zip_iteratorINS7_INS6_11hip_rocprim26transform_input_iterator_tIbNSD_35transform_pair_of_input_iterators_tIbNS6_6detail15normal_iteratorINS6_10device_ptrIKyEEEESL_NS6_8equal_toIyEEEENSG_9not_fun_tINSD_8identityEEEEENSD_19counting_iterator_tIlEES8_S8_S8_S8_S8_S8_S8_S8_EEEEPS9_S9_NSD_9__find_if7functorIS9_EEEE10hipError_tPvRmT1_T2_T3_mT4_P12ihipStream_tbEUlT_E0_NS1_11comp_targetILNS1_3genE2ELNS1_11target_archE906ELNS1_3gpuE6ELNS1_3repE0EEENS1_30default_config_static_selectorELNS0_4arch9wavefront6targetE0EEEvS14_
	.p2align	8
	.type	_ZN7rocprim17ROCPRIM_400000_NS6detail17trampoline_kernelINS0_14default_configENS1_22reduce_config_selectorIN6thrust23THRUST_200600_302600_NS5tupleIblNS6_9null_typeES8_S8_S8_S8_S8_S8_S8_EEEEZNS1_11reduce_implILb1ES3_NS6_12zip_iteratorINS7_INS6_11hip_rocprim26transform_input_iterator_tIbNSD_35transform_pair_of_input_iterators_tIbNS6_6detail15normal_iteratorINS6_10device_ptrIKyEEEESL_NS6_8equal_toIyEEEENSG_9not_fun_tINSD_8identityEEEEENSD_19counting_iterator_tIlEES8_S8_S8_S8_S8_S8_S8_S8_EEEEPS9_S9_NSD_9__find_if7functorIS9_EEEE10hipError_tPvRmT1_T2_T3_mT4_P12ihipStream_tbEUlT_E0_NS1_11comp_targetILNS1_3genE2ELNS1_11target_archE906ELNS1_3gpuE6ELNS1_3repE0EEENS1_30default_config_static_selectorELNS0_4arch9wavefront6targetE0EEEvS14_,@function
_ZN7rocprim17ROCPRIM_400000_NS6detail17trampoline_kernelINS0_14default_configENS1_22reduce_config_selectorIN6thrust23THRUST_200600_302600_NS5tupleIblNS6_9null_typeES8_S8_S8_S8_S8_S8_S8_EEEEZNS1_11reduce_implILb1ES3_NS6_12zip_iteratorINS7_INS6_11hip_rocprim26transform_input_iterator_tIbNSD_35transform_pair_of_input_iterators_tIbNS6_6detail15normal_iteratorINS6_10device_ptrIKyEEEESL_NS6_8equal_toIyEEEENSG_9not_fun_tINSD_8identityEEEEENSD_19counting_iterator_tIlEES8_S8_S8_S8_S8_S8_S8_S8_EEEEPS9_S9_NSD_9__find_if7functorIS9_EEEE10hipError_tPvRmT1_T2_T3_mT4_P12ihipStream_tbEUlT_E0_NS1_11comp_targetILNS1_3genE2ELNS1_11target_archE906ELNS1_3gpuE6ELNS1_3repE0EEENS1_30default_config_static_selectorELNS0_4arch9wavefront6targetE0EEEvS14_: ; @_ZN7rocprim17ROCPRIM_400000_NS6detail17trampoline_kernelINS0_14default_configENS1_22reduce_config_selectorIN6thrust23THRUST_200600_302600_NS5tupleIblNS6_9null_typeES8_S8_S8_S8_S8_S8_S8_EEEEZNS1_11reduce_implILb1ES3_NS6_12zip_iteratorINS7_INS6_11hip_rocprim26transform_input_iterator_tIbNSD_35transform_pair_of_input_iterators_tIbNS6_6detail15normal_iteratorINS6_10device_ptrIKyEEEESL_NS6_8equal_toIyEEEENSG_9not_fun_tINSD_8identityEEEEENSD_19counting_iterator_tIlEES8_S8_S8_S8_S8_S8_S8_S8_EEEEPS9_S9_NSD_9__find_if7functorIS9_EEEE10hipError_tPvRmT1_T2_T3_mT4_P12ihipStream_tbEUlT_E0_NS1_11comp_targetILNS1_3genE2ELNS1_11target_archE906ELNS1_3gpuE6ELNS1_3repE0EEENS1_30default_config_static_selectorELNS0_4arch9wavefront6targetE0EEEvS14_
; %bb.0:
	.section	.rodata,"a",@progbits
	.p2align	6, 0x0
	.amdhsa_kernel _ZN7rocprim17ROCPRIM_400000_NS6detail17trampoline_kernelINS0_14default_configENS1_22reduce_config_selectorIN6thrust23THRUST_200600_302600_NS5tupleIblNS6_9null_typeES8_S8_S8_S8_S8_S8_S8_EEEEZNS1_11reduce_implILb1ES3_NS6_12zip_iteratorINS7_INS6_11hip_rocprim26transform_input_iterator_tIbNSD_35transform_pair_of_input_iterators_tIbNS6_6detail15normal_iteratorINS6_10device_ptrIKyEEEESL_NS6_8equal_toIyEEEENSG_9not_fun_tINSD_8identityEEEEENSD_19counting_iterator_tIlEES8_S8_S8_S8_S8_S8_S8_S8_EEEEPS9_S9_NSD_9__find_if7functorIS9_EEEE10hipError_tPvRmT1_T2_T3_mT4_P12ihipStream_tbEUlT_E0_NS1_11comp_targetILNS1_3genE2ELNS1_11target_archE906ELNS1_3gpuE6ELNS1_3repE0EEENS1_30default_config_static_selectorELNS0_4arch9wavefront6targetE0EEEvS14_
		.amdhsa_group_segment_fixed_size 0
		.amdhsa_private_segment_fixed_size 0
		.amdhsa_kernarg_size 104
		.amdhsa_user_sgpr_count 15
		.amdhsa_user_sgpr_dispatch_ptr 0
		.amdhsa_user_sgpr_queue_ptr 0
		.amdhsa_user_sgpr_kernarg_segment_ptr 1
		.amdhsa_user_sgpr_dispatch_id 0
		.amdhsa_user_sgpr_private_segment_size 0
		.amdhsa_wavefront_size32 1
		.amdhsa_uses_dynamic_stack 0
		.amdhsa_enable_private_segment 0
		.amdhsa_system_sgpr_workgroup_id_x 1
		.amdhsa_system_sgpr_workgroup_id_y 0
		.amdhsa_system_sgpr_workgroup_id_z 0
		.amdhsa_system_sgpr_workgroup_info 0
		.amdhsa_system_vgpr_workitem_id 0
		.amdhsa_next_free_vgpr 1
		.amdhsa_next_free_sgpr 1
		.amdhsa_reserve_vcc 0
		.amdhsa_float_round_mode_32 0
		.amdhsa_float_round_mode_16_64 0
		.amdhsa_float_denorm_mode_32 3
		.amdhsa_float_denorm_mode_16_64 3
		.amdhsa_dx10_clamp 1
		.amdhsa_ieee_mode 1
		.amdhsa_fp16_overflow 0
		.amdhsa_workgroup_processor_mode 1
		.amdhsa_memory_ordered 1
		.amdhsa_forward_progress 0
		.amdhsa_shared_vgpr_count 0
		.amdhsa_exception_fp_ieee_invalid_op 0
		.amdhsa_exception_fp_denorm_src 0
		.amdhsa_exception_fp_ieee_div_zero 0
		.amdhsa_exception_fp_ieee_overflow 0
		.amdhsa_exception_fp_ieee_underflow 0
		.amdhsa_exception_fp_ieee_inexact 0
		.amdhsa_exception_int_div_zero 0
	.end_amdhsa_kernel
	.section	.text._ZN7rocprim17ROCPRIM_400000_NS6detail17trampoline_kernelINS0_14default_configENS1_22reduce_config_selectorIN6thrust23THRUST_200600_302600_NS5tupleIblNS6_9null_typeES8_S8_S8_S8_S8_S8_S8_EEEEZNS1_11reduce_implILb1ES3_NS6_12zip_iteratorINS7_INS6_11hip_rocprim26transform_input_iterator_tIbNSD_35transform_pair_of_input_iterators_tIbNS6_6detail15normal_iteratorINS6_10device_ptrIKyEEEESL_NS6_8equal_toIyEEEENSG_9not_fun_tINSD_8identityEEEEENSD_19counting_iterator_tIlEES8_S8_S8_S8_S8_S8_S8_S8_EEEEPS9_S9_NSD_9__find_if7functorIS9_EEEE10hipError_tPvRmT1_T2_T3_mT4_P12ihipStream_tbEUlT_E0_NS1_11comp_targetILNS1_3genE2ELNS1_11target_archE906ELNS1_3gpuE6ELNS1_3repE0EEENS1_30default_config_static_selectorELNS0_4arch9wavefront6targetE0EEEvS14_,"axG",@progbits,_ZN7rocprim17ROCPRIM_400000_NS6detail17trampoline_kernelINS0_14default_configENS1_22reduce_config_selectorIN6thrust23THRUST_200600_302600_NS5tupleIblNS6_9null_typeES8_S8_S8_S8_S8_S8_S8_EEEEZNS1_11reduce_implILb1ES3_NS6_12zip_iteratorINS7_INS6_11hip_rocprim26transform_input_iterator_tIbNSD_35transform_pair_of_input_iterators_tIbNS6_6detail15normal_iteratorINS6_10device_ptrIKyEEEESL_NS6_8equal_toIyEEEENSG_9not_fun_tINSD_8identityEEEEENSD_19counting_iterator_tIlEES8_S8_S8_S8_S8_S8_S8_S8_EEEEPS9_S9_NSD_9__find_if7functorIS9_EEEE10hipError_tPvRmT1_T2_T3_mT4_P12ihipStream_tbEUlT_E0_NS1_11comp_targetILNS1_3genE2ELNS1_11target_archE906ELNS1_3gpuE6ELNS1_3repE0EEENS1_30default_config_static_selectorELNS0_4arch9wavefront6targetE0EEEvS14_,comdat
.Lfunc_end796:
	.size	_ZN7rocprim17ROCPRIM_400000_NS6detail17trampoline_kernelINS0_14default_configENS1_22reduce_config_selectorIN6thrust23THRUST_200600_302600_NS5tupleIblNS6_9null_typeES8_S8_S8_S8_S8_S8_S8_EEEEZNS1_11reduce_implILb1ES3_NS6_12zip_iteratorINS7_INS6_11hip_rocprim26transform_input_iterator_tIbNSD_35transform_pair_of_input_iterators_tIbNS6_6detail15normal_iteratorINS6_10device_ptrIKyEEEESL_NS6_8equal_toIyEEEENSG_9not_fun_tINSD_8identityEEEEENSD_19counting_iterator_tIlEES8_S8_S8_S8_S8_S8_S8_S8_EEEEPS9_S9_NSD_9__find_if7functorIS9_EEEE10hipError_tPvRmT1_T2_T3_mT4_P12ihipStream_tbEUlT_E0_NS1_11comp_targetILNS1_3genE2ELNS1_11target_archE906ELNS1_3gpuE6ELNS1_3repE0EEENS1_30default_config_static_selectorELNS0_4arch9wavefront6targetE0EEEvS14_, .Lfunc_end796-_ZN7rocprim17ROCPRIM_400000_NS6detail17trampoline_kernelINS0_14default_configENS1_22reduce_config_selectorIN6thrust23THRUST_200600_302600_NS5tupleIblNS6_9null_typeES8_S8_S8_S8_S8_S8_S8_EEEEZNS1_11reduce_implILb1ES3_NS6_12zip_iteratorINS7_INS6_11hip_rocprim26transform_input_iterator_tIbNSD_35transform_pair_of_input_iterators_tIbNS6_6detail15normal_iteratorINS6_10device_ptrIKyEEEESL_NS6_8equal_toIyEEEENSG_9not_fun_tINSD_8identityEEEEENSD_19counting_iterator_tIlEES8_S8_S8_S8_S8_S8_S8_S8_EEEEPS9_S9_NSD_9__find_if7functorIS9_EEEE10hipError_tPvRmT1_T2_T3_mT4_P12ihipStream_tbEUlT_E0_NS1_11comp_targetILNS1_3genE2ELNS1_11target_archE906ELNS1_3gpuE6ELNS1_3repE0EEENS1_30default_config_static_selectorELNS0_4arch9wavefront6targetE0EEEvS14_
                                        ; -- End function
	.section	.AMDGPU.csdata,"",@progbits
; Kernel info:
; codeLenInByte = 0
; NumSgprs: 0
; NumVgprs: 0
; ScratchSize: 0
; MemoryBound: 0
; FloatMode: 240
; IeeeMode: 1
; LDSByteSize: 0 bytes/workgroup (compile time only)
; SGPRBlocks: 0
; VGPRBlocks: 0
; NumSGPRsForWavesPerEU: 1
; NumVGPRsForWavesPerEU: 1
; Occupancy: 16
; WaveLimiterHint : 0
; COMPUTE_PGM_RSRC2:SCRATCH_EN: 0
; COMPUTE_PGM_RSRC2:USER_SGPR: 15
; COMPUTE_PGM_RSRC2:TRAP_HANDLER: 0
; COMPUTE_PGM_RSRC2:TGID_X_EN: 1
; COMPUTE_PGM_RSRC2:TGID_Y_EN: 0
; COMPUTE_PGM_RSRC2:TGID_Z_EN: 0
; COMPUTE_PGM_RSRC2:TIDIG_COMP_CNT: 0
	.section	.text._ZN7rocprim17ROCPRIM_400000_NS6detail17trampoline_kernelINS0_14default_configENS1_22reduce_config_selectorIN6thrust23THRUST_200600_302600_NS5tupleIblNS6_9null_typeES8_S8_S8_S8_S8_S8_S8_EEEEZNS1_11reduce_implILb1ES3_NS6_12zip_iteratorINS7_INS6_11hip_rocprim26transform_input_iterator_tIbNSD_35transform_pair_of_input_iterators_tIbNS6_6detail15normal_iteratorINS6_10device_ptrIKyEEEESL_NS6_8equal_toIyEEEENSG_9not_fun_tINSD_8identityEEEEENSD_19counting_iterator_tIlEES8_S8_S8_S8_S8_S8_S8_S8_EEEEPS9_S9_NSD_9__find_if7functorIS9_EEEE10hipError_tPvRmT1_T2_T3_mT4_P12ihipStream_tbEUlT_E0_NS1_11comp_targetILNS1_3genE10ELNS1_11target_archE1201ELNS1_3gpuE5ELNS1_3repE0EEENS1_30default_config_static_selectorELNS0_4arch9wavefront6targetE0EEEvS14_,"axG",@progbits,_ZN7rocprim17ROCPRIM_400000_NS6detail17trampoline_kernelINS0_14default_configENS1_22reduce_config_selectorIN6thrust23THRUST_200600_302600_NS5tupleIblNS6_9null_typeES8_S8_S8_S8_S8_S8_S8_EEEEZNS1_11reduce_implILb1ES3_NS6_12zip_iteratorINS7_INS6_11hip_rocprim26transform_input_iterator_tIbNSD_35transform_pair_of_input_iterators_tIbNS6_6detail15normal_iteratorINS6_10device_ptrIKyEEEESL_NS6_8equal_toIyEEEENSG_9not_fun_tINSD_8identityEEEEENSD_19counting_iterator_tIlEES8_S8_S8_S8_S8_S8_S8_S8_EEEEPS9_S9_NSD_9__find_if7functorIS9_EEEE10hipError_tPvRmT1_T2_T3_mT4_P12ihipStream_tbEUlT_E0_NS1_11comp_targetILNS1_3genE10ELNS1_11target_archE1201ELNS1_3gpuE5ELNS1_3repE0EEENS1_30default_config_static_selectorELNS0_4arch9wavefront6targetE0EEEvS14_,comdat
	.protected	_ZN7rocprim17ROCPRIM_400000_NS6detail17trampoline_kernelINS0_14default_configENS1_22reduce_config_selectorIN6thrust23THRUST_200600_302600_NS5tupleIblNS6_9null_typeES8_S8_S8_S8_S8_S8_S8_EEEEZNS1_11reduce_implILb1ES3_NS6_12zip_iteratorINS7_INS6_11hip_rocprim26transform_input_iterator_tIbNSD_35transform_pair_of_input_iterators_tIbNS6_6detail15normal_iteratorINS6_10device_ptrIKyEEEESL_NS6_8equal_toIyEEEENSG_9not_fun_tINSD_8identityEEEEENSD_19counting_iterator_tIlEES8_S8_S8_S8_S8_S8_S8_S8_EEEEPS9_S9_NSD_9__find_if7functorIS9_EEEE10hipError_tPvRmT1_T2_T3_mT4_P12ihipStream_tbEUlT_E0_NS1_11comp_targetILNS1_3genE10ELNS1_11target_archE1201ELNS1_3gpuE5ELNS1_3repE0EEENS1_30default_config_static_selectorELNS0_4arch9wavefront6targetE0EEEvS14_ ; -- Begin function _ZN7rocprim17ROCPRIM_400000_NS6detail17trampoline_kernelINS0_14default_configENS1_22reduce_config_selectorIN6thrust23THRUST_200600_302600_NS5tupleIblNS6_9null_typeES8_S8_S8_S8_S8_S8_S8_EEEEZNS1_11reduce_implILb1ES3_NS6_12zip_iteratorINS7_INS6_11hip_rocprim26transform_input_iterator_tIbNSD_35transform_pair_of_input_iterators_tIbNS6_6detail15normal_iteratorINS6_10device_ptrIKyEEEESL_NS6_8equal_toIyEEEENSG_9not_fun_tINSD_8identityEEEEENSD_19counting_iterator_tIlEES8_S8_S8_S8_S8_S8_S8_S8_EEEEPS9_S9_NSD_9__find_if7functorIS9_EEEE10hipError_tPvRmT1_T2_T3_mT4_P12ihipStream_tbEUlT_E0_NS1_11comp_targetILNS1_3genE10ELNS1_11target_archE1201ELNS1_3gpuE5ELNS1_3repE0EEENS1_30default_config_static_selectorELNS0_4arch9wavefront6targetE0EEEvS14_
	.globl	_ZN7rocprim17ROCPRIM_400000_NS6detail17trampoline_kernelINS0_14default_configENS1_22reduce_config_selectorIN6thrust23THRUST_200600_302600_NS5tupleIblNS6_9null_typeES8_S8_S8_S8_S8_S8_S8_EEEEZNS1_11reduce_implILb1ES3_NS6_12zip_iteratorINS7_INS6_11hip_rocprim26transform_input_iterator_tIbNSD_35transform_pair_of_input_iterators_tIbNS6_6detail15normal_iteratorINS6_10device_ptrIKyEEEESL_NS6_8equal_toIyEEEENSG_9not_fun_tINSD_8identityEEEEENSD_19counting_iterator_tIlEES8_S8_S8_S8_S8_S8_S8_S8_EEEEPS9_S9_NSD_9__find_if7functorIS9_EEEE10hipError_tPvRmT1_T2_T3_mT4_P12ihipStream_tbEUlT_E0_NS1_11comp_targetILNS1_3genE10ELNS1_11target_archE1201ELNS1_3gpuE5ELNS1_3repE0EEENS1_30default_config_static_selectorELNS0_4arch9wavefront6targetE0EEEvS14_
	.p2align	8
	.type	_ZN7rocprim17ROCPRIM_400000_NS6detail17trampoline_kernelINS0_14default_configENS1_22reduce_config_selectorIN6thrust23THRUST_200600_302600_NS5tupleIblNS6_9null_typeES8_S8_S8_S8_S8_S8_S8_EEEEZNS1_11reduce_implILb1ES3_NS6_12zip_iteratorINS7_INS6_11hip_rocprim26transform_input_iterator_tIbNSD_35transform_pair_of_input_iterators_tIbNS6_6detail15normal_iteratorINS6_10device_ptrIKyEEEESL_NS6_8equal_toIyEEEENSG_9not_fun_tINSD_8identityEEEEENSD_19counting_iterator_tIlEES8_S8_S8_S8_S8_S8_S8_S8_EEEEPS9_S9_NSD_9__find_if7functorIS9_EEEE10hipError_tPvRmT1_T2_T3_mT4_P12ihipStream_tbEUlT_E0_NS1_11comp_targetILNS1_3genE10ELNS1_11target_archE1201ELNS1_3gpuE5ELNS1_3repE0EEENS1_30default_config_static_selectorELNS0_4arch9wavefront6targetE0EEEvS14_,@function
_ZN7rocprim17ROCPRIM_400000_NS6detail17trampoline_kernelINS0_14default_configENS1_22reduce_config_selectorIN6thrust23THRUST_200600_302600_NS5tupleIblNS6_9null_typeES8_S8_S8_S8_S8_S8_S8_EEEEZNS1_11reduce_implILb1ES3_NS6_12zip_iteratorINS7_INS6_11hip_rocprim26transform_input_iterator_tIbNSD_35transform_pair_of_input_iterators_tIbNS6_6detail15normal_iteratorINS6_10device_ptrIKyEEEESL_NS6_8equal_toIyEEEENSG_9not_fun_tINSD_8identityEEEEENSD_19counting_iterator_tIlEES8_S8_S8_S8_S8_S8_S8_S8_EEEEPS9_S9_NSD_9__find_if7functorIS9_EEEE10hipError_tPvRmT1_T2_T3_mT4_P12ihipStream_tbEUlT_E0_NS1_11comp_targetILNS1_3genE10ELNS1_11target_archE1201ELNS1_3gpuE5ELNS1_3repE0EEENS1_30default_config_static_selectorELNS0_4arch9wavefront6targetE0EEEvS14_: ; @_ZN7rocprim17ROCPRIM_400000_NS6detail17trampoline_kernelINS0_14default_configENS1_22reduce_config_selectorIN6thrust23THRUST_200600_302600_NS5tupleIblNS6_9null_typeES8_S8_S8_S8_S8_S8_S8_EEEEZNS1_11reduce_implILb1ES3_NS6_12zip_iteratorINS7_INS6_11hip_rocprim26transform_input_iterator_tIbNSD_35transform_pair_of_input_iterators_tIbNS6_6detail15normal_iteratorINS6_10device_ptrIKyEEEESL_NS6_8equal_toIyEEEENSG_9not_fun_tINSD_8identityEEEEENSD_19counting_iterator_tIlEES8_S8_S8_S8_S8_S8_S8_S8_EEEEPS9_S9_NSD_9__find_if7functorIS9_EEEE10hipError_tPvRmT1_T2_T3_mT4_P12ihipStream_tbEUlT_E0_NS1_11comp_targetILNS1_3genE10ELNS1_11target_archE1201ELNS1_3gpuE5ELNS1_3repE0EEENS1_30default_config_static_selectorELNS0_4arch9wavefront6targetE0EEEvS14_
; %bb.0:
	.section	.rodata,"a",@progbits
	.p2align	6, 0x0
	.amdhsa_kernel _ZN7rocprim17ROCPRIM_400000_NS6detail17trampoline_kernelINS0_14default_configENS1_22reduce_config_selectorIN6thrust23THRUST_200600_302600_NS5tupleIblNS6_9null_typeES8_S8_S8_S8_S8_S8_S8_EEEEZNS1_11reduce_implILb1ES3_NS6_12zip_iteratorINS7_INS6_11hip_rocprim26transform_input_iterator_tIbNSD_35transform_pair_of_input_iterators_tIbNS6_6detail15normal_iteratorINS6_10device_ptrIKyEEEESL_NS6_8equal_toIyEEEENSG_9not_fun_tINSD_8identityEEEEENSD_19counting_iterator_tIlEES8_S8_S8_S8_S8_S8_S8_S8_EEEEPS9_S9_NSD_9__find_if7functorIS9_EEEE10hipError_tPvRmT1_T2_T3_mT4_P12ihipStream_tbEUlT_E0_NS1_11comp_targetILNS1_3genE10ELNS1_11target_archE1201ELNS1_3gpuE5ELNS1_3repE0EEENS1_30default_config_static_selectorELNS0_4arch9wavefront6targetE0EEEvS14_
		.amdhsa_group_segment_fixed_size 0
		.amdhsa_private_segment_fixed_size 0
		.amdhsa_kernarg_size 104
		.amdhsa_user_sgpr_count 15
		.amdhsa_user_sgpr_dispatch_ptr 0
		.amdhsa_user_sgpr_queue_ptr 0
		.amdhsa_user_sgpr_kernarg_segment_ptr 1
		.amdhsa_user_sgpr_dispatch_id 0
		.amdhsa_user_sgpr_private_segment_size 0
		.amdhsa_wavefront_size32 1
		.amdhsa_uses_dynamic_stack 0
		.amdhsa_enable_private_segment 0
		.amdhsa_system_sgpr_workgroup_id_x 1
		.amdhsa_system_sgpr_workgroup_id_y 0
		.amdhsa_system_sgpr_workgroup_id_z 0
		.amdhsa_system_sgpr_workgroup_info 0
		.amdhsa_system_vgpr_workitem_id 0
		.amdhsa_next_free_vgpr 1
		.amdhsa_next_free_sgpr 1
		.amdhsa_reserve_vcc 0
		.amdhsa_float_round_mode_32 0
		.amdhsa_float_round_mode_16_64 0
		.amdhsa_float_denorm_mode_32 3
		.amdhsa_float_denorm_mode_16_64 3
		.amdhsa_dx10_clamp 1
		.amdhsa_ieee_mode 1
		.amdhsa_fp16_overflow 0
		.amdhsa_workgroup_processor_mode 1
		.amdhsa_memory_ordered 1
		.amdhsa_forward_progress 0
		.amdhsa_shared_vgpr_count 0
		.amdhsa_exception_fp_ieee_invalid_op 0
		.amdhsa_exception_fp_denorm_src 0
		.amdhsa_exception_fp_ieee_div_zero 0
		.amdhsa_exception_fp_ieee_overflow 0
		.amdhsa_exception_fp_ieee_underflow 0
		.amdhsa_exception_fp_ieee_inexact 0
		.amdhsa_exception_int_div_zero 0
	.end_amdhsa_kernel
	.section	.text._ZN7rocprim17ROCPRIM_400000_NS6detail17trampoline_kernelINS0_14default_configENS1_22reduce_config_selectorIN6thrust23THRUST_200600_302600_NS5tupleIblNS6_9null_typeES8_S8_S8_S8_S8_S8_S8_EEEEZNS1_11reduce_implILb1ES3_NS6_12zip_iteratorINS7_INS6_11hip_rocprim26transform_input_iterator_tIbNSD_35transform_pair_of_input_iterators_tIbNS6_6detail15normal_iteratorINS6_10device_ptrIKyEEEESL_NS6_8equal_toIyEEEENSG_9not_fun_tINSD_8identityEEEEENSD_19counting_iterator_tIlEES8_S8_S8_S8_S8_S8_S8_S8_EEEEPS9_S9_NSD_9__find_if7functorIS9_EEEE10hipError_tPvRmT1_T2_T3_mT4_P12ihipStream_tbEUlT_E0_NS1_11comp_targetILNS1_3genE10ELNS1_11target_archE1201ELNS1_3gpuE5ELNS1_3repE0EEENS1_30default_config_static_selectorELNS0_4arch9wavefront6targetE0EEEvS14_,"axG",@progbits,_ZN7rocprim17ROCPRIM_400000_NS6detail17trampoline_kernelINS0_14default_configENS1_22reduce_config_selectorIN6thrust23THRUST_200600_302600_NS5tupleIblNS6_9null_typeES8_S8_S8_S8_S8_S8_S8_EEEEZNS1_11reduce_implILb1ES3_NS6_12zip_iteratorINS7_INS6_11hip_rocprim26transform_input_iterator_tIbNSD_35transform_pair_of_input_iterators_tIbNS6_6detail15normal_iteratorINS6_10device_ptrIKyEEEESL_NS6_8equal_toIyEEEENSG_9not_fun_tINSD_8identityEEEEENSD_19counting_iterator_tIlEES8_S8_S8_S8_S8_S8_S8_S8_EEEEPS9_S9_NSD_9__find_if7functorIS9_EEEE10hipError_tPvRmT1_T2_T3_mT4_P12ihipStream_tbEUlT_E0_NS1_11comp_targetILNS1_3genE10ELNS1_11target_archE1201ELNS1_3gpuE5ELNS1_3repE0EEENS1_30default_config_static_selectorELNS0_4arch9wavefront6targetE0EEEvS14_,comdat
.Lfunc_end797:
	.size	_ZN7rocprim17ROCPRIM_400000_NS6detail17trampoline_kernelINS0_14default_configENS1_22reduce_config_selectorIN6thrust23THRUST_200600_302600_NS5tupleIblNS6_9null_typeES8_S8_S8_S8_S8_S8_S8_EEEEZNS1_11reduce_implILb1ES3_NS6_12zip_iteratorINS7_INS6_11hip_rocprim26transform_input_iterator_tIbNSD_35transform_pair_of_input_iterators_tIbNS6_6detail15normal_iteratorINS6_10device_ptrIKyEEEESL_NS6_8equal_toIyEEEENSG_9not_fun_tINSD_8identityEEEEENSD_19counting_iterator_tIlEES8_S8_S8_S8_S8_S8_S8_S8_EEEEPS9_S9_NSD_9__find_if7functorIS9_EEEE10hipError_tPvRmT1_T2_T3_mT4_P12ihipStream_tbEUlT_E0_NS1_11comp_targetILNS1_3genE10ELNS1_11target_archE1201ELNS1_3gpuE5ELNS1_3repE0EEENS1_30default_config_static_selectorELNS0_4arch9wavefront6targetE0EEEvS14_, .Lfunc_end797-_ZN7rocprim17ROCPRIM_400000_NS6detail17trampoline_kernelINS0_14default_configENS1_22reduce_config_selectorIN6thrust23THRUST_200600_302600_NS5tupleIblNS6_9null_typeES8_S8_S8_S8_S8_S8_S8_EEEEZNS1_11reduce_implILb1ES3_NS6_12zip_iteratorINS7_INS6_11hip_rocprim26transform_input_iterator_tIbNSD_35transform_pair_of_input_iterators_tIbNS6_6detail15normal_iteratorINS6_10device_ptrIKyEEEESL_NS6_8equal_toIyEEEENSG_9not_fun_tINSD_8identityEEEEENSD_19counting_iterator_tIlEES8_S8_S8_S8_S8_S8_S8_S8_EEEEPS9_S9_NSD_9__find_if7functorIS9_EEEE10hipError_tPvRmT1_T2_T3_mT4_P12ihipStream_tbEUlT_E0_NS1_11comp_targetILNS1_3genE10ELNS1_11target_archE1201ELNS1_3gpuE5ELNS1_3repE0EEENS1_30default_config_static_selectorELNS0_4arch9wavefront6targetE0EEEvS14_
                                        ; -- End function
	.section	.AMDGPU.csdata,"",@progbits
; Kernel info:
; codeLenInByte = 0
; NumSgprs: 0
; NumVgprs: 0
; ScratchSize: 0
; MemoryBound: 0
; FloatMode: 240
; IeeeMode: 1
; LDSByteSize: 0 bytes/workgroup (compile time only)
; SGPRBlocks: 0
; VGPRBlocks: 0
; NumSGPRsForWavesPerEU: 1
; NumVGPRsForWavesPerEU: 1
; Occupancy: 16
; WaveLimiterHint : 0
; COMPUTE_PGM_RSRC2:SCRATCH_EN: 0
; COMPUTE_PGM_RSRC2:USER_SGPR: 15
; COMPUTE_PGM_RSRC2:TRAP_HANDLER: 0
; COMPUTE_PGM_RSRC2:TGID_X_EN: 1
; COMPUTE_PGM_RSRC2:TGID_Y_EN: 0
; COMPUTE_PGM_RSRC2:TGID_Z_EN: 0
; COMPUTE_PGM_RSRC2:TIDIG_COMP_CNT: 0
	.section	.text._ZN7rocprim17ROCPRIM_400000_NS6detail17trampoline_kernelINS0_14default_configENS1_22reduce_config_selectorIN6thrust23THRUST_200600_302600_NS5tupleIblNS6_9null_typeES8_S8_S8_S8_S8_S8_S8_EEEEZNS1_11reduce_implILb1ES3_NS6_12zip_iteratorINS7_INS6_11hip_rocprim26transform_input_iterator_tIbNSD_35transform_pair_of_input_iterators_tIbNS6_6detail15normal_iteratorINS6_10device_ptrIKyEEEESL_NS6_8equal_toIyEEEENSG_9not_fun_tINSD_8identityEEEEENSD_19counting_iterator_tIlEES8_S8_S8_S8_S8_S8_S8_S8_EEEEPS9_S9_NSD_9__find_if7functorIS9_EEEE10hipError_tPvRmT1_T2_T3_mT4_P12ihipStream_tbEUlT_E0_NS1_11comp_targetILNS1_3genE10ELNS1_11target_archE1200ELNS1_3gpuE4ELNS1_3repE0EEENS1_30default_config_static_selectorELNS0_4arch9wavefront6targetE0EEEvS14_,"axG",@progbits,_ZN7rocprim17ROCPRIM_400000_NS6detail17trampoline_kernelINS0_14default_configENS1_22reduce_config_selectorIN6thrust23THRUST_200600_302600_NS5tupleIblNS6_9null_typeES8_S8_S8_S8_S8_S8_S8_EEEEZNS1_11reduce_implILb1ES3_NS6_12zip_iteratorINS7_INS6_11hip_rocprim26transform_input_iterator_tIbNSD_35transform_pair_of_input_iterators_tIbNS6_6detail15normal_iteratorINS6_10device_ptrIKyEEEESL_NS6_8equal_toIyEEEENSG_9not_fun_tINSD_8identityEEEEENSD_19counting_iterator_tIlEES8_S8_S8_S8_S8_S8_S8_S8_EEEEPS9_S9_NSD_9__find_if7functorIS9_EEEE10hipError_tPvRmT1_T2_T3_mT4_P12ihipStream_tbEUlT_E0_NS1_11comp_targetILNS1_3genE10ELNS1_11target_archE1200ELNS1_3gpuE4ELNS1_3repE0EEENS1_30default_config_static_selectorELNS0_4arch9wavefront6targetE0EEEvS14_,comdat
	.protected	_ZN7rocprim17ROCPRIM_400000_NS6detail17trampoline_kernelINS0_14default_configENS1_22reduce_config_selectorIN6thrust23THRUST_200600_302600_NS5tupleIblNS6_9null_typeES8_S8_S8_S8_S8_S8_S8_EEEEZNS1_11reduce_implILb1ES3_NS6_12zip_iteratorINS7_INS6_11hip_rocprim26transform_input_iterator_tIbNSD_35transform_pair_of_input_iterators_tIbNS6_6detail15normal_iteratorINS6_10device_ptrIKyEEEESL_NS6_8equal_toIyEEEENSG_9not_fun_tINSD_8identityEEEEENSD_19counting_iterator_tIlEES8_S8_S8_S8_S8_S8_S8_S8_EEEEPS9_S9_NSD_9__find_if7functorIS9_EEEE10hipError_tPvRmT1_T2_T3_mT4_P12ihipStream_tbEUlT_E0_NS1_11comp_targetILNS1_3genE10ELNS1_11target_archE1200ELNS1_3gpuE4ELNS1_3repE0EEENS1_30default_config_static_selectorELNS0_4arch9wavefront6targetE0EEEvS14_ ; -- Begin function _ZN7rocprim17ROCPRIM_400000_NS6detail17trampoline_kernelINS0_14default_configENS1_22reduce_config_selectorIN6thrust23THRUST_200600_302600_NS5tupleIblNS6_9null_typeES8_S8_S8_S8_S8_S8_S8_EEEEZNS1_11reduce_implILb1ES3_NS6_12zip_iteratorINS7_INS6_11hip_rocprim26transform_input_iterator_tIbNSD_35transform_pair_of_input_iterators_tIbNS6_6detail15normal_iteratorINS6_10device_ptrIKyEEEESL_NS6_8equal_toIyEEEENSG_9not_fun_tINSD_8identityEEEEENSD_19counting_iterator_tIlEES8_S8_S8_S8_S8_S8_S8_S8_EEEEPS9_S9_NSD_9__find_if7functorIS9_EEEE10hipError_tPvRmT1_T2_T3_mT4_P12ihipStream_tbEUlT_E0_NS1_11comp_targetILNS1_3genE10ELNS1_11target_archE1200ELNS1_3gpuE4ELNS1_3repE0EEENS1_30default_config_static_selectorELNS0_4arch9wavefront6targetE0EEEvS14_
	.globl	_ZN7rocprim17ROCPRIM_400000_NS6detail17trampoline_kernelINS0_14default_configENS1_22reduce_config_selectorIN6thrust23THRUST_200600_302600_NS5tupleIblNS6_9null_typeES8_S8_S8_S8_S8_S8_S8_EEEEZNS1_11reduce_implILb1ES3_NS6_12zip_iteratorINS7_INS6_11hip_rocprim26transform_input_iterator_tIbNSD_35transform_pair_of_input_iterators_tIbNS6_6detail15normal_iteratorINS6_10device_ptrIKyEEEESL_NS6_8equal_toIyEEEENSG_9not_fun_tINSD_8identityEEEEENSD_19counting_iterator_tIlEES8_S8_S8_S8_S8_S8_S8_S8_EEEEPS9_S9_NSD_9__find_if7functorIS9_EEEE10hipError_tPvRmT1_T2_T3_mT4_P12ihipStream_tbEUlT_E0_NS1_11comp_targetILNS1_3genE10ELNS1_11target_archE1200ELNS1_3gpuE4ELNS1_3repE0EEENS1_30default_config_static_selectorELNS0_4arch9wavefront6targetE0EEEvS14_
	.p2align	8
	.type	_ZN7rocprim17ROCPRIM_400000_NS6detail17trampoline_kernelINS0_14default_configENS1_22reduce_config_selectorIN6thrust23THRUST_200600_302600_NS5tupleIblNS6_9null_typeES8_S8_S8_S8_S8_S8_S8_EEEEZNS1_11reduce_implILb1ES3_NS6_12zip_iteratorINS7_INS6_11hip_rocprim26transform_input_iterator_tIbNSD_35transform_pair_of_input_iterators_tIbNS6_6detail15normal_iteratorINS6_10device_ptrIKyEEEESL_NS6_8equal_toIyEEEENSG_9not_fun_tINSD_8identityEEEEENSD_19counting_iterator_tIlEES8_S8_S8_S8_S8_S8_S8_S8_EEEEPS9_S9_NSD_9__find_if7functorIS9_EEEE10hipError_tPvRmT1_T2_T3_mT4_P12ihipStream_tbEUlT_E0_NS1_11comp_targetILNS1_3genE10ELNS1_11target_archE1200ELNS1_3gpuE4ELNS1_3repE0EEENS1_30default_config_static_selectorELNS0_4arch9wavefront6targetE0EEEvS14_,@function
_ZN7rocprim17ROCPRIM_400000_NS6detail17trampoline_kernelINS0_14default_configENS1_22reduce_config_selectorIN6thrust23THRUST_200600_302600_NS5tupleIblNS6_9null_typeES8_S8_S8_S8_S8_S8_S8_EEEEZNS1_11reduce_implILb1ES3_NS6_12zip_iteratorINS7_INS6_11hip_rocprim26transform_input_iterator_tIbNSD_35transform_pair_of_input_iterators_tIbNS6_6detail15normal_iteratorINS6_10device_ptrIKyEEEESL_NS6_8equal_toIyEEEENSG_9not_fun_tINSD_8identityEEEEENSD_19counting_iterator_tIlEES8_S8_S8_S8_S8_S8_S8_S8_EEEEPS9_S9_NSD_9__find_if7functorIS9_EEEE10hipError_tPvRmT1_T2_T3_mT4_P12ihipStream_tbEUlT_E0_NS1_11comp_targetILNS1_3genE10ELNS1_11target_archE1200ELNS1_3gpuE4ELNS1_3repE0EEENS1_30default_config_static_selectorELNS0_4arch9wavefront6targetE0EEEvS14_: ; @_ZN7rocprim17ROCPRIM_400000_NS6detail17trampoline_kernelINS0_14default_configENS1_22reduce_config_selectorIN6thrust23THRUST_200600_302600_NS5tupleIblNS6_9null_typeES8_S8_S8_S8_S8_S8_S8_EEEEZNS1_11reduce_implILb1ES3_NS6_12zip_iteratorINS7_INS6_11hip_rocprim26transform_input_iterator_tIbNSD_35transform_pair_of_input_iterators_tIbNS6_6detail15normal_iteratorINS6_10device_ptrIKyEEEESL_NS6_8equal_toIyEEEENSG_9not_fun_tINSD_8identityEEEEENSD_19counting_iterator_tIlEES8_S8_S8_S8_S8_S8_S8_S8_EEEEPS9_S9_NSD_9__find_if7functorIS9_EEEE10hipError_tPvRmT1_T2_T3_mT4_P12ihipStream_tbEUlT_E0_NS1_11comp_targetILNS1_3genE10ELNS1_11target_archE1200ELNS1_3gpuE4ELNS1_3repE0EEENS1_30default_config_static_selectorELNS0_4arch9wavefront6targetE0EEEvS14_
; %bb.0:
	.section	.rodata,"a",@progbits
	.p2align	6, 0x0
	.amdhsa_kernel _ZN7rocprim17ROCPRIM_400000_NS6detail17trampoline_kernelINS0_14default_configENS1_22reduce_config_selectorIN6thrust23THRUST_200600_302600_NS5tupleIblNS6_9null_typeES8_S8_S8_S8_S8_S8_S8_EEEEZNS1_11reduce_implILb1ES3_NS6_12zip_iteratorINS7_INS6_11hip_rocprim26transform_input_iterator_tIbNSD_35transform_pair_of_input_iterators_tIbNS6_6detail15normal_iteratorINS6_10device_ptrIKyEEEESL_NS6_8equal_toIyEEEENSG_9not_fun_tINSD_8identityEEEEENSD_19counting_iterator_tIlEES8_S8_S8_S8_S8_S8_S8_S8_EEEEPS9_S9_NSD_9__find_if7functorIS9_EEEE10hipError_tPvRmT1_T2_T3_mT4_P12ihipStream_tbEUlT_E0_NS1_11comp_targetILNS1_3genE10ELNS1_11target_archE1200ELNS1_3gpuE4ELNS1_3repE0EEENS1_30default_config_static_selectorELNS0_4arch9wavefront6targetE0EEEvS14_
		.amdhsa_group_segment_fixed_size 0
		.amdhsa_private_segment_fixed_size 0
		.amdhsa_kernarg_size 104
		.amdhsa_user_sgpr_count 15
		.amdhsa_user_sgpr_dispatch_ptr 0
		.amdhsa_user_sgpr_queue_ptr 0
		.amdhsa_user_sgpr_kernarg_segment_ptr 1
		.amdhsa_user_sgpr_dispatch_id 0
		.amdhsa_user_sgpr_private_segment_size 0
		.amdhsa_wavefront_size32 1
		.amdhsa_uses_dynamic_stack 0
		.amdhsa_enable_private_segment 0
		.amdhsa_system_sgpr_workgroup_id_x 1
		.amdhsa_system_sgpr_workgroup_id_y 0
		.amdhsa_system_sgpr_workgroup_id_z 0
		.amdhsa_system_sgpr_workgroup_info 0
		.amdhsa_system_vgpr_workitem_id 0
		.amdhsa_next_free_vgpr 1
		.amdhsa_next_free_sgpr 1
		.amdhsa_reserve_vcc 0
		.amdhsa_float_round_mode_32 0
		.amdhsa_float_round_mode_16_64 0
		.amdhsa_float_denorm_mode_32 3
		.amdhsa_float_denorm_mode_16_64 3
		.amdhsa_dx10_clamp 1
		.amdhsa_ieee_mode 1
		.amdhsa_fp16_overflow 0
		.amdhsa_workgroup_processor_mode 1
		.amdhsa_memory_ordered 1
		.amdhsa_forward_progress 0
		.amdhsa_shared_vgpr_count 0
		.amdhsa_exception_fp_ieee_invalid_op 0
		.amdhsa_exception_fp_denorm_src 0
		.amdhsa_exception_fp_ieee_div_zero 0
		.amdhsa_exception_fp_ieee_overflow 0
		.amdhsa_exception_fp_ieee_underflow 0
		.amdhsa_exception_fp_ieee_inexact 0
		.amdhsa_exception_int_div_zero 0
	.end_amdhsa_kernel
	.section	.text._ZN7rocprim17ROCPRIM_400000_NS6detail17trampoline_kernelINS0_14default_configENS1_22reduce_config_selectorIN6thrust23THRUST_200600_302600_NS5tupleIblNS6_9null_typeES8_S8_S8_S8_S8_S8_S8_EEEEZNS1_11reduce_implILb1ES3_NS6_12zip_iteratorINS7_INS6_11hip_rocprim26transform_input_iterator_tIbNSD_35transform_pair_of_input_iterators_tIbNS6_6detail15normal_iteratorINS6_10device_ptrIKyEEEESL_NS6_8equal_toIyEEEENSG_9not_fun_tINSD_8identityEEEEENSD_19counting_iterator_tIlEES8_S8_S8_S8_S8_S8_S8_S8_EEEEPS9_S9_NSD_9__find_if7functorIS9_EEEE10hipError_tPvRmT1_T2_T3_mT4_P12ihipStream_tbEUlT_E0_NS1_11comp_targetILNS1_3genE10ELNS1_11target_archE1200ELNS1_3gpuE4ELNS1_3repE0EEENS1_30default_config_static_selectorELNS0_4arch9wavefront6targetE0EEEvS14_,"axG",@progbits,_ZN7rocprim17ROCPRIM_400000_NS6detail17trampoline_kernelINS0_14default_configENS1_22reduce_config_selectorIN6thrust23THRUST_200600_302600_NS5tupleIblNS6_9null_typeES8_S8_S8_S8_S8_S8_S8_EEEEZNS1_11reduce_implILb1ES3_NS6_12zip_iteratorINS7_INS6_11hip_rocprim26transform_input_iterator_tIbNSD_35transform_pair_of_input_iterators_tIbNS6_6detail15normal_iteratorINS6_10device_ptrIKyEEEESL_NS6_8equal_toIyEEEENSG_9not_fun_tINSD_8identityEEEEENSD_19counting_iterator_tIlEES8_S8_S8_S8_S8_S8_S8_S8_EEEEPS9_S9_NSD_9__find_if7functorIS9_EEEE10hipError_tPvRmT1_T2_T3_mT4_P12ihipStream_tbEUlT_E0_NS1_11comp_targetILNS1_3genE10ELNS1_11target_archE1200ELNS1_3gpuE4ELNS1_3repE0EEENS1_30default_config_static_selectorELNS0_4arch9wavefront6targetE0EEEvS14_,comdat
.Lfunc_end798:
	.size	_ZN7rocprim17ROCPRIM_400000_NS6detail17trampoline_kernelINS0_14default_configENS1_22reduce_config_selectorIN6thrust23THRUST_200600_302600_NS5tupleIblNS6_9null_typeES8_S8_S8_S8_S8_S8_S8_EEEEZNS1_11reduce_implILb1ES3_NS6_12zip_iteratorINS7_INS6_11hip_rocprim26transform_input_iterator_tIbNSD_35transform_pair_of_input_iterators_tIbNS6_6detail15normal_iteratorINS6_10device_ptrIKyEEEESL_NS6_8equal_toIyEEEENSG_9not_fun_tINSD_8identityEEEEENSD_19counting_iterator_tIlEES8_S8_S8_S8_S8_S8_S8_S8_EEEEPS9_S9_NSD_9__find_if7functorIS9_EEEE10hipError_tPvRmT1_T2_T3_mT4_P12ihipStream_tbEUlT_E0_NS1_11comp_targetILNS1_3genE10ELNS1_11target_archE1200ELNS1_3gpuE4ELNS1_3repE0EEENS1_30default_config_static_selectorELNS0_4arch9wavefront6targetE0EEEvS14_, .Lfunc_end798-_ZN7rocprim17ROCPRIM_400000_NS6detail17trampoline_kernelINS0_14default_configENS1_22reduce_config_selectorIN6thrust23THRUST_200600_302600_NS5tupleIblNS6_9null_typeES8_S8_S8_S8_S8_S8_S8_EEEEZNS1_11reduce_implILb1ES3_NS6_12zip_iteratorINS7_INS6_11hip_rocprim26transform_input_iterator_tIbNSD_35transform_pair_of_input_iterators_tIbNS6_6detail15normal_iteratorINS6_10device_ptrIKyEEEESL_NS6_8equal_toIyEEEENSG_9not_fun_tINSD_8identityEEEEENSD_19counting_iterator_tIlEES8_S8_S8_S8_S8_S8_S8_S8_EEEEPS9_S9_NSD_9__find_if7functorIS9_EEEE10hipError_tPvRmT1_T2_T3_mT4_P12ihipStream_tbEUlT_E0_NS1_11comp_targetILNS1_3genE10ELNS1_11target_archE1200ELNS1_3gpuE4ELNS1_3repE0EEENS1_30default_config_static_selectorELNS0_4arch9wavefront6targetE0EEEvS14_
                                        ; -- End function
	.section	.AMDGPU.csdata,"",@progbits
; Kernel info:
; codeLenInByte = 0
; NumSgprs: 0
; NumVgprs: 0
; ScratchSize: 0
; MemoryBound: 0
; FloatMode: 240
; IeeeMode: 1
; LDSByteSize: 0 bytes/workgroup (compile time only)
; SGPRBlocks: 0
; VGPRBlocks: 0
; NumSGPRsForWavesPerEU: 1
; NumVGPRsForWavesPerEU: 1
; Occupancy: 16
; WaveLimiterHint : 0
; COMPUTE_PGM_RSRC2:SCRATCH_EN: 0
; COMPUTE_PGM_RSRC2:USER_SGPR: 15
; COMPUTE_PGM_RSRC2:TRAP_HANDLER: 0
; COMPUTE_PGM_RSRC2:TGID_X_EN: 1
; COMPUTE_PGM_RSRC2:TGID_Y_EN: 0
; COMPUTE_PGM_RSRC2:TGID_Z_EN: 0
; COMPUTE_PGM_RSRC2:TIDIG_COMP_CNT: 0
	.section	.text._ZN7rocprim17ROCPRIM_400000_NS6detail17trampoline_kernelINS0_14default_configENS1_22reduce_config_selectorIN6thrust23THRUST_200600_302600_NS5tupleIblNS6_9null_typeES8_S8_S8_S8_S8_S8_S8_EEEEZNS1_11reduce_implILb1ES3_NS6_12zip_iteratorINS7_INS6_11hip_rocprim26transform_input_iterator_tIbNSD_35transform_pair_of_input_iterators_tIbNS6_6detail15normal_iteratorINS6_10device_ptrIKyEEEESL_NS6_8equal_toIyEEEENSG_9not_fun_tINSD_8identityEEEEENSD_19counting_iterator_tIlEES8_S8_S8_S8_S8_S8_S8_S8_EEEEPS9_S9_NSD_9__find_if7functorIS9_EEEE10hipError_tPvRmT1_T2_T3_mT4_P12ihipStream_tbEUlT_E0_NS1_11comp_targetILNS1_3genE9ELNS1_11target_archE1100ELNS1_3gpuE3ELNS1_3repE0EEENS1_30default_config_static_selectorELNS0_4arch9wavefront6targetE0EEEvS14_,"axG",@progbits,_ZN7rocprim17ROCPRIM_400000_NS6detail17trampoline_kernelINS0_14default_configENS1_22reduce_config_selectorIN6thrust23THRUST_200600_302600_NS5tupleIblNS6_9null_typeES8_S8_S8_S8_S8_S8_S8_EEEEZNS1_11reduce_implILb1ES3_NS6_12zip_iteratorINS7_INS6_11hip_rocprim26transform_input_iterator_tIbNSD_35transform_pair_of_input_iterators_tIbNS6_6detail15normal_iteratorINS6_10device_ptrIKyEEEESL_NS6_8equal_toIyEEEENSG_9not_fun_tINSD_8identityEEEEENSD_19counting_iterator_tIlEES8_S8_S8_S8_S8_S8_S8_S8_EEEEPS9_S9_NSD_9__find_if7functorIS9_EEEE10hipError_tPvRmT1_T2_T3_mT4_P12ihipStream_tbEUlT_E0_NS1_11comp_targetILNS1_3genE9ELNS1_11target_archE1100ELNS1_3gpuE3ELNS1_3repE0EEENS1_30default_config_static_selectorELNS0_4arch9wavefront6targetE0EEEvS14_,comdat
	.protected	_ZN7rocprim17ROCPRIM_400000_NS6detail17trampoline_kernelINS0_14default_configENS1_22reduce_config_selectorIN6thrust23THRUST_200600_302600_NS5tupleIblNS6_9null_typeES8_S8_S8_S8_S8_S8_S8_EEEEZNS1_11reduce_implILb1ES3_NS6_12zip_iteratorINS7_INS6_11hip_rocprim26transform_input_iterator_tIbNSD_35transform_pair_of_input_iterators_tIbNS6_6detail15normal_iteratorINS6_10device_ptrIKyEEEESL_NS6_8equal_toIyEEEENSG_9not_fun_tINSD_8identityEEEEENSD_19counting_iterator_tIlEES8_S8_S8_S8_S8_S8_S8_S8_EEEEPS9_S9_NSD_9__find_if7functorIS9_EEEE10hipError_tPvRmT1_T2_T3_mT4_P12ihipStream_tbEUlT_E0_NS1_11comp_targetILNS1_3genE9ELNS1_11target_archE1100ELNS1_3gpuE3ELNS1_3repE0EEENS1_30default_config_static_selectorELNS0_4arch9wavefront6targetE0EEEvS14_ ; -- Begin function _ZN7rocprim17ROCPRIM_400000_NS6detail17trampoline_kernelINS0_14default_configENS1_22reduce_config_selectorIN6thrust23THRUST_200600_302600_NS5tupleIblNS6_9null_typeES8_S8_S8_S8_S8_S8_S8_EEEEZNS1_11reduce_implILb1ES3_NS6_12zip_iteratorINS7_INS6_11hip_rocprim26transform_input_iterator_tIbNSD_35transform_pair_of_input_iterators_tIbNS6_6detail15normal_iteratorINS6_10device_ptrIKyEEEESL_NS6_8equal_toIyEEEENSG_9not_fun_tINSD_8identityEEEEENSD_19counting_iterator_tIlEES8_S8_S8_S8_S8_S8_S8_S8_EEEEPS9_S9_NSD_9__find_if7functorIS9_EEEE10hipError_tPvRmT1_T2_T3_mT4_P12ihipStream_tbEUlT_E0_NS1_11comp_targetILNS1_3genE9ELNS1_11target_archE1100ELNS1_3gpuE3ELNS1_3repE0EEENS1_30default_config_static_selectorELNS0_4arch9wavefront6targetE0EEEvS14_
	.globl	_ZN7rocprim17ROCPRIM_400000_NS6detail17trampoline_kernelINS0_14default_configENS1_22reduce_config_selectorIN6thrust23THRUST_200600_302600_NS5tupleIblNS6_9null_typeES8_S8_S8_S8_S8_S8_S8_EEEEZNS1_11reduce_implILb1ES3_NS6_12zip_iteratorINS7_INS6_11hip_rocprim26transform_input_iterator_tIbNSD_35transform_pair_of_input_iterators_tIbNS6_6detail15normal_iteratorINS6_10device_ptrIKyEEEESL_NS6_8equal_toIyEEEENSG_9not_fun_tINSD_8identityEEEEENSD_19counting_iterator_tIlEES8_S8_S8_S8_S8_S8_S8_S8_EEEEPS9_S9_NSD_9__find_if7functorIS9_EEEE10hipError_tPvRmT1_T2_T3_mT4_P12ihipStream_tbEUlT_E0_NS1_11comp_targetILNS1_3genE9ELNS1_11target_archE1100ELNS1_3gpuE3ELNS1_3repE0EEENS1_30default_config_static_selectorELNS0_4arch9wavefront6targetE0EEEvS14_
	.p2align	8
	.type	_ZN7rocprim17ROCPRIM_400000_NS6detail17trampoline_kernelINS0_14default_configENS1_22reduce_config_selectorIN6thrust23THRUST_200600_302600_NS5tupleIblNS6_9null_typeES8_S8_S8_S8_S8_S8_S8_EEEEZNS1_11reduce_implILb1ES3_NS6_12zip_iteratorINS7_INS6_11hip_rocprim26transform_input_iterator_tIbNSD_35transform_pair_of_input_iterators_tIbNS6_6detail15normal_iteratorINS6_10device_ptrIKyEEEESL_NS6_8equal_toIyEEEENSG_9not_fun_tINSD_8identityEEEEENSD_19counting_iterator_tIlEES8_S8_S8_S8_S8_S8_S8_S8_EEEEPS9_S9_NSD_9__find_if7functorIS9_EEEE10hipError_tPvRmT1_T2_T3_mT4_P12ihipStream_tbEUlT_E0_NS1_11comp_targetILNS1_3genE9ELNS1_11target_archE1100ELNS1_3gpuE3ELNS1_3repE0EEENS1_30default_config_static_selectorELNS0_4arch9wavefront6targetE0EEEvS14_,@function
_ZN7rocprim17ROCPRIM_400000_NS6detail17trampoline_kernelINS0_14default_configENS1_22reduce_config_selectorIN6thrust23THRUST_200600_302600_NS5tupleIblNS6_9null_typeES8_S8_S8_S8_S8_S8_S8_EEEEZNS1_11reduce_implILb1ES3_NS6_12zip_iteratorINS7_INS6_11hip_rocprim26transform_input_iterator_tIbNSD_35transform_pair_of_input_iterators_tIbNS6_6detail15normal_iteratorINS6_10device_ptrIKyEEEESL_NS6_8equal_toIyEEEENSG_9not_fun_tINSD_8identityEEEEENSD_19counting_iterator_tIlEES8_S8_S8_S8_S8_S8_S8_S8_EEEEPS9_S9_NSD_9__find_if7functorIS9_EEEE10hipError_tPvRmT1_T2_T3_mT4_P12ihipStream_tbEUlT_E0_NS1_11comp_targetILNS1_3genE9ELNS1_11target_archE1100ELNS1_3gpuE3ELNS1_3repE0EEENS1_30default_config_static_selectorELNS0_4arch9wavefront6targetE0EEEvS14_: ; @_ZN7rocprim17ROCPRIM_400000_NS6detail17trampoline_kernelINS0_14default_configENS1_22reduce_config_selectorIN6thrust23THRUST_200600_302600_NS5tupleIblNS6_9null_typeES8_S8_S8_S8_S8_S8_S8_EEEEZNS1_11reduce_implILb1ES3_NS6_12zip_iteratorINS7_INS6_11hip_rocprim26transform_input_iterator_tIbNSD_35transform_pair_of_input_iterators_tIbNS6_6detail15normal_iteratorINS6_10device_ptrIKyEEEESL_NS6_8equal_toIyEEEENSG_9not_fun_tINSD_8identityEEEEENSD_19counting_iterator_tIlEES8_S8_S8_S8_S8_S8_S8_S8_EEEEPS9_S9_NSD_9__find_if7functorIS9_EEEE10hipError_tPvRmT1_T2_T3_mT4_P12ihipStream_tbEUlT_E0_NS1_11comp_targetILNS1_3genE9ELNS1_11target_archE1100ELNS1_3gpuE3ELNS1_3repE0EEENS1_30default_config_static_selectorELNS0_4arch9wavefront6targetE0EEEvS14_
; %bb.0:
	s_clause 0x1
	s_load_b256 s[4:11], s[0:1], 0x20
	s_load_b128 s[24:27], s[0:1], 0x0
	s_mov_b32 s16, s15
	s_load_b128 s[12:15], s[0:1], 0x40
	s_mov_b32 s23, 0
	v_lshlrev_b32_e32 v7, 3, v0
	s_mov_b32 s17, s23
	s_waitcnt lgkmcnt(0)
	s_lshl_b64 s[2:3], s[6:7], 3
	s_delay_alu instid0(SALU_CYCLE_1)
	s_add_u32 s18, s24, s2
	s_addc_u32 s19, s25, s3
	s_add_u32 s20, s26, s2
	s_addc_u32 s21, s27, s3
	s_lshl_b32 s22, s16, 10
	s_lshr_b64 s[24:25], s[8:9], 10
	s_lshl_b64 s[2:3], s[22:23], 3
	s_delay_alu instid0(SALU_CYCLE_1)
	s_add_u32 s18, s18, s2
	s_addc_u32 s19, s19, s3
	s_add_u32 s20, s20, s2
	s_addc_u32 s21, s21, s3
	;; [unrolled: 2-line block ×4, first 2 shown]
	s_cmp_lg_u64 s[24:25], s[16:17]
	s_cbranch_scc0 .LBB799_16
; %bb.1:
	v_add_co_u32 v8, s2, s18, v7
	s_delay_alu instid0(VALU_DEP_1) | instskip(SKIP_1) | instid1(VALU_DEP_1)
	v_add_co_ci_u32_e64 v9, null, s19, 0, s2
	v_add_co_u32 v5, s2, s20, v7
	v_add_co_ci_u32_e64 v6, null, s21, 0, s2
	s_clause 0x1
	global_load_b64 v[1:2], v7, s[20:21] offset:2048
	global_load_b64 v[3:4], v7, s[18:19] offset:2048
	v_add_co_u32 v5, vcc_lo, 0x1000, v5
	v_add_co_ci_u32_e32 v6, vcc_lo, 0, v6, vcc_lo
	v_add_co_u32 v8, vcc_lo, 0x1000, v8
	v_add_co_ci_u32_e32 v9, vcc_lo, 0, v9, vcc_lo
	s_clause 0x1
	global_load_b64 v[10:11], v7, s[20:21]
	global_load_b64 v[12:13], v7, s[18:19]
	global_load_b64 v[14:15], v[5:6], off
	s_clause 0x1
	global_load_b64 v[16:17], v[8:9], off
	global_load_b64 v[8:9], v[8:9], off offset:2048
	global_load_b64 v[5:6], v[5:6], off offset:2048
	v_mov_b32_e32 v18, 0x100
	s_waitcnt vmcnt(6)
	v_cmp_ne_u64_e32 vcc_lo, v[3:4], v[1:2]
	s_waitcnt vmcnt(4)
	v_cmp_ne_u64_e64 s2, v[12:13], v[10:11]
	v_cndmask_b32_e32 v1, 0x200, v18, vcc_lo
	s_waitcnt vmcnt(2)
	v_cmp_ne_u64_e64 s3, v[16:17], v[14:15]
	s_waitcnt vmcnt(0)
	v_cmp_ne_u64_e64 s4, v[8:9], v[5:6]
	v_cndmask_b32_e64 v1, v1, 0, s2
	s_or_b32 s2, s2, vcc_lo
	s_delay_alu instid0(VALU_DEP_3) | instid1(SALU_CYCLE_1)
	s_or_b32 vcc_lo, s2, s3
	v_add_co_u32 v2, s2, s5, v0
	s_delay_alu instid0(VALU_DEP_3) | instskip(SKIP_3) | instid1(VALU_DEP_1)
	s_or_b32 s3, vcc_lo, s4
	v_add_co_ci_u32_e64 v3, null, s23, 0, s2
	v_cndmask_b32_e64 v5, 0, 1, s3
	s_mov_b32 s4, exec_lo
	v_mov_b32_dpp v6, v5 quad_perm:[1,0,3,2] row_mask:0xf bank_mask:0xf
	s_delay_alu instid0(VALU_DEP_1) | instskip(NEXT) | instid1(VALU_DEP_1)
	v_dual_cndmask_b32 v1, 0x300, v1 :: v_dual_and_b32 v8, 1, v6
	v_add_co_u32 v1, vcc_lo, v2, v1
	v_add_co_ci_u32_e32 v2, vcc_lo, 0, v3, vcc_lo
	s_delay_alu instid0(VALU_DEP_2) | instskip(NEXT) | instid1(VALU_DEP_2)
	v_mov_b32_dpp v3, v1 quad_perm:[1,0,3,2] row_mask:0xf bank_mask:0xf
	v_mov_b32_dpp v4, v2 quad_perm:[1,0,3,2] row_mask:0xf bank_mask:0xf
	v_cmpx_eq_u32_e32 1, v8
; %bb.2:
	v_cndmask_b32_e64 v5, v6, 1, s3
	s_delay_alu instid0(VALU_DEP_3) | instskip(NEXT) | instid1(VALU_DEP_2)
	v_cmp_lt_i64_e32 vcc_lo, v[1:2], v[3:4]
	v_and_b32_e32 v6, 1, v5
	v_and_b32_e32 v5, 0xff, v5
	s_and_b32 vcc_lo, s3, vcc_lo
	s_and_not1_b32 s3, s3, exec_lo
	v_dual_cndmask_b32 v2, v4, v2 :: v_dual_cndmask_b32 v1, v3, v1
	v_cmp_eq_u32_e64 s2, 1, v6
	s_delay_alu instid0(VALU_DEP_1) | instskip(NEXT) | instid1(SALU_CYCLE_1)
	s_and_b32 s2, s2, exec_lo
	s_or_b32 s3, s3, s2
; %bb.3:
	s_or_b32 exec_lo, exec_lo, s4
	v_mov_b32_dpp v6, v5 quad_perm:[2,3,0,1] row_mask:0xf bank_mask:0xf
	v_mov_b32_dpp v3, v1 quad_perm:[2,3,0,1] row_mask:0xf bank_mask:0xf
	;; [unrolled: 1-line block ×3, first 2 shown]
	s_mov_b32 s4, exec_lo
	s_delay_alu instid0(VALU_DEP_3) | instskip(NEXT) | instid1(VALU_DEP_1)
	v_and_b32_e32 v8, 1, v6
	v_cmpx_eq_u32_e32 1, v8
; %bb.4:
	v_cndmask_b32_e64 v5, v6, 1, s3
	v_cmp_lt_i64_e32 vcc_lo, v[1:2], v[3:4]
	s_delay_alu instid0(VALU_DEP_2)
	v_and_b32_e32 v6, 1, v5
	v_and_b32_e32 v5, 0xff, v5
	s_and_b32 vcc_lo, s3, vcc_lo
	s_and_not1_b32 s3, s3, exec_lo
	v_dual_cndmask_b32 v2, v4, v2 :: v_dual_cndmask_b32 v1, v3, v1
	v_cmp_eq_u32_e64 s2, 1, v6
	s_delay_alu instid0(VALU_DEP_1) | instskip(NEXT) | instid1(SALU_CYCLE_1)
	s_and_b32 s2, s2, exec_lo
	s_or_b32 s3, s3, s2
; %bb.5:
	s_or_b32 exec_lo, exec_lo, s4
	v_mov_b32_dpp v6, v5 row_ror:4 row_mask:0xf bank_mask:0xf
	v_mov_b32_dpp v3, v1 row_ror:4 row_mask:0xf bank_mask:0xf
	;; [unrolled: 1-line block ×3, first 2 shown]
	s_mov_b32 s4, exec_lo
	s_delay_alu instid0(VALU_DEP_3) | instskip(NEXT) | instid1(VALU_DEP_1)
	v_and_b32_e32 v8, 1, v6
	v_cmpx_eq_u32_e32 1, v8
; %bb.6:
	v_cndmask_b32_e64 v5, v6, 1, s3
	v_cmp_lt_i64_e32 vcc_lo, v[1:2], v[3:4]
	s_delay_alu instid0(VALU_DEP_2)
	v_and_b32_e32 v6, 1, v5
	v_and_b32_e32 v5, 0xff, v5
	s_and_b32 vcc_lo, s3, vcc_lo
	s_and_not1_b32 s3, s3, exec_lo
	v_dual_cndmask_b32 v2, v4, v2 :: v_dual_cndmask_b32 v1, v3, v1
	v_cmp_eq_u32_e64 s2, 1, v6
	s_delay_alu instid0(VALU_DEP_1) | instskip(NEXT) | instid1(SALU_CYCLE_1)
	s_and_b32 s2, s2, exec_lo
	s_or_b32 s3, s3, s2
; %bb.7:
	s_or_b32 exec_lo, exec_lo, s4
	v_mov_b32_dpp v6, v5 row_ror:8 row_mask:0xf bank_mask:0xf
	v_mov_b32_dpp v3, v1 row_ror:8 row_mask:0xf bank_mask:0xf
	;; [unrolled: 1-line block ×3, first 2 shown]
	s_mov_b32 s4, exec_lo
	s_delay_alu instid0(VALU_DEP_3) | instskip(NEXT) | instid1(VALU_DEP_1)
	v_and_b32_e32 v8, 1, v6
	v_cmpx_eq_u32_e32 1, v8
; %bb.8:
	v_cndmask_b32_e64 v5, v6, 1, s3
	v_cmp_lt_i64_e32 vcc_lo, v[1:2], v[3:4]
	s_delay_alu instid0(VALU_DEP_2)
	v_and_b32_e32 v6, 1, v5
	v_and_b32_e32 v5, 0xff, v5
	s_and_b32 vcc_lo, s3, vcc_lo
	s_and_not1_b32 s3, s3, exec_lo
	v_dual_cndmask_b32 v2, v4, v2 :: v_dual_cndmask_b32 v1, v3, v1
	v_cmp_eq_u32_e64 s2, 1, v6
	s_delay_alu instid0(VALU_DEP_1) | instskip(NEXT) | instid1(SALU_CYCLE_1)
	s_and_b32 s2, s2, exec_lo
	s_or_b32 s3, s3, s2
; %bb.9:
	s_or_b32 exec_lo, exec_lo, s4
	ds_swizzle_b32 v6, v5 offset:swizzle(BROADCAST,32,15)
	ds_swizzle_b32 v3, v1 offset:swizzle(BROADCAST,32,15)
	;; [unrolled: 1-line block ×3, first 2 shown]
	s_mov_b32 s2, exec_lo
	s_waitcnt lgkmcnt(2)
	v_and_b32_e32 v8, 1, v6
	s_delay_alu instid0(VALU_DEP_1)
	v_cmpx_eq_u32_e32 1, v8
	s_cbranch_execz .LBB799_11
; %bb.10:
	s_waitcnt lgkmcnt(0)
	v_cmp_lt_i64_e32 vcc_lo, v[1:2], v[3:4]
	v_and_b32_e32 v5, 0xff, v6
	s_delay_alu instid0(VALU_DEP_1)
	v_cndmask_b32_e64 v5, v5, 1, s3
	s_and_b32 vcc_lo, s3, vcc_lo
	v_dual_cndmask_b32 v1, v3, v1 :: v_dual_cndmask_b32 v2, v4, v2
.LBB799_11:
	s_or_b32 exec_lo, exec_lo, s2
	s_waitcnt lgkmcnt(1)
	v_mov_b32_e32 v3, 0
	s_mov_b32 s2, exec_lo
	ds_bpermute_b32 v6, v3, v5 offset:124
	ds_bpermute_b32 v1, v3, v1 offset:124
	;; [unrolled: 1-line block ×3, first 2 shown]
	v_mbcnt_lo_u32_b32 v3, -1, 0
	s_delay_alu instid0(VALU_DEP_1)
	v_cmpx_eq_u32_e32 0, v3
	s_cbranch_execz .LBB799_13
; %bb.12:
	s_waitcnt lgkmcnt(3)
	v_lshrrev_b32_e32 v4, 1, v0
	s_delay_alu instid0(VALU_DEP_1)
	v_and_b32_e32 v4, 0x70, v4
	s_waitcnt lgkmcnt(2)
	ds_store_b8 v4, v6
	s_waitcnt lgkmcnt(1)
	ds_store_b64 v4, v[1:2] offset:8
.LBB799_13:
	s_or_b32 exec_lo, exec_lo, s2
	s_delay_alu instid0(SALU_CYCLE_1)
	s_mov_b32 s4, exec_lo
	s_waitcnt lgkmcnt(0)
	s_barrier
	buffer_gl0_inv
	v_cmpx_gt_u32_e32 32, v0
	s_cbranch_execz .LBB799_15
; %bb.14:
	v_and_b32_e32 v6, 7, v3
	s_delay_alu instid0(VALU_DEP_1)
	v_lshlrev_b32_e32 v1, 4, v6
	v_cmp_ne_u32_e32 vcc_lo, 7, v6
	ds_load_u8 v8, v1
	ds_load_b64 v[1:2], v1 offset:8
	v_add_co_ci_u32_e32 v4, vcc_lo, 0, v3, vcc_lo
	v_cmp_gt_u32_e32 vcc_lo, 6, v6
	s_delay_alu instid0(VALU_DEP_2)
	v_lshlrev_b32_e32 v5, 2, v4
	v_cndmask_b32_e64 v11, 0, 1, vcc_lo
	s_waitcnt lgkmcnt(1)
	v_and_b32_e32 v4, 0xff, v8
	v_and_b32_e32 v12, 1, v8
	ds_bpermute_b32 v9, v5, v4
	s_waitcnt lgkmcnt(1)
	ds_bpermute_b32 v4, v5, v1
	ds_bpermute_b32 v5, v5, v2
	v_cmp_eq_u32_e64 s3, 1, v12
	s_waitcnt lgkmcnt(2)
	v_and_b32_e32 v10, 1, v9
	s_waitcnt lgkmcnt(0)
	v_cmp_lt_i64_e64 s2, v[4:5], v[1:2]
	s_delay_alu instid0(VALU_DEP_2) | instskip(SKIP_2) | instid1(VALU_DEP_4)
	v_cmp_eq_u32_e32 vcc_lo, 1, v10
	v_lshlrev_b32_e32 v10, 1, v11
	v_cndmask_b32_e64 v8, v8, 1, vcc_lo
	s_and_b32 vcc_lo, vcc_lo, s2
	v_dual_cndmask_b32 v1, v1, v4 :: v_dual_cndmask_b32 v2, v2, v5
	s_delay_alu instid0(VALU_DEP_2) | instskip(SKIP_2) | instid1(VALU_DEP_4)
	v_cndmask_b32_e64 v8, v9, v8, s3
	v_add_lshl_u32 v9, v10, v3, 2
	v_cmp_gt_u32_e32 vcc_lo, 4, v6
	v_cndmask_b32_e64 v1, v4, v1, s3
	v_cndmask_b32_e64 v2, v5, v2, s3
	v_and_b32_e32 v10, 0xff, v8
	v_and_b32_e32 v11, 1, v8
	v_cndmask_b32_e64 v6, 0, 1, vcc_lo
	ds_bpermute_b32 v4, v9, v1
	ds_bpermute_b32 v5, v9, v2
	;; [unrolled: 1-line block ×3, first 2 shown]
	v_cmp_eq_u32_e64 s3, 1, v11
	v_lshlrev_b32_e32 v6, 2, v6
	s_delay_alu instid0(VALU_DEP_1) | instskip(SKIP_4) | instid1(VALU_DEP_1)
	v_add_lshl_u32 v6, v6, v3, 2
	s_waitcnt lgkmcnt(1)
	v_cmp_lt_i64_e64 s2, v[4:5], v[1:2]
	s_waitcnt lgkmcnt(0)
	v_and_b32_e32 v9, 1, v10
	v_cmp_eq_u32_e32 vcc_lo, 1, v9
	v_cndmask_b32_e64 v8, v8, 1, vcc_lo
	s_delay_alu instid0(VALU_DEP_4) | instskip(SKIP_1) | instid1(VALU_DEP_2)
	s_and_b32 vcc_lo, vcc_lo, s2
	v_dual_cndmask_b32 v2, v2, v5 :: v_dual_cndmask_b32 v1, v1, v4
	v_cndmask_b32_e64 v8, v10, v8, s3
	s_delay_alu instid0(VALU_DEP_2) | instskip(NEXT) | instid1(VALU_DEP_3)
	v_cndmask_b32_e64 v2, v5, v2, s3
	v_cndmask_b32_e64 v1, v4, v1, s3
	s_delay_alu instid0(VALU_DEP_3)
	v_and_b32_e32 v3, 0xff, v8
	ds_bpermute_b32 v4, v6, v2
	ds_bpermute_b32 v5, v6, v3
	;; [unrolled: 1-line block ×3, first 2 shown]
	s_waitcnt lgkmcnt(1)
	v_and_b32_e32 v6, 1, v5
	s_waitcnt lgkmcnt(0)
	v_cmp_lt_i64_e32 vcc_lo, v[3:4], v[1:2]
	s_delay_alu instid0(VALU_DEP_2) | instskip(SKIP_1) | instid1(VALU_DEP_2)
	v_cmp_eq_u32_e64 s2, 1, v6
	v_and_b32_e32 v6, 1, v8
	v_cndmask_b32_e64 v8, v8, 1, s2
	s_and_b32 vcc_lo, s2, vcc_lo
	s_delay_alu instid0(VALU_DEP_2) | instskip(SKIP_1) | instid1(VALU_DEP_2)
	v_cmp_eq_u32_e64 s2, 1, v6
	v_dual_cndmask_b32 v1, v1, v3 :: v_dual_cndmask_b32 v2, v2, v4
	v_cndmask_b32_e64 v5, v5, v8, s2
	s_delay_alu instid0(VALU_DEP_2) | instskip(NEXT) | instid1(VALU_DEP_3)
	v_cndmask_b32_e64 v1, v3, v1, s2
	v_cndmask_b32_e64 v2, v4, v2, s2
	s_delay_alu instid0(VALU_DEP_3)
	v_and_b32_e32 v6, 0xff, v5
.LBB799_15:
	s_or_b32 exec_lo, exec_lo, s4
	s_load_b64 s[6:7], s[0:1], 0x58
	s_branch .LBB799_49
.LBB799_16:
                                        ; implicit-def: $vgpr1_vgpr2
                                        ; implicit-def: $vgpr6
	s_load_b64 s[6:7], s[0:1], 0x58
	s_cbranch_execz .LBB799_49
; %bb.17:
	v_mov_b32_e32 v5, 0
	v_dual_mov_b32 v6, 0 :: v_dual_mov_b32 v11, 0
	s_delay_alu instid0(VALU_DEP_2) | instskip(SKIP_2) | instid1(VALU_DEP_3)
	v_mov_b32_e32 v1, v5
	v_mov_b32_e32 v9, 0
	s_sub_i32 s22, s8, s22
	v_mov_b32_e32 v2, v6
	s_mov_b32 s2, exec_lo
	v_cmpx_gt_u32_e64 s22, v0
	s_cbranch_execz .LBB799_19
; %bb.18:
	s_clause 0x1
	global_load_b64 v[3:4], v7, s[18:19]
	global_load_b64 v[8:9], v7, s[20:21]
	v_add_co_u32 v1, s3, s5, v0
	s_delay_alu instid0(VALU_DEP_1)
	v_add_co_ci_u32_e64 v2, null, s23, 0, s3
	s_waitcnt vmcnt(0)
	v_cmp_ne_u64_e32 vcc_lo, v[3:4], v[8:9]
	v_cndmask_b32_e64 v9, 0, 1, vcc_lo
.LBB799_19:
	s_or_b32 exec_lo, exec_lo, s2
	v_or_b32_e32 v3, 0x100, v0
	s_delay_alu instid0(VALU_DEP_1) | instskip(NEXT) | instid1(VALU_DEP_1)
	v_cmp_gt_u32_e64 s3, s22, v3
	s_and_saveexec_b32 s2, s3
	s_cbranch_execz .LBB799_21
; %bb.20:
	s_clause 0x1
	global_load_b64 v[10:11], v7, s[18:19] offset:2048
	global_load_b64 v[7:8], v7, s[20:21] offset:2048
	v_add_co_u32 v5, s4, s5, v3
	s_delay_alu instid0(VALU_DEP_1)
	v_add_co_ci_u32_e64 v6, null, s23, 0, s4
	s_waitcnt vmcnt(0)
	v_cmp_ne_u64_e32 vcc_lo, v[10:11], v[7:8]
	v_cndmask_b32_e64 v11, 0, 1, vcc_lo
.LBB799_21:
	s_or_b32 exec_lo, exec_lo, s2
	v_dual_mov_b32 v3, 0 :: v_dual_mov_b32 v10, 0
	v_mov_b32_e32 v4, 0
	v_or_b32_e32 v13, 0x200, v0
	v_mov_b32_e32 v12, 0
	s_delay_alu instid0(VALU_DEP_3) | instskip(NEXT) | instid1(VALU_DEP_3)
	v_dual_mov_b32 v8, v4 :: v_dual_mov_b32 v7, v3
	v_cmp_gt_u32_e64 s2, s22, v13
	s_delay_alu instid0(VALU_DEP_1)
	s_and_saveexec_b32 s4, s2
	s_cbranch_execz .LBB799_23
; %bb.22:
	v_lshlrev_b32_e32 v7, 3, v13
	s_clause 0x1
	global_load_b64 v[14:15], v7, s[18:19]
	global_load_b64 v[16:17], v7, s[20:21]
	v_add_co_u32 v7, s24, s5, v13
	s_delay_alu instid0(VALU_DEP_1)
	v_add_co_ci_u32_e64 v8, null, s23, 0, s24
	s_waitcnt vmcnt(0)
	v_cmp_ne_u64_e32 vcc_lo, v[14:15], v[16:17]
	v_cndmask_b32_e64 v12, 0, 1, vcc_lo
.LBB799_23:
	s_or_b32 exec_lo, exec_lo, s4
	v_or_b32_e32 v13, 0x300, v0
	s_delay_alu instid0(VALU_DEP_1)
	v_cmp_gt_u32_e32 vcc_lo, s22, v13
	s_and_saveexec_b32 s24, vcc_lo
	s_cbranch_execnz .LBB799_52
; %bb.24:
	s_or_b32 exec_lo, exec_lo, s24
	s_and_saveexec_b32 s5, s3
	s_cbranch_execnz .LBB799_53
.LBB799_25:
	s_or_b32 exec_lo, exec_lo, s5
	s_and_saveexec_b32 s4, s2
	s_cbranch_execnz .LBB799_54
.LBB799_26:
	s_or_b32 exec_lo, exec_lo, s4
	s_and_saveexec_b32 s3, vcc_lo
.LBB799_27:
	v_and_b32_e32 v5, 1, v10
	v_cmp_lt_i64_e32 vcc_lo, v[3:4], v[1:2]
	s_delay_alu instid0(VALU_DEP_2) | instskip(NEXT) | instid1(VALU_DEP_1)
	v_cmp_eq_u32_e64 s2, 1, v5
	s_and_b32 vcc_lo, s2, vcc_lo
	v_cndmask_b32_e64 v6, v9, 1, s2
	v_dual_cndmask_b32 v2, v2, v4 :: v_dual_and_b32 v5, 1, v9
	v_cndmask_b32_e32 v1, v1, v3, vcc_lo
	s_delay_alu instid0(VALU_DEP_2) | instskip(NEXT) | instid1(VALU_DEP_3)
	v_cmp_eq_u32_e32 vcc_lo, 1, v5
	v_cndmask_b32_e32 v2, v4, v2, vcc_lo
	v_cndmask_b32_e32 v9, v10, v6, vcc_lo
	s_delay_alu instid0(VALU_DEP_4)
	v_cndmask_b32_e32 v1, v3, v1, vcc_lo
.LBB799_28:
	s_or_b32 exec_lo, exec_lo, s3
	v_mbcnt_lo_u32_b32 v5, -1, 0
	v_and_b32_e32 v7, 0xe0, v0
	s_min_u32 s3, s22, 0x100
	v_and_b32_e32 v6, 0xffff, v9
	s_delay_alu instid0(VALU_DEP_3) | instskip(NEXT) | instid1(VALU_DEP_3)
	v_cmp_ne_u32_e32 vcc_lo, 31, v5
	v_sub_nc_u32_e64 v8, s3, v7 clamp
	v_add_nc_u32_e32 v7, 1, v5
	v_add_co_ci_u32_e32 v3, vcc_lo, 0, v5, vcc_lo
	s_delay_alu instid0(VALU_DEP_2) | instskip(NEXT) | instid1(VALU_DEP_2)
	v_cmp_lt_u32_e32 vcc_lo, v7, v8
	v_dual_mov_b32 v7, v6 :: v_dual_lshlrev_b32 v4, 2, v3
	ds_bpermute_b32 v10, v4, v6
	ds_bpermute_b32 v3, v4, v1
	ds_bpermute_b32 v4, v4, v2
	s_and_saveexec_b32 s2, vcc_lo
	s_delay_alu instid0(SALU_CYCLE_1)
	s_xor_b32 s4, exec_lo, s2
	s_cbranch_execz .LBB799_30
; %bb.29:
	s_waitcnt lgkmcnt(0)
	v_and_b32_e32 v7, 1, v10
	v_cmp_lt_i64_e32 vcc_lo, v[3:4], v[1:2]
	s_delay_alu instid0(VALU_DEP_2) | instskip(SKIP_1) | instid1(VALU_DEP_2)
	v_cmp_eq_u32_e64 s2, 1, v7
	v_and_b32_e32 v7, 1, v9
	v_cndmask_b32_e64 v6, v6, 1, s2
	s_and_b32 vcc_lo, s2, vcc_lo
	s_delay_alu instid0(VALU_DEP_2) | instskip(SKIP_1) | instid1(VALU_DEP_2)
	v_cmp_eq_u32_e64 s2, 1, v7
	v_dual_cndmask_b32 v2, v2, v4 :: v_dual_cndmask_b32 v1, v1, v3
	v_cndmask_b32_e64 v7, v10, v6, s2
	s_delay_alu instid0(VALU_DEP_2) | instskip(NEXT) | instid1(VALU_DEP_3)
	v_cndmask_b32_e64 v2, v4, v2, s2
	v_cndmask_b32_e64 v1, v3, v1, s2
	s_delay_alu instid0(VALU_DEP_3)
	v_and_b32_e32 v6, 0xff, v7
.LBB799_30:
	s_or_b32 exec_lo, exec_lo, s4
	v_cmp_gt_u32_e32 vcc_lo, 30, v5
	s_waitcnt lgkmcnt(0)
	v_add_nc_u32_e32 v10, 2, v5
	s_mov_b32 s4, exec_lo
	v_cndmask_b32_e64 v3, 0, 1, vcc_lo
	s_delay_alu instid0(VALU_DEP_1) | instskip(NEXT) | instid1(VALU_DEP_1)
	v_lshlrev_b32_e32 v3, 1, v3
	v_add_lshl_u32 v4, v3, v5, 2
	ds_bpermute_b32 v9, v4, v6
	ds_bpermute_b32 v3, v4, v1
	ds_bpermute_b32 v4, v4, v2
	v_cmpx_lt_u32_e64 v10, v8
	s_cbranch_execz .LBB799_32
; %bb.31:
	s_waitcnt lgkmcnt(2)
	v_and_b32_e32 v6, 1, v9
	s_waitcnt lgkmcnt(0)
	v_cmp_lt_i64_e32 vcc_lo, v[3:4], v[1:2]
	s_delay_alu instid0(VALU_DEP_2) | instskip(SKIP_1) | instid1(VALU_DEP_2)
	v_cmp_eq_u32_e64 s2, 1, v6
	v_and_b32_e32 v6, 1, v7
	v_cndmask_b32_e64 v7, v7, 1, s2
	s_and_b32 vcc_lo, s2, vcc_lo
	s_delay_alu instid0(VALU_DEP_2) | instskip(SKIP_1) | instid1(VALU_DEP_2)
	v_cmp_eq_u32_e64 s2, 1, v6
	v_dual_cndmask_b32 v1, v1, v3 :: v_dual_cndmask_b32 v2, v2, v4
	v_cndmask_b32_e64 v7, v9, v7, s2
	s_delay_alu instid0(VALU_DEP_2) | instskip(NEXT) | instid1(VALU_DEP_3)
	v_cndmask_b32_e64 v1, v3, v1, s2
	v_cndmask_b32_e64 v2, v4, v2, s2
	s_delay_alu instid0(VALU_DEP_3)
	v_and_b32_e32 v6, 0xff, v7
.LBB799_32:
	s_or_b32 exec_lo, exec_lo, s4
	v_cmp_gt_u32_e32 vcc_lo, 28, v5
	v_add_nc_u32_e32 v10, 4, v5
	s_mov_b32 s4, exec_lo
	s_waitcnt lgkmcnt(1)
	v_cndmask_b32_e64 v3, 0, 1, vcc_lo
	s_delay_alu instid0(VALU_DEP_1) | instskip(SKIP_1) | instid1(VALU_DEP_1)
	v_lshlrev_b32_e32 v3, 2, v3
	s_waitcnt lgkmcnt(0)
	v_add_lshl_u32 v4, v3, v5, 2
	ds_bpermute_b32 v9, v4, v6
	ds_bpermute_b32 v3, v4, v1
	ds_bpermute_b32 v4, v4, v2
	v_cmpx_lt_u32_e64 v10, v8
	s_cbranch_execz .LBB799_34
; %bb.33:
	s_waitcnt lgkmcnt(2)
	v_and_b32_e32 v6, 1, v9
	s_waitcnt lgkmcnt(0)
	v_cmp_lt_i64_e32 vcc_lo, v[3:4], v[1:2]
	s_delay_alu instid0(VALU_DEP_2) | instskip(SKIP_1) | instid1(VALU_DEP_2)
	v_cmp_eq_u32_e64 s2, 1, v6
	v_and_b32_e32 v6, 1, v7
	v_cndmask_b32_e64 v7, v7, 1, s2
	s_and_b32 vcc_lo, s2, vcc_lo
	s_delay_alu instid0(VALU_DEP_2) | instskip(SKIP_1) | instid1(VALU_DEP_2)
	v_cmp_eq_u32_e64 s2, 1, v6
	v_dual_cndmask_b32 v1, v1, v3 :: v_dual_cndmask_b32 v2, v2, v4
	v_cndmask_b32_e64 v7, v9, v7, s2
	s_delay_alu instid0(VALU_DEP_2) | instskip(NEXT) | instid1(VALU_DEP_3)
	v_cndmask_b32_e64 v1, v3, v1, s2
	v_cndmask_b32_e64 v2, v4, v2, s2
	s_delay_alu instid0(VALU_DEP_3)
	v_and_b32_e32 v6, 0xff, v7
.LBB799_34:
	s_or_b32 exec_lo, exec_lo, s4
	v_cmp_gt_u32_e32 vcc_lo, 24, v5
	v_add_nc_u32_e32 v10, 8, v5
	s_mov_b32 s4, exec_lo
	s_waitcnt lgkmcnt(1)
	v_cndmask_b32_e64 v3, 0, 1, vcc_lo
	s_delay_alu instid0(VALU_DEP_1) | instskip(SKIP_1) | instid1(VALU_DEP_1)
	v_lshlrev_b32_e32 v3, 3, v3
	s_waitcnt lgkmcnt(0)
	;; [unrolled: 35-line block ×3, first 2 shown]
	v_add_lshl_u32 v4, v3, v5, 2
	ds_bpermute_b32 v9, v4, v6
	ds_bpermute_b32 v3, v4, v1
	;; [unrolled: 1-line block ×3, first 2 shown]
	v_cmpx_lt_u32_e64 v10, v8
	s_cbranch_execz .LBB799_38
; %bb.37:
	s_waitcnt lgkmcnt(2)
	v_and_b32_e32 v6, 1, v9
	s_waitcnt lgkmcnt(0)
	v_cmp_lt_i64_e32 vcc_lo, v[3:4], v[1:2]
	s_delay_alu instid0(VALU_DEP_2) | instskip(SKIP_1) | instid1(VALU_DEP_2)
	v_cmp_eq_u32_e64 s2, 1, v6
	v_and_b32_e32 v6, 1, v7
	v_cndmask_b32_e64 v7, v7, 1, s2
	s_and_b32 vcc_lo, s2, vcc_lo
	s_delay_alu instid0(VALU_DEP_2) | instskip(SKIP_1) | instid1(VALU_DEP_2)
	v_cmp_eq_u32_e64 s2, 1, v6
	v_dual_cndmask_b32 v1, v1, v3 :: v_dual_cndmask_b32 v2, v2, v4
	v_cndmask_b32_e64 v7, v9, v7, s2
	s_delay_alu instid0(VALU_DEP_2) | instskip(NEXT) | instid1(VALU_DEP_3)
	v_cndmask_b32_e64 v1, v3, v1, s2
	v_cndmask_b32_e64 v2, v4, v2, s2
	s_delay_alu instid0(VALU_DEP_3)
	v_and_b32_e32 v6, 0xff, v7
.LBB799_38:
	s_or_b32 exec_lo, exec_lo, s4
	s_delay_alu instid0(SALU_CYCLE_1)
	s_mov_b32 s2, exec_lo
	v_cmpx_eq_u32_e32 0, v5
	s_cbranch_execz .LBB799_40
; %bb.39:
	s_waitcnt lgkmcnt(1)
	v_lshrrev_b32_e32 v3, 1, v0
	s_delay_alu instid0(VALU_DEP_1)
	v_and_b32_e32 v3, 0x70, v3
	ds_store_b8 v3, v7 offset:128
	ds_store_b64 v3, v[1:2] offset:136
.LBB799_40:
	s_or_b32 exec_lo, exec_lo, s2
	s_delay_alu instid0(SALU_CYCLE_1)
	s_mov_b32 s4, exec_lo
	s_waitcnt lgkmcnt(0)
	s_barrier
	buffer_gl0_inv
	v_cmpx_gt_u32_e32 8, v0
	s_cbranch_execz .LBB799_48
; %bb.41:
	v_lshlrev_b32_e32 v1, 4, v5
	v_and_b32_e32 v8, 7, v5
	s_add_i32 s3, s3, 31
	s_mov_b32 s5, exec_lo
	s_lshr_b32 s3, s3, 5
	ds_load_u8 v7, v1 offset:128
	ds_load_b64 v[1:2], v1 offset:136
	v_cmp_ne_u32_e32 vcc_lo, 7, v8
	v_add_nc_u32_e32 v10, 1, v8
	v_add_co_ci_u32_e32 v3, vcc_lo, 0, v5, vcc_lo
	s_delay_alu instid0(VALU_DEP_1)
	v_lshlrev_b32_e32 v4, 2, v3
	s_waitcnt lgkmcnt(1)
	v_and_b32_e32 v6, 0xff, v7
	s_waitcnt lgkmcnt(0)
	ds_bpermute_b32 v3, v4, v1
	ds_bpermute_b32 v9, v4, v6
	;; [unrolled: 1-line block ×3, first 2 shown]
	v_cmpx_gt_u32_e64 s3, v10
	s_cbranch_execz .LBB799_43
; %bb.42:
	s_waitcnt lgkmcnt(1)
	v_and_b32_e32 v6, 1, v9
	s_waitcnt lgkmcnt(0)
	v_cmp_lt_i64_e32 vcc_lo, v[3:4], v[1:2]
	s_delay_alu instid0(VALU_DEP_2) | instskip(SKIP_1) | instid1(VALU_DEP_2)
	v_cmp_eq_u32_e64 s2, 1, v6
	v_and_b32_e32 v6, 1, v7
	v_cndmask_b32_e64 v7, v7, 1, s2
	s_and_b32 vcc_lo, s2, vcc_lo
	s_delay_alu instid0(VALU_DEP_2) | instskip(SKIP_1) | instid1(VALU_DEP_2)
	v_cmp_eq_u32_e64 s2, 1, v6
	v_dual_cndmask_b32 v1, v1, v3 :: v_dual_cndmask_b32 v2, v2, v4
	v_cndmask_b32_e64 v7, v9, v7, s2
	s_delay_alu instid0(VALU_DEP_2) | instskip(NEXT) | instid1(VALU_DEP_3)
	v_cndmask_b32_e64 v1, v3, v1, s2
	v_cndmask_b32_e64 v2, v4, v2, s2
	s_delay_alu instid0(VALU_DEP_3)
	v_and_b32_e32 v6, 0xff, v7
.LBB799_43:
	s_or_b32 exec_lo, exec_lo, s5
	v_cmp_gt_u32_e32 vcc_lo, 6, v8
	v_add_nc_u32_e32 v10, 2, v8
	s_mov_b32 s5, exec_lo
	s_waitcnt lgkmcnt(2)
	v_cndmask_b32_e64 v3, 0, 1, vcc_lo
	s_delay_alu instid0(VALU_DEP_1) | instskip(SKIP_1) | instid1(VALU_DEP_1)
	v_lshlrev_b32_e32 v3, 1, v3
	s_waitcnt lgkmcnt(0)
	v_add_lshl_u32 v4, v3, v5, 2
	ds_bpermute_b32 v9, v4, v6
	ds_bpermute_b32 v3, v4, v1
	;; [unrolled: 1-line block ×3, first 2 shown]
	v_cmpx_gt_u32_e64 s3, v10
	s_cbranch_execz .LBB799_45
; %bb.44:
	s_waitcnt lgkmcnt(2)
	v_and_b32_e32 v6, 1, v9
	s_waitcnt lgkmcnt(0)
	v_cmp_lt_i64_e32 vcc_lo, v[3:4], v[1:2]
	s_delay_alu instid0(VALU_DEP_2) | instskip(SKIP_1) | instid1(VALU_DEP_2)
	v_cmp_eq_u32_e64 s2, 1, v6
	v_and_b32_e32 v6, 1, v7
	v_cndmask_b32_e64 v7, v7, 1, s2
	s_and_b32 vcc_lo, s2, vcc_lo
	s_delay_alu instid0(VALU_DEP_2) | instskip(SKIP_1) | instid1(VALU_DEP_2)
	v_cmp_eq_u32_e64 s2, 1, v6
	v_dual_cndmask_b32 v1, v1, v3 :: v_dual_cndmask_b32 v2, v2, v4
	v_cndmask_b32_e64 v7, v9, v7, s2
	s_delay_alu instid0(VALU_DEP_2) | instskip(NEXT) | instid1(VALU_DEP_3)
	v_cndmask_b32_e64 v1, v3, v1, s2
	v_cndmask_b32_e64 v2, v4, v2, s2
	s_delay_alu instid0(VALU_DEP_3)
	v_and_b32_e32 v6, 0xff, v7
.LBB799_45:
	s_or_b32 exec_lo, exec_lo, s5
	v_cmp_gt_u32_e32 vcc_lo, 4, v8
	v_add_nc_u32_e32 v8, 4, v8
	s_waitcnt lgkmcnt(1)
	v_cndmask_b32_e64 v3, 0, 1, vcc_lo
	s_delay_alu instid0(VALU_DEP_2) | instskip(NEXT) | instid1(VALU_DEP_2)
	v_cmp_gt_u32_e32 vcc_lo, s3, v8
	v_lshlrev_b32_e32 v3, 2, v3
	s_waitcnt lgkmcnt(0)
	s_delay_alu instid0(VALU_DEP_1)
	v_add_lshl_u32 v4, v3, v5, 2
	ds_bpermute_b32 v5, v4, v6
	ds_bpermute_b32 v3, v4, v1
	;; [unrolled: 1-line block ×3, first 2 shown]
	s_and_saveexec_b32 s3, vcc_lo
	s_cbranch_execz .LBB799_47
; %bb.46:
	s_waitcnt lgkmcnt(2)
	v_and_b32_e32 v6, 1, v5
	s_waitcnt lgkmcnt(0)
	v_cmp_lt_i64_e32 vcc_lo, v[3:4], v[1:2]
	s_delay_alu instid0(VALU_DEP_2) | instskip(SKIP_1) | instid1(VALU_DEP_2)
	v_cmp_eq_u32_e64 s2, 1, v6
	v_and_b32_e32 v6, 1, v7
	v_cndmask_b32_e64 v7, v7, 1, s2
	s_and_b32 vcc_lo, s2, vcc_lo
	s_delay_alu instid0(VALU_DEP_2) | instskip(SKIP_1) | instid1(VALU_DEP_2)
	v_cmp_eq_u32_e64 s2, 1, v6
	v_dual_cndmask_b32 v1, v1, v3 :: v_dual_cndmask_b32 v2, v2, v4
	v_cndmask_b32_e64 v5, v5, v7, s2
	s_delay_alu instid0(VALU_DEP_2) | instskip(NEXT) | instid1(VALU_DEP_3)
	v_cndmask_b32_e64 v1, v3, v1, s2
	v_cndmask_b32_e64 v2, v4, v2, s2
	s_delay_alu instid0(VALU_DEP_3)
	v_and_b32_e32 v6, 0xff, v5
.LBB799_47:
	s_or_b32 exec_lo, exec_lo, s3
.LBB799_48:
	s_delay_alu instid0(SALU_CYCLE_1)
	s_or_b32 exec_lo, exec_lo, s4
.LBB799_49:
	s_load_b32 s0, s[0:1], 0x50
	s_mov_b32 s1, exec_lo
	v_cmpx_eq_u32_e32 0, v0
	s_cbranch_execz .LBB799_51
; %bb.50:
	s_mul_i32 s1, s14, s13
	s_mul_hi_u32 s2, s14, s12
	s_mul_i32 s3, s15, s12
	s_add_i32 s1, s2, s1
	s_mul_i32 s2, s14, s12
	s_add_i32 s3, s1, s3
	v_mov_b32_e32 v0, 0
	s_lshl_b64 s[2:3], s[2:3], 4
	s_delay_alu instid0(SALU_CYCLE_1)
	s_add_u32 s1, s10, s2
	s_addc_u32 s4, s11, s3
	s_cmp_eq_u64 s[8:9], 0
	s_cselect_b32 s5, -1, 0
	s_lshl_b64 s[2:3], s[16:17], 4
	s_waitcnt lgkmcnt(0)
	v_cndmask_b32_e64 v3, v6, s0, s5
	v_cndmask_b32_e64 v2, v2, s7, s5
	;; [unrolled: 1-line block ×3, first 2 shown]
	s_add_u32 s0, s1, s2
	s_addc_u32 s1, s4, s3
	s_clause 0x1
	global_store_b8 v0, v3, s[0:1]
	global_store_b64 v0, v[1:2], s[0:1] offset:8
.LBB799_51:
	s_nop 0
	s_sendmsg sendmsg(MSG_DEALLOC_VGPRS)
	s_endpgm
.LBB799_52:
	v_lshlrev_b32_e32 v3, 3, v13
	s_clause 0x1
	global_load_b64 v[14:15], v3, s[18:19]
	global_load_b64 v[16:17], v3, s[20:21]
	v_add_co_u32 v3, s4, s5, v13
	s_delay_alu instid0(VALU_DEP_1) | instskip(SKIP_2) | instid1(VALU_DEP_1)
	v_add_co_ci_u32_e64 v4, null, s23, 0, s4
	s_waitcnt vmcnt(0)
	v_cmp_ne_u64_e64 s4, v[14:15], v[16:17]
	v_cndmask_b32_e64 v10, 0, 1, s4
	s_or_b32 exec_lo, exec_lo, s24
	s_and_saveexec_b32 s5, s3
	s_cbranch_execz .LBB799_25
.LBB799_53:
	v_and_b32_e32 v13, 1, v11
	v_cmp_lt_i64_e64 s3, v[5:6], v[1:2]
	s_delay_alu instid0(VALU_DEP_2) | instskip(SKIP_1) | instid1(VALU_DEP_2)
	v_cmp_eq_u32_e64 s4, 1, v13
	v_and_b32_e32 v13, 1, v9
	s_and_b32 s3, s4, s3
	v_cndmask_b32_e64 v9, v9, 1, s4
	v_cndmask_b32_e64 v1, v1, v5, s3
	v_cndmask_b32_e64 v2, v2, v6, s3
	v_cmp_eq_u32_e64 s3, 1, v13
	s_delay_alu instid0(VALU_DEP_1) | instskip(NEXT) | instid1(VALU_DEP_3)
	v_cndmask_b32_e64 v9, v11, v9, s3
	v_cndmask_b32_e64 v2, v6, v2, s3
	v_cndmask_b32_e64 v1, v5, v1, s3
	s_or_b32 exec_lo, exec_lo, s5
	s_and_saveexec_b32 s4, s2
	s_cbranch_execz .LBB799_26
.LBB799_54:
	v_and_b32_e32 v5, 1, v12
	v_cmp_lt_i64_e64 s2, v[7:8], v[1:2]
	s_delay_alu instid0(VALU_DEP_2) | instskip(SKIP_1) | instid1(VALU_DEP_2)
	v_cmp_eq_u32_e64 s3, 1, v5
	v_and_b32_e32 v5, 1, v9
	s_and_b32 s2, s3, s2
	v_cndmask_b32_e64 v6, v9, 1, s3
	v_cndmask_b32_e64 v1, v1, v7, s2
	;; [unrolled: 1-line block ×3, first 2 shown]
	v_cmp_eq_u32_e64 s2, 1, v5
	s_delay_alu instid0(VALU_DEP_1) | instskip(NEXT) | instid1(VALU_DEP_3)
	v_cndmask_b32_e64 v9, v12, v6, s2
	v_cndmask_b32_e64 v2, v8, v2, s2
	;; [unrolled: 1-line block ×3, first 2 shown]
	s_or_b32 exec_lo, exec_lo, s4
	s_and_saveexec_b32 s3, vcc_lo
	s_cbranch_execnz .LBB799_27
	s_branch .LBB799_28
	.section	.rodata,"a",@progbits
	.p2align	6, 0x0
	.amdhsa_kernel _ZN7rocprim17ROCPRIM_400000_NS6detail17trampoline_kernelINS0_14default_configENS1_22reduce_config_selectorIN6thrust23THRUST_200600_302600_NS5tupleIblNS6_9null_typeES8_S8_S8_S8_S8_S8_S8_EEEEZNS1_11reduce_implILb1ES3_NS6_12zip_iteratorINS7_INS6_11hip_rocprim26transform_input_iterator_tIbNSD_35transform_pair_of_input_iterators_tIbNS6_6detail15normal_iteratorINS6_10device_ptrIKyEEEESL_NS6_8equal_toIyEEEENSG_9not_fun_tINSD_8identityEEEEENSD_19counting_iterator_tIlEES8_S8_S8_S8_S8_S8_S8_S8_EEEEPS9_S9_NSD_9__find_if7functorIS9_EEEE10hipError_tPvRmT1_T2_T3_mT4_P12ihipStream_tbEUlT_E0_NS1_11comp_targetILNS1_3genE9ELNS1_11target_archE1100ELNS1_3gpuE3ELNS1_3repE0EEENS1_30default_config_static_selectorELNS0_4arch9wavefront6targetE0EEEvS14_
		.amdhsa_group_segment_fixed_size 256
		.amdhsa_private_segment_fixed_size 0
		.amdhsa_kernarg_size 104
		.amdhsa_user_sgpr_count 15
		.amdhsa_user_sgpr_dispatch_ptr 0
		.amdhsa_user_sgpr_queue_ptr 0
		.amdhsa_user_sgpr_kernarg_segment_ptr 1
		.amdhsa_user_sgpr_dispatch_id 0
		.amdhsa_user_sgpr_private_segment_size 0
		.amdhsa_wavefront_size32 1
		.amdhsa_uses_dynamic_stack 0
		.amdhsa_enable_private_segment 0
		.amdhsa_system_sgpr_workgroup_id_x 1
		.amdhsa_system_sgpr_workgroup_id_y 0
		.amdhsa_system_sgpr_workgroup_id_z 0
		.amdhsa_system_sgpr_workgroup_info 0
		.amdhsa_system_vgpr_workitem_id 0
		.amdhsa_next_free_vgpr 19
		.amdhsa_next_free_sgpr 28
		.amdhsa_reserve_vcc 1
		.amdhsa_float_round_mode_32 0
		.amdhsa_float_round_mode_16_64 0
		.amdhsa_float_denorm_mode_32 3
		.amdhsa_float_denorm_mode_16_64 3
		.amdhsa_dx10_clamp 1
		.amdhsa_ieee_mode 1
		.amdhsa_fp16_overflow 0
		.amdhsa_workgroup_processor_mode 1
		.amdhsa_memory_ordered 1
		.amdhsa_forward_progress 0
		.amdhsa_shared_vgpr_count 0
		.amdhsa_exception_fp_ieee_invalid_op 0
		.amdhsa_exception_fp_denorm_src 0
		.amdhsa_exception_fp_ieee_div_zero 0
		.amdhsa_exception_fp_ieee_overflow 0
		.amdhsa_exception_fp_ieee_underflow 0
		.amdhsa_exception_fp_ieee_inexact 0
		.amdhsa_exception_int_div_zero 0
	.end_amdhsa_kernel
	.section	.text._ZN7rocprim17ROCPRIM_400000_NS6detail17trampoline_kernelINS0_14default_configENS1_22reduce_config_selectorIN6thrust23THRUST_200600_302600_NS5tupleIblNS6_9null_typeES8_S8_S8_S8_S8_S8_S8_EEEEZNS1_11reduce_implILb1ES3_NS6_12zip_iteratorINS7_INS6_11hip_rocprim26transform_input_iterator_tIbNSD_35transform_pair_of_input_iterators_tIbNS6_6detail15normal_iteratorINS6_10device_ptrIKyEEEESL_NS6_8equal_toIyEEEENSG_9not_fun_tINSD_8identityEEEEENSD_19counting_iterator_tIlEES8_S8_S8_S8_S8_S8_S8_S8_EEEEPS9_S9_NSD_9__find_if7functorIS9_EEEE10hipError_tPvRmT1_T2_T3_mT4_P12ihipStream_tbEUlT_E0_NS1_11comp_targetILNS1_3genE9ELNS1_11target_archE1100ELNS1_3gpuE3ELNS1_3repE0EEENS1_30default_config_static_selectorELNS0_4arch9wavefront6targetE0EEEvS14_,"axG",@progbits,_ZN7rocprim17ROCPRIM_400000_NS6detail17trampoline_kernelINS0_14default_configENS1_22reduce_config_selectorIN6thrust23THRUST_200600_302600_NS5tupleIblNS6_9null_typeES8_S8_S8_S8_S8_S8_S8_EEEEZNS1_11reduce_implILb1ES3_NS6_12zip_iteratorINS7_INS6_11hip_rocprim26transform_input_iterator_tIbNSD_35transform_pair_of_input_iterators_tIbNS6_6detail15normal_iteratorINS6_10device_ptrIKyEEEESL_NS6_8equal_toIyEEEENSG_9not_fun_tINSD_8identityEEEEENSD_19counting_iterator_tIlEES8_S8_S8_S8_S8_S8_S8_S8_EEEEPS9_S9_NSD_9__find_if7functorIS9_EEEE10hipError_tPvRmT1_T2_T3_mT4_P12ihipStream_tbEUlT_E0_NS1_11comp_targetILNS1_3genE9ELNS1_11target_archE1100ELNS1_3gpuE3ELNS1_3repE0EEENS1_30default_config_static_selectorELNS0_4arch9wavefront6targetE0EEEvS14_,comdat
.Lfunc_end799:
	.size	_ZN7rocprim17ROCPRIM_400000_NS6detail17trampoline_kernelINS0_14default_configENS1_22reduce_config_selectorIN6thrust23THRUST_200600_302600_NS5tupleIblNS6_9null_typeES8_S8_S8_S8_S8_S8_S8_EEEEZNS1_11reduce_implILb1ES3_NS6_12zip_iteratorINS7_INS6_11hip_rocprim26transform_input_iterator_tIbNSD_35transform_pair_of_input_iterators_tIbNS6_6detail15normal_iteratorINS6_10device_ptrIKyEEEESL_NS6_8equal_toIyEEEENSG_9not_fun_tINSD_8identityEEEEENSD_19counting_iterator_tIlEES8_S8_S8_S8_S8_S8_S8_S8_EEEEPS9_S9_NSD_9__find_if7functorIS9_EEEE10hipError_tPvRmT1_T2_T3_mT4_P12ihipStream_tbEUlT_E0_NS1_11comp_targetILNS1_3genE9ELNS1_11target_archE1100ELNS1_3gpuE3ELNS1_3repE0EEENS1_30default_config_static_selectorELNS0_4arch9wavefront6targetE0EEEvS14_, .Lfunc_end799-_ZN7rocprim17ROCPRIM_400000_NS6detail17trampoline_kernelINS0_14default_configENS1_22reduce_config_selectorIN6thrust23THRUST_200600_302600_NS5tupleIblNS6_9null_typeES8_S8_S8_S8_S8_S8_S8_EEEEZNS1_11reduce_implILb1ES3_NS6_12zip_iteratorINS7_INS6_11hip_rocprim26transform_input_iterator_tIbNSD_35transform_pair_of_input_iterators_tIbNS6_6detail15normal_iteratorINS6_10device_ptrIKyEEEESL_NS6_8equal_toIyEEEENSG_9not_fun_tINSD_8identityEEEEENSD_19counting_iterator_tIlEES8_S8_S8_S8_S8_S8_S8_S8_EEEEPS9_S9_NSD_9__find_if7functorIS9_EEEE10hipError_tPvRmT1_T2_T3_mT4_P12ihipStream_tbEUlT_E0_NS1_11comp_targetILNS1_3genE9ELNS1_11target_archE1100ELNS1_3gpuE3ELNS1_3repE0EEENS1_30default_config_static_selectorELNS0_4arch9wavefront6targetE0EEEvS14_
                                        ; -- End function
	.section	.AMDGPU.csdata,"",@progbits
; Kernel info:
; codeLenInByte = 4108
; NumSgprs: 30
; NumVgprs: 19
; ScratchSize: 0
; MemoryBound: 0
; FloatMode: 240
; IeeeMode: 1
; LDSByteSize: 256 bytes/workgroup (compile time only)
; SGPRBlocks: 3
; VGPRBlocks: 2
; NumSGPRsForWavesPerEU: 30
; NumVGPRsForWavesPerEU: 19
; Occupancy: 16
; WaveLimiterHint : 0
; COMPUTE_PGM_RSRC2:SCRATCH_EN: 0
; COMPUTE_PGM_RSRC2:USER_SGPR: 15
; COMPUTE_PGM_RSRC2:TRAP_HANDLER: 0
; COMPUTE_PGM_RSRC2:TGID_X_EN: 1
; COMPUTE_PGM_RSRC2:TGID_Y_EN: 0
; COMPUTE_PGM_RSRC2:TGID_Z_EN: 0
; COMPUTE_PGM_RSRC2:TIDIG_COMP_CNT: 0
	.section	.text._ZN7rocprim17ROCPRIM_400000_NS6detail17trampoline_kernelINS0_14default_configENS1_22reduce_config_selectorIN6thrust23THRUST_200600_302600_NS5tupleIblNS6_9null_typeES8_S8_S8_S8_S8_S8_S8_EEEEZNS1_11reduce_implILb1ES3_NS6_12zip_iteratorINS7_INS6_11hip_rocprim26transform_input_iterator_tIbNSD_35transform_pair_of_input_iterators_tIbNS6_6detail15normal_iteratorINS6_10device_ptrIKyEEEESL_NS6_8equal_toIyEEEENSG_9not_fun_tINSD_8identityEEEEENSD_19counting_iterator_tIlEES8_S8_S8_S8_S8_S8_S8_S8_EEEEPS9_S9_NSD_9__find_if7functorIS9_EEEE10hipError_tPvRmT1_T2_T3_mT4_P12ihipStream_tbEUlT_E0_NS1_11comp_targetILNS1_3genE8ELNS1_11target_archE1030ELNS1_3gpuE2ELNS1_3repE0EEENS1_30default_config_static_selectorELNS0_4arch9wavefront6targetE0EEEvS14_,"axG",@progbits,_ZN7rocprim17ROCPRIM_400000_NS6detail17trampoline_kernelINS0_14default_configENS1_22reduce_config_selectorIN6thrust23THRUST_200600_302600_NS5tupleIblNS6_9null_typeES8_S8_S8_S8_S8_S8_S8_EEEEZNS1_11reduce_implILb1ES3_NS6_12zip_iteratorINS7_INS6_11hip_rocprim26transform_input_iterator_tIbNSD_35transform_pair_of_input_iterators_tIbNS6_6detail15normal_iteratorINS6_10device_ptrIKyEEEESL_NS6_8equal_toIyEEEENSG_9not_fun_tINSD_8identityEEEEENSD_19counting_iterator_tIlEES8_S8_S8_S8_S8_S8_S8_S8_EEEEPS9_S9_NSD_9__find_if7functorIS9_EEEE10hipError_tPvRmT1_T2_T3_mT4_P12ihipStream_tbEUlT_E0_NS1_11comp_targetILNS1_3genE8ELNS1_11target_archE1030ELNS1_3gpuE2ELNS1_3repE0EEENS1_30default_config_static_selectorELNS0_4arch9wavefront6targetE0EEEvS14_,comdat
	.protected	_ZN7rocprim17ROCPRIM_400000_NS6detail17trampoline_kernelINS0_14default_configENS1_22reduce_config_selectorIN6thrust23THRUST_200600_302600_NS5tupleIblNS6_9null_typeES8_S8_S8_S8_S8_S8_S8_EEEEZNS1_11reduce_implILb1ES3_NS6_12zip_iteratorINS7_INS6_11hip_rocprim26transform_input_iterator_tIbNSD_35transform_pair_of_input_iterators_tIbNS6_6detail15normal_iteratorINS6_10device_ptrIKyEEEESL_NS6_8equal_toIyEEEENSG_9not_fun_tINSD_8identityEEEEENSD_19counting_iterator_tIlEES8_S8_S8_S8_S8_S8_S8_S8_EEEEPS9_S9_NSD_9__find_if7functorIS9_EEEE10hipError_tPvRmT1_T2_T3_mT4_P12ihipStream_tbEUlT_E0_NS1_11comp_targetILNS1_3genE8ELNS1_11target_archE1030ELNS1_3gpuE2ELNS1_3repE0EEENS1_30default_config_static_selectorELNS0_4arch9wavefront6targetE0EEEvS14_ ; -- Begin function _ZN7rocprim17ROCPRIM_400000_NS6detail17trampoline_kernelINS0_14default_configENS1_22reduce_config_selectorIN6thrust23THRUST_200600_302600_NS5tupleIblNS6_9null_typeES8_S8_S8_S8_S8_S8_S8_EEEEZNS1_11reduce_implILb1ES3_NS6_12zip_iteratorINS7_INS6_11hip_rocprim26transform_input_iterator_tIbNSD_35transform_pair_of_input_iterators_tIbNS6_6detail15normal_iteratorINS6_10device_ptrIKyEEEESL_NS6_8equal_toIyEEEENSG_9not_fun_tINSD_8identityEEEEENSD_19counting_iterator_tIlEES8_S8_S8_S8_S8_S8_S8_S8_EEEEPS9_S9_NSD_9__find_if7functorIS9_EEEE10hipError_tPvRmT1_T2_T3_mT4_P12ihipStream_tbEUlT_E0_NS1_11comp_targetILNS1_3genE8ELNS1_11target_archE1030ELNS1_3gpuE2ELNS1_3repE0EEENS1_30default_config_static_selectorELNS0_4arch9wavefront6targetE0EEEvS14_
	.globl	_ZN7rocprim17ROCPRIM_400000_NS6detail17trampoline_kernelINS0_14default_configENS1_22reduce_config_selectorIN6thrust23THRUST_200600_302600_NS5tupleIblNS6_9null_typeES8_S8_S8_S8_S8_S8_S8_EEEEZNS1_11reduce_implILb1ES3_NS6_12zip_iteratorINS7_INS6_11hip_rocprim26transform_input_iterator_tIbNSD_35transform_pair_of_input_iterators_tIbNS6_6detail15normal_iteratorINS6_10device_ptrIKyEEEESL_NS6_8equal_toIyEEEENSG_9not_fun_tINSD_8identityEEEEENSD_19counting_iterator_tIlEES8_S8_S8_S8_S8_S8_S8_S8_EEEEPS9_S9_NSD_9__find_if7functorIS9_EEEE10hipError_tPvRmT1_T2_T3_mT4_P12ihipStream_tbEUlT_E0_NS1_11comp_targetILNS1_3genE8ELNS1_11target_archE1030ELNS1_3gpuE2ELNS1_3repE0EEENS1_30default_config_static_selectorELNS0_4arch9wavefront6targetE0EEEvS14_
	.p2align	8
	.type	_ZN7rocprim17ROCPRIM_400000_NS6detail17trampoline_kernelINS0_14default_configENS1_22reduce_config_selectorIN6thrust23THRUST_200600_302600_NS5tupleIblNS6_9null_typeES8_S8_S8_S8_S8_S8_S8_EEEEZNS1_11reduce_implILb1ES3_NS6_12zip_iteratorINS7_INS6_11hip_rocprim26transform_input_iterator_tIbNSD_35transform_pair_of_input_iterators_tIbNS6_6detail15normal_iteratorINS6_10device_ptrIKyEEEESL_NS6_8equal_toIyEEEENSG_9not_fun_tINSD_8identityEEEEENSD_19counting_iterator_tIlEES8_S8_S8_S8_S8_S8_S8_S8_EEEEPS9_S9_NSD_9__find_if7functorIS9_EEEE10hipError_tPvRmT1_T2_T3_mT4_P12ihipStream_tbEUlT_E0_NS1_11comp_targetILNS1_3genE8ELNS1_11target_archE1030ELNS1_3gpuE2ELNS1_3repE0EEENS1_30default_config_static_selectorELNS0_4arch9wavefront6targetE0EEEvS14_,@function
_ZN7rocprim17ROCPRIM_400000_NS6detail17trampoline_kernelINS0_14default_configENS1_22reduce_config_selectorIN6thrust23THRUST_200600_302600_NS5tupleIblNS6_9null_typeES8_S8_S8_S8_S8_S8_S8_EEEEZNS1_11reduce_implILb1ES3_NS6_12zip_iteratorINS7_INS6_11hip_rocprim26transform_input_iterator_tIbNSD_35transform_pair_of_input_iterators_tIbNS6_6detail15normal_iteratorINS6_10device_ptrIKyEEEESL_NS6_8equal_toIyEEEENSG_9not_fun_tINSD_8identityEEEEENSD_19counting_iterator_tIlEES8_S8_S8_S8_S8_S8_S8_S8_EEEEPS9_S9_NSD_9__find_if7functorIS9_EEEE10hipError_tPvRmT1_T2_T3_mT4_P12ihipStream_tbEUlT_E0_NS1_11comp_targetILNS1_3genE8ELNS1_11target_archE1030ELNS1_3gpuE2ELNS1_3repE0EEENS1_30default_config_static_selectorELNS0_4arch9wavefront6targetE0EEEvS14_: ; @_ZN7rocprim17ROCPRIM_400000_NS6detail17trampoline_kernelINS0_14default_configENS1_22reduce_config_selectorIN6thrust23THRUST_200600_302600_NS5tupleIblNS6_9null_typeES8_S8_S8_S8_S8_S8_S8_EEEEZNS1_11reduce_implILb1ES3_NS6_12zip_iteratorINS7_INS6_11hip_rocprim26transform_input_iterator_tIbNSD_35transform_pair_of_input_iterators_tIbNS6_6detail15normal_iteratorINS6_10device_ptrIKyEEEESL_NS6_8equal_toIyEEEENSG_9not_fun_tINSD_8identityEEEEENSD_19counting_iterator_tIlEES8_S8_S8_S8_S8_S8_S8_S8_EEEEPS9_S9_NSD_9__find_if7functorIS9_EEEE10hipError_tPvRmT1_T2_T3_mT4_P12ihipStream_tbEUlT_E0_NS1_11comp_targetILNS1_3genE8ELNS1_11target_archE1030ELNS1_3gpuE2ELNS1_3repE0EEENS1_30default_config_static_selectorELNS0_4arch9wavefront6targetE0EEEvS14_
; %bb.0:
	.section	.rodata,"a",@progbits
	.p2align	6, 0x0
	.amdhsa_kernel _ZN7rocprim17ROCPRIM_400000_NS6detail17trampoline_kernelINS0_14default_configENS1_22reduce_config_selectorIN6thrust23THRUST_200600_302600_NS5tupleIblNS6_9null_typeES8_S8_S8_S8_S8_S8_S8_EEEEZNS1_11reduce_implILb1ES3_NS6_12zip_iteratorINS7_INS6_11hip_rocprim26transform_input_iterator_tIbNSD_35transform_pair_of_input_iterators_tIbNS6_6detail15normal_iteratorINS6_10device_ptrIKyEEEESL_NS6_8equal_toIyEEEENSG_9not_fun_tINSD_8identityEEEEENSD_19counting_iterator_tIlEES8_S8_S8_S8_S8_S8_S8_S8_EEEEPS9_S9_NSD_9__find_if7functorIS9_EEEE10hipError_tPvRmT1_T2_T3_mT4_P12ihipStream_tbEUlT_E0_NS1_11comp_targetILNS1_3genE8ELNS1_11target_archE1030ELNS1_3gpuE2ELNS1_3repE0EEENS1_30default_config_static_selectorELNS0_4arch9wavefront6targetE0EEEvS14_
		.amdhsa_group_segment_fixed_size 0
		.amdhsa_private_segment_fixed_size 0
		.amdhsa_kernarg_size 104
		.amdhsa_user_sgpr_count 15
		.amdhsa_user_sgpr_dispatch_ptr 0
		.amdhsa_user_sgpr_queue_ptr 0
		.amdhsa_user_sgpr_kernarg_segment_ptr 1
		.amdhsa_user_sgpr_dispatch_id 0
		.amdhsa_user_sgpr_private_segment_size 0
		.amdhsa_wavefront_size32 1
		.amdhsa_uses_dynamic_stack 0
		.amdhsa_enable_private_segment 0
		.amdhsa_system_sgpr_workgroup_id_x 1
		.amdhsa_system_sgpr_workgroup_id_y 0
		.amdhsa_system_sgpr_workgroup_id_z 0
		.amdhsa_system_sgpr_workgroup_info 0
		.amdhsa_system_vgpr_workitem_id 0
		.amdhsa_next_free_vgpr 1
		.amdhsa_next_free_sgpr 1
		.amdhsa_reserve_vcc 0
		.amdhsa_float_round_mode_32 0
		.amdhsa_float_round_mode_16_64 0
		.amdhsa_float_denorm_mode_32 3
		.amdhsa_float_denorm_mode_16_64 3
		.amdhsa_dx10_clamp 1
		.amdhsa_ieee_mode 1
		.amdhsa_fp16_overflow 0
		.amdhsa_workgroup_processor_mode 1
		.amdhsa_memory_ordered 1
		.amdhsa_forward_progress 0
		.amdhsa_shared_vgpr_count 0
		.amdhsa_exception_fp_ieee_invalid_op 0
		.amdhsa_exception_fp_denorm_src 0
		.amdhsa_exception_fp_ieee_div_zero 0
		.amdhsa_exception_fp_ieee_overflow 0
		.amdhsa_exception_fp_ieee_underflow 0
		.amdhsa_exception_fp_ieee_inexact 0
		.amdhsa_exception_int_div_zero 0
	.end_amdhsa_kernel
	.section	.text._ZN7rocprim17ROCPRIM_400000_NS6detail17trampoline_kernelINS0_14default_configENS1_22reduce_config_selectorIN6thrust23THRUST_200600_302600_NS5tupleIblNS6_9null_typeES8_S8_S8_S8_S8_S8_S8_EEEEZNS1_11reduce_implILb1ES3_NS6_12zip_iteratorINS7_INS6_11hip_rocprim26transform_input_iterator_tIbNSD_35transform_pair_of_input_iterators_tIbNS6_6detail15normal_iteratorINS6_10device_ptrIKyEEEESL_NS6_8equal_toIyEEEENSG_9not_fun_tINSD_8identityEEEEENSD_19counting_iterator_tIlEES8_S8_S8_S8_S8_S8_S8_S8_EEEEPS9_S9_NSD_9__find_if7functorIS9_EEEE10hipError_tPvRmT1_T2_T3_mT4_P12ihipStream_tbEUlT_E0_NS1_11comp_targetILNS1_3genE8ELNS1_11target_archE1030ELNS1_3gpuE2ELNS1_3repE0EEENS1_30default_config_static_selectorELNS0_4arch9wavefront6targetE0EEEvS14_,"axG",@progbits,_ZN7rocprim17ROCPRIM_400000_NS6detail17trampoline_kernelINS0_14default_configENS1_22reduce_config_selectorIN6thrust23THRUST_200600_302600_NS5tupleIblNS6_9null_typeES8_S8_S8_S8_S8_S8_S8_EEEEZNS1_11reduce_implILb1ES3_NS6_12zip_iteratorINS7_INS6_11hip_rocprim26transform_input_iterator_tIbNSD_35transform_pair_of_input_iterators_tIbNS6_6detail15normal_iteratorINS6_10device_ptrIKyEEEESL_NS6_8equal_toIyEEEENSG_9not_fun_tINSD_8identityEEEEENSD_19counting_iterator_tIlEES8_S8_S8_S8_S8_S8_S8_S8_EEEEPS9_S9_NSD_9__find_if7functorIS9_EEEE10hipError_tPvRmT1_T2_T3_mT4_P12ihipStream_tbEUlT_E0_NS1_11comp_targetILNS1_3genE8ELNS1_11target_archE1030ELNS1_3gpuE2ELNS1_3repE0EEENS1_30default_config_static_selectorELNS0_4arch9wavefront6targetE0EEEvS14_,comdat
.Lfunc_end800:
	.size	_ZN7rocprim17ROCPRIM_400000_NS6detail17trampoline_kernelINS0_14default_configENS1_22reduce_config_selectorIN6thrust23THRUST_200600_302600_NS5tupleIblNS6_9null_typeES8_S8_S8_S8_S8_S8_S8_EEEEZNS1_11reduce_implILb1ES3_NS6_12zip_iteratorINS7_INS6_11hip_rocprim26transform_input_iterator_tIbNSD_35transform_pair_of_input_iterators_tIbNS6_6detail15normal_iteratorINS6_10device_ptrIKyEEEESL_NS6_8equal_toIyEEEENSG_9not_fun_tINSD_8identityEEEEENSD_19counting_iterator_tIlEES8_S8_S8_S8_S8_S8_S8_S8_EEEEPS9_S9_NSD_9__find_if7functorIS9_EEEE10hipError_tPvRmT1_T2_T3_mT4_P12ihipStream_tbEUlT_E0_NS1_11comp_targetILNS1_3genE8ELNS1_11target_archE1030ELNS1_3gpuE2ELNS1_3repE0EEENS1_30default_config_static_selectorELNS0_4arch9wavefront6targetE0EEEvS14_, .Lfunc_end800-_ZN7rocprim17ROCPRIM_400000_NS6detail17trampoline_kernelINS0_14default_configENS1_22reduce_config_selectorIN6thrust23THRUST_200600_302600_NS5tupleIblNS6_9null_typeES8_S8_S8_S8_S8_S8_S8_EEEEZNS1_11reduce_implILb1ES3_NS6_12zip_iteratorINS7_INS6_11hip_rocprim26transform_input_iterator_tIbNSD_35transform_pair_of_input_iterators_tIbNS6_6detail15normal_iteratorINS6_10device_ptrIKyEEEESL_NS6_8equal_toIyEEEENSG_9not_fun_tINSD_8identityEEEEENSD_19counting_iterator_tIlEES8_S8_S8_S8_S8_S8_S8_S8_EEEEPS9_S9_NSD_9__find_if7functorIS9_EEEE10hipError_tPvRmT1_T2_T3_mT4_P12ihipStream_tbEUlT_E0_NS1_11comp_targetILNS1_3genE8ELNS1_11target_archE1030ELNS1_3gpuE2ELNS1_3repE0EEENS1_30default_config_static_selectorELNS0_4arch9wavefront6targetE0EEEvS14_
                                        ; -- End function
	.section	.AMDGPU.csdata,"",@progbits
; Kernel info:
; codeLenInByte = 0
; NumSgprs: 0
; NumVgprs: 0
; ScratchSize: 0
; MemoryBound: 0
; FloatMode: 240
; IeeeMode: 1
; LDSByteSize: 0 bytes/workgroup (compile time only)
; SGPRBlocks: 0
; VGPRBlocks: 0
; NumSGPRsForWavesPerEU: 1
; NumVGPRsForWavesPerEU: 1
; Occupancy: 16
; WaveLimiterHint : 0
; COMPUTE_PGM_RSRC2:SCRATCH_EN: 0
; COMPUTE_PGM_RSRC2:USER_SGPR: 15
; COMPUTE_PGM_RSRC2:TRAP_HANDLER: 0
; COMPUTE_PGM_RSRC2:TGID_X_EN: 1
; COMPUTE_PGM_RSRC2:TGID_Y_EN: 0
; COMPUTE_PGM_RSRC2:TGID_Z_EN: 0
; COMPUTE_PGM_RSRC2:TIDIG_COMP_CNT: 0
	.section	.text._ZN7rocprim17ROCPRIM_400000_NS6detail17trampoline_kernelINS0_14default_configENS1_22reduce_config_selectorIN6thrust23THRUST_200600_302600_NS5tupleIblNS6_9null_typeES8_S8_S8_S8_S8_S8_S8_EEEEZNS1_11reduce_implILb1ES3_NS6_12zip_iteratorINS7_INS6_11hip_rocprim26transform_input_iterator_tIbNSD_35transform_pair_of_input_iterators_tIbNS6_6detail15normal_iteratorINS6_10device_ptrIKyEEEESL_NS6_8equal_toIyEEEENSG_9not_fun_tINSD_8identityEEEEENSD_19counting_iterator_tIlEES8_S8_S8_S8_S8_S8_S8_S8_EEEEPS9_S9_NSD_9__find_if7functorIS9_EEEE10hipError_tPvRmT1_T2_T3_mT4_P12ihipStream_tbEUlT_E1_NS1_11comp_targetILNS1_3genE0ELNS1_11target_archE4294967295ELNS1_3gpuE0ELNS1_3repE0EEENS1_30default_config_static_selectorELNS0_4arch9wavefront6targetE0EEEvS14_,"axG",@progbits,_ZN7rocprim17ROCPRIM_400000_NS6detail17trampoline_kernelINS0_14default_configENS1_22reduce_config_selectorIN6thrust23THRUST_200600_302600_NS5tupleIblNS6_9null_typeES8_S8_S8_S8_S8_S8_S8_EEEEZNS1_11reduce_implILb1ES3_NS6_12zip_iteratorINS7_INS6_11hip_rocprim26transform_input_iterator_tIbNSD_35transform_pair_of_input_iterators_tIbNS6_6detail15normal_iteratorINS6_10device_ptrIKyEEEESL_NS6_8equal_toIyEEEENSG_9not_fun_tINSD_8identityEEEEENSD_19counting_iterator_tIlEES8_S8_S8_S8_S8_S8_S8_S8_EEEEPS9_S9_NSD_9__find_if7functorIS9_EEEE10hipError_tPvRmT1_T2_T3_mT4_P12ihipStream_tbEUlT_E1_NS1_11comp_targetILNS1_3genE0ELNS1_11target_archE4294967295ELNS1_3gpuE0ELNS1_3repE0EEENS1_30default_config_static_selectorELNS0_4arch9wavefront6targetE0EEEvS14_,comdat
	.protected	_ZN7rocprim17ROCPRIM_400000_NS6detail17trampoline_kernelINS0_14default_configENS1_22reduce_config_selectorIN6thrust23THRUST_200600_302600_NS5tupleIblNS6_9null_typeES8_S8_S8_S8_S8_S8_S8_EEEEZNS1_11reduce_implILb1ES3_NS6_12zip_iteratorINS7_INS6_11hip_rocprim26transform_input_iterator_tIbNSD_35transform_pair_of_input_iterators_tIbNS6_6detail15normal_iteratorINS6_10device_ptrIKyEEEESL_NS6_8equal_toIyEEEENSG_9not_fun_tINSD_8identityEEEEENSD_19counting_iterator_tIlEES8_S8_S8_S8_S8_S8_S8_S8_EEEEPS9_S9_NSD_9__find_if7functorIS9_EEEE10hipError_tPvRmT1_T2_T3_mT4_P12ihipStream_tbEUlT_E1_NS1_11comp_targetILNS1_3genE0ELNS1_11target_archE4294967295ELNS1_3gpuE0ELNS1_3repE0EEENS1_30default_config_static_selectorELNS0_4arch9wavefront6targetE0EEEvS14_ ; -- Begin function _ZN7rocprim17ROCPRIM_400000_NS6detail17trampoline_kernelINS0_14default_configENS1_22reduce_config_selectorIN6thrust23THRUST_200600_302600_NS5tupleIblNS6_9null_typeES8_S8_S8_S8_S8_S8_S8_EEEEZNS1_11reduce_implILb1ES3_NS6_12zip_iteratorINS7_INS6_11hip_rocprim26transform_input_iterator_tIbNSD_35transform_pair_of_input_iterators_tIbNS6_6detail15normal_iteratorINS6_10device_ptrIKyEEEESL_NS6_8equal_toIyEEEENSG_9not_fun_tINSD_8identityEEEEENSD_19counting_iterator_tIlEES8_S8_S8_S8_S8_S8_S8_S8_EEEEPS9_S9_NSD_9__find_if7functorIS9_EEEE10hipError_tPvRmT1_T2_T3_mT4_P12ihipStream_tbEUlT_E1_NS1_11comp_targetILNS1_3genE0ELNS1_11target_archE4294967295ELNS1_3gpuE0ELNS1_3repE0EEENS1_30default_config_static_selectorELNS0_4arch9wavefront6targetE0EEEvS14_
	.globl	_ZN7rocprim17ROCPRIM_400000_NS6detail17trampoline_kernelINS0_14default_configENS1_22reduce_config_selectorIN6thrust23THRUST_200600_302600_NS5tupleIblNS6_9null_typeES8_S8_S8_S8_S8_S8_S8_EEEEZNS1_11reduce_implILb1ES3_NS6_12zip_iteratorINS7_INS6_11hip_rocprim26transform_input_iterator_tIbNSD_35transform_pair_of_input_iterators_tIbNS6_6detail15normal_iteratorINS6_10device_ptrIKyEEEESL_NS6_8equal_toIyEEEENSG_9not_fun_tINSD_8identityEEEEENSD_19counting_iterator_tIlEES8_S8_S8_S8_S8_S8_S8_S8_EEEEPS9_S9_NSD_9__find_if7functorIS9_EEEE10hipError_tPvRmT1_T2_T3_mT4_P12ihipStream_tbEUlT_E1_NS1_11comp_targetILNS1_3genE0ELNS1_11target_archE4294967295ELNS1_3gpuE0ELNS1_3repE0EEENS1_30default_config_static_selectorELNS0_4arch9wavefront6targetE0EEEvS14_
	.p2align	8
	.type	_ZN7rocprim17ROCPRIM_400000_NS6detail17trampoline_kernelINS0_14default_configENS1_22reduce_config_selectorIN6thrust23THRUST_200600_302600_NS5tupleIblNS6_9null_typeES8_S8_S8_S8_S8_S8_S8_EEEEZNS1_11reduce_implILb1ES3_NS6_12zip_iteratorINS7_INS6_11hip_rocprim26transform_input_iterator_tIbNSD_35transform_pair_of_input_iterators_tIbNS6_6detail15normal_iteratorINS6_10device_ptrIKyEEEESL_NS6_8equal_toIyEEEENSG_9not_fun_tINSD_8identityEEEEENSD_19counting_iterator_tIlEES8_S8_S8_S8_S8_S8_S8_S8_EEEEPS9_S9_NSD_9__find_if7functorIS9_EEEE10hipError_tPvRmT1_T2_T3_mT4_P12ihipStream_tbEUlT_E1_NS1_11comp_targetILNS1_3genE0ELNS1_11target_archE4294967295ELNS1_3gpuE0ELNS1_3repE0EEENS1_30default_config_static_selectorELNS0_4arch9wavefront6targetE0EEEvS14_,@function
_ZN7rocprim17ROCPRIM_400000_NS6detail17trampoline_kernelINS0_14default_configENS1_22reduce_config_selectorIN6thrust23THRUST_200600_302600_NS5tupleIblNS6_9null_typeES8_S8_S8_S8_S8_S8_S8_EEEEZNS1_11reduce_implILb1ES3_NS6_12zip_iteratorINS7_INS6_11hip_rocprim26transform_input_iterator_tIbNSD_35transform_pair_of_input_iterators_tIbNS6_6detail15normal_iteratorINS6_10device_ptrIKyEEEESL_NS6_8equal_toIyEEEENSG_9not_fun_tINSD_8identityEEEEENSD_19counting_iterator_tIlEES8_S8_S8_S8_S8_S8_S8_S8_EEEEPS9_S9_NSD_9__find_if7functorIS9_EEEE10hipError_tPvRmT1_T2_T3_mT4_P12ihipStream_tbEUlT_E1_NS1_11comp_targetILNS1_3genE0ELNS1_11target_archE4294967295ELNS1_3gpuE0ELNS1_3repE0EEENS1_30default_config_static_selectorELNS0_4arch9wavefront6targetE0EEEvS14_: ; @_ZN7rocprim17ROCPRIM_400000_NS6detail17trampoline_kernelINS0_14default_configENS1_22reduce_config_selectorIN6thrust23THRUST_200600_302600_NS5tupleIblNS6_9null_typeES8_S8_S8_S8_S8_S8_S8_EEEEZNS1_11reduce_implILb1ES3_NS6_12zip_iteratorINS7_INS6_11hip_rocprim26transform_input_iterator_tIbNSD_35transform_pair_of_input_iterators_tIbNS6_6detail15normal_iteratorINS6_10device_ptrIKyEEEESL_NS6_8equal_toIyEEEENSG_9not_fun_tINSD_8identityEEEEENSD_19counting_iterator_tIlEES8_S8_S8_S8_S8_S8_S8_S8_EEEEPS9_S9_NSD_9__find_if7functorIS9_EEEE10hipError_tPvRmT1_T2_T3_mT4_P12ihipStream_tbEUlT_E1_NS1_11comp_targetILNS1_3genE0ELNS1_11target_archE4294967295ELNS1_3gpuE0ELNS1_3repE0EEENS1_30default_config_static_selectorELNS0_4arch9wavefront6targetE0EEEvS14_
; %bb.0:
	.section	.rodata,"a",@progbits
	.p2align	6, 0x0
	.amdhsa_kernel _ZN7rocprim17ROCPRIM_400000_NS6detail17trampoline_kernelINS0_14default_configENS1_22reduce_config_selectorIN6thrust23THRUST_200600_302600_NS5tupleIblNS6_9null_typeES8_S8_S8_S8_S8_S8_S8_EEEEZNS1_11reduce_implILb1ES3_NS6_12zip_iteratorINS7_INS6_11hip_rocprim26transform_input_iterator_tIbNSD_35transform_pair_of_input_iterators_tIbNS6_6detail15normal_iteratorINS6_10device_ptrIKyEEEESL_NS6_8equal_toIyEEEENSG_9not_fun_tINSD_8identityEEEEENSD_19counting_iterator_tIlEES8_S8_S8_S8_S8_S8_S8_S8_EEEEPS9_S9_NSD_9__find_if7functorIS9_EEEE10hipError_tPvRmT1_T2_T3_mT4_P12ihipStream_tbEUlT_E1_NS1_11comp_targetILNS1_3genE0ELNS1_11target_archE4294967295ELNS1_3gpuE0ELNS1_3repE0EEENS1_30default_config_static_selectorELNS0_4arch9wavefront6targetE0EEEvS14_
		.amdhsa_group_segment_fixed_size 0
		.amdhsa_private_segment_fixed_size 0
		.amdhsa_kernarg_size 88
		.amdhsa_user_sgpr_count 15
		.amdhsa_user_sgpr_dispatch_ptr 0
		.amdhsa_user_sgpr_queue_ptr 0
		.amdhsa_user_sgpr_kernarg_segment_ptr 1
		.amdhsa_user_sgpr_dispatch_id 0
		.amdhsa_user_sgpr_private_segment_size 0
		.amdhsa_wavefront_size32 1
		.amdhsa_uses_dynamic_stack 0
		.amdhsa_enable_private_segment 0
		.amdhsa_system_sgpr_workgroup_id_x 1
		.amdhsa_system_sgpr_workgroup_id_y 0
		.amdhsa_system_sgpr_workgroup_id_z 0
		.amdhsa_system_sgpr_workgroup_info 0
		.amdhsa_system_vgpr_workitem_id 0
		.amdhsa_next_free_vgpr 1
		.amdhsa_next_free_sgpr 1
		.amdhsa_reserve_vcc 0
		.amdhsa_float_round_mode_32 0
		.amdhsa_float_round_mode_16_64 0
		.amdhsa_float_denorm_mode_32 3
		.amdhsa_float_denorm_mode_16_64 3
		.amdhsa_dx10_clamp 1
		.amdhsa_ieee_mode 1
		.amdhsa_fp16_overflow 0
		.amdhsa_workgroup_processor_mode 1
		.amdhsa_memory_ordered 1
		.amdhsa_forward_progress 0
		.amdhsa_shared_vgpr_count 0
		.amdhsa_exception_fp_ieee_invalid_op 0
		.amdhsa_exception_fp_denorm_src 0
		.amdhsa_exception_fp_ieee_div_zero 0
		.amdhsa_exception_fp_ieee_overflow 0
		.amdhsa_exception_fp_ieee_underflow 0
		.amdhsa_exception_fp_ieee_inexact 0
		.amdhsa_exception_int_div_zero 0
	.end_amdhsa_kernel
	.section	.text._ZN7rocprim17ROCPRIM_400000_NS6detail17trampoline_kernelINS0_14default_configENS1_22reduce_config_selectorIN6thrust23THRUST_200600_302600_NS5tupleIblNS6_9null_typeES8_S8_S8_S8_S8_S8_S8_EEEEZNS1_11reduce_implILb1ES3_NS6_12zip_iteratorINS7_INS6_11hip_rocprim26transform_input_iterator_tIbNSD_35transform_pair_of_input_iterators_tIbNS6_6detail15normal_iteratorINS6_10device_ptrIKyEEEESL_NS6_8equal_toIyEEEENSG_9not_fun_tINSD_8identityEEEEENSD_19counting_iterator_tIlEES8_S8_S8_S8_S8_S8_S8_S8_EEEEPS9_S9_NSD_9__find_if7functorIS9_EEEE10hipError_tPvRmT1_T2_T3_mT4_P12ihipStream_tbEUlT_E1_NS1_11comp_targetILNS1_3genE0ELNS1_11target_archE4294967295ELNS1_3gpuE0ELNS1_3repE0EEENS1_30default_config_static_selectorELNS0_4arch9wavefront6targetE0EEEvS14_,"axG",@progbits,_ZN7rocprim17ROCPRIM_400000_NS6detail17trampoline_kernelINS0_14default_configENS1_22reduce_config_selectorIN6thrust23THRUST_200600_302600_NS5tupleIblNS6_9null_typeES8_S8_S8_S8_S8_S8_S8_EEEEZNS1_11reduce_implILb1ES3_NS6_12zip_iteratorINS7_INS6_11hip_rocprim26transform_input_iterator_tIbNSD_35transform_pair_of_input_iterators_tIbNS6_6detail15normal_iteratorINS6_10device_ptrIKyEEEESL_NS6_8equal_toIyEEEENSG_9not_fun_tINSD_8identityEEEEENSD_19counting_iterator_tIlEES8_S8_S8_S8_S8_S8_S8_S8_EEEEPS9_S9_NSD_9__find_if7functorIS9_EEEE10hipError_tPvRmT1_T2_T3_mT4_P12ihipStream_tbEUlT_E1_NS1_11comp_targetILNS1_3genE0ELNS1_11target_archE4294967295ELNS1_3gpuE0ELNS1_3repE0EEENS1_30default_config_static_selectorELNS0_4arch9wavefront6targetE0EEEvS14_,comdat
.Lfunc_end801:
	.size	_ZN7rocprim17ROCPRIM_400000_NS6detail17trampoline_kernelINS0_14default_configENS1_22reduce_config_selectorIN6thrust23THRUST_200600_302600_NS5tupleIblNS6_9null_typeES8_S8_S8_S8_S8_S8_S8_EEEEZNS1_11reduce_implILb1ES3_NS6_12zip_iteratorINS7_INS6_11hip_rocprim26transform_input_iterator_tIbNSD_35transform_pair_of_input_iterators_tIbNS6_6detail15normal_iteratorINS6_10device_ptrIKyEEEESL_NS6_8equal_toIyEEEENSG_9not_fun_tINSD_8identityEEEEENSD_19counting_iterator_tIlEES8_S8_S8_S8_S8_S8_S8_S8_EEEEPS9_S9_NSD_9__find_if7functorIS9_EEEE10hipError_tPvRmT1_T2_T3_mT4_P12ihipStream_tbEUlT_E1_NS1_11comp_targetILNS1_3genE0ELNS1_11target_archE4294967295ELNS1_3gpuE0ELNS1_3repE0EEENS1_30default_config_static_selectorELNS0_4arch9wavefront6targetE0EEEvS14_, .Lfunc_end801-_ZN7rocprim17ROCPRIM_400000_NS6detail17trampoline_kernelINS0_14default_configENS1_22reduce_config_selectorIN6thrust23THRUST_200600_302600_NS5tupleIblNS6_9null_typeES8_S8_S8_S8_S8_S8_S8_EEEEZNS1_11reduce_implILb1ES3_NS6_12zip_iteratorINS7_INS6_11hip_rocprim26transform_input_iterator_tIbNSD_35transform_pair_of_input_iterators_tIbNS6_6detail15normal_iteratorINS6_10device_ptrIKyEEEESL_NS6_8equal_toIyEEEENSG_9not_fun_tINSD_8identityEEEEENSD_19counting_iterator_tIlEES8_S8_S8_S8_S8_S8_S8_S8_EEEEPS9_S9_NSD_9__find_if7functorIS9_EEEE10hipError_tPvRmT1_T2_T3_mT4_P12ihipStream_tbEUlT_E1_NS1_11comp_targetILNS1_3genE0ELNS1_11target_archE4294967295ELNS1_3gpuE0ELNS1_3repE0EEENS1_30default_config_static_selectorELNS0_4arch9wavefront6targetE0EEEvS14_
                                        ; -- End function
	.section	.AMDGPU.csdata,"",@progbits
; Kernel info:
; codeLenInByte = 0
; NumSgprs: 0
; NumVgprs: 0
; ScratchSize: 0
; MemoryBound: 0
; FloatMode: 240
; IeeeMode: 1
; LDSByteSize: 0 bytes/workgroup (compile time only)
; SGPRBlocks: 0
; VGPRBlocks: 0
; NumSGPRsForWavesPerEU: 1
; NumVGPRsForWavesPerEU: 1
; Occupancy: 16
; WaveLimiterHint : 0
; COMPUTE_PGM_RSRC2:SCRATCH_EN: 0
; COMPUTE_PGM_RSRC2:USER_SGPR: 15
; COMPUTE_PGM_RSRC2:TRAP_HANDLER: 0
; COMPUTE_PGM_RSRC2:TGID_X_EN: 1
; COMPUTE_PGM_RSRC2:TGID_Y_EN: 0
; COMPUTE_PGM_RSRC2:TGID_Z_EN: 0
; COMPUTE_PGM_RSRC2:TIDIG_COMP_CNT: 0
	.section	.text._ZN7rocprim17ROCPRIM_400000_NS6detail17trampoline_kernelINS0_14default_configENS1_22reduce_config_selectorIN6thrust23THRUST_200600_302600_NS5tupleIblNS6_9null_typeES8_S8_S8_S8_S8_S8_S8_EEEEZNS1_11reduce_implILb1ES3_NS6_12zip_iteratorINS7_INS6_11hip_rocprim26transform_input_iterator_tIbNSD_35transform_pair_of_input_iterators_tIbNS6_6detail15normal_iteratorINS6_10device_ptrIKyEEEESL_NS6_8equal_toIyEEEENSG_9not_fun_tINSD_8identityEEEEENSD_19counting_iterator_tIlEES8_S8_S8_S8_S8_S8_S8_S8_EEEEPS9_S9_NSD_9__find_if7functorIS9_EEEE10hipError_tPvRmT1_T2_T3_mT4_P12ihipStream_tbEUlT_E1_NS1_11comp_targetILNS1_3genE5ELNS1_11target_archE942ELNS1_3gpuE9ELNS1_3repE0EEENS1_30default_config_static_selectorELNS0_4arch9wavefront6targetE0EEEvS14_,"axG",@progbits,_ZN7rocprim17ROCPRIM_400000_NS6detail17trampoline_kernelINS0_14default_configENS1_22reduce_config_selectorIN6thrust23THRUST_200600_302600_NS5tupleIblNS6_9null_typeES8_S8_S8_S8_S8_S8_S8_EEEEZNS1_11reduce_implILb1ES3_NS6_12zip_iteratorINS7_INS6_11hip_rocprim26transform_input_iterator_tIbNSD_35transform_pair_of_input_iterators_tIbNS6_6detail15normal_iteratorINS6_10device_ptrIKyEEEESL_NS6_8equal_toIyEEEENSG_9not_fun_tINSD_8identityEEEEENSD_19counting_iterator_tIlEES8_S8_S8_S8_S8_S8_S8_S8_EEEEPS9_S9_NSD_9__find_if7functorIS9_EEEE10hipError_tPvRmT1_T2_T3_mT4_P12ihipStream_tbEUlT_E1_NS1_11comp_targetILNS1_3genE5ELNS1_11target_archE942ELNS1_3gpuE9ELNS1_3repE0EEENS1_30default_config_static_selectorELNS0_4arch9wavefront6targetE0EEEvS14_,comdat
	.protected	_ZN7rocprim17ROCPRIM_400000_NS6detail17trampoline_kernelINS0_14default_configENS1_22reduce_config_selectorIN6thrust23THRUST_200600_302600_NS5tupleIblNS6_9null_typeES8_S8_S8_S8_S8_S8_S8_EEEEZNS1_11reduce_implILb1ES3_NS6_12zip_iteratorINS7_INS6_11hip_rocprim26transform_input_iterator_tIbNSD_35transform_pair_of_input_iterators_tIbNS6_6detail15normal_iteratorINS6_10device_ptrIKyEEEESL_NS6_8equal_toIyEEEENSG_9not_fun_tINSD_8identityEEEEENSD_19counting_iterator_tIlEES8_S8_S8_S8_S8_S8_S8_S8_EEEEPS9_S9_NSD_9__find_if7functorIS9_EEEE10hipError_tPvRmT1_T2_T3_mT4_P12ihipStream_tbEUlT_E1_NS1_11comp_targetILNS1_3genE5ELNS1_11target_archE942ELNS1_3gpuE9ELNS1_3repE0EEENS1_30default_config_static_selectorELNS0_4arch9wavefront6targetE0EEEvS14_ ; -- Begin function _ZN7rocprim17ROCPRIM_400000_NS6detail17trampoline_kernelINS0_14default_configENS1_22reduce_config_selectorIN6thrust23THRUST_200600_302600_NS5tupleIblNS6_9null_typeES8_S8_S8_S8_S8_S8_S8_EEEEZNS1_11reduce_implILb1ES3_NS6_12zip_iteratorINS7_INS6_11hip_rocprim26transform_input_iterator_tIbNSD_35transform_pair_of_input_iterators_tIbNS6_6detail15normal_iteratorINS6_10device_ptrIKyEEEESL_NS6_8equal_toIyEEEENSG_9not_fun_tINSD_8identityEEEEENSD_19counting_iterator_tIlEES8_S8_S8_S8_S8_S8_S8_S8_EEEEPS9_S9_NSD_9__find_if7functorIS9_EEEE10hipError_tPvRmT1_T2_T3_mT4_P12ihipStream_tbEUlT_E1_NS1_11comp_targetILNS1_3genE5ELNS1_11target_archE942ELNS1_3gpuE9ELNS1_3repE0EEENS1_30default_config_static_selectorELNS0_4arch9wavefront6targetE0EEEvS14_
	.globl	_ZN7rocprim17ROCPRIM_400000_NS6detail17trampoline_kernelINS0_14default_configENS1_22reduce_config_selectorIN6thrust23THRUST_200600_302600_NS5tupleIblNS6_9null_typeES8_S8_S8_S8_S8_S8_S8_EEEEZNS1_11reduce_implILb1ES3_NS6_12zip_iteratorINS7_INS6_11hip_rocprim26transform_input_iterator_tIbNSD_35transform_pair_of_input_iterators_tIbNS6_6detail15normal_iteratorINS6_10device_ptrIKyEEEESL_NS6_8equal_toIyEEEENSG_9not_fun_tINSD_8identityEEEEENSD_19counting_iterator_tIlEES8_S8_S8_S8_S8_S8_S8_S8_EEEEPS9_S9_NSD_9__find_if7functorIS9_EEEE10hipError_tPvRmT1_T2_T3_mT4_P12ihipStream_tbEUlT_E1_NS1_11comp_targetILNS1_3genE5ELNS1_11target_archE942ELNS1_3gpuE9ELNS1_3repE0EEENS1_30default_config_static_selectorELNS0_4arch9wavefront6targetE0EEEvS14_
	.p2align	8
	.type	_ZN7rocprim17ROCPRIM_400000_NS6detail17trampoline_kernelINS0_14default_configENS1_22reduce_config_selectorIN6thrust23THRUST_200600_302600_NS5tupleIblNS6_9null_typeES8_S8_S8_S8_S8_S8_S8_EEEEZNS1_11reduce_implILb1ES3_NS6_12zip_iteratorINS7_INS6_11hip_rocprim26transform_input_iterator_tIbNSD_35transform_pair_of_input_iterators_tIbNS6_6detail15normal_iteratorINS6_10device_ptrIKyEEEESL_NS6_8equal_toIyEEEENSG_9not_fun_tINSD_8identityEEEEENSD_19counting_iterator_tIlEES8_S8_S8_S8_S8_S8_S8_S8_EEEEPS9_S9_NSD_9__find_if7functorIS9_EEEE10hipError_tPvRmT1_T2_T3_mT4_P12ihipStream_tbEUlT_E1_NS1_11comp_targetILNS1_3genE5ELNS1_11target_archE942ELNS1_3gpuE9ELNS1_3repE0EEENS1_30default_config_static_selectorELNS0_4arch9wavefront6targetE0EEEvS14_,@function
_ZN7rocprim17ROCPRIM_400000_NS6detail17trampoline_kernelINS0_14default_configENS1_22reduce_config_selectorIN6thrust23THRUST_200600_302600_NS5tupleIblNS6_9null_typeES8_S8_S8_S8_S8_S8_S8_EEEEZNS1_11reduce_implILb1ES3_NS6_12zip_iteratorINS7_INS6_11hip_rocprim26transform_input_iterator_tIbNSD_35transform_pair_of_input_iterators_tIbNS6_6detail15normal_iteratorINS6_10device_ptrIKyEEEESL_NS6_8equal_toIyEEEENSG_9not_fun_tINSD_8identityEEEEENSD_19counting_iterator_tIlEES8_S8_S8_S8_S8_S8_S8_S8_EEEEPS9_S9_NSD_9__find_if7functorIS9_EEEE10hipError_tPvRmT1_T2_T3_mT4_P12ihipStream_tbEUlT_E1_NS1_11comp_targetILNS1_3genE5ELNS1_11target_archE942ELNS1_3gpuE9ELNS1_3repE0EEENS1_30default_config_static_selectorELNS0_4arch9wavefront6targetE0EEEvS14_: ; @_ZN7rocprim17ROCPRIM_400000_NS6detail17trampoline_kernelINS0_14default_configENS1_22reduce_config_selectorIN6thrust23THRUST_200600_302600_NS5tupleIblNS6_9null_typeES8_S8_S8_S8_S8_S8_S8_EEEEZNS1_11reduce_implILb1ES3_NS6_12zip_iteratorINS7_INS6_11hip_rocprim26transform_input_iterator_tIbNSD_35transform_pair_of_input_iterators_tIbNS6_6detail15normal_iteratorINS6_10device_ptrIKyEEEESL_NS6_8equal_toIyEEEENSG_9not_fun_tINSD_8identityEEEEENSD_19counting_iterator_tIlEES8_S8_S8_S8_S8_S8_S8_S8_EEEEPS9_S9_NSD_9__find_if7functorIS9_EEEE10hipError_tPvRmT1_T2_T3_mT4_P12ihipStream_tbEUlT_E1_NS1_11comp_targetILNS1_3genE5ELNS1_11target_archE942ELNS1_3gpuE9ELNS1_3repE0EEENS1_30default_config_static_selectorELNS0_4arch9wavefront6targetE0EEEvS14_
; %bb.0:
	.section	.rodata,"a",@progbits
	.p2align	6, 0x0
	.amdhsa_kernel _ZN7rocprim17ROCPRIM_400000_NS6detail17trampoline_kernelINS0_14default_configENS1_22reduce_config_selectorIN6thrust23THRUST_200600_302600_NS5tupleIblNS6_9null_typeES8_S8_S8_S8_S8_S8_S8_EEEEZNS1_11reduce_implILb1ES3_NS6_12zip_iteratorINS7_INS6_11hip_rocprim26transform_input_iterator_tIbNSD_35transform_pair_of_input_iterators_tIbNS6_6detail15normal_iteratorINS6_10device_ptrIKyEEEESL_NS6_8equal_toIyEEEENSG_9not_fun_tINSD_8identityEEEEENSD_19counting_iterator_tIlEES8_S8_S8_S8_S8_S8_S8_S8_EEEEPS9_S9_NSD_9__find_if7functorIS9_EEEE10hipError_tPvRmT1_T2_T3_mT4_P12ihipStream_tbEUlT_E1_NS1_11comp_targetILNS1_3genE5ELNS1_11target_archE942ELNS1_3gpuE9ELNS1_3repE0EEENS1_30default_config_static_selectorELNS0_4arch9wavefront6targetE0EEEvS14_
		.amdhsa_group_segment_fixed_size 0
		.amdhsa_private_segment_fixed_size 0
		.amdhsa_kernarg_size 88
		.amdhsa_user_sgpr_count 15
		.amdhsa_user_sgpr_dispatch_ptr 0
		.amdhsa_user_sgpr_queue_ptr 0
		.amdhsa_user_sgpr_kernarg_segment_ptr 1
		.amdhsa_user_sgpr_dispatch_id 0
		.amdhsa_user_sgpr_private_segment_size 0
		.amdhsa_wavefront_size32 1
		.amdhsa_uses_dynamic_stack 0
		.amdhsa_enable_private_segment 0
		.amdhsa_system_sgpr_workgroup_id_x 1
		.amdhsa_system_sgpr_workgroup_id_y 0
		.amdhsa_system_sgpr_workgroup_id_z 0
		.amdhsa_system_sgpr_workgroup_info 0
		.amdhsa_system_vgpr_workitem_id 0
		.amdhsa_next_free_vgpr 1
		.amdhsa_next_free_sgpr 1
		.amdhsa_reserve_vcc 0
		.amdhsa_float_round_mode_32 0
		.amdhsa_float_round_mode_16_64 0
		.amdhsa_float_denorm_mode_32 3
		.amdhsa_float_denorm_mode_16_64 3
		.amdhsa_dx10_clamp 1
		.amdhsa_ieee_mode 1
		.amdhsa_fp16_overflow 0
		.amdhsa_workgroup_processor_mode 1
		.amdhsa_memory_ordered 1
		.amdhsa_forward_progress 0
		.amdhsa_shared_vgpr_count 0
		.amdhsa_exception_fp_ieee_invalid_op 0
		.amdhsa_exception_fp_denorm_src 0
		.amdhsa_exception_fp_ieee_div_zero 0
		.amdhsa_exception_fp_ieee_overflow 0
		.amdhsa_exception_fp_ieee_underflow 0
		.amdhsa_exception_fp_ieee_inexact 0
		.amdhsa_exception_int_div_zero 0
	.end_amdhsa_kernel
	.section	.text._ZN7rocprim17ROCPRIM_400000_NS6detail17trampoline_kernelINS0_14default_configENS1_22reduce_config_selectorIN6thrust23THRUST_200600_302600_NS5tupleIblNS6_9null_typeES8_S8_S8_S8_S8_S8_S8_EEEEZNS1_11reduce_implILb1ES3_NS6_12zip_iteratorINS7_INS6_11hip_rocprim26transform_input_iterator_tIbNSD_35transform_pair_of_input_iterators_tIbNS6_6detail15normal_iteratorINS6_10device_ptrIKyEEEESL_NS6_8equal_toIyEEEENSG_9not_fun_tINSD_8identityEEEEENSD_19counting_iterator_tIlEES8_S8_S8_S8_S8_S8_S8_S8_EEEEPS9_S9_NSD_9__find_if7functorIS9_EEEE10hipError_tPvRmT1_T2_T3_mT4_P12ihipStream_tbEUlT_E1_NS1_11comp_targetILNS1_3genE5ELNS1_11target_archE942ELNS1_3gpuE9ELNS1_3repE0EEENS1_30default_config_static_selectorELNS0_4arch9wavefront6targetE0EEEvS14_,"axG",@progbits,_ZN7rocprim17ROCPRIM_400000_NS6detail17trampoline_kernelINS0_14default_configENS1_22reduce_config_selectorIN6thrust23THRUST_200600_302600_NS5tupleIblNS6_9null_typeES8_S8_S8_S8_S8_S8_S8_EEEEZNS1_11reduce_implILb1ES3_NS6_12zip_iteratorINS7_INS6_11hip_rocprim26transform_input_iterator_tIbNSD_35transform_pair_of_input_iterators_tIbNS6_6detail15normal_iteratorINS6_10device_ptrIKyEEEESL_NS6_8equal_toIyEEEENSG_9not_fun_tINSD_8identityEEEEENSD_19counting_iterator_tIlEES8_S8_S8_S8_S8_S8_S8_S8_EEEEPS9_S9_NSD_9__find_if7functorIS9_EEEE10hipError_tPvRmT1_T2_T3_mT4_P12ihipStream_tbEUlT_E1_NS1_11comp_targetILNS1_3genE5ELNS1_11target_archE942ELNS1_3gpuE9ELNS1_3repE0EEENS1_30default_config_static_selectorELNS0_4arch9wavefront6targetE0EEEvS14_,comdat
.Lfunc_end802:
	.size	_ZN7rocprim17ROCPRIM_400000_NS6detail17trampoline_kernelINS0_14default_configENS1_22reduce_config_selectorIN6thrust23THRUST_200600_302600_NS5tupleIblNS6_9null_typeES8_S8_S8_S8_S8_S8_S8_EEEEZNS1_11reduce_implILb1ES3_NS6_12zip_iteratorINS7_INS6_11hip_rocprim26transform_input_iterator_tIbNSD_35transform_pair_of_input_iterators_tIbNS6_6detail15normal_iteratorINS6_10device_ptrIKyEEEESL_NS6_8equal_toIyEEEENSG_9not_fun_tINSD_8identityEEEEENSD_19counting_iterator_tIlEES8_S8_S8_S8_S8_S8_S8_S8_EEEEPS9_S9_NSD_9__find_if7functorIS9_EEEE10hipError_tPvRmT1_T2_T3_mT4_P12ihipStream_tbEUlT_E1_NS1_11comp_targetILNS1_3genE5ELNS1_11target_archE942ELNS1_3gpuE9ELNS1_3repE0EEENS1_30default_config_static_selectorELNS0_4arch9wavefront6targetE0EEEvS14_, .Lfunc_end802-_ZN7rocprim17ROCPRIM_400000_NS6detail17trampoline_kernelINS0_14default_configENS1_22reduce_config_selectorIN6thrust23THRUST_200600_302600_NS5tupleIblNS6_9null_typeES8_S8_S8_S8_S8_S8_S8_EEEEZNS1_11reduce_implILb1ES3_NS6_12zip_iteratorINS7_INS6_11hip_rocprim26transform_input_iterator_tIbNSD_35transform_pair_of_input_iterators_tIbNS6_6detail15normal_iteratorINS6_10device_ptrIKyEEEESL_NS6_8equal_toIyEEEENSG_9not_fun_tINSD_8identityEEEEENSD_19counting_iterator_tIlEES8_S8_S8_S8_S8_S8_S8_S8_EEEEPS9_S9_NSD_9__find_if7functorIS9_EEEE10hipError_tPvRmT1_T2_T3_mT4_P12ihipStream_tbEUlT_E1_NS1_11comp_targetILNS1_3genE5ELNS1_11target_archE942ELNS1_3gpuE9ELNS1_3repE0EEENS1_30default_config_static_selectorELNS0_4arch9wavefront6targetE0EEEvS14_
                                        ; -- End function
	.section	.AMDGPU.csdata,"",@progbits
; Kernel info:
; codeLenInByte = 0
; NumSgprs: 0
; NumVgprs: 0
; ScratchSize: 0
; MemoryBound: 0
; FloatMode: 240
; IeeeMode: 1
; LDSByteSize: 0 bytes/workgroup (compile time only)
; SGPRBlocks: 0
; VGPRBlocks: 0
; NumSGPRsForWavesPerEU: 1
; NumVGPRsForWavesPerEU: 1
; Occupancy: 16
; WaveLimiterHint : 0
; COMPUTE_PGM_RSRC2:SCRATCH_EN: 0
; COMPUTE_PGM_RSRC2:USER_SGPR: 15
; COMPUTE_PGM_RSRC2:TRAP_HANDLER: 0
; COMPUTE_PGM_RSRC2:TGID_X_EN: 1
; COMPUTE_PGM_RSRC2:TGID_Y_EN: 0
; COMPUTE_PGM_RSRC2:TGID_Z_EN: 0
; COMPUTE_PGM_RSRC2:TIDIG_COMP_CNT: 0
	.section	.text._ZN7rocprim17ROCPRIM_400000_NS6detail17trampoline_kernelINS0_14default_configENS1_22reduce_config_selectorIN6thrust23THRUST_200600_302600_NS5tupleIblNS6_9null_typeES8_S8_S8_S8_S8_S8_S8_EEEEZNS1_11reduce_implILb1ES3_NS6_12zip_iteratorINS7_INS6_11hip_rocprim26transform_input_iterator_tIbNSD_35transform_pair_of_input_iterators_tIbNS6_6detail15normal_iteratorINS6_10device_ptrIKyEEEESL_NS6_8equal_toIyEEEENSG_9not_fun_tINSD_8identityEEEEENSD_19counting_iterator_tIlEES8_S8_S8_S8_S8_S8_S8_S8_EEEEPS9_S9_NSD_9__find_if7functorIS9_EEEE10hipError_tPvRmT1_T2_T3_mT4_P12ihipStream_tbEUlT_E1_NS1_11comp_targetILNS1_3genE4ELNS1_11target_archE910ELNS1_3gpuE8ELNS1_3repE0EEENS1_30default_config_static_selectorELNS0_4arch9wavefront6targetE0EEEvS14_,"axG",@progbits,_ZN7rocprim17ROCPRIM_400000_NS6detail17trampoline_kernelINS0_14default_configENS1_22reduce_config_selectorIN6thrust23THRUST_200600_302600_NS5tupleIblNS6_9null_typeES8_S8_S8_S8_S8_S8_S8_EEEEZNS1_11reduce_implILb1ES3_NS6_12zip_iteratorINS7_INS6_11hip_rocprim26transform_input_iterator_tIbNSD_35transform_pair_of_input_iterators_tIbNS6_6detail15normal_iteratorINS6_10device_ptrIKyEEEESL_NS6_8equal_toIyEEEENSG_9not_fun_tINSD_8identityEEEEENSD_19counting_iterator_tIlEES8_S8_S8_S8_S8_S8_S8_S8_EEEEPS9_S9_NSD_9__find_if7functorIS9_EEEE10hipError_tPvRmT1_T2_T3_mT4_P12ihipStream_tbEUlT_E1_NS1_11comp_targetILNS1_3genE4ELNS1_11target_archE910ELNS1_3gpuE8ELNS1_3repE0EEENS1_30default_config_static_selectorELNS0_4arch9wavefront6targetE0EEEvS14_,comdat
	.protected	_ZN7rocprim17ROCPRIM_400000_NS6detail17trampoline_kernelINS0_14default_configENS1_22reduce_config_selectorIN6thrust23THRUST_200600_302600_NS5tupleIblNS6_9null_typeES8_S8_S8_S8_S8_S8_S8_EEEEZNS1_11reduce_implILb1ES3_NS6_12zip_iteratorINS7_INS6_11hip_rocprim26transform_input_iterator_tIbNSD_35transform_pair_of_input_iterators_tIbNS6_6detail15normal_iteratorINS6_10device_ptrIKyEEEESL_NS6_8equal_toIyEEEENSG_9not_fun_tINSD_8identityEEEEENSD_19counting_iterator_tIlEES8_S8_S8_S8_S8_S8_S8_S8_EEEEPS9_S9_NSD_9__find_if7functorIS9_EEEE10hipError_tPvRmT1_T2_T3_mT4_P12ihipStream_tbEUlT_E1_NS1_11comp_targetILNS1_3genE4ELNS1_11target_archE910ELNS1_3gpuE8ELNS1_3repE0EEENS1_30default_config_static_selectorELNS0_4arch9wavefront6targetE0EEEvS14_ ; -- Begin function _ZN7rocprim17ROCPRIM_400000_NS6detail17trampoline_kernelINS0_14default_configENS1_22reduce_config_selectorIN6thrust23THRUST_200600_302600_NS5tupleIblNS6_9null_typeES8_S8_S8_S8_S8_S8_S8_EEEEZNS1_11reduce_implILb1ES3_NS6_12zip_iteratorINS7_INS6_11hip_rocprim26transform_input_iterator_tIbNSD_35transform_pair_of_input_iterators_tIbNS6_6detail15normal_iteratorINS6_10device_ptrIKyEEEESL_NS6_8equal_toIyEEEENSG_9not_fun_tINSD_8identityEEEEENSD_19counting_iterator_tIlEES8_S8_S8_S8_S8_S8_S8_S8_EEEEPS9_S9_NSD_9__find_if7functorIS9_EEEE10hipError_tPvRmT1_T2_T3_mT4_P12ihipStream_tbEUlT_E1_NS1_11comp_targetILNS1_3genE4ELNS1_11target_archE910ELNS1_3gpuE8ELNS1_3repE0EEENS1_30default_config_static_selectorELNS0_4arch9wavefront6targetE0EEEvS14_
	.globl	_ZN7rocprim17ROCPRIM_400000_NS6detail17trampoline_kernelINS0_14default_configENS1_22reduce_config_selectorIN6thrust23THRUST_200600_302600_NS5tupleIblNS6_9null_typeES8_S8_S8_S8_S8_S8_S8_EEEEZNS1_11reduce_implILb1ES3_NS6_12zip_iteratorINS7_INS6_11hip_rocprim26transform_input_iterator_tIbNSD_35transform_pair_of_input_iterators_tIbNS6_6detail15normal_iteratorINS6_10device_ptrIKyEEEESL_NS6_8equal_toIyEEEENSG_9not_fun_tINSD_8identityEEEEENSD_19counting_iterator_tIlEES8_S8_S8_S8_S8_S8_S8_S8_EEEEPS9_S9_NSD_9__find_if7functorIS9_EEEE10hipError_tPvRmT1_T2_T3_mT4_P12ihipStream_tbEUlT_E1_NS1_11comp_targetILNS1_3genE4ELNS1_11target_archE910ELNS1_3gpuE8ELNS1_3repE0EEENS1_30default_config_static_selectorELNS0_4arch9wavefront6targetE0EEEvS14_
	.p2align	8
	.type	_ZN7rocprim17ROCPRIM_400000_NS6detail17trampoline_kernelINS0_14default_configENS1_22reduce_config_selectorIN6thrust23THRUST_200600_302600_NS5tupleIblNS6_9null_typeES8_S8_S8_S8_S8_S8_S8_EEEEZNS1_11reduce_implILb1ES3_NS6_12zip_iteratorINS7_INS6_11hip_rocprim26transform_input_iterator_tIbNSD_35transform_pair_of_input_iterators_tIbNS6_6detail15normal_iteratorINS6_10device_ptrIKyEEEESL_NS6_8equal_toIyEEEENSG_9not_fun_tINSD_8identityEEEEENSD_19counting_iterator_tIlEES8_S8_S8_S8_S8_S8_S8_S8_EEEEPS9_S9_NSD_9__find_if7functorIS9_EEEE10hipError_tPvRmT1_T2_T3_mT4_P12ihipStream_tbEUlT_E1_NS1_11comp_targetILNS1_3genE4ELNS1_11target_archE910ELNS1_3gpuE8ELNS1_3repE0EEENS1_30default_config_static_selectorELNS0_4arch9wavefront6targetE0EEEvS14_,@function
_ZN7rocprim17ROCPRIM_400000_NS6detail17trampoline_kernelINS0_14default_configENS1_22reduce_config_selectorIN6thrust23THRUST_200600_302600_NS5tupleIblNS6_9null_typeES8_S8_S8_S8_S8_S8_S8_EEEEZNS1_11reduce_implILb1ES3_NS6_12zip_iteratorINS7_INS6_11hip_rocprim26transform_input_iterator_tIbNSD_35transform_pair_of_input_iterators_tIbNS6_6detail15normal_iteratorINS6_10device_ptrIKyEEEESL_NS6_8equal_toIyEEEENSG_9not_fun_tINSD_8identityEEEEENSD_19counting_iterator_tIlEES8_S8_S8_S8_S8_S8_S8_S8_EEEEPS9_S9_NSD_9__find_if7functorIS9_EEEE10hipError_tPvRmT1_T2_T3_mT4_P12ihipStream_tbEUlT_E1_NS1_11comp_targetILNS1_3genE4ELNS1_11target_archE910ELNS1_3gpuE8ELNS1_3repE0EEENS1_30default_config_static_selectorELNS0_4arch9wavefront6targetE0EEEvS14_: ; @_ZN7rocprim17ROCPRIM_400000_NS6detail17trampoline_kernelINS0_14default_configENS1_22reduce_config_selectorIN6thrust23THRUST_200600_302600_NS5tupleIblNS6_9null_typeES8_S8_S8_S8_S8_S8_S8_EEEEZNS1_11reduce_implILb1ES3_NS6_12zip_iteratorINS7_INS6_11hip_rocprim26transform_input_iterator_tIbNSD_35transform_pair_of_input_iterators_tIbNS6_6detail15normal_iteratorINS6_10device_ptrIKyEEEESL_NS6_8equal_toIyEEEENSG_9not_fun_tINSD_8identityEEEEENSD_19counting_iterator_tIlEES8_S8_S8_S8_S8_S8_S8_S8_EEEEPS9_S9_NSD_9__find_if7functorIS9_EEEE10hipError_tPvRmT1_T2_T3_mT4_P12ihipStream_tbEUlT_E1_NS1_11comp_targetILNS1_3genE4ELNS1_11target_archE910ELNS1_3gpuE8ELNS1_3repE0EEENS1_30default_config_static_selectorELNS0_4arch9wavefront6targetE0EEEvS14_
; %bb.0:
	.section	.rodata,"a",@progbits
	.p2align	6, 0x0
	.amdhsa_kernel _ZN7rocprim17ROCPRIM_400000_NS6detail17trampoline_kernelINS0_14default_configENS1_22reduce_config_selectorIN6thrust23THRUST_200600_302600_NS5tupleIblNS6_9null_typeES8_S8_S8_S8_S8_S8_S8_EEEEZNS1_11reduce_implILb1ES3_NS6_12zip_iteratorINS7_INS6_11hip_rocprim26transform_input_iterator_tIbNSD_35transform_pair_of_input_iterators_tIbNS6_6detail15normal_iteratorINS6_10device_ptrIKyEEEESL_NS6_8equal_toIyEEEENSG_9not_fun_tINSD_8identityEEEEENSD_19counting_iterator_tIlEES8_S8_S8_S8_S8_S8_S8_S8_EEEEPS9_S9_NSD_9__find_if7functorIS9_EEEE10hipError_tPvRmT1_T2_T3_mT4_P12ihipStream_tbEUlT_E1_NS1_11comp_targetILNS1_3genE4ELNS1_11target_archE910ELNS1_3gpuE8ELNS1_3repE0EEENS1_30default_config_static_selectorELNS0_4arch9wavefront6targetE0EEEvS14_
		.amdhsa_group_segment_fixed_size 0
		.amdhsa_private_segment_fixed_size 0
		.amdhsa_kernarg_size 88
		.amdhsa_user_sgpr_count 15
		.amdhsa_user_sgpr_dispatch_ptr 0
		.amdhsa_user_sgpr_queue_ptr 0
		.amdhsa_user_sgpr_kernarg_segment_ptr 1
		.amdhsa_user_sgpr_dispatch_id 0
		.amdhsa_user_sgpr_private_segment_size 0
		.amdhsa_wavefront_size32 1
		.amdhsa_uses_dynamic_stack 0
		.amdhsa_enable_private_segment 0
		.amdhsa_system_sgpr_workgroup_id_x 1
		.amdhsa_system_sgpr_workgroup_id_y 0
		.amdhsa_system_sgpr_workgroup_id_z 0
		.amdhsa_system_sgpr_workgroup_info 0
		.amdhsa_system_vgpr_workitem_id 0
		.amdhsa_next_free_vgpr 1
		.amdhsa_next_free_sgpr 1
		.amdhsa_reserve_vcc 0
		.amdhsa_float_round_mode_32 0
		.amdhsa_float_round_mode_16_64 0
		.amdhsa_float_denorm_mode_32 3
		.amdhsa_float_denorm_mode_16_64 3
		.amdhsa_dx10_clamp 1
		.amdhsa_ieee_mode 1
		.amdhsa_fp16_overflow 0
		.amdhsa_workgroup_processor_mode 1
		.amdhsa_memory_ordered 1
		.amdhsa_forward_progress 0
		.amdhsa_shared_vgpr_count 0
		.amdhsa_exception_fp_ieee_invalid_op 0
		.amdhsa_exception_fp_denorm_src 0
		.amdhsa_exception_fp_ieee_div_zero 0
		.amdhsa_exception_fp_ieee_overflow 0
		.amdhsa_exception_fp_ieee_underflow 0
		.amdhsa_exception_fp_ieee_inexact 0
		.amdhsa_exception_int_div_zero 0
	.end_amdhsa_kernel
	.section	.text._ZN7rocprim17ROCPRIM_400000_NS6detail17trampoline_kernelINS0_14default_configENS1_22reduce_config_selectorIN6thrust23THRUST_200600_302600_NS5tupleIblNS6_9null_typeES8_S8_S8_S8_S8_S8_S8_EEEEZNS1_11reduce_implILb1ES3_NS6_12zip_iteratorINS7_INS6_11hip_rocprim26transform_input_iterator_tIbNSD_35transform_pair_of_input_iterators_tIbNS6_6detail15normal_iteratorINS6_10device_ptrIKyEEEESL_NS6_8equal_toIyEEEENSG_9not_fun_tINSD_8identityEEEEENSD_19counting_iterator_tIlEES8_S8_S8_S8_S8_S8_S8_S8_EEEEPS9_S9_NSD_9__find_if7functorIS9_EEEE10hipError_tPvRmT1_T2_T3_mT4_P12ihipStream_tbEUlT_E1_NS1_11comp_targetILNS1_3genE4ELNS1_11target_archE910ELNS1_3gpuE8ELNS1_3repE0EEENS1_30default_config_static_selectorELNS0_4arch9wavefront6targetE0EEEvS14_,"axG",@progbits,_ZN7rocprim17ROCPRIM_400000_NS6detail17trampoline_kernelINS0_14default_configENS1_22reduce_config_selectorIN6thrust23THRUST_200600_302600_NS5tupleIblNS6_9null_typeES8_S8_S8_S8_S8_S8_S8_EEEEZNS1_11reduce_implILb1ES3_NS6_12zip_iteratorINS7_INS6_11hip_rocprim26transform_input_iterator_tIbNSD_35transform_pair_of_input_iterators_tIbNS6_6detail15normal_iteratorINS6_10device_ptrIKyEEEESL_NS6_8equal_toIyEEEENSG_9not_fun_tINSD_8identityEEEEENSD_19counting_iterator_tIlEES8_S8_S8_S8_S8_S8_S8_S8_EEEEPS9_S9_NSD_9__find_if7functorIS9_EEEE10hipError_tPvRmT1_T2_T3_mT4_P12ihipStream_tbEUlT_E1_NS1_11comp_targetILNS1_3genE4ELNS1_11target_archE910ELNS1_3gpuE8ELNS1_3repE0EEENS1_30default_config_static_selectorELNS0_4arch9wavefront6targetE0EEEvS14_,comdat
.Lfunc_end803:
	.size	_ZN7rocprim17ROCPRIM_400000_NS6detail17trampoline_kernelINS0_14default_configENS1_22reduce_config_selectorIN6thrust23THRUST_200600_302600_NS5tupleIblNS6_9null_typeES8_S8_S8_S8_S8_S8_S8_EEEEZNS1_11reduce_implILb1ES3_NS6_12zip_iteratorINS7_INS6_11hip_rocprim26transform_input_iterator_tIbNSD_35transform_pair_of_input_iterators_tIbNS6_6detail15normal_iteratorINS6_10device_ptrIKyEEEESL_NS6_8equal_toIyEEEENSG_9not_fun_tINSD_8identityEEEEENSD_19counting_iterator_tIlEES8_S8_S8_S8_S8_S8_S8_S8_EEEEPS9_S9_NSD_9__find_if7functorIS9_EEEE10hipError_tPvRmT1_T2_T3_mT4_P12ihipStream_tbEUlT_E1_NS1_11comp_targetILNS1_3genE4ELNS1_11target_archE910ELNS1_3gpuE8ELNS1_3repE0EEENS1_30default_config_static_selectorELNS0_4arch9wavefront6targetE0EEEvS14_, .Lfunc_end803-_ZN7rocprim17ROCPRIM_400000_NS6detail17trampoline_kernelINS0_14default_configENS1_22reduce_config_selectorIN6thrust23THRUST_200600_302600_NS5tupleIblNS6_9null_typeES8_S8_S8_S8_S8_S8_S8_EEEEZNS1_11reduce_implILb1ES3_NS6_12zip_iteratorINS7_INS6_11hip_rocprim26transform_input_iterator_tIbNSD_35transform_pair_of_input_iterators_tIbNS6_6detail15normal_iteratorINS6_10device_ptrIKyEEEESL_NS6_8equal_toIyEEEENSG_9not_fun_tINSD_8identityEEEEENSD_19counting_iterator_tIlEES8_S8_S8_S8_S8_S8_S8_S8_EEEEPS9_S9_NSD_9__find_if7functorIS9_EEEE10hipError_tPvRmT1_T2_T3_mT4_P12ihipStream_tbEUlT_E1_NS1_11comp_targetILNS1_3genE4ELNS1_11target_archE910ELNS1_3gpuE8ELNS1_3repE0EEENS1_30default_config_static_selectorELNS0_4arch9wavefront6targetE0EEEvS14_
                                        ; -- End function
	.section	.AMDGPU.csdata,"",@progbits
; Kernel info:
; codeLenInByte = 0
; NumSgprs: 0
; NumVgprs: 0
; ScratchSize: 0
; MemoryBound: 0
; FloatMode: 240
; IeeeMode: 1
; LDSByteSize: 0 bytes/workgroup (compile time only)
; SGPRBlocks: 0
; VGPRBlocks: 0
; NumSGPRsForWavesPerEU: 1
; NumVGPRsForWavesPerEU: 1
; Occupancy: 16
; WaveLimiterHint : 0
; COMPUTE_PGM_RSRC2:SCRATCH_EN: 0
; COMPUTE_PGM_RSRC2:USER_SGPR: 15
; COMPUTE_PGM_RSRC2:TRAP_HANDLER: 0
; COMPUTE_PGM_RSRC2:TGID_X_EN: 1
; COMPUTE_PGM_RSRC2:TGID_Y_EN: 0
; COMPUTE_PGM_RSRC2:TGID_Z_EN: 0
; COMPUTE_PGM_RSRC2:TIDIG_COMP_CNT: 0
	.section	.text._ZN7rocprim17ROCPRIM_400000_NS6detail17trampoline_kernelINS0_14default_configENS1_22reduce_config_selectorIN6thrust23THRUST_200600_302600_NS5tupleIblNS6_9null_typeES8_S8_S8_S8_S8_S8_S8_EEEEZNS1_11reduce_implILb1ES3_NS6_12zip_iteratorINS7_INS6_11hip_rocprim26transform_input_iterator_tIbNSD_35transform_pair_of_input_iterators_tIbNS6_6detail15normal_iteratorINS6_10device_ptrIKyEEEESL_NS6_8equal_toIyEEEENSG_9not_fun_tINSD_8identityEEEEENSD_19counting_iterator_tIlEES8_S8_S8_S8_S8_S8_S8_S8_EEEEPS9_S9_NSD_9__find_if7functorIS9_EEEE10hipError_tPvRmT1_T2_T3_mT4_P12ihipStream_tbEUlT_E1_NS1_11comp_targetILNS1_3genE3ELNS1_11target_archE908ELNS1_3gpuE7ELNS1_3repE0EEENS1_30default_config_static_selectorELNS0_4arch9wavefront6targetE0EEEvS14_,"axG",@progbits,_ZN7rocprim17ROCPRIM_400000_NS6detail17trampoline_kernelINS0_14default_configENS1_22reduce_config_selectorIN6thrust23THRUST_200600_302600_NS5tupleIblNS6_9null_typeES8_S8_S8_S8_S8_S8_S8_EEEEZNS1_11reduce_implILb1ES3_NS6_12zip_iteratorINS7_INS6_11hip_rocprim26transform_input_iterator_tIbNSD_35transform_pair_of_input_iterators_tIbNS6_6detail15normal_iteratorINS6_10device_ptrIKyEEEESL_NS6_8equal_toIyEEEENSG_9not_fun_tINSD_8identityEEEEENSD_19counting_iterator_tIlEES8_S8_S8_S8_S8_S8_S8_S8_EEEEPS9_S9_NSD_9__find_if7functorIS9_EEEE10hipError_tPvRmT1_T2_T3_mT4_P12ihipStream_tbEUlT_E1_NS1_11comp_targetILNS1_3genE3ELNS1_11target_archE908ELNS1_3gpuE7ELNS1_3repE0EEENS1_30default_config_static_selectorELNS0_4arch9wavefront6targetE0EEEvS14_,comdat
	.protected	_ZN7rocprim17ROCPRIM_400000_NS6detail17trampoline_kernelINS0_14default_configENS1_22reduce_config_selectorIN6thrust23THRUST_200600_302600_NS5tupleIblNS6_9null_typeES8_S8_S8_S8_S8_S8_S8_EEEEZNS1_11reduce_implILb1ES3_NS6_12zip_iteratorINS7_INS6_11hip_rocprim26transform_input_iterator_tIbNSD_35transform_pair_of_input_iterators_tIbNS6_6detail15normal_iteratorINS6_10device_ptrIKyEEEESL_NS6_8equal_toIyEEEENSG_9not_fun_tINSD_8identityEEEEENSD_19counting_iterator_tIlEES8_S8_S8_S8_S8_S8_S8_S8_EEEEPS9_S9_NSD_9__find_if7functorIS9_EEEE10hipError_tPvRmT1_T2_T3_mT4_P12ihipStream_tbEUlT_E1_NS1_11comp_targetILNS1_3genE3ELNS1_11target_archE908ELNS1_3gpuE7ELNS1_3repE0EEENS1_30default_config_static_selectorELNS0_4arch9wavefront6targetE0EEEvS14_ ; -- Begin function _ZN7rocprim17ROCPRIM_400000_NS6detail17trampoline_kernelINS0_14default_configENS1_22reduce_config_selectorIN6thrust23THRUST_200600_302600_NS5tupleIblNS6_9null_typeES8_S8_S8_S8_S8_S8_S8_EEEEZNS1_11reduce_implILb1ES3_NS6_12zip_iteratorINS7_INS6_11hip_rocprim26transform_input_iterator_tIbNSD_35transform_pair_of_input_iterators_tIbNS6_6detail15normal_iteratorINS6_10device_ptrIKyEEEESL_NS6_8equal_toIyEEEENSG_9not_fun_tINSD_8identityEEEEENSD_19counting_iterator_tIlEES8_S8_S8_S8_S8_S8_S8_S8_EEEEPS9_S9_NSD_9__find_if7functorIS9_EEEE10hipError_tPvRmT1_T2_T3_mT4_P12ihipStream_tbEUlT_E1_NS1_11comp_targetILNS1_3genE3ELNS1_11target_archE908ELNS1_3gpuE7ELNS1_3repE0EEENS1_30default_config_static_selectorELNS0_4arch9wavefront6targetE0EEEvS14_
	.globl	_ZN7rocprim17ROCPRIM_400000_NS6detail17trampoline_kernelINS0_14default_configENS1_22reduce_config_selectorIN6thrust23THRUST_200600_302600_NS5tupleIblNS6_9null_typeES8_S8_S8_S8_S8_S8_S8_EEEEZNS1_11reduce_implILb1ES3_NS6_12zip_iteratorINS7_INS6_11hip_rocprim26transform_input_iterator_tIbNSD_35transform_pair_of_input_iterators_tIbNS6_6detail15normal_iteratorINS6_10device_ptrIKyEEEESL_NS6_8equal_toIyEEEENSG_9not_fun_tINSD_8identityEEEEENSD_19counting_iterator_tIlEES8_S8_S8_S8_S8_S8_S8_S8_EEEEPS9_S9_NSD_9__find_if7functorIS9_EEEE10hipError_tPvRmT1_T2_T3_mT4_P12ihipStream_tbEUlT_E1_NS1_11comp_targetILNS1_3genE3ELNS1_11target_archE908ELNS1_3gpuE7ELNS1_3repE0EEENS1_30default_config_static_selectorELNS0_4arch9wavefront6targetE0EEEvS14_
	.p2align	8
	.type	_ZN7rocprim17ROCPRIM_400000_NS6detail17trampoline_kernelINS0_14default_configENS1_22reduce_config_selectorIN6thrust23THRUST_200600_302600_NS5tupleIblNS6_9null_typeES8_S8_S8_S8_S8_S8_S8_EEEEZNS1_11reduce_implILb1ES3_NS6_12zip_iteratorINS7_INS6_11hip_rocprim26transform_input_iterator_tIbNSD_35transform_pair_of_input_iterators_tIbNS6_6detail15normal_iteratorINS6_10device_ptrIKyEEEESL_NS6_8equal_toIyEEEENSG_9not_fun_tINSD_8identityEEEEENSD_19counting_iterator_tIlEES8_S8_S8_S8_S8_S8_S8_S8_EEEEPS9_S9_NSD_9__find_if7functorIS9_EEEE10hipError_tPvRmT1_T2_T3_mT4_P12ihipStream_tbEUlT_E1_NS1_11comp_targetILNS1_3genE3ELNS1_11target_archE908ELNS1_3gpuE7ELNS1_3repE0EEENS1_30default_config_static_selectorELNS0_4arch9wavefront6targetE0EEEvS14_,@function
_ZN7rocprim17ROCPRIM_400000_NS6detail17trampoline_kernelINS0_14default_configENS1_22reduce_config_selectorIN6thrust23THRUST_200600_302600_NS5tupleIblNS6_9null_typeES8_S8_S8_S8_S8_S8_S8_EEEEZNS1_11reduce_implILb1ES3_NS6_12zip_iteratorINS7_INS6_11hip_rocprim26transform_input_iterator_tIbNSD_35transform_pair_of_input_iterators_tIbNS6_6detail15normal_iteratorINS6_10device_ptrIKyEEEESL_NS6_8equal_toIyEEEENSG_9not_fun_tINSD_8identityEEEEENSD_19counting_iterator_tIlEES8_S8_S8_S8_S8_S8_S8_S8_EEEEPS9_S9_NSD_9__find_if7functorIS9_EEEE10hipError_tPvRmT1_T2_T3_mT4_P12ihipStream_tbEUlT_E1_NS1_11comp_targetILNS1_3genE3ELNS1_11target_archE908ELNS1_3gpuE7ELNS1_3repE0EEENS1_30default_config_static_selectorELNS0_4arch9wavefront6targetE0EEEvS14_: ; @_ZN7rocprim17ROCPRIM_400000_NS6detail17trampoline_kernelINS0_14default_configENS1_22reduce_config_selectorIN6thrust23THRUST_200600_302600_NS5tupleIblNS6_9null_typeES8_S8_S8_S8_S8_S8_S8_EEEEZNS1_11reduce_implILb1ES3_NS6_12zip_iteratorINS7_INS6_11hip_rocprim26transform_input_iterator_tIbNSD_35transform_pair_of_input_iterators_tIbNS6_6detail15normal_iteratorINS6_10device_ptrIKyEEEESL_NS6_8equal_toIyEEEENSG_9not_fun_tINSD_8identityEEEEENSD_19counting_iterator_tIlEES8_S8_S8_S8_S8_S8_S8_S8_EEEEPS9_S9_NSD_9__find_if7functorIS9_EEEE10hipError_tPvRmT1_T2_T3_mT4_P12ihipStream_tbEUlT_E1_NS1_11comp_targetILNS1_3genE3ELNS1_11target_archE908ELNS1_3gpuE7ELNS1_3repE0EEENS1_30default_config_static_selectorELNS0_4arch9wavefront6targetE0EEEvS14_
; %bb.0:
	.section	.rodata,"a",@progbits
	.p2align	6, 0x0
	.amdhsa_kernel _ZN7rocprim17ROCPRIM_400000_NS6detail17trampoline_kernelINS0_14default_configENS1_22reduce_config_selectorIN6thrust23THRUST_200600_302600_NS5tupleIblNS6_9null_typeES8_S8_S8_S8_S8_S8_S8_EEEEZNS1_11reduce_implILb1ES3_NS6_12zip_iteratorINS7_INS6_11hip_rocprim26transform_input_iterator_tIbNSD_35transform_pair_of_input_iterators_tIbNS6_6detail15normal_iteratorINS6_10device_ptrIKyEEEESL_NS6_8equal_toIyEEEENSG_9not_fun_tINSD_8identityEEEEENSD_19counting_iterator_tIlEES8_S8_S8_S8_S8_S8_S8_S8_EEEEPS9_S9_NSD_9__find_if7functorIS9_EEEE10hipError_tPvRmT1_T2_T3_mT4_P12ihipStream_tbEUlT_E1_NS1_11comp_targetILNS1_3genE3ELNS1_11target_archE908ELNS1_3gpuE7ELNS1_3repE0EEENS1_30default_config_static_selectorELNS0_4arch9wavefront6targetE0EEEvS14_
		.amdhsa_group_segment_fixed_size 0
		.amdhsa_private_segment_fixed_size 0
		.amdhsa_kernarg_size 88
		.amdhsa_user_sgpr_count 15
		.amdhsa_user_sgpr_dispatch_ptr 0
		.amdhsa_user_sgpr_queue_ptr 0
		.amdhsa_user_sgpr_kernarg_segment_ptr 1
		.amdhsa_user_sgpr_dispatch_id 0
		.amdhsa_user_sgpr_private_segment_size 0
		.amdhsa_wavefront_size32 1
		.amdhsa_uses_dynamic_stack 0
		.amdhsa_enable_private_segment 0
		.amdhsa_system_sgpr_workgroup_id_x 1
		.amdhsa_system_sgpr_workgroup_id_y 0
		.amdhsa_system_sgpr_workgroup_id_z 0
		.amdhsa_system_sgpr_workgroup_info 0
		.amdhsa_system_vgpr_workitem_id 0
		.amdhsa_next_free_vgpr 1
		.amdhsa_next_free_sgpr 1
		.amdhsa_reserve_vcc 0
		.amdhsa_float_round_mode_32 0
		.amdhsa_float_round_mode_16_64 0
		.amdhsa_float_denorm_mode_32 3
		.amdhsa_float_denorm_mode_16_64 3
		.amdhsa_dx10_clamp 1
		.amdhsa_ieee_mode 1
		.amdhsa_fp16_overflow 0
		.amdhsa_workgroup_processor_mode 1
		.amdhsa_memory_ordered 1
		.amdhsa_forward_progress 0
		.amdhsa_shared_vgpr_count 0
		.amdhsa_exception_fp_ieee_invalid_op 0
		.amdhsa_exception_fp_denorm_src 0
		.amdhsa_exception_fp_ieee_div_zero 0
		.amdhsa_exception_fp_ieee_overflow 0
		.amdhsa_exception_fp_ieee_underflow 0
		.amdhsa_exception_fp_ieee_inexact 0
		.amdhsa_exception_int_div_zero 0
	.end_amdhsa_kernel
	.section	.text._ZN7rocprim17ROCPRIM_400000_NS6detail17trampoline_kernelINS0_14default_configENS1_22reduce_config_selectorIN6thrust23THRUST_200600_302600_NS5tupleIblNS6_9null_typeES8_S8_S8_S8_S8_S8_S8_EEEEZNS1_11reduce_implILb1ES3_NS6_12zip_iteratorINS7_INS6_11hip_rocprim26transform_input_iterator_tIbNSD_35transform_pair_of_input_iterators_tIbNS6_6detail15normal_iteratorINS6_10device_ptrIKyEEEESL_NS6_8equal_toIyEEEENSG_9not_fun_tINSD_8identityEEEEENSD_19counting_iterator_tIlEES8_S8_S8_S8_S8_S8_S8_S8_EEEEPS9_S9_NSD_9__find_if7functorIS9_EEEE10hipError_tPvRmT1_T2_T3_mT4_P12ihipStream_tbEUlT_E1_NS1_11comp_targetILNS1_3genE3ELNS1_11target_archE908ELNS1_3gpuE7ELNS1_3repE0EEENS1_30default_config_static_selectorELNS0_4arch9wavefront6targetE0EEEvS14_,"axG",@progbits,_ZN7rocprim17ROCPRIM_400000_NS6detail17trampoline_kernelINS0_14default_configENS1_22reduce_config_selectorIN6thrust23THRUST_200600_302600_NS5tupleIblNS6_9null_typeES8_S8_S8_S8_S8_S8_S8_EEEEZNS1_11reduce_implILb1ES3_NS6_12zip_iteratorINS7_INS6_11hip_rocprim26transform_input_iterator_tIbNSD_35transform_pair_of_input_iterators_tIbNS6_6detail15normal_iteratorINS6_10device_ptrIKyEEEESL_NS6_8equal_toIyEEEENSG_9not_fun_tINSD_8identityEEEEENSD_19counting_iterator_tIlEES8_S8_S8_S8_S8_S8_S8_S8_EEEEPS9_S9_NSD_9__find_if7functorIS9_EEEE10hipError_tPvRmT1_T2_T3_mT4_P12ihipStream_tbEUlT_E1_NS1_11comp_targetILNS1_3genE3ELNS1_11target_archE908ELNS1_3gpuE7ELNS1_3repE0EEENS1_30default_config_static_selectorELNS0_4arch9wavefront6targetE0EEEvS14_,comdat
.Lfunc_end804:
	.size	_ZN7rocprim17ROCPRIM_400000_NS6detail17trampoline_kernelINS0_14default_configENS1_22reduce_config_selectorIN6thrust23THRUST_200600_302600_NS5tupleIblNS6_9null_typeES8_S8_S8_S8_S8_S8_S8_EEEEZNS1_11reduce_implILb1ES3_NS6_12zip_iteratorINS7_INS6_11hip_rocprim26transform_input_iterator_tIbNSD_35transform_pair_of_input_iterators_tIbNS6_6detail15normal_iteratorINS6_10device_ptrIKyEEEESL_NS6_8equal_toIyEEEENSG_9not_fun_tINSD_8identityEEEEENSD_19counting_iterator_tIlEES8_S8_S8_S8_S8_S8_S8_S8_EEEEPS9_S9_NSD_9__find_if7functorIS9_EEEE10hipError_tPvRmT1_T2_T3_mT4_P12ihipStream_tbEUlT_E1_NS1_11comp_targetILNS1_3genE3ELNS1_11target_archE908ELNS1_3gpuE7ELNS1_3repE0EEENS1_30default_config_static_selectorELNS0_4arch9wavefront6targetE0EEEvS14_, .Lfunc_end804-_ZN7rocprim17ROCPRIM_400000_NS6detail17trampoline_kernelINS0_14default_configENS1_22reduce_config_selectorIN6thrust23THRUST_200600_302600_NS5tupleIblNS6_9null_typeES8_S8_S8_S8_S8_S8_S8_EEEEZNS1_11reduce_implILb1ES3_NS6_12zip_iteratorINS7_INS6_11hip_rocprim26transform_input_iterator_tIbNSD_35transform_pair_of_input_iterators_tIbNS6_6detail15normal_iteratorINS6_10device_ptrIKyEEEESL_NS6_8equal_toIyEEEENSG_9not_fun_tINSD_8identityEEEEENSD_19counting_iterator_tIlEES8_S8_S8_S8_S8_S8_S8_S8_EEEEPS9_S9_NSD_9__find_if7functorIS9_EEEE10hipError_tPvRmT1_T2_T3_mT4_P12ihipStream_tbEUlT_E1_NS1_11comp_targetILNS1_3genE3ELNS1_11target_archE908ELNS1_3gpuE7ELNS1_3repE0EEENS1_30default_config_static_selectorELNS0_4arch9wavefront6targetE0EEEvS14_
                                        ; -- End function
	.section	.AMDGPU.csdata,"",@progbits
; Kernel info:
; codeLenInByte = 0
; NumSgprs: 0
; NumVgprs: 0
; ScratchSize: 0
; MemoryBound: 0
; FloatMode: 240
; IeeeMode: 1
; LDSByteSize: 0 bytes/workgroup (compile time only)
; SGPRBlocks: 0
; VGPRBlocks: 0
; NumSGPRsForWavesPerEU: 1
; NumVGPRsForWavesPerEU: 1
; Occupancy: 16
; WaveLimiterHint : 0
; COMPUTE_PGM_RSRC2:SCRATCH_EN: 0
; COMPUTE_PGM_RSRC2:USER_SGPR: 15
; COMPUTE_PGM_RSRC2:TRAP_HANDLER: 0
; COMPUTE_PGM_RSRC2:TGID_X_EN: 1
; COMPUTE_PGM_RSRC2:TGID_Y_EN: 0
; COMPUTE_PGM_RSRC2:TGID_Z_EN: 0
; COMPUTE_PGM_RSRC2:TIDIG_COMP_CNT: 0
	.section	.text._ZN7rocprim17ROCPRIM_400000_NS6detail17trampoline_kernelINS0_14default_configENS1_22reduce_config_selectorIN6thrust23THRUST_200600_302600_NS5tupleIblNS6_9null_typeES8_S8_S8_S8_S8_S8_S8_EEEEZNS1_11reduce_implILb1ES3_NS6_12zip_iteratorINS7_INS6_11hip_rocprim26transform_input_iterator_tIbNSD_35transform_pair_of_input_iterators_tIbNS6_6detail15normal_iteratorINS6_10device_ptrIKyEEEESL_NS6_8equal_toIyEEEENSG_9not_fun_tINSD_8identityEEEEENSD_19counting_iterator_tIlEES8_S8_S8_S8_S8_S8_S8_S8_EEEEPS9_S9_NSD_9__find_if7functorIS9_EEEE10hipError_tPvRmT1_T2_T3_mT4_P12ihipStream_tbEUlT_E1_NS1_11comp_targetILNS1_3genE2ELNS1_11target_archE906ELNS1_3gpuE6ELNS1_3repE0EEENS1_30default_config_static_selectorELNS0_4arch9wavefront6targetE0EEEvS14_,"axG",@progbits,_ZN7rocprim17ROCPRIM_400000_NS6detail17trampoline_kernelINS0_14default_configENS1_22reduce_config_selectorIN6thrust23THRUST_200600_302600_NS5tupleIblNS6_9null_typeES8_S8_S8_S8_S8_S8_S8_EEEEZNS1_11reduce_implILb1ES3_NS6_12zip_iteratorINS7_INS6_11hip_rocprim26transform_input_iterator_tIbNSD_35transform_pair_of_input_iterators_tIbNS6_6detail15normal_iteratorINS6_10device_ptrIKyEEEESL_NS6_8equal_toIyEEEENSG_9not_fun_tINSD_8identityEEEEENSD_19counting_iterator_tIlEES8_S8_S8_S8_S8_S8_S8_S8_EEEEPS9_S9_NSD_9__find_if7functorIS9_EEEE10hipError_tPvRmT1_T2_T3_mT4_P12ihipStream_tbEUlT_E1_NS1_11comp_targetILNS1_3genE2ELNS1_11target_archE906ELNS1_3gpuE6ELNS1_3repE0EEENS1_30default_config_static_selectorELNS0_4arch9wavefront6targetE0EEEvS14_,comdat
	.protected	_ZN7rocprim17ROCPRIM_400000_NS6detail17trampoline_kernelINS0_14default_configENS1_22reduce_config_selectorIN6thrust23THRUST_200600_302600_NS5tupleIblNS6_9null_typeES8_S8_S8_S8_S8_S8_S8_EEEEZNS1_11reduce_implILb1ES3_NS6_12zip_iteratorINS7_INS6_11hip_rocprim26transform_input_iterator_tIbNSD_35transform_pair_of_input_iterators_tIbNS6_6detail15normal_iteratorINS6_10device_ptrIKyEEEESL_NS6_8equal_toIyEEEENSG_9not_fun_tINSD_8identityEEEEENSD_19counting_iterator_tIlEES8_S8_S8_S8_S8_S8_S8_S8_EEEEPS9_S9_NSD_9__find_if7functorIS9_EEEE10hipError_tPvRmT1_T2_T3_mT4_P12ihipStream_tbEUlT_E1_NS1_11comp_targetILNS1_3genE2ELNS1_11target_archE906ELNS1_3gpuE6ELNS1_3repE0EEENS1_30default_config_static_selectorELNS0_4arch9wavefront6targetE0EEEvS14_ ; -- Begin function _ZN7rocprim17ROCPRIM_400000_NS6detail17trampoline_kernelINS0_14default_configENS1_22reduce_config_selectorIN6thrust23THRUST_200600_302600_NS5tupleIblNS6_9null_typeES8_S8_S8_S8_S8_S8_S8_EEEEZNS1_11reduce_implILb1ES3_NS6_12zip_iteratorINS7_INS6_11hip_rocprim26transform_input_iterator_tIbNSD_35transform_pair_of_input_iterators_tIbNS6_6detail15normal_iteratorINS6_10device_ptrIKyEEEESL_NS6_8equal_toIyEEEENSG_9not_fun_tINSD_8identityEEEEENSD_19counting_iterator_tIlEES8_S8_S8_S8_S8_S8_S8_S8_EEEEPS9_S9_NSD_9__find_if7functorIS9_EEEE10hipError_tPvRmT1_T2_T3_mT4_P12ihipStream_tbEUlT_E1_NS1_11comp_targetILNS1_3genE2ELNS1_11target_archE906ELNS1_3gpuE6ELNS1_3repE0EEENS1_30default_config_static_selectorELNS0_4arch9wavefront6targetE0EEEvS14_
	.globl	_ZN7rocprim17ROCPRIM_400000_NS6detail17trampoline_kernelINS0_14default_configENS1_22reduce_config_selectorIN6thrust23THRUST_200600_302600_NS5tupleIblNS6_9null_typeES8_S8_S8_S8_S8_S8_S8_EEEEZNS1_11reduce_implILb1ES3_NS6_12zip_iteratorINS7_INS6_11hip_rocprim26transform_input_iterator_tIbNSD_35transform_pair_of_input_iterators_tIbNS6_6detail15normal_iteratorINS6_10device_ptrIKyEEEESL_NS6_8equal_toIyEEEENSG_9not_fun_tINSD_8identityEEEEENSD_19counting_iterator_tIlEES8_S8_S8_S8_S8_S8_S8_S8_EEEEPS9_S9_NSD_9__find_if7functorIS9_EEEE10hipError_tPvRmT1_T2_T3_mT4_P12ihipStream_tbEUlT_E1_NS1_11comp_targetILNS1_3genE2ELNS1_11target_archE906ELNS1_3gpuE6ELNS1_3repE0EEENS1_30default_config_static_selectorELNS0_4arch9wavefront6targetE0EEEvS14_
	.p2align	8
	.type	_ZN7rocprim17ROCPRIM_400000_NS6detail17trampoline_kernelINS0_14default_configENS1_22reduce_config_selectorIN6thrust23THRUST_200600_302600_NS5tupleIblNS6_9null_typeES8_S8_S8_S8_S8_S8_S8_EEEEZNS1_11reduce_implILb1ES3_NS6_12zip_iteratorINS7_INS6_11hip_rocprim26transform_input_iterator_tIbNSD_35transform_pair_of_input_iterators_tIbNS6_6detail15normal_iteratorINS6_10device_ptrIKyEEEESL_NS6_8equal_toIyEEEENSG_9not_fun_tINSD_8identityEEEEENSD_19counting_iterator_tIlEES8_S8_S8_S8_S8_S8_S8_S8_EEEEPS9_S9_NSD_9__find_if7functorIS9_EEEE10hipError_tPvRmT1_T2_T3_mT4_P12ihipStream_tbEUlT_E1_NS1_11comp_targetILNS1_3genE2ELNS1_11target_archE906ELNS1_3gpuE6ELNS1_3repE0EEENS1_30default_config_static_selectorELNS0_4arch9wavefront6targetE0EEEvS14_,@function
_ZN7rocprim17ROCPRIM_400000_NS6detail17trampoline_kernelINS0_14default_configENS1_22reduce_config_selectorIN6thrust23THRUST_200600_302600_NS5tupleIblNS6_9null_typeES8_S8_S8_S8_S8_S8_S8_EEEEZNS1_11reduce_implILb1ES3_NS6_12zip_iteratorINS7_INS6_11hip_rocprim26transform_input_iterator_tIbNSD_35transform_pair_of_input_iterators_tIbNS6_6detail15normal_iteratorINS6_10device_ptrIKyEEEESL_NS6_8equal_toIyEEEENSG_9not_fun_tINSD_8identityEEEEENSD_19counting_iterator_tIlEES8_S8_S8_S8_S8_S8_S8_S8_EEEEPS9_S9_NSD_9__find_if7functorIS9_EEEE10hipError_tPvRmT1_T2_T3_mT4_P12ihipStream_tbEUlT_E1_NS1_11comp_targetILNS1_3genE2ELNS1_11target_archE906ELNS1_3gpuE6ELNS1_3repE0EEENS1_30default_config_static_selectorELNS0_4arch9wavefront6targetE0EEEvS14_: ; @_ZN7rocprim17ROCPRIM_400000_NS6detail17trampoline_kernelINS0_14default_configENS1_22reduce_config_selectorIN6thrust23THRUST_200600_302600_NS5tupleIblNS6_9null_typeES8_S8_S8_S8_S8_S8_S8_EEEEZNS1_11reduce_implILb1ES3_NS6_12zip_iteratorINS7_INS6_11hip_rocprim26transform_input_iterator_tIbNSD_35transform_pair_of_input_iterators_tIbNS6_6detail15normal_iteratorINS6_10device_ptrIKyEEEESL_NS6_8equal_toIyEEEENSG_9not_fun_tINSD_8identityEEEEENSD_19counting_iterator_tIlEES8_S8_S8_S8_S8_S8_S8_S8_EEEEPS9_S9_NSD_9__find_if7functorIS9_EEEE10hipError_tPvRmT1_T2_T3_mT4_P12ihipStream_tbEUlT_E1_NS1_11comp_targetILNS1_3genE2ELNS1_11target_archE906ELNS1_3gpuE6ELNS1_3repE0EEENS1_30default_config_static_selectorELNS0_4arch9wavefront6targetE0EEEvS14_
; %bb.0:
	.section	.rodata,"a",@progbits
	.p2align	6, 0x0
	.amdhsa_kernel _ZN7rocprim17ROCPRIM_400000_NS6detail17trampoline_kernelINS0_14default_configENS1_22reduce_config_selectorIN6thrust23THRUST_200600_302600_NS5tupleIblNS6_9null_typeES8_S8_S8_S8_S8_S8_S8_EEEEZNS1_11reduce_implILb1ES3_NS6_12zip_iteratorINS7_INS6_11hip_rocprim26transform_input_iterator_tIbNSD_35transform_pair_of_input_iterators_tIbNS6_6detail15normal_iteratorINS6_10device_ptrIKyEEEESL_NS6_8equal_toIyEEEENSG_9not_fun_tINSD_8identityEEEEENSD_19counting_iterator_tIlEES8_S8_S8_S8_S8_S8_S8_S8_EEEEPS9_S9_NSD_9__find_if7functorIS9_EEEE10hipError_tPvRmT1_T2_T3_mT4_P12ihipStream_tbEUlT_E1_NS1_11comp_targetILNS1_3genE2ELNS1_11target_archE906ELNS1_3gpuE6ELNS1_3repE0EEENS1_30default_config_static_selectorELNS0_4arch9wavefront6targetE0EEEvS14_
		.amdhsa_group_segment_fixed_size 0
		.amdhsa_private_segment_fixed_size 0
		.amdhsa_kernarg_size 88
		.amdhsa_user_sgpr_count 15
		.amdhsa_user_sgpr_dispatch_ptr 0
		.amdhsa_user_sgpr_queue_ptr 0
		.amdhsa_user_sgpr_kernarg_segment_ptr 1
		.amdhsa_user_sgpr_dispatch_id 0
		.amdhsa_user_sgpr_private_segment_size 0
		.amdhsa_wavefront_size32 1
		.amdhsa_uses_dynamic_stack 0
		.amdhsa_enable_private_segment 0
		.amdhsa_system_sgpr_workgroup_id_x 1
		.amdhsa_system_sgpr_workgroup_id_y 0
		.amdhsa_system_sgpr_workgroup_id_z 0
		.amdhsa_system_sgpr_workgroup_info 0
		.amdhsa_system_vgpr_workitem_id 0
		.amdhsa_next_free_vgpr 1
		.amdhsa_next_free_sgpr 1
		.amdhsa_reserve_vcc 0
		.amdhsa_float_round_mode_32 0
		.amdhsa_float_round_mode_16_64 0
		.amdhsa_float_denorm_mode_32 3
		.amdhsa_float_denorm_mode_16_64 3
		.amdhsa_dx10_clamp 1
		.amdhsa_ieee_mode 1
		.amdhsa_fp16_overflow 0
		.amdhsa_workgroup_processor_mode 1
		.amdhsa_memory_ordered 1
		.amdhsa_forward_progress 0
		.amdhsa_shared_vgpr_count 0
		.amdhsa_exception_fp_ieee_invalid_op 0
		.amdhsa_exception_fp_denorm_src 0
		.amdhsa_exception_fp_ieee_div_zero 0
		.amdhsa_exception_fp_ieee_overflow 0
		.amdhsa_exception_fp_ieee_underflow 0
		.amdhsa_exception_fp_ieee_inexact 0
		.amdhsa_exception_int_div_zero 0
	.end_amdhsa_kernel
	.section	.text._ZN7rocprim17ROCPRIM_400000_NS6detail17trampoline_kernelINS0_14default_configENS1_22reduce_config_selectorIN6thrust23THRUST_200600_302600_NS5tupleIblNS6_9null_typeES8_S8_S8_S8_S8_S8_S8_EEEEZNS1_11reduce_implILb1ES3_NS6_12zip_iteratorINS7_INS6_11hip_rocprim26transform_input_iterator_tIbNSD_35transform_pair_of_input_iterators_tIbNS6_6detail15normal_iteratorINS6_10device_ptrIKyEEEESL_NS6_8equal_toIyEEEENSG_9not_fun_tINSD_8identityEEEEENSD_19counting_iterator_tIlEES8_S8_S8_S8_S8_S8_S8_S8_EEEEPS9_S9_NSD_9__find_if7functorIS9_EEEE10hipError_tPvRmT1_T2_T3_mT4_P12ihipStream_tbEUlT_E1_NS1_11comp_targetILNS1_3genE2ELNS1_11target_archE906ELNS1_3gpuE6ELNS1_3repE0EEENS1_30default_config_static_selectorELNS0_4arch9wavefront6targetE0EEEvS14_,"axG",@progbits,_ZN7rocprim17ROCPRIM_400000_NS6detail17trampoline_kernelINS0_14default_configENS1_22reduce_config_selectorIN6thrust23THRUST_200600_302600_NS5tupleIblNS6_9null_typeES8_S8_S8_S8_S8_S8_S8_EEEEZNS1_11reduce_implILb1ES3_NS6_12zip_iteratorINS7_INS6_11hip_rocprim26transform_input_iterator_tIbNSD_35transform_pair_of_input_iterators_tIbNS6_6detail15normal_iteratorINS6_10device_ptrIKyEEEESL_NS6_8equal_toIyEEEENSG_9not_fun_tINSD_8identityEEEEENSD_19counting_iterator_tIlEES8_S8_S8_S8_S8_S8_S8_S8_EEEEPS9_S9_NSD_9__find_if7functorIS9_EEEE10hipError_tPvRmT1_T2_T3_mT4_P12ihipStream_tbEUlT_E1_NS1_11comp_targetILNS1_3genE2ELNS1_11target_archE906ELNS1_3gpuE6ELNS1_3repE0EEENS1_30default_config_static_selectorELNS0_4arch9wavefront6targetE0EEEvS14_,comdat
.Lfunc_end805:
	.size	_ZN7rocprim17ROCPRIM_400000_NS6detail17trampoline_kernelINS0_14default_configENS1_22reduce_config_selectorIN6thrust23THRUST_200600_302600_NS5tupleIblNS6_9null_typeES8_S8_S8_S8_S8_S8_S8_EEEEZNS1_11reduce_implILb1ES3_NS6_12zip_iteratorINS7_INS6_11hip_rocprim26transform_input_iterator_tIbNSD_35transform_pair_of_input_iterators_tIbNS6_6detail15normal_iteratorINS6_10device_ptrIKyEEEESL_NS6_8equal_toIyEEEENSG_9not_fun_tINSD_8identityEEEEENSD_19counting_iterator_tIlEES8_S8_S8_S8_S8_S8_S8_S8_EEEEPS9_S9_NSD_9__find_if7functorIS9_EEEE10hipError_tPvRmT1_T2_T3_mT4_P12ihipStream_tbEUlT_E1_NS1_11comp_targetILNS1_3genE2ELNS1_11target_archE906ELNS1_3gpuE6ELNS1_3repE0EEENS1_30default_config_static_selectorELNS0_4arch9wavefront6targetE0EEEvS14_, .Lfunc_end805-_ZN7rocprim17ROCPRIM_400000_NS6detail17trampoline_kernelINS0_14default_configENS1_22reduce_config_selectorIN6thrust23THRUST_200600_302600_NS5tupleIblNS6_9null_typeES8_S8_S8_S8_S8_S8_S8_EEEEZNS1_11reduce_implILb1ES3_NS6_12zip_iteratorINS7_INS6_11hip_rocprim26transform_input_iterator_tIbNSD_35transform_pair_of_input_iterators_tIbNS6_6detail15normal_iteratorINS6_10device_ptrIKyEEEESL_NS6_8equal_toIyEEEENSG_9not_fun_tINSD_8identityEEEEENSD_19counting_iterator_tIlEES8_S8_S8_S8_S8_S8_S8_S8_EEEEPS9_S9_NSD_9__find_if7functorIS9_EEEE10hipError_tPvRmT1_T2_T3_mT4_P12ihipStream_tbEUlT_E1_NS1_11comp_targetILNS1_3genE2ELNS1_11target_archE906ELNS1_3gpuE6ELNS1_3repE0EEENS1_30default_config_static_selectorELNS0_4arch9wavefront6targetE0EEEvS14_
                                        ; -- End function
	.section	.AMDGPU.csdata,"",@progbits
; Kernel info:
; codeLenInByte = 0
; NumSgprs: 0
; NumVgprs: 0
; ScratchSize: 0
; MemoryBound: 0
; FloatMode: 240
; IeeeMode: 1
; LDSByteSize: 0 bytes/workgroup (compile time only)
; SGPRBlocks: 0
; VGPRBlocks: 0
; NumSGPRsForWavesPerEU: 1
; NumVGPRsForWavesPerEU: 1
; Occupancy: 16
; WaveLimiterHint : 0
; COMPUTE_PGM_RSRC2:SCRATCH_EN: 0
; COMPUTE_PGM_RSRC2:USER_SGPR: 15
; COMPUTE_PGM_RSRC2:TRAP_HANDLER: 0
; COMPUTE_PGM_RSRC2:TGID_X_EN: 1
; COMPUTE_PGM_RSRC2:TGID_Y_EN: 0
; COMPUTE_PGM_RSRC2:TGID_Z_EN: 0
; COMPUTE_PGM_RSRC2:TIDIG_COMP_CNT: 0
	.section	.text._ZN7rocprim17ROCPRIM_400000_NS6detail17trampoline_kernelINS0_14default_configENS1_22reduce_config_selectorIN6thrust23THRUST_200600_302600_NS5tupleIblNS6_9null_typeES8_S8_S8_S8_S8_S8_S8_EEEEZNS1_11reduce_implILb1ES3_NS6_12zip_iteratorINS7_INS6_11hip_rocprim26transform_input_iterator_tIbNSD_35transform_pair_of_input_iterators_tIbNS6_6detail15normal_iteratorINS6_10device_ptrIKyEEEESL_NS6_8equal_toIyEEEENSG_9not_fun_tINSD_8identityEEEEENSD_19counting_iterator_tIlEES8_S8_S8_S8_S8_S8_S8_S8_EEEEPS9_S9_NSD_9__find_if7functorIS9_EEEE10hipError_tPvRmT1_T2_T3_mT4_P12ihipStream_tbEUlT_E1_NS1_11comp_targetILNS1_3genE10ELNS1_11target_archE1201ELNS1_3gpuE5ELNS1_3repE0EEENS1_30default_config_static_selectorELNS0_4arch9wavefront6targetE0EEEvS14_,"axG",@progbits,_ZN7rocprim17ROCPRIM_400000_NS6detail17trampoline_kernelINS0_14default_configENS1_22reduce_config_selectorIN6thrust23THRUST_200600_302600_NS5tupleIblNS6_9null_typeES8_S8_S8_S8_S8_S8_S8_EEEEZNS1_11reduce_implILb1ES3_NS6_12zip_iteratorINS7_INS6_11hip_rocprim26transform_input_iterator_tIbNSD_35transform_pair_of_input_iterators_tIbNS6_6detail15normal_iteratorINS6_10device_ptrIKyEEEESL_NS6_8equal_toIyEEEENSG_9not_fun_tINSD_8identityEEEEENSD_19counting_iterator_tIlEES8_S8_S8_S8_S8_S8_S8_S8_EEEEPS9_S9_NSD_9__find_if7functorIS9_EEEE10hipError_tPvRmT1_T2_T3_mT4_P12ihipStream_tbEUlT_E1_NS1_11comp_targetILNS1_3genE10ELNS1_11target_archE1201ELNS1_3gpuE5ELNS1_3repE0EEENS1_30default_config_static_selectorELNS0_4arch9wavefront6targetE0EEEvS14_,comdat
	.protected	_ZN7rocprim17ROCPRIM_400000_NS6detail17trampoline_kernelINS0_14default_configENS1_22reduce_config_selectorIN6thrust23THRUST_200600_302600_NS5tupleIblNS6_9null_typeES8_S8_S8_S8_S8_S8_S8_EEEEZNS1_11reduce_implILb1ES3_NS6_12zip_iteratorINS7_INS6_11hip_rocprim26transform_input_iterator_tIbNSD_35transform_pair_of_input_iterators_tIbNS6_6detail15normal_iteratorINS6_10device_ptrIKyEEEESL_NS6_8equal_toIyEEEENSG_9not_fun_tINSD_8identityEEEEENSD_19counting_iterator_tIlEES8_S8_S8_S8_S8_S8_S8_S8_EEEEPS9_S9_NSD_9__find_if7functorIS9_EEEE10hipError_tPvRmT1_T2_T3_mT4_P12ihipStream_tbEUlT_E1_NS1_11comp_targetILNS1_3genE10ELNS1_11target_archE1201ELNS1_3gpuE5ELNS1_3repE0EEENS1_30default_config_static_selectorELNS0_4arch9wavefront6targetE0EEEvS14_ ; -- Begin function _ZN7rocprim17ROCPRIM_400000_NS6detail17trampoline_kernelINS0_14default_configENS1_22reduce_config_selectorIN6thrust23THRUST_200600_302600_NS5tupleIblNS6_9null_typeES8_S8_S8_S8_S8_S8_S8_EEEEZNS1_11reduce_implILb1ES3_NS6_12zip_iteratorINS7_INS6_11hip_rocprim26transform_input_iterator_tIbNSD_35transform_pair_of_input_iterators_tIbNS6_6detail15normal_iteratorINS6_10device_ptrIKyEEEESL_NS6_8equal_toIyEEEENSG_9not_fun_tINSD_8identityEEEEENSD_19counting_iterator_tIlEES8_S8_S8_S8_S8_S8_S8_S8_EEEEPS9_S9_NSD_9__find_if7functorIS9_EEEE10hipError_tPvRmT1_T2_T3_mT4_P12ihipStream_tbEUlT_E1_NS1_11comp_targetILNS1_3genE10ELNS1_11target_archE1201ELNS1_3gpuE5ELNS1_3repE0EEENS1_30default_config_static_selectorELNS0_4arch9wavefront6targetE0EEEvS14_
	.globl	_ZN7rocprim17ROCPRIM_400000_NS6detail17trampoline_kernelINS0_14default_configENS1_22reduce_config_selectorIN6thrust23THRUST_200600_302600_NS5tupleIblNS6_9null_typeES8_S8_S8_S8_S8_S8_S8_EEEEZNS1_11reduce_implILb1ES3_NS6_12zip_iteratorINS7_INS6_11hip_rocprim26transform_input_iterator_tIbNSD_35transform_pair_of_input_iterators_tIbNS6_6detail15normal_iteratorINS6_10device_ptrIKyEEEESL_NS6_8equal_toIyEEEENSG_9not_fun_tINSD_8identityEEEEENSD_19counting_iterator_tIlEES8_S8_S8_S8_S8_S8_S8_S8_EEEEPS9_S9_NSD_9__find_if7functorIS9_EEEE10hipError_tPvRmT1_T2_T3_mT4_P12ihipStream_tbEUlT_E1_NS1_11comp_targetILNS1_3genE10ELNS1_11target_archE1201ELNS1_3gpuE5ELNS1_3repE0EEENS1_30default_config_static_selectorELNS0_4arch9wavefront6targetE0EEEvS14_
	.p2align	8
	.type	_ZN7rocprim17ROCPRIM_400000_NS6detail17trampoline_kernelINS0_14default_configENS1_22reduce_config_selectorIN6thrust23THRUST_200600_302600_NS5tupleIblNS6_9null_typeES8_S8_S8_S8_S8_S8_S8_EEEEZNS1_11reduce_implILb1ES3_NS6_12zip_iteratorINS7_INS6_11hip_rocprim26transform_input_iterator_tIbNSD_35transform_pair_of_input_iterators_tIbNS6_6detail15normal_iteratorINS6_10device_ptrIKyEEEESL_NS6_8equal_toIyEEEENSG_9not_fun_tINSD_8identityEEEEENSD_19counting_iterator_tIlEES8_S8_S8_S8_S8_S8_S8_S8_EEEEPS9_S9_NSD_9__find_if7functorIS9_EEEE10hipError_tPvRmT1_T2_T3_mT4_P12ihipStream_tbEUlT_E1_NS1_11comp_targetILNS1_3genE10ELNS1_11target_archE1201ELNS1_3gpuE5ELNS1_3repE0EEENS1_30default_config_static_selectorELNS0_4arch9wavefront6targetE0EEEvS14_,@function
_ZN7rocprim17ROCPRIM_400000_NS6detail17trampoline_kernelINS0_14default_configENS1_22reduce_config_selectorIN6thrust23THRUST_200600_302600_NS5tupleIblNS6_9null_typeES8_S8_S8_S8_S8_S8_S8_EEEEZNS1_11reduce_implILb1ES3_NS6_12zip_iteratorINS7_INS6_11hip_rocprim26transform_input_iterator_tIbNSD_35transform_pair_of_input_iterators_tIbNS6_6detail15normal_iteratorINS6_10device_ptrIKyEEEESL_NS6_8equal_toIyEEEENSG_9not_fun_tINSD_8identityEEEEENSD_19counting_iterator_tIlEES8_S8_S8_S8_S8_S8_S8_S8_EEEEPS9_S9_NSD_9__find_if7functorIS9_EEEE10hipError_tPvRmT1_T2_T3_mT4_P12ihipStream_tbEUlT_E1_NS1_11comp_targetILNS1_3genE10ELNS1_11target_archE1201ELNS1_3gpuE5ELNS1_3repE0EEENS1_30default_config_static_selectorELNS0_4arch9wavefront6targetE0EEEvS14_: ; @_ZN7rocprim17ROCPRIM_400000_NS6detail17trampoline_kernelINS0_14default_configENS1_22reduce_config_selectorIN6thrust23THRUST_200600_302600_NS5tupleIblNS6_9null_typeES8_S8_S8_S8_S8_S8_S8_EEEEZNS1_11reduce_implILb1ES3_NS6_12zip_iteratorINS7_INS6_11hip_rocprim26transform_input_iterator_tIbNSD_35transform_pair_of_input_iterators_tIbNS6_6detail15normal_iteratorINS6_10device_ptrIKyEEEESL_NS6_8equal_toIyEEEENSG_9not_fun_tINSD_8identityEEEEENSD_19counting_iterator_tIlEES8_S8_S8_S8_S8_S8_S8_S8_EEEEPS9_S9_NSD_9__find_if7functorIS9_EEEE10hipError_tPvRmT1_T2_T3_mT4_P12ihipStream_tbEUlT_E1_NS1_11comp_targetILNS1_3genE10ELNS1_11target_archE1201ELNS1_3gpuE5ELNS1_3repE0EEENS1_30default_config_static_selectorELNS0_4arch9wavefront6targetE0EEEvS14_
; %bb.0:
	.section	.rodata,"a",@progbits
	.p2align	6, 0x0
	.amdhsa_kernel _ZN7rocprim17ROCPRIM_400000_NS6detail17trampoline_kernelINS0_14default_configENS1_22reduce_config_selectorIN6thrust23THRUST_200600_302600_NS5tupleIblNS6_9null_typeES8_S8_S8_S8_S8_S8_S8_EEEEZNS1_11reduce_implILb1ES3_NS6_12zip_iteratorINS7_INS6_11hip_rocprim26transform_input_iterator_tIbNSD_35transform_pair_of_input_iterators_tIbNS6_6detail15normal_iteratorINS6_10device_ptrIKyEEEESL_NS6_8equal_toIyEEEENSG_9not_fun_tINSD_8identityEEEEENSD_19counting_iterator_tIlEES8_S8_S8_S8_S8_S8_S8_S8_EEEEPS9_S9_NSD_9__find_if7functorIS9_EEEE10hipError_tPvRmT1_T2_T3_mT4_P12ihipStream_tbEUlT_E1_NS1_11comp_targetILNS1_3genE10ELNS1_11target_archE1201ELNS1_3gpuE5ELNS1_3repE0EEENS1_30default_config_static_selectorELNS0_4arch9wavefront6targetE0EEEvS14_
		.amdhsa_group_segment_fixed_size 0
		.amdhsa_private_segment_fixed_size 0
		.amdhsa_kernarg_size 88
		.amdhsa_user_sgpr_count 15
		.amdhsa_user_sgpr_dispatch_ptr 0
		.amdhsa_user_sgpr_queue_ptr 0
		.amdhsa_user_sgpr_kernarg_segment_ptr 1
		.amdhsa_user_sgpr_dispatch_id 0
		.amdhsa_user_sgpr_private_segment_size 0
		.amdhsa_wavefront_size32 1
		.amdhsa_uses_dynamic_stack 0
		.amdhsa_enable_private_segment 0
		.amdhsa_system_sgpr_workgroup_id_x 1
		.amdhsa_system_sgpr_workgroup_id_y 0
		.amdhsa_system_sgpr_workgroup_id_z 0
		.amdhsa_system_sgpr_workgroup_info 0
		.amdhsa_system_vgpr_workitem_id 0
		.amdhsa_next_free_vgpr 1
		.amdhsa_next_free_sgpr 1
		.amdhsa_reserve_vcc 0
		.amdhsa_float_round_mode_32 0
		.amdhsa_float_round_mode_16_64 0
		.amdhsa_float_denorm_mode_32 3
		.amdhsa_float_denorm_mode_16_64 3
		.amdhsa_dx10_clamp 1
		.amdhsa_ieee_mode 1
		.amdhsa_fp16_overflow 0
		.amdhsa_workgroup_processor_mode 1
		.amdhsa_memory_ordered 1
		.amdhsa_forward_progress 0
		.amdhsa_shared_vgpr_count 0
		.amdhsa_exception_fp_ieee_invalid_op 0
		.amdhsa_exception_fp_denorm_src 0
		.amdhsa_exception_fp_ieee_div_zero 0
		.amdhsa_exception_fp_ieee_overflow 0
		.amdhsa_exception_fp_ieee_underflow 0
		.amdhsa_exception_fp_ieee_inexact 0
		.amdhsa_exception_int_div_zero 0
	.end_amdhsa_kernel
	.section	.text._ZN7rocprim17ROCPRIM_400000_NS6detail17trampoline_kernelINS0_14default_configENS1_22reduce_config_selectorIN6thrust23THRUST_200600_302600_NS5tupleIblNS6_9null_typeES8_S8_S8_S8_S8_S8_S8_EEEEZNS1_11reduce_implILb1ES3_NS6_12zip_iteratorINS7_INS6_11hip_rocprim26transform_input_iterator_tIbNSD_35transform_pair_of_input_iterators_tIbNS6_6detail15normal_iteratorINS6_10device_ptrIKyEEEESL_NS6_8equal_toIyEEEENSG_9not_fun_tINSD_8identityEEEEENSD_19counting_iterator_tIlEES8_S8_S8_S8_S8_S8_S8_S8_EEEEPS9_S9_NSD_9__find_if7functorIS9_EEEE10hipError_tPvRmT1_T2_T3_mT4_P12ihipStream_tbEUlT_E1_NS1_11comp_targetILNS1_3genE10ELNS1_11target_archE1201ELNS1_3gpuE5ELNS1_3repE0EEENS1_30default_config_static_selectorELNS0_4arch9wavefront6targetE0EEEvS14_,"axG",@progbits,_ZN7rocprim17ROCPRIM_400000_NS6detail17trampoline_kernelINS0_14default_configENS1_22reduce_config_selectorIN6thrust23THRUST_200600_302600_NS5tupleIblNS6_9null_typeES8_S8_S8_S8_S8_S8_S8_EEEEZNS1_11reduce_implILb1ES3_NS6_12zip_iteratorINS7_INS6_11hip_rocprim26transform_input_iterator_tIbNSD_35transform_pair_of_input_iterators_tIbNS6_6detail15normal_iteratorINS6_10device_ptrIKyEEEESL_NS6_8equal_toIyEEEENSG_9not_fun_tINSD_8identityEEEEENSD_19counting_iterator_tIlEES8_S8_S8_S8_S8_S8_S8_S8_EEEEPS9_S9_NSD_9__find_if7functorIS9_EEEE10hipError_tPvRmT1_T2_T3_mT4_P12ihipStream_tbEUlT_E1_NS1_11comp_targetILNS1_3genE10ELNS1_11target_archE1201ELNS1_3gpuE5ELNS1_3repE0EEENS1_30default_config_static_selectorELNS0_4arch9wavefront6targetE0EEEvS14_,comdat
.Lfunc_end806:
	.size	_ZN7rocprim17ROCPRIM_400000_NS6detail17trampoline_kernelINS0_14default_configENS1_22reduce_config_selectorIN6thrust23THRUST_200600_302600_NS5tupleIblNS6_9null_typeES8_S8_S8_S8_S8_S8_S8_EEEEZNS1_11reduce_implILb1ES3_NS6_12zip_iteratorINS7_INS6_11hip_rocprim26transform_input_iterator_tIbNSD_35transform_pair_of_input_iterators_tIbNS6_6detail15normal_iteratorINS6_10device_ptrIKyEEEESL_NS6_8equal_toIyEEEENSG_9not_fun_tINSD_8identityEEEEENSD_19counting_iterator_tIlEES8_S8_S8_S8_S8_S8_S8_S8_EEEEPS9_S9_NSD_9__find_if7functorIS9_EEEE10hipError_tPvRmT1_T2_T3_mT4_P12ihipStream_tbEUlT_E1_NS1_11comp_targetILNS1_3genE10ELNS1_11target_archE1201ELNS1_3gpuE5ELNS1_3repE0EEENS1_30default_config_static_selectorELNS0_4arch9wavefront6targetE0EEEvS14_, .Lfunc_end806-_ZN7rocprim17ROCPRIM_400000_NS6detail17trampoline_kernelINS0_14default_configENS1_22reduce_config_selectorIN6thrust23THRUST_200600_302600_NS5tupleIblNS6_9null_typeES8_S8_S8_S8_S8_S8_S8_EEEEZNS1_11reduce_implILb1ES3_NS6_12zip_iteratorINS7_INS6_11hip_rocprim26transform_input_iterator_tIbNSD_35transform_pair_of_input_iterators_tIbNS6_6detail15normal_iteratorINS6_10device_ptrIKyEEEESL_NS6_8equal_toIyEEEENSG_9not_fun_tINSD_8identityEEEEENSD_19counting_iterator_tIlEES8_S8_S8_S8_S8_S8_S8_S8_EEEEPS9_S9_NSD_9__find_if7functorIS9_EEEE10hipError_tPvRmT1_T2_T3_mT4_P12ihipStream_tbEUlT_E1_NS1_11comp_targetILNS1_3genE10ELNS1_11target_archE1201ELNS1_3gpuE5ELNS1_3repE0EEENS1_30default_config_static_selectorELNS0_4arch9wavefront6targetE0EEEvS14_
                                        ; -- End function
	.section	.AMDGPU.csdata,"",@progbits
; Kernel info:
; codeLenInByte = 0
; NumSgprs: 0
; NumVgprs: 0
; ScratchSize: 0
; MemoryBound: 0
; FloatMode: 240
; IeeeMode: 1
; LDSByteSize: 0 bytes/workgroup (compile time only)
; SGPRBlocks: 0
; VGPRBlocks: 0
; NumSGPRsForWavesPerEU: 1
; NumVGPRsForWavesPerEU: 1
; Occupancy: 16
; WaveLimiterHint : 0
; COMPUTE_PGM_RSRC2:SCRATCH_EN: 0
; COMPUTE_PGM_RSRC2:USER_SGPR: 15
; COMPUTE_PGM_RSRC2:TRAP_HANDLER: 0
; COMPUTE_PGM_RSRC2:TGID_X_EN: 1
; COMPUTE_PGM_RSRC2:TGID_Y_EN: 0
; COMPUTE_PGM_RSRC2:TGID_Z_EN: 0
; COMPUTE_PGM_RSRC2:TIDIG_COMP_CNT: 0
	.section	.text._ZN7rocprim17ROCPRIM_400000_NS6detail17trampoline_kernelINS0_14default_configENS1_22reduce_config_selectorIN6thrust23THRUST_200600_302600_NS5tupleIblNS6_9null_typeES8_S8_S8_S8_S8_S8_S8_EEEEZNS1_11reduce_implILb1ES3_NS6_12zip_iteratorINS7_INS6_11hip_rocprim26transform_input_iterator_tIbNSD_35transform_pair_of_input_iterators_tIbNS6_6detail15normal_iteratorINS6_10device_ptrIKyEEEESL_NS6_8equal_toIyEEEENSG_9not_fun_tINSD_8identityEEEEENSD_19counting_iterator_tIlEES8_S8_S8_S8_S8_S8_S8_S8_EEEEPS9_S9_NSD_9__find_if7functorIS9_EEEE10hipError_tPvRmT1_T2_T3_mT4_P12ihipStream_tbEUlT_E1_NS1_11comp_targetILNS1_3genE10ELNS1_11target_archE1200ELNS1_3gpuE4ELNS1_3repE0EEENS1_30default_config_static_selectorELNS0_4arch9wavefront6targetE0EEEvS14_,"axG",@progbits,_ZN7rocprim17ROCPRIM_400000_NS6detail17trampoline_kernelINS0_14default_configENS1_22reduce_config_selectorIN6thrust23THRUST_200600_302600_NS5tupleIblNS6_9null_typeES8_S8_S8_S8_S8_S8_S8_EEEEZNS1_11reduce_implILb1ES3_NS6_12zip_iteratorINS7_INS6_11hip_rocprim26transform_input_iterator_tIbNSD_35transform_pair_of_input_iterators_tIbNS6_6detail15normal_iteratorINS6_10device_ptrIKyEEEESL_NS6_8equal_toIyEEEENSG_9not_fun_tINSD_8identityEEEEENSD_19counting_iterator_tIlEES8_S8_S8_S8_S8_S8_S8_S8_EEEEPS9_S9_NSD_9__find_if7functorIS9_EEEE10hipError_tPvRmT1_T2_T3_mT4_P12ihipStream_tbEUlT_E1_NS1_11comp_targetILNS1_3genE10ELNS1_11target_archE1200ELNS1_3gpuE4ELNS1_3repE0EEENS1_30default_config_static_selectorELNS0_4arch9wavefront6targetE0EEEvS14_,comdat
	.protected	_ZN7rocprim17ROCPRIM_400000_NS6detail17trampoline_kernelINS0_14default_configENS1_22reduce_config_selectorIN6thrust23THRUST_200600_302600_NS5tupleIblNS6_9null_typeES8_S8_S8_S8_S8_S8_S8_EEEEZNS1_11reduce_implILb1ES3_NS6_12zip_iteratorINS7_INS6_11hip_rocprim26transform_input_iterator_tIbNSD_35transform_pair_of_input_iterators_tIbNS6_6detail15normal_iteratorINS6_10device_ptrIKyEEEESL_NS6_8equal_toIyEEEENSG_9not_fun_tINSD_8identityEEEEENSD_19counting_iterator_tIlEES8_S8_S8_S8_S8_S8_S8_S8_EEEEPS9_S9_NSD_9__find_if7functorIS9_EEEE10hipError_tPvRmT1_T2_T3_mT4_P12ihipStream_tbEUlT_E1_NS1_11comp_targetILNS1_3genE10ELNS1_11target_archE1200ELNS1_3gpuE4ELNS1_3repE0EEENS1_30default_config_static_selectorELNS0_4arch9wavefront6targetE0EEEvS14_ ; -- Begin function _ZN7rocprim17ROCPRIM_400000_NS6detail17trampoline_kernelINS0_14default_configENS1_22reduce_config_selectorIN6thrust23THRUST_200600_302600_NS5tupleIblNS6_9null_typeES8_S8_S8_S8_S8_S8_S8_EEEEZNS1_11reduce_implILb1ES3_NS6_12zip_iteratorINS7_INS6_11hip_rocprim26transform_input_iterator_tIbNSD_35transform_pair_of_input_iterators_tIbNS6_6detail15normal_iteratorINS6_10device_ptrIKyEEEESL_NS6_8equal_toIyEEEENSG_9not_fun_tINSD_8identityEEEEENSD_19counting_iterator_tIlEES8_S8_S8_S8_S8_S8_S8_S8_EEEEPS9_S9_NSD_9__find_if7functorIS9_EEEE10hipError_tPvRmT1_T2_T3_mT4_P12ihipStream_tbEUlT_E1_NS1_11comp_targetILNS1_3genE10ELNS1_11target_archE1200ELNS1_3gpuE4ELNS1_3repE0EEENS1_30default_config_static_selectorELNS0_4arch9wavefront6targetE0EEEvS14_
	.globl	_ZN7rocprim17ROCPRIM_400000_NS6detail17trampoline_kernelINS0_14default_configENS1_22reduce_config_selectorIN6thrust23THRUST_200600_302600_NS5tupleIblNS6_9null_typeES8_S8_S8_S8_S8_S8_S8_EEEEZNS1_11reduce_implILb1ES3_NS6_12zip_iteratorINS7_INS6_11hip_rocprim26transform_input_iterator_tIbNSD_35transform_pair_of_input_iterators_tIbNS6_6detail15normal_iteratorINS6_10device_ptrIKyEEEESL_NS6_8equal_toIyEEEENSG_9not_fun_tINSD_8identityEEEEENSD_19counting_iterator_tIlEES8_S8_S8_S8_S8_S8_S8_S8_EEEEPS9_S9_NSD_9__find_if7functorIS9_EEEE10hipError_tPvRmT1_T2_T3_mT4_P12ihipStream_tbEUlT_E1_NS1_11comp_targetILNS1_3genE10ELNS1_11target_archE1200ELNS1_3gpuE4ELNS1_3repE0EEENS1_30default_config_static_selectorELNS0_4arch9wavefront6targetE0EEEvS14_
	.p2align	8
	.type	_ZN7rocprim17ROCPRIM_400000_NS6detail17trampoline_kernelINS0_14default_configENS1_22reduce_config_selectorIN6thrust23THRUST_200600_302600_NS5tupleIblNS6_9null_typeES8_S8_S8_S8_S8_S8_S8_EEEEZNS1_11reduce_implILb1ES3_NS6_12zip_iteratorINS7_INS6_11hip_rocprim26transform_input_iterator_tIbNSD_35transform_pair_of_input_iterators_tIbNS6_6detail15normal_iteratorINS6_10device_ptrIKyEEEESL_NS6_8equal_toIyEEEENSG_9not_fun_tINSD_8identityEEEEENSD_19counting_iterator_tIlEES8_S8_S8_S8_S8_S8_S8_S8_EEEEPS9_S9_NSD_9__find_if7functorIS9_EEEE10hipError_tPvRmT1_T2_T3_mT4_P12ihipStream_tbEUlT_E1_NS1_11comp_targetILNS1_3genE10ELNS1_11target_archE1200ELNS1_3gpuE4ELNS1_3repE0EEENS1_30default_config_static_selectorELNS0_4arch9wavefront6targetE0EEEvS14_,@function
_ZN7rocprim17ROCPRIM_400000_NS6detail17trampoline_kernelINS0_14default_configENS1_22reduce_config_selectorIN6thrust23THRUST_200600_302600_NS5tupleIblNS6_9null_typeES8_S8_S8_S8_S8_S8_S8_EEEEZNS1_11reduce_implILb1ES3_NS6_12zip_iteratorINS7_INS6_11hip_rocprim26transform_input_iterator_tIbNSD_35transform_pair_of_input_iterators_tIbNS6_6detail15normal_iteratorINS6_10device_ptrIKyEEEESL_NS6_8equal_toIyEEEENSG_9not_fun_tINSD_8identityEEEEENSD_19counting_iterator_tIlEES8_S8_S8_S8_S8_S8_S8_S8_EEEEPS9_S9_NSD_9__find_if7functorIS9_EEEE10hipError_tPvRmT1_T2_T3_mT4_P12ihipStream_tbEUlT_E1_NS1_11comp_targetILNS1_3genE10ELNS1_11target_archE1200ELNS1_3gpuE4ELNS1_3repE0EEENS1_30default_config_static_selectorELNS0_4arch9wavefront6targetE0EEEvS14_: ; @_ZN7rocprim17ROCPRIM_400000_NS6detail17trampoline_kernelINS0_14default_configENS1_22reduce_config_selectorIN6thrust23THRUST_200600_302600_NS5tupleIblNS6_9null_typeES8_S8_S8_S8_S8_S8_S8_EEEEZNS1_11reduce_implILb1ES3_NS6_12zip_iteratorINS7_INS6_11hip_rocprim26transform_input_iterator_tIbNSD_35transform_pair_of_input_iterators_tIbNS6_6detail15normal_iteratorINS6_10device_ptrIKyEEEESL_NS6_8equal_toIyEEEENSG_9not_fun_tINSD_8identityEEEEENSD_19counting_iterator_tIlEES8_S8_S8_S8_S8_S8_S8_S8_EEEEPS9_S9_NSD_9__find_if7functorIS9_EEEE10hipError_tPvRmT1_T2_T3_mT4_P12ihipStream_tbEUlT_E1_NS1_11comp_targetILNS1_3genE10ELNS1_11target_archE1200ELNS1_3gpuE4ELNS1_3repE0EEENS1_30default_config_static_selectorELNS0_4arch9wavefront6targetE0EEEvS14_
; %bb.0:
	.section	.rodata,"a",@progbits
	.p2align	6, 0x0
	.amdhsa_kernel _ZN7rocprim17ROCPRIM_400000_NS6detail17trampoline_kernelINS0_14default_configENS1_22reduce_config_selectorIN6thrust23THRUST_200600_302600_NS5tupleIblNS6_9null_typeES8_S8_S8_S8_S8_S8_S8_EEEEZNS1_11reduce_implILb1ES3_NS6_12zip_iteratorINS7_INS6_11hip_rocprim26transform_input_iterator_tIbNSD_35transform_pair_of_input_iterators_tIbNS6_6detail15normal_iteratorINS6_10device_ptrIKyEEEESL_NS6_8equal_toIyEEEENSG_9not_fun_tINSD_8identityEEEEENSD_19counting_iterator_tIlEES8_S8_S8_S8_S8_S8_S8_S8_EEEEPS9_S9_NSD_9__find_if7functorIS9_EEEE10hipError_tPvRmT1_T2_T3_mT4_P12ihipStream_tbEUlT_E1_NS1_11comp_targetILNS1_3genE10ELNS1_11target_archE1200ELNS1_3gpuE4ELNS1_3repE0EEENS1_30default_config_static_selectorELNS0_4arch9wavefront6targetE0EEEvS14_
		.amdhsa_group_segment_fixed_size 0
		.amdhsa_private_segment_fixed_size 0
		.amdhsa_kernarg_size 88
		.amdhsa_user_sgpr_count 15
		.amdhsa_user_sgpr_dispatch_ptr 0
		.amdhsa_user_sgpr_queue_ptr 0
		.amdhsa_user_sgpr_kernarg_segment_ptr 1
		.amdhsa_user_sgpr_dispatch_id 0
		.amdhsa_user_sgpr_private_segment_size 0
		.amdhsa_wavefront_size32 1
		.amdhsa_uses_dynamic_stack 0
		.amdhsa_enable_private_segment 0
		.amdhsa_system_sgpr_workgroup_id_x 1
		.amdhsa_system_sgpr_workgroup_id_y 0
		.amdhsa_system_sgpr_workgroup_id_z 0
		.amdhsa_system_sgpr_workgroup_info 0
		.amdhsa_system_vgpr_workitem_id 0
		.amdhsa_next_free_vgpr 1
		.amdhsa_next_free_sgpr 1
		.amdhsa_reserve_vcc 0
		.amdhsa_float_round_mode_32 0
		.amdhsa_float_round_mode_16_64 0
		.amdhsa_float_denorm_mode_32 3
		.amdhsa_float_denorm_mode_16_64 3
		.amdhsa_dx10_clamp 1
		.amdhsa_ieee_mode 1
		.amdhsa_fp16_overflow 0
		.amdhsa_workgroup_processor_mode 1
		.amdhsa_memory_ordered 1
		.amdhsa_forward_progress 0
		.amdhsa_shared_vgpr_count 0
		.amdhsa_exception_fp_ieee_invalid_op 0
		.amdhsa_exception_fp_denorm_src 0
		.amdhsa_exception_fp_ieee_div_zero 0
		.amdhsa_exception_fp_ieee_overflow 0
		.amdhsa_exception_fp_ieee_underflow 0
		.amdhsa_exception_fp_ieee_inexact 0
		.amdhsa_exception_int_div_zero 0
	.end_amdhsa_kernel
	.section	.text._ZN7rocprim17ROCPRIM_400000_NS6detail17trampoline_kernelINS0_14default_configENS1_22reduce_config_selectorIN6thrust23THRUST_200600_302600_NS5tupleIblNS6_9null_typeES8_S8_S8_S8_S8_S8_S8_EEEEZNS1_11reduce_implILb1ES3_NS6_12zip_iteratorINS7_INS6_11hip_rocprim26transform_input_iterator_tIbNSD_35transform_pair_of_input_iterators_tIbNS6_6detail15normal_iteratorINS6_10device_ptrIKyEEEESL_NS6_8equal_toIyEEEENSG_9not_fun_tINSD_8identityEEEEENSD_19counting_iterator_tIlEES8_S8_S8_S8_S8_S8_S8_S8_EEEEPS9_S9_NSD_9__find_if7functorIS9_EEEE10hipError_tPvRmT1_T2_T3_mT4_P12ihipStream_tbEUlT_E1_NS1_11comp_targetILNS1_3genE10ELNS1_11target_archE1200ELNS1_3gpuE4ELNS1_3repE0EEENS1_30default_config_static_selectorELNS0_4arch9wavefront6targetE0EEEvS14_,"axG",@progbits,_ZN7rocprim17ROCPRIM_400000_NS6detail17trampoline_kernelINS0_14default_configENS1_22reduce_config_selectorIN6thrust23THRUST_200600_302600_NS5tupleIblNS6_9null_typeES8_S8_S8_S8_S8_S8_S8_EEEEZNS1_11reduce_implILb1ES3_NS6_12zip_iteratorINS7_INS6_11hip_rocprim26transform_input_iterator_tIbNSD_35transform_pair_of_input_iterators_tIbNS6_6detail15normal_iteratorINS6_10device_ptrIKyEEEESL_NS6_8equal_toIyEEEENSG_9not_fun_tINSD_8identityEEEEENSD_19counting_iterator_tIlEES8_S8_S8_S8_S8_S8_S8_S8_EEEEPS9_S9_NSD_9__find_if7functorIS9_EEEE10hipError_tPvRmT1_T2_T3_mT4_P12ihipStream_tbEUlT_E1_NS1_11comp_targetILNS1_3genE10ELNS1_11target_archE1200ELNS1_3gpuE4ELNS1_3repE0EEENS1_30default_config_static_selectorELNS0_4arch9wavefront6targetE0EEEvS14_,comdat
.Lfunc_end807:
	.size	_ZN7rocprim17ROCPRIM_400000_NS6detail17trampoline_kernelINS0_14default_configENS1_22reduce_config_selectorIN6thrust23THRUST_200600_302600_NS5tupleIblNS6_9null_typeES8_S8_S8_S8_S8_S8_S8_EEEEZNS1_11reduce_implILb1ES3_NS6_12zip_iteratorINS7_INS6_11hip_rocprim26transform_input_iterator_tIbNSD_35transform_pair_of_input_iterators_tIbNS6_6detail15normal_iteratorINS6_10device_ptrIKyEEEESL_NS6_8equal_toIyEEEENSG_9not_fun_tINSD_8identityEEEEENSD_19counting_iterator_tIlEES8_S8_S8_S8_S8_S8_S8_S8_EEEEPS9_S9_NSD_9__find_if7functorIS9_EEEE10hipError_tPvRmT1_T2_T3_mT4_P12ihipStream_tbEUlT_E1_NS1_11comp_targetILNS1_3genE10ELNS1_11target_archE1200ELNS1_3gpuE4ELNS1_3repE0EEENS1_30default_config_static_selectorELNS0_4arch9wavefront6targetE0EEEvS14_, .Lfunc_end807-_ZN7rocprim17ROCPRIM_400000_NS6detail17trampoline_kernelINS0_14default_configENS1_22reduce_config_selectorIN6thrust23THRUST_200600_302600_NS5tupleIblNS6_9null_typeES8_S8_S8_S8_S8_S8_S8_EEEEZNS1_11reduce_implILb1ES3_NS6_12zip_iteratorINS7_INS6_11hip_rocprim26transform_input_iterator_tIbNSD_35transform_pair_of_input_iterators_tIbNS6_6detail15normal_iteratorINS6_10device_ptrIKyEEEESL_NS6_8equal_toIyEEEENSG_9not_fun_tINSD_8identityEEEEENSD_19counting_iterator_tIlEES8_S8_S8_S8_S8_S8_S8_S8_EEEEPS9_S9_NSD_9__find_if7functorIS9_EEEE10hipError_tPvRmT1_T2_T3_mT4_P12ihipStream_tbEUlT_E1_NS1_11comp_targetILNS1_3genE10ELNS1_11target_archE1200ELNS1_3gpuE4ELNS1_3repE0EEENS1_30default_config_static_selectorELNS0_4arch9wavefront6targetE0EEEvS14_
                                        ; -- End function
	.section	.AMDGPU.csdata,"",@progbits
; Kernel info:
; codeLenInByte = 0
; NumSgprs: 0
; NumVgprs: 0
; ScratchSize: 0
; MemoryBound: 0
; FloatMode: 240
; IeeeMode: 1
; LDSByteSize: 0 bytes/workgroup (compile time only)
; SGPRBlocks: 0
; VGPRBlocks: 0
; NumSGPRsForWavesPerEU: 1
; NumVGPRsForWavesPerEU: 1
; Occupancy: 16
; WaveLimiterHint : 0
; COMPUTE_PGM_RSRC2:SCRATCH_EN: 0
; COMPUTE_PGM_RSRC2:USER_SGPR: 15
; COMPUTE_PGM_RSRC2:TRAP_HANDLER: 0
; COMPUTE_PGM_RSRC2:TGID_X_EN: 1
; COMPUTE_PGM_RSRC2:TGID_Y_EN: 0
; COMPUTE_PGM_RSRC2:TGID_Z_EN: 0
; COMPUTE_PGM_RSRC2:TIDIG_COMP_CNT: 0
	.section	.text._ZN7rocprim17ROCPRIM_400000_NS6detail17trampoline_kernelINS0_14default_configENS1_22reduce_config_selectorIN6thrust23THRUST_200600_302600_NS5tupleIblNS6_9null_typeES8_S8_S8_S8_S8_S8_S8_EEEEZNS1_11reduce_implILb1ES3_NS6_12zip_iteratorINS7_INS6_11hip_rocprim26transform_input_iterator_tIbNSD_35transform_pair_of_input_iterators_tIbNS6_6detail15normal_iteratorINS6_10device_ptrIKyEEEESL_NS6_8equal_toIyEEEENSG_9not_fun_tINSD_8identityEEEEENSD_19counting_iterator_tIlEES8_S8_S8_S8_S8_S8_S8_S8_EEEEPS9_S9_NSD_9__find_if7functorIS9_EEEE10hipError_tPvRmT1_T2_T3_mT4_P12ihipStream_tbEUlT_E1_NS1_11comp_targetILNS1_3genE9ELNS1_11target_archE1100ELNS1_3gpuE3ELNS1_3repE0EEENS1_30default_config_static_selectorELNS0_4arch9wavefront6targetE0EEEvS14_,"axG",@progbits,_ZN7rocprim17ROCPRIM_400000_NS6detail17trampoline_kernelINS0_14default_configENS1_22reduce_config_selectorIN6thrust23THRUST_200600_302600_NS5tupleIblNS6_9null_typeES8_S8_S8_S8_S8_S8_S8_EEEEZNS1_11reduce_implILb1ES3_NS6_12zip_iteratorINS7_INS6_11hip_rocprim26transform_input_iterator_tIbNSD_35transform_pair_of_input_iterators_tIbNS6_6detail15normal_iteratorINS6_10device_ptrIKyEEEESL_NS6_8equal_toIyEEEENSG_9not_fun_tINSD_8identityEEEEENSD_19counting_iterator_tIlEES8_S8_S8_S8_S8_S8_S8_S8_EEEEPS9_S9_NSD_9__find_if7functorIS9_EEEE10hipError_tPvRmT1_T2_T3_mT4_P12ihipStream_tbEUlT_E1_NS1_11comp_targetILNS1_3genE9ELNS1_11target_archE1100ELNS1_3gpuE3ELNS1_3repE0EEENS1_30default_config_static_selectorELNS0_4arch9wavefront6targetE0EEEvS14_,comdat
	.protected	_ZN7rocprim17ROCPRIM_400000_NS6detail17trampoline_kernelINS0_14default_configENS1_22reduce_config_selectorIN6thrust23THRUST_200600_302600_NS5tupleIblNS6_9null_typeES8_S8_S8_S8_S8_S8_S8_EEEEZNS1_11reduce_implILb1ES3_NS6_12zip_iteratorINS7_INS6_11hip_rocprim26transform_input_iterator_tIbNSD_35transform_pair_of_input_iterators_tIbNS6_6detail15normal_iteratorINS6_10device_ptrIKyEEEESL_NS6_8equal_toIyEEEENSG_9not_fun_tINSD_8identityEEEEENSD_19counting_iterator_tIlEES8_S8_S8_S8_S8_S8_S8_S8_EEEEPS9_S9_NSD_9__find_if7functorIS9_EEEE10hipError_tPvRmT1_T2_T3_mT4_P12ihipStream_tbEUlT_E1_NS1_11comp_targetILNS1_3genE9ELNS1_11target_archE1100ELNS1_3gpuE3ELNS1_3repE0EEENS1_30default_config_static_selectorELNS0_4arch9wavefront6targetE0EEEvS14_ ; -- Begin function _ZN7rocprim17ROCPRIM_400000_NS6detail17trampoline_kernelINS0_14default_configENS1_22reduce_config_selectorIN6thrust23THRUST_200600_302600_NS5tupleIblNS6_9null_typeES8_S8_S8_S8_S8_S8_S8_EEEEZNS1_11reduce_implILb1ES3_NS6_12zip_iteratorINS7_INS6_11hip_rocprim26transform_input_iterator_tIbNSD_35transform_pair_of_input_iterators_tIbNS6_6detail15normal_iteratorINS6_10device_ptrIKyEEEESL_NS6_8equal_toIyEEEENSG_9not_fun_tINSD_8identityEEEEENSD_19counting_iterator_tIlEES8_S8_S8_S8_S8_S8_S8_S8_EEEEPS9_S9_NSD_9__find_if7functorIS9_EEEE10hipError_tPvRmT1_T2_T3_mT4_P12ihipStream_tbEUlT_E1_NS1_11comp_targetILNS1_3genE9ELNS1_11target_archE1100ELNS1_3gpuE3ELNS1_3repE0EEENS1_30default_config_static_selectorELNS0_4arch9wavefront6targetE0EEEvS14_
	.globl	_ZN7rocprim17ROCPRIM_400000_NS6detail17trampoline_kernelINS0_14default_configENS1_22reduce_config_selectorIN6thrust23THRUST_200600_302600_NS5tupleIblNS6_9null_typeES8_S8_S8_S8_S8_S8_S8_EEEEZNS1_11reduce_implILb1ES3_NS6_12zip_iteratorINS7_INS6_11hip_rocprim26transform_input_iterator_tIbNSD_35transform_pair_of_input_iterators_tIbNS6_6detail15normal_iteratorINS6_10device_ptrIKyEEEESL_NS6_8equal_toIyEEEENSG_9not_fun_tINSD_8identityEEEEENSD_19counting_iterator_tIlEES8_S8_S8_S8_S8_S8_S8_S8_EEEEPS9_S9_NSD_9__find_if7functorIS9_EEEE10hipError_tPvRmT1_T2_T3_mT4_P12ihipStream_tbEUlT_E1_NS1_11comp_targetILNS1_3genE9ELNS1_11target_archE1100ELNS1_3gpuE3ELNS1_3repE0EEENS1_30default_config_static_selectorELNS0_4arch9wavefront6targetE0EEEvS14_
	.p2align	8
	.type	_ZN7rocprim17ROCPRIM_400000_NS6detail17trampoline_kernelINS0_14default_configENS1_22reduce_config_selectorIN6thrust23THRUST_200600_302600_NS5tupleIblNS6_9null_typeES8_S8_S8_S8_S8_S8_S8_EEEEZNS1_11reduce_implILb1ES3_NS6_12zip_iteratorINS7_INS6_11hip_rocprim26transform_input_iterator_tIbNSD_35transform_pair_of_input_iterators_tIbNS6_6detail15normal_iteratorINS6_10device_ptrIKyEEEESL_NS6_8equal_toIyEEEENSG_9not_fun_tINSD_8identityEEEEENSD_19counting_iterator_tIlEES8_S8_S8_S8_S8_S8_S8_S8_EEEEPS9_S9_NSD_9__find_if7functorIS9_EEEE10hipError_tPvRmT1_T2_T3_mT4_P12ihipStream_tbEUlT_E1_NS1_11comp_targetILNS1_3genE9ELNS1_11target_archE1100ELNS1_3gpuE3ELNS1_3repE0EEENS1_30default_config_static_selectorELNS0_4arch9wavefront6targetE0EEEvS14_,@function
_ZN7rocprim17ROCPRIM_400000_NS6detail17trampoline_kernelINS0_14default_configENS1_22reduce_config_selectorIN6thrust23THRUST_200600_302600_NS5tupleIblNS6_9null_typeES8_S8_S8_S8_S8_S8_S8_EEEEZNS1_11reduce_implILb1ES3_NS6_12zip_iteratorINS7_INS6_11hip_rocprim26transform_input_iterator_tIbNSD_35transform_pair_of_input_iterators_tIbNS6_6detail15normal_iteratorINS6_10device_ptrIKyEEEESL_NS6_8equal_toIyEEEENSG_9not_fun_tINSD_8identityEEEEENSD_19counting_iterator_tIlEES8_S8_S8_S8_S8_S8_S8_S8_EEEEPS9_S9_NSD_9__find_if7functorIS9_EEEE10hipError_tPvRmT1_T2_T3_mT4_P12ihipStream_tbEUlT_E1_NS1_11comp_targetILNS1_3genE9ELNS1_11target_archE1100ELNS1_3gpuE3ELNS1_3repE0EEENS1_30default_config_static_selectorELNS0_4arch9wavefront6targetE0EEEvS14_: ; @_ZN7rocprim17ROCPRIM_400000_NS6detail17trampoline_kernelINS0_14default_configENS1_22reduce_config_selectorIN6thrust23THRUST_200600_302600_NS5tupleIblNS6_9null_typeES8_S8_S8_S8_S8_S8_S8_EEEEZNS1_11reduce_implILb1ES3_NS6_12zip_iteratorINS7_INS6_11hip_rocprim26transform_input_iterator_tIbNSD_35transform_pair_of_input_iterators_tIbNS6_6detail15normal_iteratorINS6_10device_ptrIKyEEEESL_NS6_8equal_toIyEEEENSG_9not_fun_tINSD_8identityEEEEENSD_19counting_iterator_tIlEES8_S8_S8_S8_S8_S8_S8_S8_EEEEPS9_S9_NSD_9__find_if7functorIS9_EEEE10hipError_tPvRmT1_T2_T3_mT4_P12ihipStream_tbEUlT_E1_NS1_11comp_targetILNS1_3genE9ELNS1_11target_archE1100ELNS1_3gpuE3ELNS1_3repE0EEENS1_30default_config_static_selectorELNS0_4arch9wavefront6targetE0EEEvS14_
; %bb.0:
	s_mov_b32 s10, s15
	s_clause 0x4
	s_load_b32 s25, s[0:1], 0x4
	s_load_b128 s[16:19], s[0:1], 0x8
	s_load_b128 s[12:15], s[0:1], 0x28
	s_load_b32 s24, s[0:1], 0x40
	s_load_b64 s[20:21], s[0:1], 0x48
	s_waitcnt lgkmcnt(0)
	s_cmp_lt_i32 s25, 4
	s_cbranch_scc1 .LBB808_19
; %bb.1:
	s_cmp_gt_i32 s25, 7
	s_cbranch_scc0 .LBB808_20
; %bb.2:
	s_cmp_eq_u32 s25, 8
	s_mov_b32 s27, 0
	s_cbranch_scc0 .LBB808_21
; %bb.3:
	s_mov_b32 s11, 0
	s_lshl_b32 s6, s10, 11
	s_mov_b32 s7, s11
	s_lshr_b64 s[4:5], s[14:15], 11
	s_lshl_b64 s[2:3], s[6:7], 3
	s_delay_alu instid0(SALU_CYCLE_1)
	s_add_u32 s8, s16, s2
	s_addc_u32 s9, s17, s3
	s_add_u32 s22, s18, s2
	s_addc_u32 s23, s19, s3
	;; [unrolled: 2-line block ×3, first 2 shown]
	s_cmp_lg_u64 s[4:5], s[10:11]
	s_cbranch_scc0 .LBB808_40
; %bb.4:
	v_lshlrev_b32_e32 v7, 3, v0
	v_mov_b32_e32 v33, 0x100
	s_delay_alu instid0(VALU_DEP_2) | instskip(NEXT) | instid1(VALU_DEP_1)
	v_add_co_u32 v27, s2, s8, v7
	v_add_co_ci_u32_e64 v28, null, s9, 0, s2
	v_add_co_u32 v25, s2, s22, v7
	s_delay_alu instid0(VALU_DEP_3) | instskip(NEXT) | instid1(VALU_DEP_3)
	v_add_co_u32 v9, vcc_lo, 0x1000, v27
	v_add_co_ci_u32_e32 v10, vcc_lo, 0, v28, vcc_lo
	v_add_co_ci_u32_e64 v26, null, s23, 0, s2
	v_add_co_u32 v11, vcc_lo, v27, 0x2000
	v_add_co_ci_u32_e32 v12, vcc_lo, 0, v28, vcc_lo
	s_clause 0x3
	global_load_b64 v[1:2], v7, s[8:9]
	global_load_b64 v[3:4], v7, s[22:23] offset:2048
	global_load_b64 v[5:6], v7, s[22:23]
	global_load_b64 v[7:8], v7, s[8:9] offset:2048
	v_add_co_u32 v13, vcc_lo, 0x1000, v25
	v_add_co_ci_u32_e32 v14, vcc_lo, 0, v26, vcc_lo
	v_add_co_u32 v15, vcc_lo, v25, 0x2000
	v_add_co_ci_u32_e32 v16, vcc_lo, 0, v26, vcc_lo
	;; [unrolled: 2-line block ×3, first 2 shown]
	v_add_co_u32 v21, vcc_lo, 0x2000, v25
	global_load_b64 v[9:10], v[9:10], off offset:2048
	global_load_b64 v[13:14], v[13:14], off offset:2048
	v_add_co_ci_u32_e32 v22, vcc_lo, 0, v26, vcc_lo
	v_add_co_u32 v25, vcc_lo, 0x3000, v25
	v_add_co_ci_u32_e32 v26, vcc_lo, 0, v26, vcc_lo
	s_clause 0x1
	global_load_b64 v[19:20], v[11:12], off offset:-4096
	global_load_b64 v[11:12], v[11:12], off
	v_add_co_u32 v27, vcc_lo, 0x3000, v27
	s_clause 0x1
	global_load_b64 v[23:24], v[15:16], off offset:-4096
	global_load_b64 v[15:16], v[15:16], off
	global_load_b64 v[17:18], v[17:18], off offset:2048
	v_add_co_ci_u32_e32 v28, vcc_lo, 0, v28, vcc_lo
	s_clause 0x1
	global_load_b64 v[21:22], v[21:22], off offset:2048
	global_load_b64 v[29:30], v[25:26], off
	s_clause 0x1
	global_load_b64 v[31:32], v[27:28], off
	global_load_b64 v[27:28], v[27:28], off offset:2048
	global_load_b64 v[25:26], v[25:26], off offset:2048
	s_waitcnt vmcnt(13)
	v_cmp_ne_u64_e64 s2, v[1:2], v[5:6]
	v_mov_b32_e32 v2, 0x500
	s_waitcnt vmcnt(12)
	v_cmp_ne_u64_e32 vcc_lo, v[7:8], v[3:4]
	v_mov_b32_e32 v1, 0x300
	v_cndmask_b32_e32 v3, 0x200, v33, vcc_lo
	s_or_b32 s5, s2, vcc_lo
	s_delay_alu instid0(VALU_DEP_1) | instskip(SKIP_2) | instid1(VALU_DEP_1)
	v_cndmask_b32_e64 v3, v3, 0, s2
	s_waitcnt vmcnt(10)
	v_cmp_ne_u64_e64 s2, v[9:10], v[13:14]
	v_cndmask_b32_e64 v1, 0x400, v1, s2
	s_waitcnt vmcnt(7)
	v_cmp_ne_u64_e32 vcc_lo, v[19:20], v[23:24]
	s_waitcnt vmcnt(6)
	v_cmp_ne_u64_e64 s3, v[11:12], v[15:16]
	s_waitcnt vmcnt(4)
	v_cmp_ne_u64_e64 s4, v[17:18], v[21:22]
	s_or_b32 vcc_lo, s5, vcc_lo
	s_waitcnt vmcnt(2)
	v_cmp_ne_u64_e64 s5, v[31:32], v[29:30]
	s_delay_alu instid0(VALU_DEP_2)
	v_cndmask_b32_e64 v2, 0x600, v2, s4
	v_cndmask_b32_e32 v1, v1, v3, vcc_lo
	s_or_b32 s2, vcc_lo, s2
	s_waitcnt vmcnt(0)
	v_cmp_ne_u64_e32 vcc_lo, v[27:28], v[25:26]
	s_or_b32 s2, s2, s3
	s_delay_alu instid0(SALU_CYCLE_1)
	v_cndmask_b32_e64 v1, v2, v1, s2
	s_or_b32 s2, s2, s4
	s_mov_b32 s4, exec_lo
	s_or_b32 s2, s2, s5
	s_delay_alu instid0(VALU_DEP_1) | instid1(SALU_CYCLE_1)
	v_cndmask_b32_e64 v1, 0x700, v1, s2
	s_or_b32 s3, s2, vcc_lo
	v_add_co_u32 v2, s2, s26, v0
	v_cndmask_b32_e64 v5, 0, 1, s3
	v_add_co_ci_u32_e64 v3, null, s28, 0, s2
	s_delay_alu instid0(VALU_DEP_3) | instskip(NEXT) | instid1(VALU_DEP_3)
	v_add_co_u32 v1, vcc_lo, v2, v1
	v_mov_b32_dpp v6, v5 quad_perm:[1,0,3,2] row_mask:0xf bank_mask:0xf
	s_delay_alu instid0(VALU_DEP_3) | instskip(NEXT) | instid1(VALU_DEP_3)
	v_add_co_ci_u32_e32 v2, vcc_lo, 0, v3, vcc_lo
	v_mov_b32_dpp v3, v1 quad_perm:[1,0,3,2] row_mask:0xf bank_mask:0xf
	s_delay_alu instid0(VALU_DEP_3) | instskip(NEXT) | instid1(VALU_DEP_3)
	v_and_b32_e32 v7, 1, v6
	v_mov_b32_dpp v4, v2 quad_perm:[1,0,3,2] row_mask:0xf bank_mask:0xf
	s_delay_alu instid0(VALU_DEP_2)
	v_cmpx_eq_u32_e32 1, v7
; %bb.5:
	v_cndmask_b32_e64 v5, v6, 1, s3
	s_delay_alu instid0(VALU_DEP_3) | instskip(NEXT) | instid1(VALU_DEP_2)
	v_cmp_lt_i64_e32 vcc_lo, v[1:2], v[3:4]
	v_and_b32_e32 v6, 1, v5
	v_and_b32_e32 v5, 0xff, v5
	s_and_b32 vcc_lo, s3, vcc_lo
	s_and_not1_b32 s3, s3, exec_lo
	v_dual_cndmask_b32 v2, v4, v2 :: v_dual_cndmask_b32 v1, v3, v1
	v_cmp_eq_u32_e64 s2, 1, v6
	s_delay_alu instid0(VALU_DEP_1) | instskip(NEXT) | instid1(SALU_CYCLE_1)
	s_and_b32 s2, s2, exec_lo
	s_or_b32 s3, s3, s2
; %bb.6:
	s_or_b32 exec_lo, exec_lo, s4
	v_mov_b32_dpp v6, v5 quad_perm:[2,3,0,1] row_mask:0xf bank_mask:0xf
	v_mov_b32_dpp v3, v1 quad_perm:[2,3,0,1] row_mask:0xf bank_mask:0xf
	;; [unrolled: 1-line block ×3, first 2 shown]
	s_mov_b32 s4, exec_lo
	s_delay_alu instid0(VALU_DEP_3) | instskip(NEXT) | instid1(VALU_DEP_1)
	v_and_b32_e32 v7, 1, v6
	v_cmpx_eq_u32_e32 1, v7
; %bb.7:
	v_cndmask_b32_e64 v5, v6, 1, s3
	v_cmp_lt_i64_e32 vcc_lo, v[1:2], v[3:4]
	s_delay_alu instid0(VALU_DEP_2)
	v_and_b32_e32 v6, 1, v5
	v_and_b32_e32 v5, 0xff, v5
	s_and_b32 vcc_lo, s3, vcc_lo
	s_and_not1_b32 s3, s3, exec_lo
	v_dual_cndmask_b32 v2, v4, v2 :: v_dual_cndmask_b32 v1, v3, v1
	v_cmp_eq_u32_e64 s2, 1, v6
	s_delay_alu instid0(VALU_DEP_1) | instskip(NEXT) | instid1(SALU_CYCLE_1)
	s_and_b32 s2, s2, exec_lo
	s_or_b32 s3, s3, s2
; %bb.8:
	s_or_b32 exec_lo, exec_lo, s4
	v_mov_b32_dpp v6, v5 row_ror:4 row_mask:0xf bank_mask:0xf
	v_mov_b32_dpp v3, v1 row_ror:4 row_mask:0xf bank_mask:0xf
	;; [unrolled: 1-line block ×3, first 2 shown]
	s_mov_b32 s4, exec_lo
	s_delay_alu instid0(VALU_DEP_3) | instskip(NEXT) | instid1(VALU_DEP_1)
	v_and_b32_e32 v7, 1, v6
	v_cmpx_eq_u32_e32 1, v7
; %bb.9:
	v_cndmask_b32_e64 v5, v6, 1, s3
	v_cmp_lt_i64_e32 vcc_lo, v[1:2], v[3:4]
	s_delay_alu instid0(VALU_DEP_2)
	v_and_b32_e32 v6, 1, v5
	v_and_b32_e32 v5, 0xff, v5
	s_and_b32 vcc_lo, s3, vcc_lo
	s_and_not1_b32 s3, s3, exec_lo
	v_dual_cndmask_b32 v2, v4, v2 :: v_dual_cndmask_b32 v1, v3, v1
	v_cmp_eq_u32_e64 s2, 1, v6
	s_delay_alu instid0(VALU_DEP_1) | instskip(NEXT) | instid1(SALU_CYCLE_1)
	s_and_b32 s2, s2, exec_lo
	s_or_b32 s3, s3, s2
; %bb.10:
	s_or_b32 exec_lo, exec_lo, s4
	v_mov_b32_dpp v6, v5 row_ror:8 row_mask:0xf bank_mask:0xf
	v_mov_b32_dpp v3, v1 row_ror:8 row_mask:0xf bank_mask:0xf
	;; [unrolled: 1-line block ×3, first 2 shown]
	s_mov_b32 s4, exec_lo
	s_delay_alu instid0(VALU_DEP_3) | instskip(NEXT) | instid1(VALU_DEP_1)
	v_and_b32_e32 v7, 1, v6
	v_cmpx_eq_u32_e32 1, v7
; %bb.11:
	v_cndmask_b32_e64 v5, v6, 1, s3
	v_cmp_lt_i64_e32 vcc_lo, v[1:2], v[3:4]
	s_delay_alu instid0(VALU_DEP_2)
	v_and_b32_e32 v6, 1, v5
	v_and_b32_e32 v5, 0xff, v5
	s_and_b32 vcc_lo, s3, vcc_lo
	s_and_not1_b32 s3, s3, exec_lo
	v_dual_cndmask_b32 v2, v4, v2 :: v_dual_cndmask_b32 v1, v3, v1
	v_cmp_eq_u32_e64 s2, 1, v6
	s_delay_alu instid0(VALU_DEP_1) | instskip(NEXT) | instid1(SALU_CYCLE_1)
	s_and_b32 s2, s2, exec_lo
	s_or_b32 s3, s3, s2
; %bb.12:
	s_or_b32 exec_lo, exec_lo, s4
	ds_swizzle_b32 v6, v5 offset:swizzle(BROADCAST,32,15)
	ds_swizzle_b32 v3, v1 offset:swizzle(BROADCAST,32,15)
	;; [unrolled: 1-line block ×3, first 2 shown]
	s_mov_b32 s2, exec_lo
	s_waitcnt lgkmcnt(2)
	v_and_b32_e32 v7, 1, v6
	s_delay_alu instid0(VALU_DEP_1)
	v_cmpx_eq_u32_e32 1, v7
	s_cbranch_execz .LBB808_14
; %bb.13:
	s_waitcnt lgkmcnt(0)
	v_cmp_lt_i64_e32 vcc_lo, v[1:2], v[3:4]
	v_and_b32_e32 v5, 0xff, v6
	s_delay_alu instid0(VALU_DEP_1)
	v_cndmask_b32_e64 v5, v5, 1, s3
	s_and_b32 vcc_lo, s3, vcc_lo
	v_dual_cndmask_b32 v1, v3, v1 :: v_dual_cndmask_b32 v2, v4, v2
.LBB808_14:
	s_or_b32 exec_lo, exec_lo, s2
	s_waitcnt lgkmcnt(1)
	v_mov_b32_e32 v3, 0
	s_mov_b32 s2, exec_lo
	ds_bpermute_b32 v6, v3, v5 offset:124
	ds_bpermute_b32 v1, v3, v1 offset:124
	;; [unrolled: 1-line block ×3, first 2 shown]
	v_mbcnt_lo_u32_b32 v3, -1, 0
	s_delay_alu instid0(VALU_DEP_1)
	v_cmpx_eq_u32_e32 0, v3
	s_cbranch_execz .LBB808_16
; %bb.15:
	s_waitcnt lgkmcnt(3)
	v_lshrrev_b32_e32 v4, 1, v0
	s_delay_alu instid0(VALU_DEP_1)
	v_and_b32_e32 v4, 0x70, v4
	s_waitcnt lgkmcnt(2)
	ds_store_b8 v4, v6 offset:384
	s_waitcnt lgkmcnt(1)
	ds_store_b64 v4, v[1:2] offset:392
.LBB808_16:
	s_or_b32 exec_lo, exec_lo, s2
	s_delay_alu instid0(SALU_CYCLE_1)
	s_mov_b32 s4, exec_lo
	s_waitcnt lgkmcnt(0)
	s_barrier
	buffer_gl0_inv
	v_cmpx_gt_u32_e32 32, v0
	s_cbranch_execz .LBB808_18
; %bb.17:
	v_and_b32_e32 v6, 7, v3
	s_delay_alu instid0(VALU_DEP_1)
	v_lshlrev_b32_e32 v1, 4, v6
	v_cmp_ne_u32_e32 vcc_lo, 7, v6
	ds_load_u8 v7, v1 offset:384
	ds_load_b64 v[1:2], v1 offset:392
	v_add_co_ci_u32_e32 v4, vcc_lo, 0, v3, vcc_lo
	v_cmp_gt_u32_e32 vcc_lo, 6, v6
	s_delay_alu instid0(VALU_DEP_2)
	v_lshlrev_b32_e32 v5, 2, v4
	v_cndmask_b32_e64 v10, 0, 1, vcc_lo
	s_waitcnt lgkmcnt(1)
	v_and_b32_e32 v4, 0xff, v7
	v_and_b32_e32 v11, 1, v7
	ds_bpermute_b32 v8, v5, v4
	s_waitcnt lgkmcnt(1)
	ds_bpermute_b32 v4, v5, v1
	ds_bpermute_b32 v5, v5, v2
	v_cmp_eq_u32_e64 s3, 1, v11
	s_waitcnt lgkmcnt(2)
	v_and_b32_e32 v9, 1, v8
	s_waitcnt lgkmcnt(0)
	v_cmp_lt_i64_e64 s2, v[4:5], v[1:2]
	s_delay_alu instid0(VALU_DEP_2) | instskip(SKIP_2) | instid1(VALU_DEP_4)
	v_cmp_eq_u32_e32 vcc_lo, 1, v9
	v_lshlrev_b32_e32 v9, 1, v10
	v_cndmask_b32_e64 v7, v7, 1, vcc_lo
	s_and_b32 vcc_lo, vcc_lo, s2
	v_dual_cndmask_b32 v1, v1, v4 :: v_dual_cndmask_b32 v2, v2, v5
	s_delay_alu instid0(VALU_DEP_2) | instskip(SKIP_2) | instid1(VALU_DEP_4)
	v_cndmask_b32_e64 v7, v8, v7, s3
	v_add_lshl_u32 v8, v9, v3, 2
	v_cmp_gt_u32_e32 vcc_lo, 4, v6
	v_cndmask_b32_e64 v1, v4, v1, s3
	v_cndmask_b32_e64 v2, v5, v2, s3
	v_and_b32_e32 v9, 0xff, v7
	v_and_b32_e32 v10, 1, v7
	v_cndmask_b32_e64 v6, 0, 1, vcc_lo
	ds_bpermute_b32 v4, v8, v1
	ds_bpermute_b32 v5, v8, v2
	;; [unrolled: 1-line block ×3, first 2 shown]
	v_cmp_eq_u32_e64 s3, 1, v10
	s_waitcnt lgkmcnt(1)
	v_cmp_lt_i64_e64 s2, v[4:5], v[1:2]
	s_waitcnt lgkmcnt(0)
	v_and_b32_e32 v8, 1, v9
	s_delay_alu instid0(VALU_DEP_1) | instskip(SKIP_1) | instid1(VALU_DEP_4)
	v_cmp_eq_u32_e32 vcc_lo, 1, v8
	v_cndmask_b32_e64 v7, v7, 1, vcc_lo
	s_and_b32 vcc_lo, vcc_lo, s2
	v_dual_cndmask_b32 v1, v1, v4 :: v_dual_cndmask_b32 v2, v2, v5
	s_delay_alu instid0(VALU_DEP_2) | instskip(NEXT) | instid1(VALU_DEP_2)
	v_cndmask_b32_e64 v7, v9, v7, s3
	v_cndmask_b32_e64 v1, v4, v1, s3
	v_lshlrev_b32_e32 v6, 2, v6
	s_delay_alu instid0(VALU_DEP_4) | instskip(NEXT) | instid1(VALU_DEP_2)
	v_cndmask_b32_e64 v2, v5, v2, s3
	v_add_lshl_u32 v6, v6, v3, 2
	v_and_b32_e32 v3, 0xff, v7
	ds_bpermute_b32 v4, v6, v2
	ds_bpermute_b32 v5, v6, v3
	;; [unrolled: 1-line block ×3, first 2 shown]
	s_waitcnt lgkmcnt(1)
	v_and_b32_e32 v6, 1, v5
	s_waitcnt lgkmcnt(0)
	v_cmp_lt_i64_e32 vcc_lo, v[3:4], v[1:2]
	s_delay_alu instid0(VALU_DEP_2) | instskip(SKIP_1) | instid1(VALU_DEP_2)
	v_cmp_eq_u32_e64 s2, 1, v6
	v_and_b32_e32 v6, 1, v7
	v_cndmask_b32_e64 v7, v7, 1, s2
	s_and_b32 vcc_lo, s2, vcc_lo
	s_delay_alu instid0(VALU_DEP_2) | instskip(SKIP_1) | instid1(VALU_DEP_2)
	v_cmp_eq_u32_e64 s2, 1, v6
	v_dual_cndmask_b32 v1, v1, v3 :: v_dual_cndmask_b32 v2, v2, v4
	v_cndmask_b32_e64 v5, v5, v7, s2
	s_delay_alu instid0(VALU_DEP_2) | instskip(NEXT) | instid1(VALU_DEP_3)
	v_cndmask_b32_e64 v1, v3, v1, s2
	v_cndmask_b32_e64 v2, v4, v2, s2
	s_delay_alu instid0(VALU_DEP_3)
	v_and_b32_e32 v6, 0xff, v5
.LBB808_18:
	s_or_b32 exec_lo, exec_lo, s4
	s_branch .LBB808_85
.LBB808_19:
	s_mov_b32 s26, 0
                                        ; implicit-def: $vgpr3_vgpr4
                                        ; implicit-def: $vgpr5
	s_cbranch_execnz .LBB808_129
	s_branch .LBB808_200
.LBB808_20:
	s_mov_b32 s27, -1
.LBB808_21:
	s_mov_b32 s26, 0
                                        ; implicit-def: $vgpr3_vgpr4
                                        ; implicit-def: $vgpr5
	s_and_b32 vcc_lo, exec_lo, s27
	s_cbranch_vccz .LBB808_90
.LBB808_22:
	s_cmp_eq_u32 s25, 4
	s_cbranch_scc0 .LBB808_39
; %bb.23:
	s_mov_b32 s11, 0
	s_lshl_b32 s22, s10, 10
	s_mov_b32 s23, s11
	s_lshr_b64 s[28:29], s[14:15], 10
	s_lshl_b64 s[2:3], s[22:23], 3
	s_delay_alu instid0(SALU_CYCLE_1)
	s_add_u32 s6, s16, s2
	s_addc_u32 s7, s17, s3
	s_add_u32 s8, s18, s2
	s_addc_u32 s9, s19, s3
	;; [unrolled: 2-line block ×3, first 2 shown]
	s_cmp_lg_u64 s[28:29], s[10:11]
	s_cbranch_scc0 .LBB808_91
; %bb.24:
	v_lshlrev_b32_e32 v11, 3, v0
	v_mov_b32_e32 v17, 0x100
	global_load_b64 v[1:2], v11, s[8:9] offset:2048
	s_waitcnt lgkmcnt(0)
	global_load_b64 v[3:4], v11, s[6:7] offset:2048
	v_add_co_u32 v7, s2, s6, v11
	s_delay_alu instid0(VALU_DEP_1) | instskip(SKIP_1) | instid1(VALU_DEP_1)
	v_add_co_ci_u32_e64 v8, null, s7, 0, s2
	v_add_co_u32 v5, s2, s8, v11
	v_add_co_ci_u32_e64 v6, null, s9, 0, s2
	s_delay_alu instid0(VALU_DEP_2) | instskip(NEXT) | instid1(VALU_DEP_2)
	v_add_co_u32 v5, vcc_lo, 0x1000, v5
	v_add_co_ci_u32_e32 v6, vcc_lo, 0, v6, vcc_lo
	v_add_co_u32 v7, vcc_lo, 0x1000, v7
	v_add_co_ci_u32_e32 v8, vcc_lo, 0, v8, vcc_lo
	s_clause 0x1
	global_load_b64 v[9:10], v11, s[8:9]
	global_load_b64 v[11:12], v11, s[6:7]
	global_load_b64 v[13:14], v[5:6], off
	s_clause 0x1
	global_load_b64 v[15:16], v[7:8], off
	global_load_b64 v[7:8], v[7:8], off offset:2048
	global_load_b64 v[5:6], v[5:6], off offset:2048
	s_waitcnt vmcnt(6)
	v_cmp_ne_u64_e32 vcc_lo, v[3:4], v[1:2]
	v_cndmask_b32_e32 v1, 0x200, v17, vcc_lo
	s_waitcnt vmcnt(4)
	v_cmp_ne_u64_e64 s2, v[11:12], v[9:10]
	s_waitcnt vmcnt(2)
	v_cmp_ne_u64_e64 s3, v[15:16], v[13:14]
	s_waitcnt vmcnt(0)
	v_cmp_ne_u64_e64 s4, v[7:8], v[5:6]
	s_delay_alu instid0(VALU_DEP_3)
	v_cndmask_b32_e64 v1, v1, 0, s2
	s_or_b32 s2, s2, vcc_lo
	s_delay_alu instid0(VALU_DEP_3) | instid1(SALU_CYCLE_1)
	s_or_b32 vcc_lo, s2, s3
	v_add_co_u32 v2, s2, s5, v0
	s_delay_alu instid0(VALU_DEP_2) | instskip(SKIP_3) | instid1(VALU_DEP_3)
	v_cndmask_b32_e32 v1, 0x300, v1, vcc_lo
	s_or_b32 s3, vcc_lo, s4
	v_add_co_ci_u32_e64 v3, null, s23, 0, s2
	v_cndmask_b32_e64 v5, 0, 1, s3
	v_add_co_u32 v1, vcc_lo, v2, v1
	s_delay_alu instid0(VALU_DEP_3) | instskip(NEXT) | instid1(VALU_DEP_3)
	v_add_co_ci_u32_e32 v2, vcc_lo, 0, v3, vcc_lo
	v_mov_b32_dpp v6, v5 quad_perm:[1,0,3,2] row_mask:0xf bank_mask:0xf
	s_delay_alu instid0(VALU_DEP_3) | instskip(SKIP_1) | instid1(VALU_DEP_3)
	v_mov_b32_dpp v3, v1 quad_perm:[1,0,3,2] row_mask:0xf bank_mask:0xf
	s_mov_b32 s4, exec_lo
	v_mov_b32_dpp v4, v2 quad_perm:[1,0,3,2] row_mask:0xf bank_mask:0xf
	s_delay_alu instid0(VALU_DEP_3) | instskip(NEXT) | instid1(VALU_DEP_1)
	v_and_b32_e32 v7, 1, v6
	v_cmpx_eq_u32_e32 1, v7
; %bb.25:
	v_cndmask_b32_e64 v5, v6, 1, s3
	s_delay_alu instid0(VALU_DEP_4) | instskip(NEXT) | instid1(VALU_DEP_2)
	v_cmp_lt_i64_e32 vcc_lo, v[1:2], v[3:4]
	v_and_b32_e32 v6, 1, v5
	v_and_b32_e32 v5, 0xff, v5
	s_and_b32 vcc_lo, s3, vcc_lo
	s_and_not1_b32 s3, s3, exec_lo
	v_dual_cndmask_b32 v2, v4, v2 :: v_dual_cndmask_b32 v1, v3, v1
	v_cmp_eq_u32_e64 s2, 1, v6
	s_delay_alu instid0(VALU_DEP_1) | instskip(NEXT) | instid1(SALU_CYCLE_1)
	s_and_b32 s2, s2, exec_lo
	s_or_b32 s3, s3, s2
; %bb.26:
	s_or_b32 exec_lo, exec_lo, s4
	v_mov_b32_dpp v6, v5 quad_perm:[2,3,0,1] row_mask:0xf bank_mask:0xf
	v_mov_b32_dpp v3, v1 quad_perm:[2,3,0,1] row_mask:0xf bank_mask:0xf
	;; [unrolled: 1-line block ×3, first 2 shown]
	s_mov_b32 s4, exec_lo
	s_delay_alu instid0(VALU_DEP_3) | instskip(NEXT) | instid1(VALU_DEP_1)
	v_and_b32_e32 v7, 1, v6
	v_cmpx_eq_u32_e32 1, v7
; %bb.27:
	v_cndmask_b32_e64 v5, v6, 1, s3
	v_cmp_lt_i64_e32 vcc_lo, v[1:2], v[3:4]
	s_delay_alu instid0(VALU_DEP_2)
	v_and_b32_e32 v6, 1, v5
	v_and_b32_e32 v5, 0xff, v5
	s_and_b32 vcc_lo, s3, vcc_lo
	s_and_not1_b32 s3, s3, exec_lo
	v_dual_cndmask_b32 v2, v4, v2 :: v_dual_cndmask_b32 v1, v3, v1
	v_cmp_eq_u32_e64 s2, 1, v6
	s_delay_alu instid0(VALU_DEP_1) | instskip(NEXT) | instid1(SALU_CYCLE_1)
	s_and_b32 s2, s2, exec_lo
	s_or_b32 s3, s3, s2
; %bb.28:
	s_or_b32 exec_lo, exec_lo, s4
	v_mov_b32_dpp v6, v5 row_ror:4 row_mask:0xf bank_mask:0xf
	v_mov_b32_dpp v3, v1 row_ror:4 row_mask:0xf bank_mask:0xf
	v_mov_b32_dpp v4, v2 row_ror:4 row_mask:0xf bank_mask:0xf
	s_mov_b32 s4, exec_lo
	s_delay_alu instid0(VALU_DEP_3) | instskip(NEXT) | instid1(VALU_DEP_1)
	v_and_b32_e32 v7, 1, v6
	v_cmpx_eq_u32_e32 1, v7
; %bb.29:
	v_cndmask_b32_e64 v5, v6, 1, s3
	v_cmp_lt_i64_e32 vcc_lo, v[1:2], v[3:4]
	s_delay_alu instid0(VALU_DEP_2)
	v_and_b32_e32 v6, 1, v5
	v_and_b32_e32 v5, 0xff, v5
	s_and_b32 vcc_lo, s3, vcc_lo
	s_and_not1_b32 s3, s3, exec_lo
	v_dual_cndmask_b32 v2, v4, v2 :: v_dual_cndmask_b32 v1, v3, v1
	v_cmp_eq_u32_e64 s2, 1, v6
	s_delay_alu instid0(VALU_DEP_1) | instskip(NEXT) | instid1(SALU_CYCLE_1)
	s_and_b32 s2, s2, exec_lo
	s_or_b32 s3, s3, s2
; %bb.30:
	s_or_b32 exec_lo, exec_lo, s4
	v_mov_b32_dpp v6, v5 row_ror:8 row_mask:0xf bank_mask:0xf
	v_mov_b32_dpp v3, v1 row_ror:8 row_mask:0xf bank_mask:0xf
	v_mov_b32_dpp v4, v2 row_ror:8 row_mask:0xf bank_mask:0xf
	s_mov_b32 s4, exec_lo
	s_delay_alu instid0(VALU_DEP_3) | instskip(NEXT) | instid1(VALU_DEP_1)
	v_and_b32_e32 v7, 1, v6
	v_cmpx_eq_u32_e32 1, v7
; %bb.31:
	v_cndmask_b32_e64 v5, v6, 1, s3
	v_cmp_lt_i64_e32 vcc_lo, v[1:2], v[3:4]
	s_delay_alu instid0(VALU_DEP_2)
	v_and_b32_e32 v6, 1, v5
	v_and_b32_e32 v5, 0xff, v5
	s_and_b32 vcc_lo, s3, vcc_lo
	s_and_not1_b32 s3, s3, exec_lo
	v_dual_cndmask_b32 v2, v4, v2 :: v_dual_cndmask_b32 v1, v3, v1
	v_cmp_eq_u32_e64 s2, 1, v6
	s_delay_alu instid0(VALU_DEP_1) | instskip(NEXT) | instid1(SALU_CYCLE_1)
	s_and_b32 s2, s2, exec_lo
	s_or_b32 s3, s3, s2
; %bb.32:
	s_or_b32 exec_lo, exec_lo, s4
	ds_swizzle_b32 v6, v5 offset:swizzle(BROADCAST,32,15)
	ds_swizzle_b32 v3, v1 offset:swizzle(BROADCAST,32,15)
	ds_swizzle_b32 v4, v2 offset:swizzle(BROADCAST,32,15)
	s_mov_b32 s2, exec_lo
	s_waitcnt lgkmcnt(2)
	v_and_b32_e32 v7, 1, v6
	s_delay_alu instid0(VALU_DEP_1)
	v_cmpx_eq_u32_e32 1, v7
	s_cbranch_execz .LBB808_34
; %bb.33:
	s_waitcnt lgkmcnt(0)
	v_cmp_lt_i64_e32 vcc_lo, v[1:2], v[3:4]
	v_and_b32_e32 v5, 0xff, v6
	s_delay_alu instid0(VALU_DEP_1)
	v_cndmask_b32_e64 v5, v5, 1, s3
	s_and_b32 vcc_lo, s3, vcc_lo
	v_dual_cndmask_b32 v1, v3, v1 :: v_dual_cndmask_b32 v2, v4, v2
.LBB808_34:
	s_or_b32 exec_lo, exec_lo, s2
	s_waitcnt lgkmcnt(1)
	v_mov_b32_e32 v3, 0
	s_mov_b32 s2, exec_lo
	ds_bpermute_b32 v6, v3, v5 offset:124
	ds_bpermute_b32 v1, v3, v1 offset:124
	;; [unrolled: 1-line block ×3, first 2 shown]
	v_mbcnt_lo_u32_b32 v3, -1, 0
	s_delay_alu instid0(VALU_DEP_1)
	v_cmpx_eq_u32_e32 0, v3
	s_cbranch_execz .LBB808_36
; %bb.35:
	s_waitcnt lgkmcnt(3)
	v_lshrrev_b32_e32 v4, 1, v0
	s_delay_alu instid0(VALU_DEP_1)
	v_and_b32_e32 v4, 0x70, v4
	s_waitcnt lgkmcnt(2)
	ds_store_b8 v4, v6 offset:256
	s_waitcnt lgkmcnt(1)
	ds_store_b64 v4, v[1:2] offset:264
.LBB808_36:
	s_or_b32 exec_lo, exec_lo, s2
	s_delay_alu instid0(SALU_CYCLE_1)
	s_mov_b32 s4, exec_lo
	s_waitcnt lgkmcnt(0)
	s_barrier
	buffer_gl0_inv
	v_cmpx_gt_u32_e32 32, v0
	s_cbranch_execz .LBB808_38
; %bb.37:
	v_and_b32_e32 v6, 7, v3
	s_delay_alu instid0(VALU_DEP_1)
	v_lshlrev_b32_e32 v1, 4, v6
	v_cmp_ne_u32_e32 vcc_lo, 7, v6
	ds_load_u8 v7, v1 offset:256
	ds_load_b64 v[1:2], v1 offset:264
	v_add_co_ci_u32_e32 v4, vcc_lo, 0, v3, vcc_lo
	v_cmp_gt_u32_e32 vcc_lo, 6, v6
	s_delay_alu instid0(VALU_DEP_2)
	v_lshlrev_b32_e32 v5, 2, v4
	v_cndmask_b32_e64 v10, 0, 1, vcc_lo
	s_waitcnt lgkmcnt(1)
	v_and_b32_e32 v4, 0xff, v7
	v_and_b32_e32 v11, 1, v7
	ds_bpermute_b32 v8, v5, v4
	s_waitcnt lgkmcnt(1)
	ds_bpermute_b32 v4, v5, v1
	ds_bpermute_b32 v5, v5, v2
	v_cmp_eq_u32_e64 s3, 1, v11
	s_waitcnt lgkmcnt(2)
	v_and_b32_e32 v9, 1, v8
	s_waitcnt lgkmcnt(0)
	v_cmp_lt_i64_e64 s2, v[4:5], v[1:2]
	s_delay_alu instid0(VALU_DEP_2) | instskip(SKIP_2) | instid1(VALU_DEP_4)
	v_cmp_eq_u32_e32 vcc_lo, 1, v9
	v_lshlrev_b32_e32 v9, 1, v10
	v_cndmask_b32_e64 v7, v7, 1, vcc_lo
	s_and_b32 vcc_lo, vcc_lo, s2
	v_dual_cndmask_b32 v1, v1, v4 :: v_dual_cndmask_b32 v2, v2, v5
	s_delay_alu instid0(VALU_DEP_2) | instskip(SKIP_2) | instid1(VALU_DEP_4)
	v_cndmask_b32_e64 v7, v8, v7, s3
	v_add_lshl_u32 v8, v9, v3, 2
	v_cmp_gt_u32_e32 vcc_lo, 4, v6
	v_cndmask_b32_e64 v1, v4, v1, s3
	v_cndmask_b32_e64 v2, v5, v2, s3
	v_and_b32_e32 v9, 0xff, v7
	v_and_b32_e32 v10, 1, v7
	v_cndmask_b32_e64 v6, 0, 1, vcc_lo
	ds_bpermute_b32 v4, v8, v1
	ds_bpermute_b32 v5, v8, v2
	;; [unrolled: 1-line block ×3, first 2 shown]
	v_cmp_eq_u32_e64 s3, 1, v10
	s_waitcnt lgkmcnt(1)
	v_cmp_lt_i64_e64 s2, v[4:5], v[1:2]
	s_waitcnt lgkmcnt(0)
	v_and_b32_e32 v8, 1, v9
	s_delay_alu instid0(VALU_DEP_1) | instskip(SKIP_1) | instid1(VALU_DEP_4)
	v_cmp_eq_u32_e32 vcc_lo, 1, v8
	v_cndmask_b32_e64 v7, v7, 1, vcc_lo
	s_and_b32 vcc_lo, vcc_lo, s2
	v_dual_cndmask_b32 v1, v1, v4 :: v_dual_cndmask_b32 v2, v2, v5
	s_delay_alu instid0(VALU_DEP_2) | instskip(NEXT) | instid1(VALU_DEP_2)
	v_cndmask_b32_e64 v7, v9, v7, s3
	v_cndmask_b32_e64 v1, v4, v1, s3
	v_lshlrev_b32_e32 v6, 2, v6
	s_delay_alu instid0(VALU_DEP_4) | instskip(NEXT) | instid1(VALU_DEP_2)
	v_cndmask_b32_e64 v2, v5, v2, s3
	v_add_lshl_u32 v6, v6, v3, 2
	v_and_b32_e32 v3, 0xff, v7
	ds_bpermute_b32 v4, v6, v2
	ds_bpermute_b32 v5, v6, v3
	;; [unrolled: 1-line block ×3, first 2 shown]
	s_waitcnt lgkmcnt(1)
	v_and_b32_e32 v6, 1, v5
	s_waitcnt lgkmcnt(0)
	v_cmp_lt_i64_e32 vcc_lo, v[3:4], v[1:2]
	s_delay_alu instid0(VALU_DEP_2) | instskip(SKIP_1) | instid1(VALU_DEP_2)
	v_cmp_eq_u32_e64 s2, 1, v6
	v_and_b32_e32 v6, 1, v7
	v_cndmask_b32_e64 v7, v7, 1, s2
	s_and_b32 vcc_lo, s2, vcc_lo
	s_delay_alu instid0(VALU_DEP_2) | instskip(SKIP_1) | instid1(VALU_DEP_2)
	v_cmp_eq_u32_e64 s2, 1, v6
	v_dual_cndmask_b32 v1, v1, v3 :: v_dual_cndmask_b32 v2, v2, v4
	v_cndmask_b32_e64 v5, v5, v7, s2
	s_delay_alu instid0(VALU_DEP_2) | instskip(NEXT) | instid1(VALU_DEP_3)
	v_cndmask_b32_e64 v1, v3, v1, s2
	v_cndmask_b32_e64 v2, v4, v2, s2
	s_delay_alu instid0(VALU_DEP_3)
	v_and_b32_e32 v6, 0xff, v5
.LBB808_38:
	s_or_b32 exec_lo, exec_lo, s4
	s_branch .LBB808_124
.LBB808_39:
                                        ; implicit-def: $vgpr3_vgpr4
                                        ; implicit-def: $vgpr5
	s_branch .LBB808_200
.LBB808_40:
                                        ; implicit-def: $vgpr1_vgpr2
                                        ; implicit-def: $vgpr6
	s_cbranch_execz .LBB808_85
; %bb.41:
	v_mov_b32_e32 v9, 0
	v_dual_mov_b32 v10, 0 :: v_dual_mov_b32 v21, 0
	s_delay_alu instid0(VALU_DEP_2) | instskip(SKIP_2) | instid1(VALU_DEP_3)
	v_mov_b32_e32 v1, v9
	v_mov_b32_e32 v17, 0
	s_sub_i32 s29, s14, s6
	v_mov_b32_e32 v2, v10
	s_mov_b32 s2, exec_lo
	v_cmpx_gt_u32_e64 s29, v0
	s_cbranch_execz .LBB808_43
; %bb.42:
	v_lshlrev_b32_e32 v1, 3, v0
	s_clause 0x1
	global_load_b64 v[3:4], v1, s[8:9]
	global_load_b64 v[5:6], v1, s[22:23]
	v_add_co_u32 v1, s3, s26, v0
	s_delay_alu instid0(VALU_DEP_1)
	v_add_co_ci_u32_e64 v2, null, s28, 0, s3
	s_waitcnt vmcnt(0)
	v_cmp_ne_u64_e32 vcc_lo, v[3:4], v[5:6]
	v_cndmask_b32_e64 v17, 0, 1, vcc_lo
.LBB808_43:
	s_or_b32 exec_lo, exec_lo, s2
	v_or_b32_e32 v3, 0x100, v0
	s_delay_alu instid0(VALU_DEP_1) | instskip(NEXT) | instid1(VALU_DEP_1)
	v_cmp_gt_u32_e64 s7, s29, v3
	s_and_saveexec_b32 s2, s7
	s_cbranch_execz .LBB808_45
; %bb.44:
	v_lshlrev_b32_e32 v6, 3, v0
	v_add_co_u32 v9, s3, s26, v3
	s_delay_alu instid0(VALU_DEP_1)
	v_add_co_ci_u32_e64 v10, null, s28, 0, s3
	s_clause 0x1
	global_load_b64 v[4:5], v6, s[8:9] offset:2048
	global_load_b64 v[6:7], v6, s[22:23] offset:2048
	s_waitcnt vmcnt(0)
	v_cmp_ne_u64_e32 vcc_lo, v[4:5], v[6:7]
	v_cndmask_b32_e64 v21, 0, 1, vcc_lo
.LBB808_45:
	s_or_b32 exec_lo, exec_lo, s2
	v_dual_mov_b32 v7, 0 :: v_dual_mov_b32 v20, 0
	v_mov_b32_e32 v8, 0
	v_or_b32_e32 v3, 0x200, v0
	v_mov_b32_e32 v24, 0
	s_delay_alu instid0(VALU_DEP_3) | instskip(NEXT) | instid1(VALU_DEP_3)
	v_dual_mov_b32 v16, v8 :: v_dual_mov_b32 v15, v7
	v_cmp_gt_u32_e64 s6, s29, v3
	s_delay_alu instid0(VALU_DEP_1)
	s_and_saveexec_b32 s2, s6
	s_cbranch_execz .LBB808_47
; %bb.46:
	v_lshlrev_b32_e32 v6, 3, v3
	v_add_co_u32 v15, s3, s26, v3
	s_delay_alu instid0(VALU_DEP_1)
	v_add_co_ci_u32_e64 v16, null, s28, 0, s3
	s_clause 0x1
	global_load_b64 v[4:5], v6, s[8:9]
	global_load_b64 v[11:12], v6, s[22:23]
	s_waitcnt vmcnt(0)
	v_cmp_ne_u64_e32 vcc_lo, v[4:5], v[11:12]
	v_cndmask_b32_e64 v24, 0, 1, vcc_lo
.LBB808_47:
	s_or_b32 exec_lo, exec_lo, s2
	v_or_b32_e32 v3, 0x300, v0
	s_delay_alu instid0(VALU_DEP_1) | instskip(NEXT) | instid1(VALU_DEP_1)
	v_cmp_gt_u32_e64 s5, s29, v3
	s_and_saveexec_b32 s2, s5
	s_cbranch_execz .LBB808_49
; %bb.48:
	v_lshlrev_b32_e32 v6, 3, v3
	v_add_co_u32 v7, s3, s26, v3
	s_delay_alu instid0(VALU_DEP_1)
	v_add_co_ci_u32_e64 v8, null, s28, 0, s3
	s_clause 0x1
	global_load_b64 v[4:5], v6, s[8:9]
	global_load_b64 v[11:12], v6, s[22:23]
	s_waitcnt vmcnt(0)
	v_cmp_ne_u64_e32 vcc_lo, v[4:5], v[11:12]
	v_cndmask_b32_e64 v20, 0, 1, vcc_lo
.LBB808_49:
	s_or_b32 exec_lo, exec_lo, s2
	v_mov_b32_e32 v5, 0
	v_dual_mov_b32 v6, 0 :: v_dual_mov_b32 v19, 0
	v_or_b32_e32 v3, 0x400, v0
	s_delay_alu instid0(VALU_DEP_2) | instskip(NEXT) | instid1(VALU_DEP_4)
	v_dual_mov_b32 v23, 0 :: v_dual_mov_b32 v14, v6
	v_mov_b32_e32 v13, v5
	s_delay_alu instid0(VALU_DEP_3) | instskip(NEXT) | instid1(VALU_DEP_1)
	v_cmp_gt_u32_e64 s4, s29, v3
	s_and_saveexec_b32 s2, s4
	s_cbranch_execz .LBB808_51
; %bb.50:
	v_lshlrev_b32_e32 v4, 3, v3
	v_add_co_u32 v13, s3, s26, v3
	s_delay_alu instid0(VALU_DEP_1)
	v_add_co_ci_u32_e64 v14, null, s28, 0, s3
	s_clause 0x1
	global_load_b64 v[11:12], v4, s[8:9]
	global_load_b64 v[22:23], v4, s[22:23]
	s_waitcnt vmcnt(0)
	v_cmp_ne_u64_e32 vcc_lo, v[11:12], v[22:23]
	v_cndmask_b32_e64 v23, 0, 1, vcc_lo
.LBB808_51:
	s_or_b32 exec_lo, exec_lo, s2
	v_or_b32_e32 v3, 0x500, v0
	s_delay_alu instid0(VALU_DEP_1) | instskip(NEXT) | instid1(VALU_DEP_1)
	v_cmp_gt_u32_e64 s3, s29, v3
	s_and_saveexec_b32 s2, s3
	s_cbranch_execz .LBB808_53
; %bb.52:
	v_lshlrev_b32_e32 v4, 3, v3
	v_add_co_u32 v5, s30, s26, v3
	s_delay_alu instid0(VALU_DEP_1)
	v_add_co_ci_u32_e64 v6, null, s28, 0, s30
	s_clause 0x1
	global_load_b64 v[11:12], v4, s[8:9]
	global_load_b64 v[18:19], v4, s[22:23]
	s_waitcnt vmcnt(0)
	v_cmp_ne_u64_e32 vcc_lo, v[11:12], v[18:19]
	v_cndmask_b32_e64 v19, 0, 1, vcc_lo
.LBB808_53:
	s_or_b32 exec_lo, exec_lo, s2
	v_dual_mov_b32 v3, 0 :: v_dual_mov_b32 v18, 0
	v_mov_b32_e32 v4, 0
	v_or_b32_e32 v25, 0x600, v0
	v_mov_b32_e32 v22, 0
	s_delay_alu instid0(VALU_DEP_3) | instskip(NEXT) | instid1(VALU_DEP_3)
	v_dual_mov_b32 v12, v4 :: v_dual_mov_b32 v11, v3
	v_cmp_gt_u32_e64 s2, s29, v25
	s_delay_alu instid0(VALU_DEP_1)
	s_and_saveexec_b32 s30, s2
	s_cbranch_execz .LBB808_55
; %bb.54:
	v_lshlrev_b32_e32 v11, 3, v25
	s_clause 0x1
	global_load_b64 v[26:27], v11, s[8:9]
	global_load_b64 v[28:29], v11, s[22:23]
	v_add_co_u32 v11, s31, s26, v25
	s_delay_alu instid0(VALU_DEP_1)
	v_add_co_ci_u32_e64 v12, null, s28, 0, s31
	s_waitcnt vmcnt(0)
	v_cmp_ne_u64_e32 vcc_lo, v[26:27], v[28:29]
	v_cndmask_b32_e64 v22, 0, 1, vcc_lo
.LBB808_55:
	s_or_b32 exec_lo, exec_lo, s30
	v_or_b32_e32 v25, 0x700, v0
	s_delay_alu instid0(VALU_DEP_1)
	v_cmp_gt_u32_e32 vcc_lo, s29, v25
	s_and_saveexec_b32 s30, vcc_lo
	s_cbranch_execnz .LBB808_232
; %bb.56:
	s_or_b32 exec_lo, exec_lo, s30
	s_and_saveexec_b32 s9, s7
	s_cbranch_execnz .LBB808_233
.LBB808_57:
	s_or_b32 exec_lo, exec_lo, s9
	s_and_saveexec_b32 s8, s6
	s_cbranch_execnz .LBB808_234
.LBB808_58:
	s_or_b32 exec_lo, exec_lo, s8
	s_and_saveexec_b32 s7, s5
	s_cbranch_execnz .LBB808_235
.LBB808_59:
	s_or_b32 exec_lo, exec_lo, s7
	s_and_saveexec_b32 s6, s4
	s_cbranch_execnz .LBB808_236
.LBB808_60:
	s_or_b32 exec_lo, exec_lo, s6
	s_and_saveexec_b32 s5, s3
	s_cbranch_execnz .LBB808_237
.LBB808_61:
	s_or_b32 exec_lo, exec_lo, s5
	s_and_saveexec_b32 s4, s2
	s_cbranch_execnz .LBB808_238
.LBB808_62:
	s_or_b32 exec_lo, exec_lo, s4
	s_and_saveexec_b32 s3, vcc_lo
.LBB808_63:
	v_and_b32_e32 v5, 1, v18
	v_cmp_lt_i64_e32 vcc_lo, v[3:4], v[1:2]
	s_delay_alu instid0(VALU_DEP_2) | instskip(NEXT) | instid1(VALU_DEP_1)
	v_cmp_eq_u32_e64 s2, 1, v5
	s_and_b32 vcc_lo, s2, vcc_lo
	v_cndmask_b32_e64 v6, v17, 1, s2
	v_dual_cndmask_b32 v2, v2, v4 :: v_dual_and_b32 v5, 1, v17
	v_cndmask_b32_e32 v1, v1, v3, vcc_lo
	s_delay_alu instid0(VALU_DEP_2) | instskip(NEXT) | instid1(VALU_DEP_3)
	v_cmp_eq_u32_e32 vcc_lo, 1, v5
	v_cndmask_b32_e32 v2, v4, v2, vcc_lo
	v_cndmask_b32_e32 v17, v18, v6, vcc_lo
	s_delay_alu instid0(VALU_DEP_4)
	v_cndmask_b32_e32 v1, v3, v1, vcc_lo
.LBB808_64:
	s_or_b32 exec_lo, exec_lo, s3
	v_mbcnt_lo_u32_b32 v5, -1, 0
	v_and_b32_e32 v7, 0xe0, v0
	s_min_u32 s3, s29, 0x100
	v_and_b32_e32 v6, 0xffff, v17
	s_delay_alu instid0(VALU_DEP_3) | instskip(NEXT) | instid1(VALU_DEP_3)
	v_cmp_ne_u32_e32 vcc_lo, 31, v5
	v_sub_nc_u32_e64 v8, s3, v7 clamp
	v_add_nc_u32_e32 v7, 1, v5
	v_add_co_ci_u32_e32 v3, vcc_lo, 0, v5, vcc_lo
	s_delay_alu instid0(VALU_DEP_2) | instskip(NEXT) | instid1(VALU_DEP_2)
	v_cmp_lt_u32_e32 vcc_lo, v7, v8
	v_dual_mov_b32 v7, v6 :: v_dual_lshlrev_b32 v4, 2, v3
	ds_bpermute_b32 v9, v4, v6
	ds_bpermute_b32 v3, v4, v1
	;; [unrolled: 1-line block ×3, first 2 shown]
	s_and_saveexec_b32 s2, vcc_lo
	s_delay_alu instid0(SALU_CYCLE_1)
	s_xor_b32 s4, exec_lo, s2
	s_cbranch_execz .LBB808_66
; %bb.65:
	s_waitcnt lgkmcnt(2)
	v_and_b32_e32 v7, 1, v9
	s_waitcnt lgkmcnt(0)
	v_cmp_lt_i64_e32 vcc_lo, v[3:4], v[1:2]
	s_delay_alu instid0(VALU_DEP_2) | instskip(SKIP_1) | instid1(VALU_DEP_2)
	v_cmp_eq_u32_e64 s2, 1, v7
	v_and_b32_e32 v7, 1, v17
	v_cndmask_b32_e64 v6, v6, 1, s2
	s_and_b32 vcc_lo, s2, vcc_lo
	s_delay_alu instid0(VALU_DEP_2) | instskip(SKIP_1) | instid1(VALU_DEP_2)
	v_cmp_eq_u32_e64 s2, 1, v7
	v_dual_cndmask_b32 v2, v2, v4 :: v_dual_cndmask_b32 v1, v1, v3
	v_cndmask_b32_e64 v7, v9, v6, s2
	s_delay_alu instid0(VALU_DEP_2) | instskip(NEXT) | instid1(VALU_DEP_3)
	v_cndmask_b32_e64 v2, v4, v2, s2
	v_cndmask_b32_e64 v1, v3, v1, s2
	s_delay_alu instid0(VALU_DEP_3)
	v_and_b32_e32 v6, 0xff, v7
.LBB808_66:
	s_or_b32 exec_lo, exec_lo, s4
	v_cmp_gt_u32_e32 vcc_lo, 30, v5
	v_add_nc_u32_e32 v10, 2, v5
	s_mov_b32 s4, exec_lo
	s_waitcnt lgkmcnt(1)
	v_cndmask_b32_e64 v3, 0, 1, vcc_lo
	s_delay_alu instid0(VALU_DEP_1) | instskip(SKIP_1) | instid1(VALU_DEP_1)
	v_lshlrev_b32_e32 v3, 1, v3
	s_waitcnt lgkmcnt(0)
	v_add_lshl_u32 v4, v3, v5, 2
	ds_bpermute_b32 v9, v4, v6
	ds_bpermute_b32 v3, v4, v1
	ds_bpermute_b32 v4, v4, v2
	v_cmpx_lt_u32_e64 v10, v8
	s_cbranch_execz .LBB808_68
; %bb.67:
	s_waitcnt lgkmcnt(2)
	v_and_b32_e32 v6, 1, v9
	s_waitcnt lgkmcnt(0)
	v_cmp_lt_i64_e32 vcc_lo, v[3:4], v[1:2]
	s_delay_alu instid0(VALU_DEP_2) | instskip(SKIP_1) | instid1(VALU_DEP_2)
	v_cmp_eq_u32_e64 s2, 1, v6
	v_and_b32_e32 v6, 1, v7
	v_cndmask_b32_e64 v7, v7, 1, s2
	s_and_b32 vcc_lo, s2, vcc_lo
	s_delay_alu instid0(VALU_DEP_2) | instskip(SKIP_1) | instid1(VALU_DEP_2)
	v_cmp_eq_u32_e64 s2, 1, v6
	v_dual_cndmask_b32 v1, v1, v3 :: v_dual_cndmask_b32 v2, v2, v4
	v_cndmask_b32_e64 v7, v9, v7, s2
	s_delay_alu instid0(VALU_DEP_2) | instskip(NEXT) | instid1(VALU_DEP_3)
	v_cndmask_b32_e64 v1, v3, v1, s2
	v_cndmask_b32_e64 v2, v4, v2, s2
	s_delay_alu instid0(VALU_DEP_3)
	v_and_b32_e32 v6, 0xff, v7
.LBB808_68:
	s_or_b32 exec_lo, exec_lo, s4
	v_cmp_gt_u32_e32 vcc_lo, 28, v5
	v_add_nc_u32_e32 v10, 4, v5
	s_mov_b32 s4, exec_lo
	s_waitcnt lgkmcnt(1)
	v_cndmask_b32_e64 v3, 0, 1, vcc_lo
	s_delay_alu instid0(VALU_DEP_1) | instskip(SKIP_1) | instid1(VALU_DEP_1)
	v_lshlrev_b32_e32 v3, 2, v3
	s_waitcnt lgkmcnt(0)
	v_add_lshl_u32 v4, v3, v5, 2
	ds_bpermute_b32 v9, v4, v6
	ds_bpermute_b32 v3, v4, v1
	ds_bpermute_b32 v4, v4, v2
	v_cmpx_lt_u32_e64 v10, v8
	;; [unrolled: 35-line block ×4, first 2 shown]
	s_cbranch_execz .LBB808_74
; %bb.73:
	s_waitcnt lgkmcnt(2)
	v_and_b32_e32 v6, 1, v9
	s_waitcnt lgkmcnt(0)
	v_cmp_lt_i64_e32 vcc_lo, v[3:4], v[1:2]
	s_delay_alu instid0(VALU_DEP_2) | instskip(SKIP_1) | instid1(VALU_DEP_2)
	v_cmp_eq_u32_e64 s2, 1, v6
	v_and_b32_e32 v6, 1, v7
	v_cndmask_b32_e64 v7, v7, 1, s2
	s_and_b32 vcc_lo, s2, vcc_lo
	s_delay_alu instid0(VALU_DEP_2) | instskip(SKIP_1) | instid1(VALU_DEP_2)
	v_cmp_eq_u32_e64 s2, 1, v6
	v_dual_cndmask_b32 v1, v1, v3 :: v_dual_cndmask_b32 v2, v2, v4
	v_cndmask_b32_e64 v7, v9, v7, s2
	s_delay_alu instid0(VALU_DEP_2) | instskip(NEXT) | instid1(VALU_DEP_3)
	v_cndmask_b32_e64 v1, v3, v1, s2
	v_cndmask_b32_e64 v2, v4, v2, s2
	s_delay_alu instid0(VALU_DEP_3)
	v_and_b32_e32 v6, 0xff, v7
.LBB808_74:
	s_or_b32 exec_lo, exec_lo, s4
	s_delay_alu instid0(SALU_CYCLE_1)
	s_mov_b32 s2, exec_lo
	v_cmpx_eq_u32_e32 0, v5
	s_cbranch_execz .LBB808_76
; %bb.75:
	s_waitcnt lgkmcnt(1)
	v_lshrrev_b32_e32 v3, 1, v0
	s_delay_alu instid0(VALU_DEP_1)
	v_and_b32_e32 v3, 0x70, v3
	ds_store_b8 v3, v7 offset:512
	ds_store_b64 v3, v[1:2] offset:520
.LBB808_76:
	s_or_b32 exec_lo, exec_lo, s2
	s_delay_alu instid0(SALU_CYCLE_1)
	s_mov_b32 s4, exec_lo
	s_waitcnt lgkmcnt(0)
	s_barrier
	buffer_gl0_inv
	v_cmpx_gt_u32_e32 8, v0
	s_cbranch_execz .LBB808_84
; %bb.77:
	v_lshlrev_b32_e32 v1, 4, v5
	v_and_b32_e32 v8, 7, v5
	s_add_i32 s3, s3, 31
	s_mov_b32 s5, exec_lo
	s_lshr_b32 s3, s3, 5
	ds_load_u8 v7, v1 offset:512
	ds_load_b64 v[1:2], v1 offset:520
	v_cmp_ne_u32_e32 vcc_lo, 7, v8
	v_add_nc_u32_e32 v10, 1, v8
	v_add_co_ci_u32_e32 v3, vcc_lo, 0, v5, vcc_lo
	s_delay_alu instid0(VALU_DEP_1)
	v_lshlrev_b32_e32 v4, 2, v3
	s_waitcnt lgkmcnt(1)
	v_and_b32_e32 v6, 0xff, v7
	s_waitcnt lgkmcnt(0)
	ds_bpermute_b32 v3, v4, v1
	ds_bpermute_b32 v9, v4, v6
	ds_bpermute_b32 v4, v4, v2
	v_cmpx_gt_u32_e64 s3, v10
	s_cbranch_execz .LBB808_79
; %bb.78:
	s_waitcnt lgkmcnt(1)
	v_and_b32_e32 v6, 1, v9
	s_waitcnt lgkmcnt(0)
	v_cmp_lt_i64_e32 vcc_lo, v[3:4], v[1:2]
	s_delay_alu instid0(VALU_DEP_2) | instskip(SKIP_1) | instid1(VALU_DEP_2)
	v_cmp_eq_u32_e64 s2, 1, v6
	v_and_b32_e32 v6, 1, v7
	v_cndmask_b32_e64 v7, v7, 1, s2
	s_and_b32 vcc_lo, s2, vcc_lo
	s_delay_alu instid0(VALU_DEP_2) | instskip(SKIP_1) | instid1(VALU_DEP_2)
	v_cmp_eq_u32_e64 s2, 1, v6
	v_dual_cndmask_b32 v1, v1, v3 :: v_dual_cndmask_b32 v2, v2, v4
	v_cndmask_b32_e64 v7, v9, v7, s2
	s_delay_alu instid0(VALU_DEP_2) | instskip(NEXT) | instid1(VALU_DEP_3)
	v_cndmask_b32_e64 v1, v3, v1, s2
	v_cndmask_b32_e64 v2, v4, v2, s2
	s_delay_alu instid0(VALU_DEP_3)
	v_and_b32_e32 v6, 0xff, v7
.LBB808_79:
	s_or_b32 exec_lo, exec_lo, s5
	v_cmp_gt_u32_e32 vcc_lo, 6, v8
	v_add_nc_u32_e32 v10, 2, v8
	s_mov_b32 s5, exec_lo
	s_waitcnt lgkmcnt(2)
	v_cndmask_b32_e64 v3, 0, 1, vcc_lo
	s_delay_alu instid0(VALU_DEP_1) | instskip(SKIP_1) | instid1(VALU_DEP_1)
	v_lshlrev_b32_e32 v3, 1, v3
	s_waitcnt lgkmcnt(0)
	v_add_lshl_u32 v4, v3, v5, 2
	ds_bpermute_b32 v9, v4, v6
	ds_bpermute_b32 v3, v4, v1
	;; [unrolled: 1-line block ×3, first 2 shown]
	v_cmpx_gt_u32_e64 s3, v10
	s_cbranch_execz .LBB808_81
; %bb.80:
	s_waitcnt lgkmcnt(2)
	v_and_b32_e32 v6, 1, v9
	s_waitcnt lgkmcnt(0)
	v_cmp_lt_i64_e32 vcc_lo, v[3:4], v[1:2]
	s_delay_alu instid0(VALU_DEP_2) | instskip(SKIP_1) | instid1(VALU_DEP_2)
	v_cmp_eq_u32_e64 s2, 1, v6
	v_and_b32_e32 v6, 1, v7
	v_cndmask_b32_e64 v7, v7, 1, s2
	s_and_b32 vcc_lo, s2, vcc_lo
	s_delay_alu instid0(VALU_DEP_2) | instskip(SKIP_1) | instid1(VALU_DEP_2)
	v_cmp_eq_u32_e64 s2, 1, v6
	v_dual_cndmask_b32 v1, v1, v3 :: v_dual_cndmask_b32 v2, v2, v4
	v_cndmask_b32_e64 v7, v9, v7, s2
	s_delay_alu instid0(VALU_DEP_2) | instskip(NEXT) | instid1(VALU_DEP_3)
	v_cndmask_b32_e64 v1, v3, v1, s2
	v_cndmask_b32_e64 v2, v4, v2, s2
	s_delay_alu instid0(VALU_DEP_3)
	v_and_b32_e32 v6, 0xff, v7
.LBB808_81:
	s_or_b32 exec_lo, exec_lo, s5
	v_cmp_gt_u32_e32 vcc_lo, 4, v8
	v_add_nc_u32_e32 v8, 4, v8
	s_waitcnt lgkmcnt(1)
	v_cndmask_b32_e64 v3, 0, 1, vcc_lo
	s_delay_alu instid0(VALU_DEP_2) | instskip(NEXT) | instid1(VALU_DEP_2)
	v_cmp_gt_u32_e32 vcc_lo, s3, v8
	v_lshlrev_b32_e32 v3, 2, v3
	s_waitcnt lgkmcnt(0)
	s_delay_alu instid0(VALU_DEP_1)
	v_add_lshl_u32 v4, v3, v5, 2
	ds_bpermute_b32 v5, v4, v6
	ds_bpermute_b32 v3, v4, v1
	;; [unrolled: 1-line block ×3, first 2 shown]
	s_and_saveexec_b32 s3, vcc_lo
	s_cbranch_execz .LBB808_83
; %bb.82:
	s_waitcnt lgkmcnt(2)
	v_and_b32_e32 v6, 1, v5
	s_waitcnt lgkmcnt(0)
	v_cmp_lt_i64_e32 vcc_lo, v[3:4], v[1:2]
	s_delay_alu instid0(VALU_DEP_2) | instskip(SKIP_1) | instid1(VALU_DEP_2)
	v_cmp_eq_u32_e64 s2, 1, v6
	v_and_b32_e32 v6, 1, v7
	v_cndmask_b32_e64 v7, v7, 1, s2
	s_and_b32 vcc_lo, s2, vcc_lo
	s_delay_alu instid0(VALU_DEP_2) | instskip(SKIP_1) | instid1(VALU_DEP_2)
	v_cmp_eq_u32_e64 s2, 1, v6
	v_dual_cndmask_b32 v1, v1, v3 :: v_dual_cndmask_b32 v2, v2, v4
	v_cndmask_b32_e64 v5, v5, v7, s2
	s_delay_alu instid0(VALU_DEP_2) | instskip(NEXT) | instid1(VALU_DEP_3)
	v_cndmask_b32_e64 v1, v3, v1, s2
	v_cndmask_b32_e64 v2, v4, v2, s2
	s_delay_alu instid0(VALU_DEP_3)
	v_and_b32_e32 v6, 0xff, v5
.LBB808_83:
	s_or_b32 exec_lo, exec_lo, s3
.LBB808_84:
	s_delay_alu instid0(SALU_CYCLE_1)
	s_or_b32 exec_lo, exec_lo, s4
.LBB808_85:
	s_mov_b32 s26, 0
                                        ; implicit-def: $vgpr3_vgpr4
                                        ; implicit-def: $vgpr5
	s_mov_b32 s2, exec_lo
	v_cmpx_eq_u32_e32 0, v0
	s_xor_b32 s4, exec_lo, s2
	s_cbranch_execz .LBB808_89
; %bb.86:
	s_waitcnt lgkmcnt(0)
	v_dual_mov_b32 v3, s20 :: v_dual_mov_b32 v4, s21
	v_mov_b32_e32 v5, s24
	s_cmp_eq_u64 s[14:15], 0
	s_cbranch_scc1 .LBB808_88
; %bb.87:
	v_and_b32_e32 v3, 1, v6
	v_cmp_gt_i64_e32 vcc_lo, s[20:21], v[1:2]
	s_bitcmp1_b32 s24, 0
	s_cselect_b32 s3, -1, 0
	s_delay_alu instid0(VALU_DEP_2) | instskip(NEXT) | instid1(VALU_DEP_1)
	v_cmp_eq_u32_e64 s2, 1, v3
	s_and_b32 vcc_lo, s2, vcc_lo
	v_cndmask_b32_e64 v3, s24, 1, s2
	v_cndmask_b32_e32 v7, s20, v1, vcc_lo
	v_cndmask_b32_e32 v4, s21, v2, vcc_lo
	s_delay_alu instid0(VALU_DEP_3) | instskip(NEXT) | instid1(VALU_DEP_3)
	v_cndmask_b32_e64 v5, v6, v3, s3
	v_cndmask_b32_e64 v3, v1, v7, s3
	s_delay_alu instid0(VALU_DEP_3)
	v_cndmask_b32_e64 v4, v2, v4, s3
.LBB808_88:
	s_mov_b32 s26, exec_lo
.LBB808_89:
	s_or_b32 exec_lo, exec_lo, s4
	s_delay_alu instid0(SALU_CYCLE_1)
	s_and_b32 vcc_lo, exec_lo, s27
	s_cbranch_vccnz .LBB808_22
.LBB808_90:
	s_branch .LBB808_200
.LBB808_91:
                                        ; implicit-def: $vgpr1_vgpr2
                                        ; implicit-def: $vgpr6
	s_cbranch_execz .LBB808_124
; %bb.92:
	s_waitcnt lgkmcnt(2)
	v_mov_b32_e32 v5, 0
	v_dual_mov_b32 v6, 0 :: v_dual_mov_b32 v11, 0
	s_delay_alu instid0(VALU_DEP_2) | instskip(SKIP_2) | instid1(VALU_DEP_3)
	v_mov_b32_e32 v1, v5
	v_mov_b32_e32 v9, 0
	s_sub_i32 s22, s14, s22
	v_mov_b32_e32 v2, v6
	s_mov_b32 s2, exec_lo
	v_cmpx_gt_u32_e64 s22, v0
	s_cbranch_execz .LBB808_94
; %bb.93:
	v_lshlrev_b32_e32 v1, 3, v0
	s_waitcnt lgkmcnt(0)
	s_clause 0x1
	global_load_b64 v[3:4], v1, s[6:7]
	global_load_b64 v[7:8], v1, s[8:9]
	v_add_co_u32 v1, s3, s5, v0
	s_delay_alu instid0(VALU_DEP_1)
	v_add_co_ci_u32_e64 v2, null, s23, 0, s3
	s_waitcnt vmcnt(0)
	v_cmp_ne_u64_e32 vcc_lo, v[3:4], v[7:8]
	v_cndmask_b32_e64 v9, 0, 1, vcc_lo
.LBB808_94:
	s_or_b32 exec_lo, exec_lo, s2
	s_waitcnt lgkmcnt(1)
	v_or_b32_e32 v3, 0x100, v0
	s_delay_alu instid0(VALU_DEP_1) | instskip(NEXT) | instid1(VALU_DEP_1)
	v_cmp_gt_u32_e64 s3, s22, v3
	s_and_saveexec_b32 s2, s3
	s_cbranch_execz .LBB808_96
; %bb.95:
	s_waitcnt lgkmcnt(0)
	v_lshlrev_b32_e32 v4, 3, v0
	v_add_co_u32 v5, s4, s5, v3
	s_delay_alu instid0(VALU_DEP_1)
	v_add_co_ci_u32_e64 v6, null, s23, 0, s4
	s_clause 0x1
	global_load_b64 v[7:8], v4, s[6:7] offset:2048
	global_load_b64 v[10:11], v4, s[8:9] offset:2048
	s_waitcnt vmcnt(0)
	v_cmp_ne_u64_e32 vcc_lo, v[7:8], v[10:11]
	v_cndmask_b32_e64 v11, 0, 1, vcc_lo
.LBB808_96:
	s_or_b32 exec_lo, exec_lo, s2
	s_waitcnt lgkmcnt(0)
	v_dual_mov_b32 v3, 0 :: v_dual_mov_b32 v10, 0
	v_mov_b32_e32 v4, 0
	v_or_b32_e32 v13, 0x200, v0
	v_mov_b32_e32 v12, 0
	s_delay_alu instid0(VALU_DEP_3) | instskip(NEXT) | instid1(VALU_DEP_3)
	v_dual_mov_b32 v8, v4 :: v_dual_mov_b32 v7, v3
	v_cmp_gt_u32_e64 s2, s22, v13
	s_delay_alu instid0(VALU_DEP_1)
	s_and_saveexec_b32 s4, s2
	s_cbranch_execz .LBB808_98
; %bb.97:
	v_lshlrev_b32_e32 v7, 3, v13
	s_clause 0x1
	global_load_b64 v[14:15], v7, s[6:7]
	global_load_b64 v[16:17], v7, s[8:9]
	v_add_co_u32 v7, s27, s5, v13
	s_delay_alu instid0(VALU_DEP_1)
	v_add_co_ci_u32_e64 v8, null, s23, 0, s27
	s_waitcnt vmcnt(0)
	v_cmp_ne_u64_e32 vcc_lo, v[14:15], v[16:17]
	v_cndmask_b32_e64 v12, 0, 1, vcc_lo
.LBB808_98:
	s_or_b32 exec_lo, exec_lo, s4
	v_or_b32_e32 v13, 0x300, v0
	s_delay_alu instid0(VALU_DEP_1)
	v_cmp_gt_u32_e32 vcc_lo, s22, v13
	s_and_saveexec_b32 s27, vcc_lo
	s_cbranch_execnz .LBB808_239
; %bb.99:
	s_or_b32 exec_lo, exec_lo, s27
	s_and_saveexec_b32 s5, s3
	s_cbranch_execnz .LBB808_240
.LBB808_100:
	s_or_b32 exec_lo, exec_lo, s5
	s_and_saveexec_b32 s4, s2
	s_cbranch_execnz .LBB808_241
.LBB808_101:
	s_or_b32 exec_lo, exec_lo, s4
	s_and_saveexec_b32 s3, vcc_lo
.LBB808_102:
	v_and_b32_e32 v5, 1, v10
	v_cmp_lt_i64_e32 vcc_lo, v[3:4], v[1:2]
	s_delay_alu instid0(VALU_DEP_2) | instskip(NEXT) | instid1(VALU_DEP_1)
	v_cmp_eq_u32_e64 s2, 1, v5
	s_and_b32 vcc_lo, s2, vcc_lo
	v_cndmask_b32_e64 v6, v9, 1, s2
	v_dual_cndmask_b32 v2, v2, v4 :: v_dual_and_b32 v5, 1, v9
	v_cndmask_b32_e32 v1, v1, v3, vcc_lo
	s_delay_alu instid0(VALU_DEP_2) | instskip(NEXT) | instid1(VALU_DEP_3)
	v_cmp_eq_u32_e32 vcc_lo, 1, v5
	v_cndmask_b32_e32 v2, v4, v2, vcc_lo
	v_cndmask_b32_e32 v9, v10, v6, vcc_lo
	s_delay_alu instid0(VALU_DEP_4)
	v_cndmask_b32_e32 v1, v3, v1, vcc_lo
.LBB808_103:
	s_or_b32 exec_lo, exec_lo, s3
	v_mbcnt_lo_u32_b32 v5, -1, 0
	v_and_b32_e32 v7, 0xe0, v0
	s_min_u32 s3, s22, 0x100
	v_and_b32_e32 v6, 0xffff, v9
	s_delay_alu instid0(VALU_DEP_3) | instskip(NEXT) | instid1(VALU_DEP_3)
	v_cmp_ne_u32_e32 vcc_lo, 31, v5
	v_sub_nc_u32_e64 v8, s3, v7 clamp
	v_add_nc_u32_e32 v7, 1, v5
	v_add_co_ci_u32_e32 v3, vcc_lo, 0, v5, vcc_lo
	s_delay_alu instid0(VALU_DEP_2) | instskip(NEXT) | instid1(VALU_DEP_2)
	v_cmp_lt_u32_e32 vcc_lo, v7, v8
	v_dual_mov_b32 v7, v6 :: v_dual_lshlrev_b32 v4, 2, v3
	ds_bpermute_b32 v10, v4, v6
	ds_bpermute_b32 v3, v4, v1
	;; [unrolled: 1-line block ×3, first 2 shown]
	s_and_saveexec_b32 s2, vcc_lo
	s_delay_alu instid0(SALU_CYCLE_1)
	s_xor_b32 s4, exec_lo, s2
	s_cbranch_execz .LBB808_105
; %bb.104:
	s_waitcnt lgkmcnt(2)
	v_and_b32_e32 v7, 1, v10
	s_waitcnt lgkmcnt(0)
	v_cmp_lt_i64_e32 vcc_lo, v[3:4], v[1:2]
	s_delay_alu instid0(VALU_DEP_2) | instskip(SKIP_1) | instid1(VALU_DEP_2)
	v_cmp_eq_u32_e64 s2, 1, v7
	v_and_b32_e32 v7, 1, v9
	v_cndmask_b32_e64 v6, v6, 1, s2
	s_and_b32 vcc_lo, s2, vcc_lo
	s_delay_alu instid0(VALU_DEP_2) | instskip(SKIP_1) | instid1(VALU_DEP_2)
	v_cmp_eq_u32_e64 s2, 1, v7
	v_dual_cndmask_b32 v2, v2, v4 :: v_dual_cndmask_b32 v1, v1, v3
	v_cndmask_b32_e64 v7, v10, v6, s2
	s_delay_alu instid0(VALU_DEP_2) | instskip(NEXT) | instid1(VALU_DEP_3)
	v_cndmask_b32_e64 v2, v4, v2, s2
	v_cndmask_b32_e64 v1, v3, v1, s2
	s_delay_alu instid0(VALU_DEP_3)
	v_and_b32_e32 v6, 0xff, v7
.LBB808_105:
	s_or_b32 exec_lo, exec_lo, s4
	v_cmp_gt_u32_e32 vcc_lo, 30, v5
	s_waitcnt lgkmcnt(2)
	v_add_nc_u32_e32 v10, 2, v5
	s_mov_b32 s4, exec_lo
	s_waitcnt lgkmcnt(1)
	v_cndmask_b32_e64 v3, 0, 1, vcc_lo
	s_delay_alu instid0(VALU_DEP_1) | instskip(SKIP_1) | instid1(VALU_DEP_1)
	v_lshlrev_b32_e32 v3, 1, v3
	s_waitcnt lgkmcnt(0)
	v_add_lshl_u32 v4, v3, v5, 2
	ds_bpermute_b32 v9, v4, v6
	ds_bpermute_b32 v3, v4, v1
	ds_bpermute_b32 v4, v4, v2
	v_cmpx_lt_u32_e64 v10, v8
	s_cbranch_execz .LBB808_107
; %bb.106:
	s_waitcnt lgkmcnt(2)
	v_and_b32_e32 v6, 1, v9
	s_waitcnt lgkmcnt(0)
	v_cmp_lt_i64_e32 vcc_lo, v[3:4], v[1:2]
	s_delay_alu instid0(VALU_DEP_2) | instskip(SKIP_1) | instid1(VALU_DEP_2)
	v_cmp_eq_u32_e64 s2, 1, v6
	v_and_b32_e32 v6, 1, v7
	v_cndmask_b32_e64 v7, v7, 1, s2
	s_and_b32 vcc_lo, s2, vcc_lo
	s_delay_alu instid0(VALU_DEP_2) | instskip(SKIP_1) | instid1(VALU_DEP_2)
	v_cmp_eq_u32_e64 s2, 1, v6
	v_dual_cndmask_b32 v1, v1, v3 :: v_dual_cndmask_b32 v2, v2, v4
	v_cndmask_b32_e64 v7, v9, v7, s2
	s_delay_alu instid0(VALU_DEP_2) | instskip(NEXT) | instid1(VALU_DEP_3)
	v_cndmask_b32_e64 v1, v3, v1, s2
	v_cndmask_b32_e64 v2, v4, v2, s2
	s_delay_alu instid0(VALU_DEP_3)
	v_and_b32_e32 v6, 0xff, v7
.LBB808_107:
	s_or_b32 exec_lo, exec_lo, s4
	v_cmp_gt_u32_e32 vcc_lo, 28, v5
	v_add_nc_u32_e32 v10, 4, v5
	s_mov_b32 s4, exec_lo
	s_waitcnt lgkmcnt(1)
	v_cndmask_b32_e64 v3, 0, 1, vcc_lo
	s_delay_alu instid0(VALU_DEP_1) | instskip(SKIP_1) | instid1(VALU_DEP_1)
	v_lshlrev_b32_e32 v3, 2, v3
	s_waitcnt lgkmcnt(0)
	v_add_lshl_u32 v4, v3, v5, 2
	ds_bpermute_b32 v9, v4, v6
	ds_bpermute_b32 v3, v4, v1
	ds_bpermute_b32 v4, v4, v2
	v_cmpx_lt_u32_e64 v10, v8
	s_cbranch_execz .LBB808_109
; %bb.108:
	s_waitcnt lgkmcnt(2)
	v_and_b32_e32 v6, 1, v9
	s_waitcnt lgkmcnt(0)
	v_cmp_lt_i64_e32 vcc_lo, v[3:4], v[1:2]
	s_delay_alu instid0(VALU_DEP_2) | instskip(SKIP_1) | instid1(VALU_DEP_2)
	v_cmp_eq_u32_e64 s2, 1, v6
	v_and_b32_e32 v6, 1, v7
	v_cndmask_b32_e64 v7, v7, 1, s2
	s_and_b32 vcc_lo, s2, vcc_lo
	s_delay_alu instid0(VALU_DEP_2) | instskip(SKIP_1) | instid1(VALU_DEP_2)
	v_cmp_eq_u32_e64 s2, 1, v6
	v_dual_cndmask_b32 v1, v1, v3 :: v_dual_cndmask_b32 v2, v2, v4
	v_cndmask_b32_e64 v7, v9, v7, s2
	s_delay_alu instid0(VALU_DEP_2) | instskip(NEXT) | instid1(VALU_DEP_3)
	v_cndmask_b32_e64 v1, v3, v1, s2
	v_cndmask_b32_e64 v2, v4, v2, s2
	s_delay_alu instid0(VALU_DEP_3)
	v_and_b32_e32 v6, 0xff, v7
.LBB808_109:
	s_or_b32 exec_lo, exec_lo, s4
	v_cmp_gt_u32_e32 vcc_lo, 24, v5
	;; [unrolled: 35-line block ×3, first 2 shown]
	v_add_nc_u32_e32 v10, 16, v5
	s_mov_b32 s4, exec_lo
	s_waitcnt lgkmcnt(1)
	v_cndmask_b32_e64 v3, 0, 1, vcc_lo
	s_delay_alu instid0(VALU_DEP_1) | instskip(SKIP_1) | instid1(VALU_DEP_1)
	v_lshlrev_b32_e32 v3, 4, v3
	s_waitcnt lgkmcnt(0)
	v_add_lshl_u32 v4, v3, v5, 2
	ds_bpermute_b32 v9, v4, v6
	ds_bpermute_b32 v3, v4, v1
	;; [unrolled: 1-line block ×3, first 2 shown]
	v_cmpx_lt_u32_e64 v10, v8
	s_cbranch_execz .LBB808_113
; %bb.112:
	s_waitcnt lgkmcnt(2)
	v_and_b32_e32 v6, 1, v9
	s_waitcnt lgkmcnt(0)
	v_cmp_lt_i64_e32 vcc_lo, v[3:4], v[1:2]
	s_delay_alu instid0(VALU_DEP_2) | instskip(SKIP_1) | instid1(VALU_DEP_2)
	v_cmp_eq_u32_e64 s2, 1, v6
	v_and_b32_e32 v6, 1, v7
	v_cndmask_b32_e64 v7, v7, 1, s2
	s_and_b32 vcc_lo, s2, vcc_lo
	s_delay_alu instid0(VALU_DEP_2) | instskip(SKIP_1) | instid1(VALU_DEP_2)
	v_cmp_eq_u32_e64 s2, 1, v6
	v_dual_cndmask_b32 v1, v1, v3 :: v_dual_cndmask_b32 v2, v2, v4
	v_cndmask_b32_e64 v7, v9, v7, s2
	s_delay_alu instid0(VALU_DEP_2) | instskip(NEXT) | instid1(VALU_DEP_3)
	v_cndmask_b32_e64 v1, v3, v1, s2
	v_cndmask_b32_e64 v2, v4, v2, s2
	s_delay_alu instid0(VALU_DEP_3)
	v_and_b32_e32 v6, 0xff, v7
.LBB808_113:
	s_or_b32 exec_lo, exec_lo, s4
	s_delay_alu instid0(SALU_CYCLE_1)
	s_mov_b32 s2, exec_lo
	v_cmpx_eq_u32_e32 0, v5
	s_cbranch_execz .LBB808_115
; %bb.114:
	s_waitcnt lgkmcnt(1)
	v_lshrrev_b32_e32 v3, 1, v0
	s_delay_alu instid0(VALU_DEP_1)
	v_and_b32_e32 v3, 0x70, v3
	ds_store_b8 v3, v7 offset:512
	ds_store_b64 v3, v[1:2] offset:520
.LBB808_115:
	s_or_b32 exec_lo, exec_lo, s2
	s_delay_alu instid0(SALU_CYCLE_1)
	s_mov_b32 s4, exec_lo
	s_waitcnt lgkmcnt(0)
	s_barrier
	buffer_gl0_inv
	v_cmpx_gt_u32_e32 8, v0
	s_cbranch_execz .LBB808_123
; %bb.116:
	v_lshlrev_b32_e32 v1, 4, v5
	v_and_b32_e32 v8, 7, v5
	s_add_i32 s3, s3, 31
	s_mov_b32 s5, exec_lo
	s_lshr_b32 s3, s3, 5
	ds_load_u8 v7, v1 offset:512
	ds_load_b64 v[1:2], v1 offset:520
	v_cmp_ne_u32_e32 vcc_lo, 7, v8
	v_add_nc_u32_e32 v10, 1, v8
	v_add_co_ci_u32_e32 v3, vcc_lo, 0, v5, vcc_lo
	s_delay_alu instid0(VALU_DEP_1)
	v_lshlrev_b32_e32 v4, 2, v3
	s_waitcnt lgkmcnt(1)
	v_and_b32_e32 v6, 0xff, v7
	s_waitcnt lgkmcnt(0)
	ds_bpermute_b32 v3, v4, v1
	ds_bpermute_b32 v9, v4, v6
	ds_bpermute_b32 v4, v4, v2
	v_cmpx_gt_u32_e64 s3, v10
	s_cbranch_execz .LBB808_118
; %bb.117:
	s_waitcnt lgkmcnt(1)
	v_and_b32_e32 v6, 1, v9
	s_waitcnt lgkmcnt(0)
	v_cmp_lt_i64_e32 vcc_lo, v[3:4], v[1:2]
	s_delay_alu instid0(VALU_DEP_2) | instskip(SKIP_1) | instid1(VALU_DEP_2)
	v_cmp_eq_u32_e64 s2, 1, v6
	v_and_b32_e32 v6, 1, v7
	v_cndmask_b32_e64 v7, v7, 1, s2
	s_and_b32 vcc_lo, s2, vcc_lo
	s_delay_alu instid0(VALU_DEP_2) | instskip(SKIP_1) | instid1(VALU_DEP_2)
	v_cmp_eq_u32_e64 s2, 1, v6
	v_dual_cndmask_b32 v1, v1, v3 :: v_dual_cndmask_b32 v2, v2, v4
	v_cndmask_b32_e64 v7, v9, v7, s2
	s_delay_alu instid0(VALU_DEP_2) | instskip(NEXT) | instid1(VALU_DEP_3)
	v_cndmask_b32_e64 v1, v3, v1, s2
	v_cndmask_b32_e64 v2, v4, v2, s2
	s_delay_alu instid0(VALU_DEP_3)
	v_and_b32_e32 v6, 0xff, v7
.LBB808_118:
	s_or_b32 exec_lo, exec_lo, s5
	v_cmp_gt_u32_e32 vcc_lo, 6, v8
	v_add_nc_u32_e32 v10, 2, v8
	s_mov_b32 s5, exec_lo
	s_waitcnt lgkmcnt(2)
	v_cndmask_b32_e64 v3, 0, 1, vcc_lo
	s_delay_alu instid0(VALU_DEP_1) | instskip(SKIP_1) | instid1(VALU_DEP_1)
	v_lshlrev_b32_e32 v3, 1, v3
	s_waitcnt lgkmcnt(0)
	v_add_lshl_u32 v4, v3, v5, 2
	ds_bpermute_b32 v9, v4, v6
	ds_bpermute_b32 v3, v4, v1
	;; [unrolled: 1-line block ×3, first 2 shown]
	v_cmpx_gt_u32_e64 s3, v10
	s_cbranch_execz .LBB808_120
; %bb.119:
	s_waitcnt lgkmcnt(2)
	v_and_b32_e32 v6, 1, v9
	s_waitcnt lgkmcnt(0)
	v_cmp_lt_i64_e32 vcc_lo, v[3:4], v[1:2]
	s_delay_alu instid0(VALU_DEP_2) | instskip(SKIP_1) | instid1(VALU_DEP_2)
	v_cmp_eq_u32_e64 s2, 1, v6
	v_and_b32_e32 v6, 1, v7
	v_cndmask_b32_e64 v7, v7, 1, s2
	s_and_b32 vcc_lo, s2, vcc_lo
	s_delay_alu instid0(VALU_DEP_2) | instskip(SKIP_1) | instid1(VALU_DEP_2)
	v_cmp_eq_u32_e64 s2, 1, v6
	v_dual_cndmask_b32 v1, v1, v3 :: v_dual_cndmask_b32 v2, v2, v4
	v_cndmask_b32_e64 v7, v9, v7, s2
	s_delay_alu instid0(VALU_DEP_2) | instskip(NEXT) | instid1(VALU_DEP_3)
	v_cndmask_b32_e64 v1, v3, v1, s2
	v_cndmask_b32_e64 v2, v4, v2, s2
	s_delay_alu instid0(VALU_DEP_3)
	v_and_b32_e32 v6, 0xff, v7
.LBB808_120:
	s_or_b32 exec_lo, exec_lo, s5
	v_cmp_gt_u32_e32 vcc_lo, 4, v8
	v_add_nc_u32_e32 v8, 4, v8
	s_waitcnt lgkmcnt(1)
	v_cndmask_b32_e64 v3, 0, 1, vcc_lo
	s_delay_alu instid0(VALU_DEP_2) | instskip(NEXT) | instid1(VALU_DEP_2)
	v_cmp_gt_u32_e32 vcc_lo, s3, v8
	v_lshlrev_b32_e32 v3, 2, v3
	s_waitcnt lgkmcnt(0)
	s_delay_alu instid0(VALU_DEP_1)
	v_add_lshl_u32 v4, v3, v5, 2
	ds_bpermute_b32 v5, v4, v6
	ds_bpermute_b32 v3, v4, v1
	;; [unrolled: 1-line block ×3, first 2 shown]
	s_and_saveexec_b32 s3, vcc_lo
	s_cbranch_execz .LBB808_122
; %bb.121:
	s_waitcnt lgkmcnt(2)
	v_and_b32_e32 v6, 1, v5
	s_waitcnt lgkmcnt(0)
	v_cmp_lt_i64_e32 vcc_lo, v[3:4], v[1:2]
	s_delay_alu instid0(VALU_DEP_2) | instskip(SKIP_1) | instid1(VALU_DEP_2)
	v_cmp_eq_u32_e64 s2, 1, v6
	v_and_b32_e32 v6, 1, v7
	v_cndmask_b32_e64 v7, v7, 1, s2
	s_and_b32 vcc_lo, s2, vcc_lo
	s_delay_alu instid0(VALU_DEP_2) | instskip(SKIP_1) | instid1(VALU_DEP_2)
	v_cmp_eq_u32_e64 s2, 1, v6
	v_dual_cndmask_b32 v1, v1, v3 :: v_dual_cndmask_b32 v2, v2, v4
	v_cndmask_b32_e64 v5, v5, v7, s2
	s_delay_alu instid0(VALU_DEP_2) | instskip(NEXT) | instid1(VALU_DEP_3)
	v_cndmask_b32_e64 v1, v3, v1, s2
	v_cndmask_b32_e64 v2, v4, v2, s2
	s_delay_alu instid0(VALU_DEP_3)
	v_and_b32_e32 v6, 0xff, v5
.LBB808_122:
	s_or_b32 exec_lo, exec_lo, s3
.LBB808_123:
	s_delay_alu instid0(SALU_CYCLE_1)
	s_or_b32 exec_lo, exec_lo, s4
.LBB808_124:
                                        ; implicit-def: $vgpr3_vgpr4
                                        ; implicit-def: $vgpr5
	s_delay_alu instid0(SALU_CYCLE_1)
	s_mov_b32 s2, exec_lo
	v_cmpx_eq_u32_e32 0, v0
	s_xor_b32 s4, exec_lo, s2
	s_cbranch_execz .LBB808_128
; %bb.125:
	s_waitcnt lgkmcnt(0)
	v_dual_mov_b32 v3, s20 :: v_dual_mov_b32 v4, s21
	v_mov_b32_e32 v5, s24
	s_cmp_eq_u64 s[14:15], 0
	s_cbranch_scc1 .LBB808_127
; %bb.126:
	v_and_b32_e32 v3, 1, v6
	v_cmp_gt_i64_e32 vcc_lo, s[20:21], v[1:2]
	s_bitcmp1_b32 s24, 0
	s_cselect_b32 s3, -1, 0
	s_delay_alu instid0(VALU_DEP_2) | instskip(NEXT) | instid1(VALU_DEP_1)
	v_cmp_eq_u32_e64 s2, 1, v3
	s_and_b32 vcc_lo, s2, vcc_lo
	v_cndmask_b32_e64 v3, s24, 1, s2
	v_cndmask_b32_e32 v7, s20, v1, vcc_lo
	v_cndmask_b32_e32 v4, s21, v2, vcc_lo
	s_delay_alu instid0(VALU_DEP_3) | instskip(NEXT) | instid1(VALU_DEP_3)
	v_cndmask_b32_e64 v5, v6, v3, s3
	v_cndmask_b32_e64 v3, v1, v7, s3
	s_delay_alu instid0(VALU_DEP_3)
	v_cndmask_b32_e64 v4, v2, v4, s3
.LBB808_127:
	s_or_b32 s26, s26, exec_lo
.LBB808_128:
	s_or_b32 exec_lo, exec_lo, s4
	s_branch .LBB808_200
.LBB808_129:
	s_cmp_gt_i32 s25, 1
	s_cbranch_scc0 .LBB808_147
; %bb.130:
	s_cmp_eq_u32 s25, 2
	s_cbranch_scc0 .LBB808_148
; %bb.131:
	s_mov_b32 s11, 0
	s_lshl_b32 s8, s10, 9
	s_mov_b32 s9, s11
	s_lshr_b64 s[28:29], s[14:15], 9
	s_lshl_b64 s[2:3], s[8:9], 3
	s_delay_alu instid0(SALU_CYCLE_1)
	s_add_u32 s4, s16, s2
	s_addc_u32 s5, s17, s3
	s_add_u32 s6, s18, s2
	s_addc_u32 s7, s19, s3
	;; [unrolled: 2-line block ×3, first 2 shown]
	s_cmp_lg_u64 s[28:29], s[10:11]
	s_cbranch_scc0 .LBB808_149
; %bb.132:
	v_lshlrev_b32_e32 v7, 3, v0
	v_add_co_u32 v9, s2, s9, v0
	s_delay_alu instid0(VALU_DEP_1)
	v_add_co_ci_u32_e64 v10, null, s22, 0, s2
	global_load_b64 v[1:2], v7, s[6:7] offset:2048
	s_waitcnt lgkmcnt(0)
	s_clause 0x2
	global_load_b64 v[3:4], v7, s[6:7]
	global_load_b64 v[5:6], v7, s[4:5] offset:2048
	global_load_b64 v[7:8], v7, s[4:5]
	v_add_co_u32 v11, vcc_lo, 0x100, v9
	v_add_co_ci_u32_e32 v12, vcc_lo, 0, v10, vcc_lo
	s_mov_b32 s23, exec_lo
	s_waitcnt vmcnt(1)
	v_cmp_ne_u64_e32 vcc_lo, v[5:6], v[1:2]
	s_waitcnt vmcnt(0)
	v_cmp_ne_u64_e64 s2, v[7:8], v[3:4]
	s_delay_alu instid0(VALU_DEP_1) | instskip(SKIP_3) | instid1(VALU_DEP_3)
	s_or_b32 s3, s2, vcc_lo
	v_cndmask_b32_e64 v2, v12, v10, s2
	v_cndmask_b32_e64 v5, 0, 1, s3
	;; [unrolled: 1-line block ×3, first 2 shown]
	v_mov_b32_dpp v4, v2 quad_perm:[1,0,3,2] row_mask:0xf bank_mask:0xf
	s_delay_alu instid0(VALU_DEP_3) | instskip(NEXT) | instid1(VALU_DEP_3)
	v_mov_b32_dpp v6, v5 quad_perm:[1,0,3,2] row_mask:0xf bank_mask:0xf
	v_mov_b32_dpp v3, v1 quad_perm:[1,0,3,2] row_mask:0xf bank_mask:0xf
	s_delay_alu instid0(VALU_DEP_2) | instskip(NEXT) | instid1(VALU_DEP_1)
	v_and_b32_e32 v7, 1, v6
	v_cmpx_eq_u32_e32 1, v7
; %bb.133:
	v_cndmask_b32_e64 v5, v6, 1, s3
	s_delay_alu instid0(VALU_DEP_4) | instskip(NEXT) | instid1(VALU_DEP_2)
	v_cmp_lt_i64_e32 vcc_lo, v[1:2], v[3:4]
	v_and_b32_e32 v6, 1, v5
	v_and_b32_e32 v5, 0xff, v5
	s_and_b32 vcc_lo, s3, vcc_lo
	s_and_not1_b32 s3, s3, exec_lo
	v_dual_cndmask_b32 v2, v4, v2 :: v_dual_cndmask_b32 v1, v3, v1
	v_cmp_eq_u32_e64 s2, 1, v6
	s_delay_alu instid0(VALU_DEP_1) | instskip(NEXT) | instid1(SALU_CYCLE_1)
	s_and_b32 s2, s2, exec_lo
	s_or_b32 s3, s3, s2
; %bb.134:
	s_or_b32 exec_lo, exec_lo, s23
	v_mov_b32_dpp v6, v5 quad_perm:[2,3,0,1] row_mask:0xf bank_mask:0xf
	v_mov_b32_dpp v3, v1 quad_perm:[2,3,0,1] row_mask:0xf bank_mask:0xf
	;; [unrolled: 1-line block ×3, first 2 shown]
	s_mov_b32 s23, exec_lo
	s_delay_alu instid0(VALU_DEP_3) | instskip(NEXT) | instid1(VALU_DEP_1)
	v_and_b32_e32 v7, 1, v6
	v_cmpx_eq_u32_e32 1, v7
; %bb.135:
	v_cndmask_b32_e64 v5, v6, 1, s3
	v_cmp_lt_i64_e32 vcc_lo, v[1:2], v[3:4]
	s_delay_alu instid0(VALU_DEP_2)
	v_and_b32_e32 v6, 1, v5
	v_and_b32_e32 v5, 0xff, v5
	s_and_b32 vcc_lo, s3, vcc_lo
	s_and_not1_b32 s3, s3, exec_lo
	v_dual_cndmask_b32 v2, v4, v2 :: v_dual_cndmask_b32 v1, v3, v1
	v_cmp_eq_u32_e64 s2, 1, v6
	s_delay_alu instid0(VALU_DEP_1) | instskip(NEXT) | instid1(SALU_CYCLE_1)
	s_and_b32 s2, s2, exec_lo
	s_or_b32 s3, s3, s2
; %bb.136:
	s_or_b32 exec_lo, exec_lo, s23
	v_mov_b32_dpp v6, v5 row_ror:4 row_mask:0xf bank_mask:0xf
	v_mov_b32_dpp v3, v1 row_ror:4 row_mask:0xf bank_mask:0xf
	;; [unrolled: 1-line block ×3, first 2 shown]
	s_mov_b32 s23, exec_lo
	s_delay_alu instid0(VALU_DEP_3) | instskip(NEXT) | instid1(VALU_DEP_1)
	v_and_b32_e32 v7, 1, v6
	v_cmpx_eq_u32_e32 1, v7
; %bb.137:
	v_cndmask_b32_e64 v5, v6, 1, s3
	v_cmp_lt_i64_e32 vcc_lo, v[1:2], v[3:4]
	s_delay_alu instid0(VALU_DEP_2)
	v_and_b32_e32 v6, 1, v5
	v_and_b32_e32 v5, 0xff, v5
	s_and_b32 vcc_lo, s3, vcc_lo
	s_and_not1_b32 s3, s3, exec_lo
	v_dual_cndmask_b32 v2, v4, v2 :: v_dual_cndmask_b32 v1, v3, v1
	v_cmp_eq_u32_e64 s2, 1, v6
	s_delay_alu instid0(VALU_DEP_1) | instskip(NEXT) | instid1(SALU_CYCLE_1)
	s_and_b32 s2, s2, exec_lo
	s_or_b32 s3, s3, s2
; %bb.138:
	s_or_b32 exec_lo, exec_lo, s23
	v_mov_b32_dpp v6, v5 row_ror:8 row_mask:0xf bank_mask:0xf
	v_mov_b32_dpp v3, v1 row_ror:8 row_mask:0xf bank_mask:0xf
	;; [unrolled: 1-line block ×3, first 2 shown]
	s_mov_b32 s23, exec_lo
	s_delay_alu instid0(VALU_DEP_3) | instskip(NEXT) | instid1(VALU_DEP_1)
	v_and_b32_e32 v7, 1, v6
	v_cmpx_eq_u32_e32 1, v7
; %bb.139:
	v_cndmask_b32_e64 v5, v6, 1, s3
	v_cmp_lt_i64_e32 vcc_lo, v[1:2], v[3:4]
	s_delay_alu instid0(VALU_DEP_2)
	v_and_b32_e32 v6, 1, v5
	v_and_b32_e32 v5, 0xff, v5
	s_and_b32 vcc_lo, s3, vcc_lo
	s_and_not1_b32 s3, s3, exec_lo
	v_dual_cndmask_b32 v2, v4, v2 :: v_dual_cndmask_b32 v1, v3, v1
	v_cmp_eq_u32_e64 s2, 1, v6
	s_delay_alu instid0(VALU_DEP_1) | instskip(NEXT) | instid1(SALU_CYCLE_1)
	s_and_b32 s2, s2, exec_lo
	s_or_b32 s3, s3, s2
; %bb.140:
	s_or_b32 exec_lo, exec_lo, s23
	ds_swizzle_b32 v6, v5 offset:swizzle(BROADCAST,32,15)
	ds_swizzle_b32 v3, v1 offset:swizzle(BROADCAST,32,15)
	;; [unrolled: 1-line block ×3, first 2 shown]
	s_mov_b32 s2, exec_lo
	s_waitcnt lgkmcnt(2)
	v_and_b32_e32 v7, 1, v6
	s_delay_alu instid0(VALU_DEP_1)
	v_cmpx_eq_u32_e32 1, v7
	s_cbranch_execz .LBB808_142
; %bb.141:
	s_waitcnt lgkmcnt(0)
	v_cmp_lt_i64_e32 vcc_lo, v[1:2], v[3:4]
	v_and_b32_e32 v5, 0xff, v6
	s_delay_alu instid0(VALU_DEP_1)
	v_cndmask_b32_e64 v5, v5, 1, s3
	s_and_b32 vcc_lo, s3, vcc_lo
	v_dual_cndmask_b32 v1, v3, v1 :: v_dual_cndmask_b32 v2, v4, v2
.LBB808_142:
	s_or_b32 exec_lo, exec_lo, s2
	s_waitcnt lgkmcnt(1)
	v_mov_b32_e32 v3, 0
	s_mov_b32 s2, exec_lo
	ds_bpermute_b32 v6, v3, v5 offset:124
	ds_bpermute_b32 v1, v3, v1 offset:124
	;; [unrolled: 1-line block ×3, first 2 shown]
	v_mbcnt_lo_u32_b32 v3, -1, 0
	s_delay_alu instid0(VALU_DEP_1)
	v_cmpx_eq_u32_e32 0, v3
	s_cbranch_execz .LBB808_144
; %bb.143:
	s_waitcnt lgkmcnt(3)
	v_lshrrev_b32_e32 v4, 1, v0
	s_delay_alu instid0(VALU_DEP_1)
	v_and_b32_e32 v4, 0x70, v4
	s_waitcnt lgkmcnt(2)
	ds_store_b8 v4, v6 offset:128
	s_waitcnt lgkmcnt(1)
	ds_store_b64 v4, v[1:2] offset:136
.LBB808_144:
	s_or_b32 exec_lo, exec_lo, s2
	s_delay_alu instid0(SALU_CYCLE_1)
	s_mov_b32 s23, exec_lo
	s_waitcnt lgkmcnt(0)
	s_barrier
	buffer_gl0_inv
	v_cmpx_gt_u32_e32 32, v0
	s_cbranch_execz .LBB808_146
; %bb.145:
	v_and_b32_e32 v6, 7, v3
	s_delay_alu instid0(VALU_DEP_1)
	v_lshlrev_b32_e32 v1, 4, v6
	v_cmp_ne_u32_e32 vcc_lo, 7, v6
	ds_load_u8 v7, v1 offset:128
	ds_load_b64 v[1:2], v1 offset:136
	v_add_co_ci_u32_e32 v4, vcc_lo, 0, v3, vcc_lo
	v_cmp_gt_u32_e32 vcc_lo, 6, v6
	s_delay_alu instid0(VALU_DEP_2)
	v_lshlrev_b32_e32 v5, 2, v4
	v_cndmask_b32_e64 v10, 0, 1, vcc_lo
	s_waitcnt lgkmcnt(1)
	v_and_b32_e32 v4, 0xff, v7
	v_and_b32_e32 v11, 1, v7
	ds_bpermute_b32 v8, v5, v4
	s_waitcnt lgkmcnt(1)
	ds_bpermute_b32 v4, v5, v1
	ds_bpermute_b32 v5, v5, v2
	v_cmp_eq_u32_e64 s3, 1, v11
	s_waitcnt lgkmcnt(2)
	v_and_b32_e32 v9, 1, v8
	s_waitcnt lgkmcnt(0)
	v_cmp_lt_i64_e64 s2, v[4:5], v[1:2]
	s_delay_alu instid0(VALU_DEP_2) | instskip(SKIP_2) | instid1(VALU_DEP_4)
	v_cmp_eq_u32_e32 vcc_lo, 1, v9
	v_lshlrev_b32_e32 v9, 1, v10
	v_cndmask_b32_e64 v7, v7, 1, vcc_lo
	s_and_b32 vcc_lo, vcc_lo, s2
	v_dual_cndmask_b32 v1, v1, v4 :: v_dual_cndmask_b32 v2, v2, v5
	s_delay_alu instid0(VALU_DEP_2) | instskip(SKIP_2) | instid1(VALU_DEP_4)
	v_cndmask_b32_e64 v7, v8, v7, s3
	v_add_lshl_u32 v8, v9, v3, 2
	v_cmp_gt_u32_e32 vcc_lo, 4, v6
	v_cndmask_b32_e64 v1, v4, v1, s3
	v_cndmask_b32_e64 v2, v5, v2, s3
	v_and_b32_e32 v9, 0xff, v7
	v_and_b32_e32 v10, 1, v7
	v_cndmask_b32_e64 v6, 0, 1, vcc_lo
	ds_bpermute_b32 v4, v8, v1
	ds_bpermute_b32 v5, v8, v2
	;; [unrolled: 1-line block ×3, first 2 shown]
	v_cmp_eq_u32_e64 s3, 1, v10
	s_waitcnt lgkmcnt(1)
	v_cmp_lt_i64_e64 s2, v[4:5], v[1:2]
	s_waitcnt lgkmcnt(0)
	v_and_b32_e32 v8, 1, v9
	s_delay_alu instid0(VALU_DEP_1) | instskip(SKIP_1) | instid1(VALU_DEP_4)
	v_cmp_eq_u32_e32 vcc_lo, 1, v8
	v_cndmask_b32_e64 v7, v7, 1, vcc_lo
	s_and_b32 vcc_lo, vcc_lo, s2
	v_dual_cndmask_b32 v1, v1, v4 :: v_dual_cndmask_b32 v2, v2, v5
	s_delay_alu instid0(VALU_DEP_2) | instskip(NEXT) | instid1(VALU_DEP_2)
	v_cndmask_b32_e64 v7, v9, v7, s3
	v_cndmask_b32_e64 v1, v4, v1, s3
	v_lshlrev_b32_e32 v6, 2, v6
	s_delay_alu instid0(VALU_DEP_4) | instskip(NEXT) | instid1(VALU_DEP_2)
	v_cndmask_b32_e64 v2, v5, v2, s3
	v_add_lshl_u32 v6, v6, v3, 2
	v_and_b32_e32 v3, 0xff, v7
	ds_bpermute_b32 v4, v6, v2
	ds_bpermute_b32 v5, v6, v3
	;; [unrolled: 1-line block ×3, first 2 shown]
	s_waitcnt lgkmcnt(1)
	v_and_b32_e32 v6, 1, v5
	s_waitcnt lgkmcnt(0)
	v_cmp_lt_i64_e32 vcc_lo, v[3:4], v[1:2]
	s_delay_alu instid0(VALU_DEP_2) | instskip(SKIP_1) | instid1(VALU_DEP_2)
	v_cmp_eq_u32_e64 s2, 1, v6
	v_and_b32_e32 v6, 1, v7
	v_cndmask_b32_e64 v7, v7, 1, s2
	s_and_b32 vcc_lo, s2, vcc_lo
	s_delay_alu instid0(VALU_DEP_2) | instskip(SKIP_1) | instid1(VALU_DEP_2)
	v_cmp_eq_u32_e64 s2, 1, v6
	v_dual_cndmask_b32 v1, v1, v3 :: v_dual_cndmask_b32 v2, v2, v4
	v_cndmask_b32_e64 v5, v5, v7, s2
	s_delay_alu instid0(VALU_DEP_2) | instskip(NEXT) | instid1(VALU_DEP_3)
	v_cndmask_b32_e64 v1, v3, v1, s2
	v_cndmask_b32_e64 v2, v4, v2, s2
	s_delay_alu instid0(VALU_DEP_3)
	v_and_b32_e32 v6, 0xff, v5
.LBB808_146:
	s_or_b32 exec_lo, exec_lo, s23
	s_branch .LBB808_177
.LBB808_147:
                                        ; implicit-def: $vgpr3_vgpr4
                                        ; implicit-def: $vgpr5
	s_cbranch_execnz .LBB808_182
	s_branch .LBB808_200
.LBB808_148:
                                        ; implicit-def: $vgpr3_vgpr4
                                        ; implicit-def: $vgpr5
	s_branch .LBB808_200
.LBB808_149:
                                        ; implicit-def: $vgpr1_vgpr2
                                        ; implicit-def: $vgpr6
	s_cbranch_execz .LBB808_177
; %bb.150:
	s_waitcnt lgkmcnt(0)
	v_mov_b32_e32 v3, 0
	v_dual_mov_b32 v4, 0 :: v_dual_mov_b32 v5, 0
	s_delay_alu instid0(VALU_DEP_2) | instskip(SKIP_2) | instid1(VALU_DEP_3)
	v_mov_b32_e32 v1, v3
	v_mov_b32_e32 v7, 0
	s_sub_i32 s3, s14, s8
	v_mov_b32_e32 v2, v4
	s_mov_b32 s2, exec_lo
	v_cmpx_gt_u32_e64 s3, v0
	s_cbranch_execz .LBB808_152
; %bb.151:
	v_lshlrev_b32_e32 v1, 3, v0
	s_clause 0x1
	global_load_b64 v[6:7], v1, s[4:5]
	global_load_b64 v[8:9], v1, s[6:7]
	v_add_co_u32 v1, s8, s9, v0
	s_delay_alu instid0(VALU_DEP_1)
	v_add_co_ci_u32_e64 v2, null, s22, 0, s8
	s_waitcnt vmcnt(0)
	v_cmp_ne_u64_e32 vcc_lo, v[6:7], v[8:9]
	v_cndmask_b32_e64 v7, 0, 1, vcc_lo
.LBB808_152:
	s_or_b32 exec_lo, exec_lo, s2
	v_or_b32_e32 v6, 0x100, v0
	s_delay_alu instid0(VALU_DEP_1)
	v_cmp_gt_u32_e32 vcc_lo, s3, v6
	s_and_saveexec_b32 s8, vcc_lo
	s_cbranch_execz .LBB808_154
; %bb.153:
	v_lshlrev_b32_e32 v3, 3, v0
	s_clause 0x1
	global_load_b64 v[8:9], v3, s[4:5] offset:2048
	global_load_b64 v[10:11], v3, s[6:7] offset:2048
	v_add_co_u32 v3, s2, s9, v6
	s_delay_alu instid0(VALU_DEP_1) | instskip(SKIP_2) | instid1(VALU_DEP_1)
	v_add_co_ci_u32_e64 v4, null, s22, 0, s2
	s_waitcnt vmcnt(0)
	v_cmp_ne_u64_e64 s2, v[8:9], v[10:11]
	v_cndmask_b32_e64 v5, 0, 1, s2
.LBB808_154:
	s_or_b32 exec_lo, exec_lo, s8
	s_and_saveexec_b32 s4, vcc_lo
; %bb.155:
	s_delay_alu instid0(VALU_DEP_1) | instskip(SKIP_1) | instid1(VALU_DEP_2)
	v_and_b32_e32 v6, 1, v5
	v_cmp_lt_i64_e32 vcc_lo, v[3:4], v[1:2]
	v_cmp_eq_u32_e64 s2, 1, v6
	s_delay_alu instid0(VALU_DEP_1) | instskip(SKIP_4) | instid1(VALU_DEP_3)
	s_and_b32 vcc_lo, s2, vcc_lo
	v_cndmask_b32_e32 v1, v1, v3, vcc_lo
	v_and_b32_e32 v6, 1, v7
	v_cndmask_b32_e64 v7, v7, 1, s2
	v_cndmask_b32_e32 v2, v2, v4, vcc_lo
	v_cmp_eq_u32_e32 vcc_lo, 1, v6
	s_delay_alu instid0(VALU_DEP_2)
	v_dual_cndmask_b32 v7, v5, v7 :: v_dual_cndmask_b32 v2, v4, v2
	v_cndmask_b32_e32 v1, v3, v1, vcc_lo
; %bb.156:
	s_or_b32 exec_lo, exec_lo, s4
	v_mbcnt_lo_u32_b32 v5, -1, 0
	s_delay_alu instid0(VALU_DEP_3)
	v_and_b32_e32 v6, 0xffff, v7
	v_and_b32_e32 v8, 0xe0, v0
	s_min_u32 s3, s3, 0x100
	s_mov_b32 s4, exec_lo
	v_cmp_ne_u32_e32 vcc_lo, 31, v5
	v_add_nc_u32_e32 v10, 1, v5
	v_sub_nc_u32_e64 v8, s3, v8 clamp
	v_add_co_ci_u32_e32 v3, vcc_lo, 0, v5, vcc_lo
	s_delay_alu instid0(VALU_DEP_1)
	v_lshlrev_b32_e32 v4, 2, v3
	ds_bpermute_b32 v9, v4, v6
	ds_bpermute_b32 v3, v4, v1
	ds_bpermute_b32 v4, v4, v2
	v_cmpx_lt_u32_e64 v10, v8
	s_cbranch_execz .LBB808_158
; %bb.157:
	s_waitcnt lgkmcnt(2)
	v_and_b32_e32 v6, 1, v9
	s_waitcnt lgkmcnt(0)
	v_cmp_lt_i64_e32 vcc_lo, v[3:4], v[1:2]
	s_delay_alu instid0(VALU_DEP_2) | instskip(SKIP_1) | instid1(VALU_DEP_2)
	v_cmp_eq_u32_e64 s2, 1, v6
	v_and_b32_e32 v6, 1, v7
	v_cndmask_b32_e64 v7, v7, 1, s2
	s_and_b32 vcc_lo, s2, vcc_lo
	s_delay_alu instid0(VALU_DEP_2) | instskip(SKIP_1) | instid1(VALU_DEP_2)
	v_cmp_eq_u32_e64 s2, 1, v6
	v_dual_cndmask_b32 v1, v1, v3 :: v_dual_cndmask_b32 v2, v2, v4
	v_cndmask_b32_e64 v7, v9, v7, s2
	s_delay_alu instid0(VALU_DEP_2) | instskip(NEXT) | instid1(VALU_DEP_3)
	v_cndmask_b32_e64 v1, v3, v1, s2
	v_cndmask_b32_e64 v2, v4, v2, s2
	s_delay_alu instid0(VALU_DEP_3)
	v_and_b32_e32 v6, 0xff, v7
.LBB808_158:
	s_or_b32 exec_lo, exec_lo, s4
	v_cmp_gt_u32_e32 vcc_lo, 30, v5
	v_add_nc_u32_e32 v10, 2, v5
	s_mov_b32 s4, exec_lo
	s_waitcnt lgkmcnt(1)
	v_cndmask_b32_e64 v3, 0, 1, vcc_lo
	s_delay_alu instid0(VALU_DEP_1) | instskip(SKIP_1) | instid1(VALU_DEP_1)
	v_lshlrev_b32_e32 v3, 1, v3
	s_waitcnt lgkmcnt(0)
	v_add_lshl_u32 v4, v3, v5, 2
	ds_bpermute_b32 v9, v4, v6
	ds_bpermute_b32 v3, v4, v1
	ds_bpermute_b32 v4, v4, v2
	v_cmpx_lt_u32_e64 v10, v8
	s_cbranch_execz .LBB808_160
; %bb.159:
	s_waitcnt lgkmcnt(2)
	v_and_b32_e32 v6, 1, v9
	s_waitcnt lgkmcnt(0)
	v_cmp_lt_i64_e32 vcc_lo, v[3:4], v[1:2]
	s_delay_alu instid0(VALU_DEP_2) | instskip(SKIP_1) | instid1(VALU_DEP_2)
	v_cmp_eq_u32_e64 s2, 1, v6
	v_and_b32_e32 v6, 1, v7
	v_cndmask_b32_e64 v7, v7, 1, s2
	s_and_b32 vcc_lo, s2, vcc_lo
	s_delay_alu instid0(VALU_DEP_2) | instskip(SKIP_1) | instid1(VALU_DEP_2)
	v_cmp_eq_u32_e64 s2, 1, v6
	v_dual_cndmask_b32 v1, v1, v3 :: v_dual_cndmask_b32 v2, v2, v4
	v_cndmask_b32_e64 v7, v9, v7, s2
	s_delay_alu instid0(VALU_DEP_2) | instskip(NEXT) | instid1(VALU_DEP_3)
	v_cndmask_b32_e64 v1, v3, v1, s2
	v_cndmask_b32_e64 v2, v4, v2, s2
	s_delay_alu instid0(VALU_DEP_3)
	v_and_b32_e32 v6, 0xff, v7
.LBB808_160:
	s_or_b32 exec_lo, exec_lo, s4
	v_cmp_gt_u32_e32 vcc_lo, 28, v5
	v_add_nc_u32_e32 v10, 4, v5
	s_mov_b32 s4, exec_lo
	s_waitcnt lgkmcnt(1)
	v_cndmask_b32_e64 v3, 0, 1, vcc_lo
	s_delay_alu instid0(VALU_DEP_1) | instskip(SKIP_1) | instid1(VALU_DEP_1)
	v_lshlrev_b32_e32 v3, 2, v3
	s_waitcnt lgkmcnt(0)
	v_add_lshl_u32 v4, v3, v5, 2
	;; [unrolled: 35-line block ×4, first 2 shown]
	ds_bpermute_b32 v9, v4, v6
	ds_bpermute_b32 v3, v4, v1
	;; [unrolled: 1-line block ×3, first 2 shown]
	v_cmpx_lt_u32_e64 v10, v8
	s_cbranch_execz .LBB808_166
; %bb.165:
	s_waitcnt lgkmcnt(2)
	v_and_b32_e32 v6, 1, v9
	s_waitcnt lgkmcnt(0)
	v_cmp_lt_i64_e32 vcc_lo, v[3:4], v[1:2]
	s_delay_alu instid0(VALU_DEP_2) | instskip(SKIP_1) | instid1(VALU_DEP_2)
	v_cmp_eq_u32_e64 s2, 1, v6
	v_and_b32_e32 v6, 1, v7
	v_cndmask_b32_e64 v7, v7, 1, s2
	s_and_b32 vcc_lo, s2, vcc_lo
	s_delay_alu instid0(VALU_DEP_2) | instskip(SKIP_1) | instid1(VALU_DEP_2)
	v_cmp_eq_u32_e64 s2, 1, v6
	v_dual_cndmask_b32 v1, v1, v3 :: v_dual_cndmask_b32 v2, v2, v4
	v_cndmask_b32_e64 v7, v9, v7, s2
	s_delay_alu instid0(VALU_DEP_2) | instskip(NEXT) | instid1(VALU_DEP_3)
	v_cndmask_b32_e64 v1, v3, v1, s2
	v_cndmask_b32_e64 v2, v4, v2, s2
	s_delay_alu instid0(VALU_DEP_3)
	v_and_b32_e32 v6, 0xff, v7
.LBB808_166:
	s_or_b32 exec_lo, exec_lo, s4
	s_delay_alu instid0(SALU_CYCLE_1)
	s_mov_b32 s2, exec_lo
	v_cmpx_eq_u32_e32 0, v5
	s_cbranch_execz .LBB808_168
; %bb.167:
	s_waitcnt lgkmcnt(1)
	v_lshrrev_b32_e32 v3, 1, v0
	s_delay_alu instid0(VALU_DEP_1)
	v_and_b32_e32 v3, 0x70, v3
	ds_store_b8 v3, v7 offset:512
	ds_store_b64 v3, v[1:2] offset:520
.LBB808_168:
	s_or_b32 exec_lo, exec_lo, s2
	s_delay_alu instid0(SALU_CYCLE_1)
	s_mov_b32 s4, exec_lo
	s_waitcnt lgkmcnt(0)
	s_barrier
	buffer_gl0_inv
	v_cmpx_gt_u32_e32 8, v0
	s_cbranch_execz .LBB808_176
; %bb.169:
	v_lshlrev_b32_e32 v1, 4, v5
	v_and_b32_e32 v8, 7, v5
	s_add_i32 s3, s3, 31
	s_mov_b32 s5, exec_lo
	s_lshr_b32 s3, s3, 5
	ds_load_u8 v7, v1 offset:512
	ds_load_b64 v[1:2], v1 offset:520
	v_cmp_ne_u32_e32 vcc_lo, 7, v8
	v_add_nc_u32_e32 v10, 1, v8
	v_add_co_ci_u32_e32 v3, vcc_lo, 0, v5, vcc_lo
	s_delay_alu instid0(VALU_DEP_1)
	v_lshlrev_b32_e32 v4, 2, v3
	s_waitcnt lgkmcnt(1)
	v_and_b32_e32 v6, 0xff, v7
	s_waitcnt lgkmcnt(0)
	ds_bpermute_b32 v3, v4, v1
	ds_bpermute_b32 v9, v4, v6
	;; [unrolled: 1-line block ×3, first 2 shown]
	v_cmpx_gt_u32_e64 s3, v10
	s_cbranch_execz .LBB808_171
; %bb.170:
	s_waitcnt lgkmcnt(1)
	v_and_b32_e32 v6, 1, v9
	s_waitcnt lgkmcnt(0)
	v_cmp_lt_i64_e32 vcc_lo, v[3:4], v[1:2]
	s_delay_alu instid0(VALU_DEP_2) | instskip(SKIP_1) | instid1(VALU_DEP_2)
	v_cmp_eq_u32_e64 s2, 1, v6
	v_and_b32_e32 v6, 1, v7
	v_cndmask_b32_e64 v7, v7, 1, s2
	s_and_b32 vcc_lo, s2, vcc_lo
	s_delay_alu instid0(VALU_DEP_2) | instskip(SKIP_1) | instid1(VALU_DEP_2)
	v_cmp_eq_u32_e64 s2, 1, v6
	v_dual_cndmask_b32 v1, v1, v3 :: v_dual_cndmask_b32 v2, v2, v4
	v_cndmask_b32_e64 v7, v9, v7, s2
	s_delay_alu instid0(VALU_DEP_2) | instskip(NEXT) | instid1(VALU_DEP_3)
	v_cndmask_b32_e64 v1, v3, v1, s2
	v_cndmask_b32_e64 v2, v4, v2, s2
	s_delay_alu instid0(VALU_DEP_3)
	v_and_b32_e32 v6, 0xff, v7
.LBB808_171:
	s_or_b32 exec_lo, exec_lo, s5
	v_cmp_gt_u32_e32 vcc_lo, 6, v8
	v_add_nc_u32_e32 v10, 2, v8
	s_mov_b32 s5, exec_lo
	s_waitcnt lgkmcnt(2)
	v_cndmask_b32_e64 v3, 0, 1, vcc_lo
	s_delay_alu instid0(VALU_DEP_1) | instskip(SKIP_1) | instid1(VALU_DEP_1)
	v_lshlrev_b32_e32 v3, 1, v3
	s_waitcnt lgkmcnt(0)
	v_add_lshl_u32 v4, v3, v5, 2
	ds_bpermute_b32 v9, v4, v6
	ds_bpermute_b32 v3, v4, v1
	;; [unrolled: 1-line block ×3, first 2 shown]
	v_cmpx_gt_u32_e64 s3, v10
	s_cbranch_execz .LBB808_173
; %bb.172:
	s_waitcnt lgkmcnt(2)
	v_and_b32_e32 v6, 1, v9
	s_waitcnt lgkmcnt(0)
	v_cmp_lt_i64_e32 vcc_lo, v[3:4], v[1:2]
	s_delay_alu instid0(VALU_DEP_2) | instskip(SKIP_1) | instid1(VALU_DEP_2)
	v_cmp_eq_u32_e64 s2, 1, v6
	v_and_b32_e32 v6, 1, v7
	v_cndmask_b32_e64 v7, v7, 1, s2
	s_and_b32 vcc_lo, s2, vcc_lo
	s_delay_alu instid0(VALU_DEP_2) | instskip(SKIP_1) | instid1(VALU_DEP_2)
	v_cmp_eq_u32_e64 s2, 1, v6
	v_dual_cndmask_b32 v1, v1, v3 :: v_dual_cndmask_b32 v2, v2, v4
	v_cndmask_b32_e64 v7, v9, v7, s2
	s_delay_alu instid0(VALU_DEP_2) | instskip(NEXT) | instid1(VALU_DEP_3)
	v_cndmask_b32_e64 v1, v3, v1, s2
	v_cndmask_b32_e64 v2, v4, v2, s2
	s_delay_alu instid0(VALU_DEP_3)
	v_and_b32_e32 v6, 0xff, v7
.LBB808_173:
	s_or_b32 exec_lo, exec_lo, s5
	v_cmp_gt_u32_e32 vcc_lo, 4, v8
	v_add_nc_u32_e32 v8, 4, v8
	s_waitcnt lgkmcnt(1)
	v_cndmask_b32_e64 v3, 0, 1, vcc_lo
	s_delay_alu instid0(VALU_DEP_2) | instskip(NEXT) | instid1(VALU_DEP_2)
	v_cmp_gt_u32_e32 vcc_lo, s3, v8
	v_lshlrev_b32_e32 v3, 2, v3
	s_waitcnt lgkmcnt(0)
	s_delay_alu instid0(VALU_DEP_1)
	v_add_lshl_u32 v4, v3, v5, 2
	ds_bpermute_b32 v5, v4, v6
	ds_bpermute_b32 v3, v4, v1
	;; [unrolled: 1-line block ×3, first 2 shown]
	s_and_saveexec_b32 s3, vcc_lo
	s_cbranch_execz .LBB808_175
; %bb.174:
	s_waitcnt lgkmcnt(2)
	v_and_b32_e32 v6, 1, v5
	s_waitcnt lgkmcnt(0)
	v_cmp_lt_i64_e32 vcc_lo, v[3:4], v[1:2]
	s_delay_alu instid0(VALU_DEP_2) | instskip(SKIP_1) | instid1(VALU_DEP_2)
	v_cmp_eq_u32_e64 s2, 1, v6
	v_and_b32_e32 v6, 1, v7
	v_cndmask_b32_e64 v7, v7, 1, s2
	s_and_b32 vcc_lo, s2, vcc_lo
	s_delay_alu instid0(VALU_DEP_2) | instskip(SKIP_1) | instid1(VALU_DEP_2)
	v_cmp_eq_u32_e64 s2, 1, v6
	v_dual_cndmask_b32 v1, v1, v3 :: v_dual_cndmask_b32 v2, v2, v4
	v_cndmask_b32_e64 v5, v5, v7, s2
	s_delay_alu instid0(VALU_DEP_2) | instskip(NEXT) | instid1(VALU_DEP_3)
	v_cndmask_b32_e64 v1, v3, v1, s2
	v_cndmask_b32_e64 v2, v4, v2, s2
	s_delay_alu instid0(VALU_DEP_3)
	v_and_b32_e32 v6, 0xff, v5
.LBB808_175:
	s_or_b32 exec_lo, exec_lo, s3
.LBB808_176:
	s_delay_alu instid0(SALU_CYCLE_1)
	s_or_b32 exec_lo, exec_lo, s4
.LBB808_177:
                                        ; implicit-def: $vgpr3_vgpr4
                                        ; implicit-def: $vgpr5
	s_delay_alu instid0(SALU_CYCLE_1)
	s_mov_b32 s2, exec_lo
	v_cmpx_eq_u32_e32 0, v0
	s_xor_b32 s4, exec_lo, s2
	s_cbranch_execz .LBB808_181
; %bb.178:
	s_waitcnt lgkmcnt(0)
	v_dual_mov_b32 v3, s20 :: v_dual_mov_b32 v4, s21
	v_mov_b32_e32 v5, s24
	s_cmp_eq_u64 s[14:15], 0
	s_cbranch_scc1 .LBB808_180
; %bb.179:
	v_and_b32_e32 v3, 1, v6
	v_cmp_gt_i64_e32 vcc_lo, s[20:21], v[1:2]
	s_bitcmp1_b32 s24, 0
	s_cselect_b32 s3, -1, 0
	s_delay_alu instid0(VALU_DEP_2) | instskip(NEXT) | instid1(VALU_DEP_1)
	v_cmp_eq_u32_e64 s2, 1, v3
	s_and_b32 vcc_lo, s2, vcc_lo
	v_cndmask_b32_e64 v3, s24, 1, s2
	v_cndmask_b32_e32 v7, s20, v1, vcc_lo
	v_cndmask_b32_e32 v4, s21, v2, vcc_lo
	s_delay_alu instid0(VALU_DEP_3) | instskip(NEXT) | instid1(VALU_DEP_3)
	v_cndmask_b32_e64 v5, v6, v3, s3
	v_cndmask_b32_e64 v3, v1, v7, s3
	s_delay_alu instid0(VALU_DEP_3)
	v_cndmask_b32_e64 v4, v2, v4, s3
.LBB808_180:
	s_or_b32 s26, s26, exec_lo
.LBB808_181:
	s_or_b32 exec_lo, exec_lo, s4
	s_branch .LBB808_200
.LBB808_182:
	s_cmp_eq_u32 s25, 1
	s_cbranch_scc0 .LBB808_199
; %bb.183:
	s_mov_b32 s5, 0
	s_lshr_b64 s[2:3], s[14:15], 8
	s_mov_b32 s11, s5
	s_lshl_b32 s4, s10, 8
	s_cmp_lg_u64 s[2:3], s[10:11]
	s_cbranch_scc0 .LBB808_203
; %bb.184:
	s_lshl_b64 s[2:3], s[4:5], 3
	s_waitcnt lgkmcnt(1)
	v_lshlrev_b32_e32 v3, 3, v0
	s_add_u32 s6, s16, s2
	s_addc_u32 s7, s17, s3
	s_add_u32 s2, s18, s2
	s_addc_u32 s3, s19, s3
	global_load_b64 v[1:2], v3, s[6:7]
	s_waitcnt lgkmcnt(0)
	global_load_b64 v[3:4], v3, s[2:3]
	s_add_u32 s2, s12, s4
	s_addc_u32 s3, s13, 0
	s_waitcnt vmcnt(0)
	v_cmp_ne_u64_e32 vcc_lo, v[1:2], v[3:4]
	v_cndmask_b32_e64 v1, 0, 1, vcc_lo
	v_cndmask_b32_e64 v6, 0, 1, vcc_lo
	s_delay_alu instid0(VALU_DEP_2) | instskip(SKIP_1) | instid1(VALU_DEP_1)
	v_mov_b32_dpp v5, v1 quad_perm:[1,0,3,2] row_mask:0xf bank_mask:0xf
	v_add_co_u32 v1, s2, s2, v0
	v_add_co_ci_u32_e64 v2, null, s3, 0, s2
	s_delay_alu instid0(VALU_DEP_3) | instskip(NEXT) | instid1(VALU_DEP_3)
	v_and_b32_e32 v7, 1, v5
	v_mov_b32_dpp v3, v1 quad_perm:[1,0,3,2] row_mask:0xf bank_mask:0xf
	s_mov_b32 s3, exec_lo
	s_delay_alu instid0(VALU_DEP_3) | instskip(NEXT) | instid1(VALU_DEP_3)
	v_mov_b32_dpp v4, v2 quad_perm:[1,0,3,2] row_mask:0xf bank_mask:0xf
	v_cmpx_eq_u32_e32 1, v7
; %bb.185:
	s_delay_alu instid0(VALU_DEP_2) | instskip(SKIP_1) | instid1(VALU_DEP_2)
	v_cmp_lt_i64_e64 s2, v[1:2], v[3:4]
	v_cndmask_b32_e64 v6, v5, 1, vcc_lo
	s_and_b32 vcc_lo, vcc_lo, s2
	v_dual_cndmask_b32 v2, v4, v2 :: v_dual_cndmask_b32 v1, v3, v1
; %bb.186:
	s_or_b32 exec_lo, exec_lo, s3
	s_delay_alu instid0(VALU_DEP_2) | instskip(SKIP_1) | instid1(VALU_DEP_3)
	v_and_b32_e32 v5, 0xff, v6
	v_and_b32_e32 v6, 1, v6
	v_mov_b32_dpp v3, v1 quad_perm:[2,3,0,1] row_mask:0xf bank_mask:0xf
	v_mov_b32_dpp v4, v2 quad_perm:[2,3,0,1] row_mask:0xf bank_mask:0xf
	s_mov_b32 s6, exec_lo
	v_mov_b32_dpp v7, v5 quad_perm:[2,3,0,1] row_mask:0xf bank_mask:0xf
	v_cmp_eq_u32_e64 s3, 1, v6
	s_delay_alu instid0(VALU_DEP_2) | instskip(NEXT) | instid1(VALU_DEP_1)
	v_and_b32_e32 v8, 1, v7
	v_cmpx_eq_u32_e32 1, v8
; %bb.187:
	s_delay_alu instid0(VALU_DEP_3) | instskip(SKIP_1) | instid1(VALU_DEP_2)
	v_cndmask_b32_e64 v5, v7, 1, s3
	v_cmp_lt_i64_e32 vcc_lo, v[1:2], v[3:4]
	v_and_b32_e32 v6, 1, v5
	v_and_b32_e32 v5, 0xff, v5
	s_and_b32 vcc_lo, s3, vcc_lo
	s_and_not1_b32 s3, s3, exec_lo
	v_dual_cndmask_b32 v2, v4, v2 :: v_dual_cndmask_b32 v1, v3, v1
	v_cmp_eq_u32_e64 s2, 1, v6
	s_delay_alu instid0(VALU_DEP_1) | instskip(NEXT) | instid1(SALU_CYCLE_1)
	s_and_b32 s2, s2, exec_lo
	s_or_b32 s3, s3, s2
; %bb.188:
	s_or_b32 exec_lo, exec_lo, s6
	v_mov_b32_dpp v6, v5 row_ror:4 row_mask:0xf bank_mask:0xf
	v_mov_b32_dpp v3, v1 row_ror:4 row_mask:0xf bank_mask:0xf
	;; [unrolled: 1-line block ×3, first 2 shown]
	s_mov_b32 s6, exec_lo
	s_delay_alu instid0(VALU_DEP_3) | instskip(NEXT) | instid1(VALU_DEP_1)
	v_and_b32_e32 v7, 1, v6
	v_cmpx_eq_u32_e32 1, v7
; %bb.189:
	v_cndmask_b32_e64 v5, v6, 1, s3
	v_cmp_lt_i64_e32 vcc_lo, v[1:2], v[3:4]
	s_delay_alu instid0(VALU_DEP_2)
	v_and_b32_e32 v6, 1, v5
	v_and_b32_e32 v5, 0xff, v5
	s_and_b32 vcc_lo, s3, vcc_lo
	s_and_not1_b32 s3, s3, exec_lo
	v_dual_cndmask_b32 v2, v4, v2 :: v_dual_cndmask_b32 v1, v3, v1
	v_cmp_eq_u32_e64 s2, 1, v6
	s_delay_alu instid0(VALU_DEP_1) | instskip(NEXT) | instid1(SALU_CYCLE_1)
	s_and_b32 s2, s2, exec_lo
	s_or_b32 s3, s3, s2
; %bb.190:
	s_or_b32 exec_lo, exec_lo, s6
	v_mov_b32_dpp v6, v5 row_ror:8 row_mask:0xf bank_mask:0xf
	v_mov_b32_dpp v3, v1 row_ror:8 row_mask:0xf bank_mask:0xf
	;; [unrolled: 1-line block ×3, first 2 shown]
	s_mov_b32 s6, exec_lo
	s_delay_alu instid0(VALU_DEP_3) | instskip(NEXT) | instid1(VALU_DEP_1)
	v_and_b32_e32 v7, 1, v6
	v_cmpx_eq_u32_e32 1, v7
; %bb.191:
	v_cndmask_b32_e64 v5, v6, 1, s3
	v_cmp_lt_i64_e32 vcc_lo, v[1:2], v[3:4]
	s_delay_alu instid0(VALU_DEP_2)
	v_and_b32_e32 v6, 1, v5
	v_and_b32_e32 v5, 0xff, v5
	s_and_b32 vcc_lo, s3, vcc_lo
	s_and_not1_b32 s3, s3, exec_lo
	v_dual_cndmask_b32 v2, v4, v2 :: v_dual_cndmask_b32 v1, v3, v1
	v_cmp_eq_u32_e64 s2, 1, v6
	s_delay_alu instid0(VALU_DEP_1) | instskip(NEXT) | instid1(SALU_CYCLE_1)
	s_and_b32 s2, s2, exec_lo
	s_or_b32 s3, s3, s2
; %bb.192:
	s_or_b32 exec_lo, exec_lo, s6
	ds_swizzle_b32 v6, v5 offset:swizzle(BROADCAST,32,15)
	ds_swizzle_b32 v3, v1 offset:swizzle(BROADCAST,32,15)
	;; [unrolled: 1-line block ×3, first 2 shown]
	s_mov_b32 s2, exec_lo
	s_waitcnt lgkmcnt(2)
	v_and_b32_e32 v7, 1, v6
	s_delay_alu instid0(VALU_DEP_1)
	v_cmpx_eq_u32_e32 1, v7
	s_cbranch_execz .LBB808_194
; %bb.193:
	s_waitcnt lgkmcnt(0)
	v_cmp_lt_i64_e32 vcc_lo, v[1:2], v[3:4]
	v_and_b32_e32 v5, 0xff, v6
	s_delay_alu instid0(VALU_DEP_1)
	v_cndmask_b32_e64 v5, v5, 1, s3
	s_and_b32 vcc_lo, s3, vcc_lo
	v_dual_cndmask_b32 v1, v3, v1 :: v_dual_cndmask_b32 v2, v4, v2
.LBB808_194:
	s_or_b32 exec_lo, exec_lo, s2
	s_waitcnt lgkmcnt(1)
	v_mov_b32_e32 v3, 0
	s_mov_b32 s2, exec_lo
	ds_bpermute_b32 v6, v3, v5 offset:124
	ds_bpermute_b32 v1, v3, v1 offset:124
	;; [unrolled: 1-line block ×3, first 2 shown]
	v_mbcnt_lo_u32_b32 v3, -1, 0
	s_delay_alu instid0(VALU_DEP_1)
	v_cmpx_eq_u32_e32 0, v3
	s_cbranch_execz .LBB808_196
; %bb.195:
	s_waitcnt lgkmcnt(3)
	v_lshrrev_b32_e32 v4, 1, v0
	s_delay_alu instid0(VALU_DEP_1)
	v_and_b32_e32 v4, 0x70, v4
	s_waitcnt lgkmcnt(2)
	ds_store_b8 v4, v6
	s_waitcnt lgkmcnt(1)
	ds_store_b64 v4, v[1:2] offset:8
.LBB808_196:
	s_or_b32 exec_lo, exec_lo, s2
	s_delay_alu instid0(SALU_CYCLE_1)
	s_mov_b32 s6, exec_lo
	s_waitcnt lgkmcnt(0)
	s_barrier
	buffer_gl0_inv
	v_cmpx_gt_u32_e32 32, v0
	s_cbranch_execz .LBB808_198
; %bb.197:
	v_and_b32_e32 v6, 7, v3
	s_delay_alu instid0(VALU_DEP_1)
	v_lshlrev_b32_e32 v1, 4, v6
	v_cmp_ne_u32_e32 vcc_lo, 7, v6
	ds_load_u8 v7, v1
	ds_load_b64 v[1:2], v1 offset:8
	v_add_co_ci_u32_e32 v4, vcc_lo, 0, v3, vcc_lo
	v_cmp_gt_u32_e32 vcc_lo, 6, v6
	s_delay_alu instid0(VALU_DEP_2)
	v_lshlrev_b32_e32 v5, 2, v4
	v_cndmask_b32_e64 v10, 0, 1, vcc_lo
	s_waitcnt lgkmcnt(1)
	v_and_b32_e32 v4, 0xff, v7
	v_and_b32_e32 v11, 1, v7
	ds_bpermute_b32 v8, v5, v4
	s_waitcnt lgkmcnt(1)
	ds_bpermute_b32 v4, v5, v1
	ds_bpermute_b32 v5, v5, v2
	v_cmp_eq_u32_e64 s3, 1, v11
	s_waitcnt lgkmcnt(2)
	v_and_b32_e32 v9, 1, v8
	s_waitcnt lgkmcnt(0)
	v_cmp_lt_i64_e64 s2, v[4:5], v[1:2]
	s_delay_alu instid0(VALU_DEP_2) | instskip(SKIP_2) | instid1(VALU_DEP_4)
	v_cmp_eq_u32_e32 vcc_lo, 1, v9
	v_lshlrev_b32_e32 v9, 1, v10
	v_cndmask_b32_e64 v7, v7, 1, vcc_lo
	s_and_b32 vcc_lo, vcc_lo, s2
	v_dual_cndmask_b32 v1, v1, v4 :: v_dual_cndmask_b32 v2, v2, v5
	s_delay_alu instid0(VALU_DEP_2) | instskip(SKIP_2) | instid1(VALU_DEP_4)
	v_cndmask_b32_e64 v7, v8, v7, s3
	v_add_lshl_u32 v8, v9, v3, 2
	v_cmp_gt_u32_e32 vcc_lo, 4, v6
	v_cndmask_b32_e64 v1, v4, v1, s3
	v_cndmask_b32_e64 v2, v5, v2, s3
	v_and_b32_e32 v9, 0xff, v7
	v_and_b32_e32 v10, 1, v7
	v_cndmask_b32_e64 v6, 0, 1, vcc_lo
	ds_bpermute_b32 v4, v8, v1
	ds_bpermute_b32 v5, v8, v2
	;; [unrolled: 1-line block ×3, first 2 shown]
	v_cmp_eq_u32_e64 s3, 1, v10
	s_waitcnt lgkmcnt(1)
	v_cmp_lt_i64_e64 s2, v[4:5], v[1:2]
	s_waitcnt lgkmcnt(0)
	v_and_b32_e32 v8, 1, v9
	s_delay_alu instid0(VALU_DEP_1) | instskip(SKIP_1) | instid1(VALU_DEP_4)
	v_cmp_eq_u32_e32 vcc_lo, 1, v8
	v_cndmask_b32_e64 v7, v7, 1, vcc_lo
	s_and_b32 vcc_lo, vcc_lo, s2
	v_dual_cndmask_b32 v1, v1, v4 :: v_dual_cndmask_b32 v2, v2, v5
	s_delay_alu instid0(VALU_DEP_2) | instskip(NEXT) | instid1(VALU_DEP_2)
	v_cndmask_b32_e64 v7, v9, v7, s3
	v_cndmask_b32_e64 v1, v4, v1, s3
	v_lshlrev_b32_e32 v6, 2, v6
	s_delay_alu instid0(VALU_DEP_4) | instskip(NEXT) | instid1(VALU_DEP_2)
	v_cndmask_b32_e64 v2, v5, v2, s3
	v_add_lshl_u32 v6, v6, v3, 2
	v_and_b32_e32 v3, 0xff, v7
	ds_bpermute_b32 v4, v6, v2
	ds_bpermute_b32 v5, v6, v3
	;; [unrolled: 1-line block ×3, first 2 shown]
	s_waitcnt lgkmcnt(1)
	v_and_b32_e32 v6, 1, v5
	s_waitcnt lgkmcnt(0)
	v_cmp_lt_i64_e32 vcc_lo, v[3:4], v[1:2]
	s_delay_alu instid0(VALU_DEP_2) | instskip(SKIP_1) | instid1(VALU_DEP_2)
	v_cmp_eq_u32_e64 s2, 1, v6
	v_and_b32_e32 v6, 1, v7
	v_cndmask_b32_e64 v7, v7, 1, s2
	s_and_b32 vcc_lo, s2, vcc_lo
	s_delay_alu instid0(VALU_DEP_2) | instskip(SKIP_1) | instid1(VALU_DEP_2)
	v_cmp_eq_u32_e64 s2, 1, v6
	v_dual_cndmask_b32 v1, v1, v3 :: v_dual_cndmask_b32 v2, v2, v4
	v_cndmask_b32_e64 v5, v5, v7, s2
	s_delay_alu instid0(VALU_DEP_2) | instskip(NEXT) | instid1(VALU_DEP_3)
	v_cndmask_b32_e64 v1, v3, v1, s2
	v_cndmask_b32_e64 v2, v4, v2, s2
	s_delay_alu instid0(VALU_DEP_3)
	v_and_b32_e32 v6, 0xff, v5
.LBB808_198:
	s_or_b32 exec_lo, exec_lo, s6
	s_branch .LBB808_227
.LBB808_199:
                                        ; implicit-def: $vgpr3_vgpr4
                                        ; implicit-def: $vgpr5
                                        ; implicit-def: $sgpr10_sgpr11
.LBB808_200:
	s_and_saveexec_b32 s2, s26
	s_cbranch_execz .LBB808_202
.LBB808_201:
	s_load_b64 s[0:1], s[0:1], 0x38
	s_lshl_b64 s[2:3], s[10:11], 4
	v_mov_b32_e32 v0, 0
	s_waitcnt lgkmcnt(0)
	s_add_u32 s0, s0, s2
	s_addc_u32 s1, s1, s3
	s_clause 0x1
	global_store_b8 v0, v5, s[0:1]
	global_store_b64 v0, v[3:4], s[0:1] offset:8
.LBB808_202:
	s_nop 0
	s_sendmsg sendmsg(MSG_DEALLOC_VGPRS)
	s_endpgm
.LBB808_203:
                                        ; implicit-def: $vgpr1_vgpr2
                                        ; implicit-def: $vgpr6
	s_cbranch_execz .LBB808_227
; %bb.204:
	v_mov_b32_e32 v1, 0
	v_dual_mov_b32 v2, 0 :: v_dual_mov_b32 v7, 0
	s_sub_i32 s2, s14, s4
	s_mov_b32 s3, exec_lo
	v_cmpx_gt_u32_e64 s2, v0
	s_cbranch_execz .LBB808_206
; %bb.205:
	s_lshl_b64 s[6:7], s[4:5], 3
	v_lshlrev_b32_e32 v1, 3, v0
	s_add_u32 s8, s18, s6
	s_addc_u32 s9, s19, s7
	s_add_u32 s6, s16, s6
	s_addc_u32 s7, s17, s7
	s_add_u32 s4, s12, s4
	s_waitcnt lgkmcnt(0)
	s_clause 0x1
	global_load_b64 v[3:4], v1, s[6:7]
	global_load_b64 v[5:6], v1, s[8:9]
	s_addc_u32 s5, s13, 0
	v_add_co_u32 v1, s4, s4, v0
	s_delay_alu instid0(VALU_DEP_1)
	v_add_co_ci_u32_e64 v2, null, s5, 0, s4
	s_waitcnt vmcnt(0)
	v_cmp_ne_u64_e32 vcc_lo, v[3:4], v[5:6]
	v_cndmask_b32_e64 v7, 0, 1, vcc_lo
.LBB808_206:
	s_or_b32 exec_lo, exec_lo, s3
	s_waitcnt lgkmcnt(2)
	v_mbcnt_lo_u32_b32 v5, -1, 0
	s_delay_alu instid0(VALU_DEP_2)
	v_and_b32_e32 v6, 0xffff, v7
	v_and_b32_e32 v8, 0xe0, v0
	s_min_u32 s3, s2, 0x100
	s_mov_b32 s4, exec_lo
	v_cmp_ne_u32_e32 vcc_lo, 31, v5
	v_add_nc_u32_e32 v10, 1, v5
	v_sub_nc_u32_e64 v8, s3, v8 clamp
	s_waitcnt lgkmcnt(1)
	v_add_co_ci_u32_e32 v3, vcc_lo, 0, v5, vcc_lo
	s_waitcnt lgkmcnt(0)
	s_delay_alu instid0(VALU_DEP_1)
	v_lshlrev_b32_e32 v4, 2, v3
	ds_bpermute_b32 v9, v4, v6
	ds_bpermute_b32 v3, v4, v1
	ds_bpermute_b32 v4, v4, v2
	v_cmpx_lt_u32_e64 v10, v8
	s_cbranch_execz .LBB808_208
; %bb.207:
	s_waitcnt lgkmcnt(2)
	v_and_b32_e32 v6, 1, v9
	s_waitcnt lgkmcnt(0)
	v_cmp_lt_i64_e32 vcc_lo, v[3:4], v[1:2]
	s_delay_alu instid0(VALU_DEP_2) | instskip(SKIP_1) | instid1(VALU_DEP_2)
	v_cmp_eq_u32_e64 s2, 1, v6
	v_and_b32_e32 v6, 1, v7
	v_cndmask_b32_e64 v7, v7, 1, s2
	s_and_b32 vcc_lo, s2, vcc_lo
	s_delay_alu instid0(VALU_DEP_2) | instskip(SKIP_1) | instid1(VALU_DEP_2)
	v_cmp_eq_u32_e64 s2, 1, v6
	v_dual_cndmask_b32 v1, v1, v3 :: v_dual_cndmask_b32 v2, v2, v4
	v_cndmask_b32_e64 v7, v9, v7, s2
	s_delay_alu instid0(VALU_DEP_2) | instskip(NEXT) | instid1(VALU_DEP_3)
	v_cndmask_b32_e64 v1, v3, v1, s2
	v_cndmask_b32_e64 v2, v4, v2, s2
	s_delay_alu instid0(VALU_DEP_3)
	v_and_b32_e32 v6, 0xff, v7
.LBB808_208:
	s_or_b32 exec_lo, exec_lo, s4
	v_cmp_gt_u32_e32 vcc_lo, 30, v5
	v_add_nc_u32_e32 v10, 2, v5
	s_mov_b32 s4, exec_lo
	s_waitcnt lgkmcnt(1)
	v_cndmask_b32_e64 v3, 0, 1, vcc_lo
	s_delay_alu instid0(VALU_DEP_1) | instskip(SKIP_1) | instid1(VALU_DEP_1)
	v_lshlrev_b32_e32 v3, 1, v3
	s_waitcnt lgkmcnt(0)
	v_add_lshl_u32 v4, v3, v5, 2
	ds_bpermute_b32 v9, v4, v6
	ds_bpermute_b32 v3, v4, v1
	ds_bpermute_b32 v4, v4, v2
	v_cmpx_lt_u32_e64 v10, v8
	s_cbranch_execz .LBB808_210
; %bb.209:
	s_waitcnt lgkmcnt(2)
	v_and_b32_e32 v6, 1, v9
	s_waitcnt lgkmcnt(0)
	v_cmp_lt_i64_e32 vcc_lo, v[3:4], v[1:2]
	s_delay_alu instid0(VALU_DEP_2) | instskip(SKIP_1) | instid1(VALU_DEP_2)
	v_cmp_eq_u32_e64 s2, 1, v6
	v_and_b32_e32 v6, 1, v7
	v_cndmask_b32_e64 v7, v7, 1, s2
	s_and_b32 vcc_lo, s2, vcc_lo
	s_delay_alu instid0(VALU_DEP_2) | instskip(SKIP_1) | instid1(VALU_DEP_2)
	v_cmp_eq_u32_e64 s2, 1, v6
	v_dual_cndmask_b32 v1, v1, v3 :: v_dual_cndmask_b32 v2, v2, v4
	v_cndmask_b32_e64 v7, v9, v7, s2
	s_delay_alu instid0(VALU_DEP_2) | instskip(NEXT) | instid1(VALU_DEP_3)
	v_cndmask_b32_e64 v1, v3, v1, s2
	v_cndmask_b32_e64 v2, v4, v2, s2
	s_delay_alu instid0(VALU_DEP_3)
	v_and_b32_e32 v6, 0xff, v7
.LBB808_210:
	s_or_b32 exec_lo, exec_lo, s4
	v_cmp_gt_u32_e32 vcc_lo, 28, v5
	v_add_nc_u32_e32 v10, 4, v5
	s_mov_b32 s4, exec_lo
	s_waitcnt lgkmcnt(1)
	v_cndmask_b32_e64 v3, 0, 1, vcc_lo
	s_delay_alu instid0(VALU_DEP_1) | instskip(SKIP_1) | instid1(VALU_DEP_1)
	v_lshlrev_b32_e32 v3, 2, v3
	s_waitcnt lgkmcnt(0)
	v_add_lshl_u32 v4, v3, v5, 2
	;; [unrolled: 35-line block ×4, first 2 shown]
	ds_bpermute_b32 v9, v4, v6
	ds_bpermute_b32 v3, v4, v1
	;; [unrolled: 1-line block ×3, first 2 shown]
	v_cmpx_lt_u32_e64 v10, v8
	s_cbranch_execz .LBB808_216
; %bb.215:
	s_waitcnt lgkmcnt(2)
	v_and_b32_e32 v6, 1, v9
	s_waitcnt lgkmcnt(0)
	v_cmp_lt_i64_e32 vcc_lo, v[3:4], v[1:2]
	s_delay_alu instid0(VALU_DEP_2) | instskip(SKIP_1) | instid1(VALU_DEP_2)
	v_cmp_eq_u32_e64 s2, 1, v6
	v_and_b32_e32 v6, 1, v7
	v_cndmask_b32_e64 v7, v7, 1, s2
	s_and_b32 vcc_lo, s2, vcc_lo
	s_delay_alu instid0(VALU_DEP_2) | instskip(SKIP_1) | instid1(VALU_DEP_2)
	v_cmp_eq_u32_e64 s2, 1, v6
	v_dual_cndmask_b32 v1, v1, v3 :: v_dual_cndmask_b32 v2, v2, v4
	v_cndmask_b32_e64 v7, v9, v7, s2
	s_delay_alu instid0(VALU_DEP_2) | instskip(NEXT) | instid1(VALU_DEP_3)
	v_cndmask_b32_e64 v1, v3, v1, s2
	v_cndmask_b32_e64 v2, v4, v2, s2
	s_delay_alu instid0(VALU_DEP_3)
	v_and_b32_e32 v6, 0xff, v7
.LBB808_216:
	s_or_b32 exec_lo, exec_lo, s4
	s_delay_alu instid0(SALU_CYCLE_1)
	s_mov_b32 s2, exec_lo
	v_cmpx_eq_u32_e32 0, v5
	s_cbranch_execz .LBB808_218
; %bb.217:
	s_waitcnt lgkmcnt(1)
	v_lshrrev_b32_e32 v3, 1, v0
	s_delay_alu instid0(VALU_DEP_1)
	v_and_b32_e32 v3, 0x70, v3
	ds_store_b8 v3, v7 offset:512
	ds_store_b64 v3, v[1:2] offset:520
.LBB808_218:
	s_or_b32 exec_lo, exec_lo, s2
	s_delay_alu instid0(SALU_CYCLE_1)
	s_mov_b32 s4, exec_lo
	s_waitcnt lgkmcnt(0)
	s_barrier
	buffer_gl0_inv
	v_cmpx_gt_u32_e32 8, v0
	s_cbranch_execz .LBB808_226
; %bb.219:
	v_lshlrev_b32_e32 v1, 4, v5
	v_and_b32_e32 v8, 7, v5
	s_add_i32 s3, s3, 31
	s_mov_b32 s5, exec_lo
	s_lshr_b32 s3, s3, 5
	ds_load_u8 v7, v1 offset:512
	ds_load_b64 v[1:2], v1 offset:520
	v_cmp_ne_u32_e32 vcc_lo, 7, v8
	v_add_nc_u32_e32 v10, 1, v8
	v_add_co_ci_u32_e32 v3, vcc_lo, 0, v5, vcc_lo
	s_delay_alu instid0(VALU_DEP_1)
	v_lshlrev_b32_e32 v4, 2, v3
	s_waitcnt lgkmcnt(1)
	v_and_b32_e32 v6, 0xff, v7
	s_waitcnt lgkmcnt(0)
	ds_bpermute_b32 v3, v4, v1
	ds_bpermute_b32 v9, v4, v6
	;; [unrolled: 1-line block ×3, first 2 shown]
	v_cmpx_gt_u32_e64 s3, v10
	s_cbranch_execz .LBB808_221
; %bb.220:
	s_waitcnt lgkmcnt(1)
	v_and_b32_e32 v6, 1, v9
	s_waitcnt lgkmcnt(0)
	v_cmp_lt_i64_e32 vcc_lo, v[3:4], v[1:2]
	s_delay_alu instid0(VALU_DEP_2) | instskip(SKIP_1) | instid1(VALU_DEP_2)
	v_cmp_eq_u32_e64 s2, 1, v6
	v_and_b32_e32 v6, 1, v7
	v_cndmask_b32_e64 v7, v7, 1, s2
	s_and_b32 vcc_lo, s2, vcc_lo
	s_delay_alu instid0(VALU_DEP_2) | instskip(SKIP_1) | instid1(VALU_DEP_2)
	v_cmp_eq_u32_e64 s2, 1, v6
	v_dual_cndmask_b32 v1, v1, v3 :: v_dual_cndmask_b32 v2, v2, v4
	v_cndmask_b32_e64 v7, v9, v7, s2
	s_delay_alu instid0(VALU_DEP_2) | instskip(NEXT) | instid1(VALU_DEP_3)
	v_cndmask_b32_e64 v1, v3, v1, s2
	v_cndmask_b32_e64 v2, v4, v2, s2
	s_delay_alu instid0(VALU_DEP_3)
	v_and_b32_e32 v6, 0xff, v7
.LBB808_221:
	s_or_b32 exec_lo, exec_lo, s5
	v_cmp_gt_u32_e32 vcc_lo, 6, v8
	v_add_nc_u32_e32 v10, 2, v8
	s_mov_b32 s5, exec_lo
	s_waitcnt lgkmcnt(2)
	v_cndmask_b32_e64 v3, 0, 1, vcc_lo
	s_delay_alu instid0(VALU_DEP_1) | instskip(SKIP_1) | instid1(VALU_DEP_1)
	v_lshlrev_b32_e32 v3, 1, v3
	s_waitcnt lgkmcnt(0)
	v_add_lshl_u32 v4, v3, v5, 2
	ds_bpermute_b32 v9, v4, v6
	ds_bpermute_b32 v3, v4, v1
	;; [unrolled: 1-line block ×3, first 2 shown]
	v_cmpx_gt_u32_e64 s3, v10
	s_cbranch_execz .LBB808_223
; %bb.222:
	s_waitcnt lgkmcnt(2)
	v_and_b32_e32 v6, 1, v9
	s_waitcnt lgkmcnt(0)
	v_cmp_lt_i64_e32 vcc_lo, v[3:4], v[1:2]
	s_delay_alu instid0(VALU_DEP_2) | instskip(SKIP_1) | instid1(VALU_DEP_2)
	v_cmp_eq_u32_e64 s2, 1, v6
	v_and_b32_e32 v6, 1, v7
	v_cndmask_b32_e64 v7, v7, 1, s2
	s_and_b32 vcc_lo, s2, vcc_lo
	s_delay_alu instid0(VALU_DEP_2) | instskip(SKIP_1) | instid1(VALU_DEP_2)
	v_cmp_eq_u32_e64 s2, 1, v6
	v_dual_cndmask_b32 v1, v1, v3 :: v_dual_cndmask_b32 v2, v2, v4
	v_cndmask_b32_e64 v7, v9, v7, s2
	s_delay_alu instid0(VALU_DEP_2) | instskip(NEXT) | instid1(VALU_DEP_3)
	v_cndmask_b32_e64 v1, v3, v1, s2
	v_cndmask_b32_e64 v2, v4, v2, s2
	s_delay_alu instid0(VALU_DEP_3)
	v_and_b32_e32 v6, 0xff, v7
.LBB808_223:
	s_or_b32 exec_lo, exec_lo, s5
	v_cmp_gt_u32_e32 vcc_lo, 4, v8
	v_add_nc_u32_e32 v8, 4, v8
	s_waitcnt lgkmcnt(1)
	v_cndmask_b32_e64 v3, 0, 1, vcc_lo
	s_delay_alu instid0(VALU_DEP_2) | instskip(NEXT) | instid1(VALU_DEP_2)
	v_cmp_gt_u32_e32 vcc_lo, s3, v8
	v_lshlrev_b32_e32 v3, 2, v3
	s_waitcnt lgkmcnt(0)
	s_delay_alu instid0(VALU_DEP_1)
	v_add_lshl_u32 v4, v3, v5, 2
	ds_bpermute_b32 v5, v4, v6
	ds_bpermute_b32 v3, v4, v1
	;; [unrolled: 1-line block ×3, first 2 shown]
	s_and_saveexec_b32 s3, vcc_lo
	s_cbranch_execz .LBB808_225
; %bb.224:
	s_waitcnt lgkmcnt(2)
	v_and_b32_e32 v6, 1, v5
	s_waitcnt lgkmcnt(0)
	v_cmp_lt_i64_e32 vcc_lo, v[3:4], v[1:2]
	s_delay_alu instid0(VALU_DEP_2) | instskip(SKIP_1) | instid1(VALU_DEP_2)
	v_cmp_eq_u32_e64 s2, 1, v6
	v_and_b32_e32 v6, 1, v7
	v_cndmask_b32_e64 v7, v7, 1, s2
	s_and_b32 vcc_lo, s2, vcc_lo
	s_delay_alu instid0(VALU_DEP_2) | instskip(SKIP_1) | instid1(VALU_DEP_2)
	v_cmp_eq_u32_e64 s2, 1, v6
	v_dual_cndmask_b32 v1, v1, v3 :: v_dual_cndmask_b32 v2, v2, v4
	v_cndmask_b32_e64 v5, v5, v7, s2
	s_delay_alu instid0(VALU_DEP_2) | instskip(NEXT) | instid1(VALU_DEP_3)
	v_cndmask_b32_e64 v1, v3, v1, s2
	v_cndmask_b32_e64 v2, v4, v2, s2
	s_delay_alu instid0(VALU_DEP_3)
	v_and_b32_e32 v6, 0xff, v5
.LBB808_225:
	s_or_b32 exec_lo, exec_lo, s3
.LBB808_226:
	s_delay_alu instid0(SALU_CYCLE_1)
	s_or_b32 exec_lo, exec_lo, s4
.LBB808_227:
	s_delay_alu instid0(SALU_CYCLE_1)
	s_mov_b32 s4, exec_lo
                                        ; implicit-def: $vgpr3_vgpr4
                                        ; implicit-def: $vgpr5
	v_cmpx_eq_u32_e32 0, v0
	s_cbranch_execz .LBB808_231
; %bb.228:
	s_waitcnt lgkmcnt(0)
	v_dual_mov_b32 v3, s20 :: v_dual_mov_b32 v4, s21
	v_mov_b32_e32 v5, s24
	s_cmp_eq_u64 s[14:15], 0
	s_cbranch_scc1 .LBB808_230
; %bb.229:
	v_and_b32_e32 v0, 1, v6
	v_cmp_gt_i64_e32 vcc_lo, s[20:21], v[1:2]
	s_bitcmp1_b32 s24, 0
	s_cselect_b32 s3, -1, 0
	s_delay_alu instid0(VALU_DEP_2) | instskip(NEXT) | instid1(VALU_DEP_1)
	v_cmp_eq_u32_e64 s2, 1, v0
	s_and_b32 vcc_lo, s2, vcc_lo
	v_cndmask_b32_e64 v0, s24, 1, s2
	v_cndmask_b32_e32 v3, s20, v1, vcc_lo
	v_cndmask_b32_e32 v4, s21, v2, vcc_lo
	s_delay_alu instid0(VALU_DEP_3) | instskip(NEXT) | instid1(VALU_DEP_3)
	v_cndmask_b32_e64 v5, v6, v0, s3
	v_cndmask_b32_e64 v3, v1, v3, s3
	s_delay_alu instid0(VALU_DEP_3)
	v_cndmask_b32_e64 v4, v2, v4, s3
.LBB808_230:
	s_or_b32 s26, s26, exec_lo
.LBB808_231:
	s_or_b32 exec_lo, exec_lo, s4
	s_and_saveexec_b32 s2, s26
	s_cbranch_execnz .LBB808_201
	s_branch .LBB808_202
.LBB808_232:
	v_lshlrev_b32_e32 v3, 3, v25
	s_clause 0x1
	global_load_b64 v[26:27], v3, s[8:9]
	global_load_b64 v[28:29], v3, s[22:23]
	v_add_co_u32 v3, s8, s26, v25
	s_delay_alu instid0(VALU_DEP_1) | instskip(SKIP_2) | instid1(VALU_DEP_1)
	v_add_co_ci_u32_e64 v4, null, s28, 0, s8
	s_waitcnt vmcnt(0)
	v_cmp_ne_u64_e64 s8, v[26:27], v[28:29]
	v_cndmask_b32_e64 v18, 0, 1, s8
	s_or_b32 exec_lo, exec_lo, s30
	s_and_saveexec_b32 s9, s7
	s_cbranch_execz .LBB808_57
.LBB808_233:
	v_and_b32_e32 v25, 1, v21
	v_cmp_lt_i64_e64 s7, v[9:10], v[1:2]
	s_delay_alu instid0(VALU_DEP_2) | instskip(SKIP_1) | instid1(VALU_DEP_2)
	v_cmp_eq_u32_e64 s8, 1, v25
	v_and_b32_e32 v25, 1, v17
	s_and_b32 s7, s8, s7
	v_cndmask_b32_e64 v17, v17, 1, s8
	v_cndmask_b32_e64 v1, v1, v9, s7
	;; [unrolled: 1-line block ×3, first 2 shown]
	v_cmp_eq_u32_e64 s7, 1, v25
	s_delay_alu instid0(VALU_DEP_1) | instskip(NEXT) | instid1(VALU_DEP_3)
	v_cndmask_b32_e64 v17, v21, v17, s7
	v_cndmask_b32_e64 v2, v10, v2, s7
	;; [unrolled: 1-line block ×3, first 2 shown]
	s_or_b32 exec_lo, exec_lo, s9
	s_and_saveexec_b32 s8, s6
	s_cbranch_execz .LBB808_58
.LBB808_234:
	v_and_b32_e32 v9, 1, v24
	v_cmp_lt_i64_e64 s6, v[15:16], v[1:2]
	s_delay_alu instid0(VALU_DEP_2) | instskip(SKIP_1) | instid1(VALU_DEP_2)
	v_cmp_eq_u32_e64 s7, 1, v9
	v_and_b32_e32 v9, 1, v17
	s_and_b32 s6, s7, s6
	v_cndmask_b32_e64 v10, v17, 1, s7
	v_cndmask_b32_e64 v1, v1, v15, s6
	;; [unrolled: 1-line block ×3, first 2 shown]
	v_cmp_eq_u32_e64 s6, 1, v9
	s_delay_alu instid0(VALU_DEP_1) | instskip(NEXT) | instid1(VALU_DEP_3)
	v_cndmask_b32_e64 v17, v24, v10, s6
	v_cndmask_b32_e64 v2, v16, v2, s6
	;; [unrolled: 1-line block ×3, first 2 shown]
	s_or_b32 exec_lo, exec_lo, s8
	s_and_saveexec_b32 s7, s5
	s_cbranch_execz .LBB808_59
.LBB808_235:
	v_and_b32_e32 v9, 1, v20
	v_cmp_lt_i64_e64 s5, v[7:8], v[1:2]
	s_delay_alu instid0(VALU_DEP_2) | instskip(SKIP_1) | instid1(VALU_DEP_2)
	v_cmp_eq_u32_e64 s6, 1, v9
	v_and_b32_e32 v9, 1, v17
	s_and_b32 s5, s6, s5
	v_cndmask_b32_e64 v10, v17, 1, s6
	v_cndmask_b32_e64 v1, v1, v7, s5
	;; [unrolled: 1-line block ×3, first 2 shown]
	v_cmp_eq_u32_e64 s5, 1, v9
	s_delay_alu instid0(VALU_DEP_1) | instskip(NEXT) | instid1(VALU_DEP_3)
	v_cndmask_b32_e64 v17, v20, v10, s5
	v_cndmask_b32_e64 v2, v8, v2, s5
	;; [unrolled: 1-line block ×3, first 2 shown]
	s_or_b32 exec_lo, exec_lo, s7
	s_and_saveexec_b32 s6, s4
	s_cbranch_execz .LBB808_60
.LBB808_236:
	v_and_b32_e32 v7, 1, v23
	v_cmp_lt_i64_e64 s4, v[13:14], v[1:2]
	s_delay_alu instid0(VALU_DEP_2) | instskip(SKIP_1) | instid1(VALU_DEP_2)
	v_cmp_eq_u32_e64 s5, 1, v7
	v_and_b32_e32 v7, 1, v17
	s_and_b32 s4, s5, s4
	v_cndmask_b32_e64 v8, v17, 1, s5
	v_cndmask_b32_e64 v1, v1, v13, s4
	;; [unrolled: 1-line block ×3, first 2 shown]
	v_cmp_eq_u32_e64 s4, 1, v7
	s_delay_alu instid0(VALU_DEP_1) | instskip(NEXT) | instid1(VALU_DEP_3)
	v_cndmask_b32_e64 v17, v23, v8, s4
	v_cndmask_b32_e64 v2, v14, v2, s4
	v_cndmask_b32_e64 v1, v13, v1, s4
	s_or_b32 exec_lo, exec_lo, s6
	s_and_saveexec_b32 s5, s3
	s_cbranch_execz .LBB808_61
.LBB808_237:
	v_and_b32_e32 v7, 1, v19
	v_cmp_lt_i64_e64 s3, v[5:6], v[1:2]
	s_delay_alu instid0(VALU_DEP_2) | instskip(SKIP_1) | instid1(VALU_DEP_2)
	v_cmp_eq_u32_e64 s4, 1, v7
	v_and_b32_e32 v7, 1, v17
	s_and_b32 s3, s4, s3
	v_cndmask_b32_e64 v8, v17, 1, s4
	v_cndmask_b32_e64 v1, v1, v5, s3
	v_cndmask_b32_e64 v2, v2, v6, s3
	v_cmp_eq_u32_e64 s3, 1, v7
	s_delay_alu instid0(VALU_DEP_1) | instskip(NEXT) | instid1(VALU_DEP_3)
	v_cndmask_b32_e64 v17, v19, v8, s3
	v_cndmask_b32_e64 v2, v6, v2, s3
	;; [unrolled: 1-line block ×3, first 2 shown]
	s_or_b32 exec_lo, exec_lo, s5
	s_and_saveexec_b32 s4, s2
	s_cbranch_execz .LBB808_62
.LBB808_238:
	v_and_b32_e32 v5, 1, v22
	v_cmp_lt_i64_e64 s2, v[11:12], v[1:2]
	s_delay_alu instid0(VALU_DEP_2) | instskip(SKIP_1) | instid1(VALU_DEP_2)
	v_cmp_eq_u32_e64 s3, 1, v5
	v_and_b32_e32 v5, 1, v17
	s_and_b32 s2, s3, s2
	v_cndmask_b32_e64 v6, v17, 1, s3
	v_cndmask_b32_e64 v1, v1, v11, s2
	;; [unrolled: 1-line block ×3, first 2 shown]
	v_cmp_eq_u32_e64 s2, 1, v5
	s_delay_alu instid0(VALU_DEP_1) | instskip(NEXT) | instid1(VALU_DEP_3)
	v_cndmask_b32_e64 v17, v22, v6, s2
	v_cndmask_b32_e64 v2, v12, v2, s2
	;; [unrolled: 1-line block ×3, first 2 shown]
	s_or_b32 exec_lo, exec_lo, s4
	s_and_saveexec_b32 s3, vcc_lo
	s_cbranch_execnz .LBB808_63
	s_branch .LBB808_64
.LBB808_239:
	v_lshlrev_b32_e32 v3, 3, v13
	s_clause 0x1
	global_load_b64 v[14:15], v3, s[6:7]
	global_load_b64 v[16:17], v3, s[8:9]
	v_add_co_u32 v3, s4, s5, v13
	s_delay_alu instid0(VALU_DEP_1) | instskip(SKIP_2) | instid1(VALU_DEP_1)
	v_add_co_ci_u32_e64 v4, null, s23, 0, s4
	s_waitcnt vmcnt(0)
	v_cmp_ne_u64_e64 s4, v[14:15], v[16:17]
	v_cndmask_b32_e64 v10, 0, 1, s4
	s_or_b32 exec_lo, exec_lo, s27
	s_and_saveexec_b32 s5, s3
	s_cbranch_execz .LBB808_100
.LBB808_240:
	v_and_b32_e32 v13, 1, v11
	v_cmp_lt_i64_e64 s3, v[5:6], v[1:2]
	s_delay_alu instid0(VALU_DEP_2) | instskip(SKIP_1) | instid1(VALU_DEP_2)
	v_cmp_eq_u32_e64 s4, 1, v13
	v_and_b32_e32 v13, 1, v9
	s_and_b32 s3, s4, s3
	v_cndmask_b32_e64 v9, v9, 1, s4
	v_cndmask_b32_e64 v1, v1, v5, s3
	;; [unrolled: 1-line block ×3, first 2 shown]
	v_cmp_eq_u32_e64 s3, 1, v13
	s_delay_alu instid0(VALU_DEP_1) | instskip(NEXT) | instid1(VALU_DEP_3)
	v_cndmask_b32_e64 v9, v11, v9, s3
	v_cndmask_b32_e64 v2, v6, v2, s3
	;; [unrolled: 1-line block ×3, first 2 shown]
	s_or_b32 exec_lo, exec_lo, s5
	s_and_saveexec_b32 s4, s2
	s_cbranch_execz .LBB808_101
.LBB808_241:
	v_and_b32_e32 v5, 1, v12
	v_cmp_lt_i64_e64 s2, v[7:8], v[1:2]
	s_delay_alu instid0(VALU_DEP_2) | instskip(SKIP_1) | instid1(VALU_DEP_2)
	v_cmp_eq_u32_e64 s3, 1, v5
	v_and_b32_e32 v5, 1, v9
	s_and_b32 s2, s3, s2
	v_cndmask_b32_e64 v6, v9, 1, s3
	v_cndmask_b32_e64 v1, v1, v7, s2
	;; [unrolled: 1-line block ×3, first 2 shown]
	v_cmp_eq_u32_e64 s2, 1, v5
	s_delay_alu instid0(VALU_DEP_1) | instskip(NEXT) | instid1(VALU_DEP_3)
	v_cndmask_b32_e64 v9, v12, v6, s2
	v_cndmask_b32_e64 v2, v8, v2, s2
	;; [unrolled: 1-line block ×3, first 2 shown]
	s_or_b32 exec_lo, exec_lo, s4
	s_and_saveexec_b32 s3, vcc_lo
	s_cbranch_execnz .LBB808_102
	s_branch .LBB808_103
	.section	.rodata,"a",@progbits
	.p2align	6, 0x0
	.amdhsa_kernel _ZN7rocprim17ROCPRIM_400000_NS6detail17trampoline_kernelINS0_14default_configENS1_22reduce_config_selectorIN6thrust23THRUST_200600_302600_NS5tupleIblNS6_9null_typeES8_S8_S8_S8_S8_S8_S8_EEEEZNS1_11reduce_implILb1ES3_NS6_12zip_iteratorINS7_INS6_11hip_rocprim26transform_input_iterator_tIbNSD_35transform_pair_of_input_iterators_tIbNS6_6detail15normal_iteratorINS6_10device_ptrIKyEEEESL_NS6_8equal_toIyEEEENSG_9not_fun_tINSD_8identityEEEEENSD_19counting_iterator_tIlEES8_S8_S8_S8_S8_S8_S8_S8_EEEEPS9_S9_NSD_9__find_if7functorIS9_EEEE10hipError_tPvRmT1_T2_T3_mT4_P12ihipStream_tbEUlT_E1_NS1_11comp_targetILNS1_3genE9ELNS1_11target_archE1100ELNS1_3gpuE3ELNS1_3repE0EEENS1_30default_config_static_selectorELNS0_4arch9wavefront6targetE0EEEvS14_
		.amdhsa_group_segment_fixed_size 640
		.amdhsa_private_segment_fixed_size 0
		.amdhsa_kernarg_size 88
		.amdhsa_user_sgpr_count 15
		.amdhsa_user_sgpr_dispatch_ptr 0
		.amdhsa_user_sgpr_queue_ptr 0
		.amdhsa_user_sgpr_kernarg_segment_ptr 1
		.amdhsa_user_sgpr_dispatch_id 0
		.amdhsa_user_sgpr_private_segment_size 0
		.amdhsa_wavefront_size32 1
		.amdhsa_uses_dynamic_stack 0
		.amdhsa_enable_private_segment 0
		.amdhsa_system_sgpr_workgroup_id_x 1
		.amdhsa_system_sgpr_workgroup_id_y 0
		.amdhsa_system_sgpr_workgroup_id_z 0
		.amdhsa_system_sgpr_workgroup_info 0
		.amdhsa_system_vgpr_workitem_id 0
		.amdhsa_next_free_vgpr 34
		.amdhsa_next_free_sgpr 32
		.amdhsa_reserve_vcc 1
		.amdhsa_float_round_mode_32 0
		.amdhsa_float_round_mode_16_64 0
		.amdhsa_float_denorm_mode_32 3
		.amdhsa_float_denorm_mode_16_64 3
		.amdhsa_dx10_clamp 1
		.amdhsa_ieee_mode 1
		.amdhsa_fp16_overflow 0
		.amdhsa_workgroup_processor_mode 1
		.amdhsa_memory_ordered 1
		.amdhsa_forward_progress 0
		.amdhsa_shared_vgpr_count 0
		.amdhsa_exception_fp_ieee_invalid_op 0
		.amdhsa_exception_fp_denorm_src 0
		.amdhsa_exception_fp_ieee_div_zero 0
		.amdhsa_exception_fp_ieee_overflow 0
		.amdhsa_exception_fp_ieee_underflow 0
		.amdhsa_exception_fp_ieee_inexact 0
		.amdhsa_exception_int_div_zero 0
	.end_amdhsa_kernel
	.section	.text._ZN7rocprim17ROCPRIM_400000_NS6detail17trampoline_kernelINS0_14default_configENS1_22reduce_config_selectorIN6thrust23THRUST_200600_302600_NS5tupleIblNS6_9null_typeES8_S8_S8_S8_S8_S8_S8_EEEEZNS1_11reduce_implILb1ES3_NS6_12zip_iteratorINS7_INS6_11hip_rocprim26transform_input_iterator_tIbNSD_35transform_pair_of_input_iterators_tIbNS6_6detail15normal_iteratorINS6_10device_ptrIKyEEEESL_NS6_8equal_toIyEEEENSG_9not_fun_tINSD_8identityEEEEENSD_19counting_iterator_tIlEES8_S8_S8_S8_S8_S8_S8_S8_EEEEPS9_S9_NSD_9__find_if7functorIS9_EEEE10hipError_tPvRmT1_T2_T3_mT4_P12ihipStream_tbEUlT_E1_NS1_11comp_targetILNS1_3genE9ELNS1_11target_archE1100ELNS1_3gpuE3ELNS1_3repE0EEENS1_30default_config_static_selectorELNS0_4arch9wavefront6targetE0EEEvS14_,"axG",@progbits,_ZN7rocprim17ROCPRIM_400000_NS6detail17trampoline_kernelINS0_14default_configENS1_22reduce_config_selectorIN6thrust23THRUST_200600_302600_NS5tupleIblNS6_9null_typeES8_S8_S8_S8_S8_S8_S8_EEEEZNS1_11reduce_implILb1ES3_NS6_12zip_iteratorINS7_INS6_11hip_rocprim26transform_input_iterator_tIbNSD_35transform_pair_of_input_iterators_tIbNS6_6detail15normal_iteratorINS6_10device_ptrIKyEEEESL_NS6_8equal_toIyEEEENSG_9not_fun_tINSD_8identityEEEEENSD_19counting_iterator_tIlEES8_S8_S8_S8_S8_S8_S8_S8_EEEEPS9_S9_NSD_9__find_if7functorIS9_EEEE10hipError_tPvRmT1_T2_T3_mT4_P12ihipStream_tbEUlT_E1_NS1_11comp_targetILNS1_3genE9ELNS1_11target_archE1100ELNS1_3gpuE3ELNS1_3repE0EEENS1_30default_config_static_selectorELNS0_4arch9wavefront6targetE0EEEvS14_,comdat
.Lfunc_end808:
	.size	_ZN7rocprim17ROCPRIM_400000_NS6detail17trampoline_kernelINS0_14default_configENS1_22reduce_config_selectorIN6thrust23THRUST_200600_302600_NS5tupleIblNS6_9null_typeES8_S8_S8_S8_S8_S8_S8_EEEEZNS1_11reduce_implILb1ES3_NS6_12zip_iteratorINS7_INS6_11hip_rocprim26transform_input_iterator_tIbNSD_35transform_pair_of_input_iterators_tIbNS6_6detail15normal_iteratorINS6_10device_ptrIKyEEEESL_NS6_8equal_toIyEEEENSG_9not_fun_tINSD_8identityEEEEENSD_19counting_iterator_tIlEES8_S8_S8_S8_S8_S8_S8_S8_EEEEPS9_S9_NSD_9__find_if7functorIS9_EEEE10hipError_tPvRmT1_T2_T3_mT4_P12ihipStream_tbEUlT_E1_NS1_11comp_targetILNS1_3genE9ELNS1_11target_archE1100ELNS1_3gpuE3ELNS1_3repE0EEENS1_30default_config_static_selectorELNS0_4arch9wavefront6targetE0EEEvS14_, .Lfunc_end808-_ZN7rocprim17ROCPRIM_400000_NS6detail17trampoline_kernelINS0_14default_configENS1_22reduce_config_selectorIN6thrust23THRUST_200600_302600_NS5tupleIblNS6_9null_typeES8_S8_S8_S8_S8_S8_S8_EEEEZNS1_11reduce_implILb1ES3_NS6_12zip_iteratorINS7_INS6_11hip_rocprim26transform_input_iterator_tIbNSD_35transform_pair_of_input_iterators_tIbNS6_6detail15normal_iteratorINS6_10device_ptrIKyEEEESL_NS6_8equal_toIyEEEENSG_9not_fun_tINSD_8identityEEEEENSD_19counting_iterator_tIlEES8_S8_S8_S8_S8_S8_S8_S8_EEEEPS9_S9_NSD_9__find_if7functorIS9_EEEE10hipError_tPvRmT1_T2_T3_mT4_P12ihipStream_tbEUlT_E1_NS1_11comp_targetILNS1_3genE9ELNS1_11target_archE1100ELNS1_3gpuE3ELNS1_3repE0EEENS1_30default_config_static_selectorELNS0_4arch9wavefront6targetE0EEEvS14_
                                        ; -- End function
	.section	.AMDGPU.csdata,"",@progbits
; Kernel info:
; codeLenInByte = 16136
; NumSgprs: 34
; NumVgprs: 34
; ScratchSize: 0
; MemoryBound: 0
; FloatMode: 240
; IeeeMode: 1
; LDSByteSize: 640 bytes/workgroup (compile time only)
; SGPRBlocks: 4
; VGPRBlocks: 4
; NumSGPRsForWavesPerEU: 34
; NumVGPRsForWavesPerEU: 34
; Occupancy: 16
; WaveLimiterHint : 0
; COMPUTE_PGM_RSRC2:SCRATCH_EN: 0
; COMPUTE_PGM_RSRC2:USER_SGPR: 15
; COMPUTE_PGM_RSRC2:TRAP_HANDLER: 0
; COMPUTE_PGM_RSRC2:TGID_X_EN: 1
; COMPUTE_PGM_RSRC2:TGID_Y_EN: 0
; COMPUTE_PGM_RSRC2:TGID_Z_EN: 0
; COMPUTE_PGM_RSRC2:TIDIG_COMP_CNT: 0
	.section	.text._ZN7rocprim17ROCPRIM_400000_NS6detail17trampoline_kernelINS0_14default_configENS1_22reduce_config_selectorIN6thrust23THRUST_200600_302600_NS5tupleIblNS6_9null_typeES8_S8_S8_S8_S8_S8_S8_EEEEZNS1_11reduce_implILb1ES3_NS6_12zip_iteratorINS7_INS6_11hip_rocprim26transform_input_iterator_tIbNSD_35transform_pair_of_input_iterators_tIbNS6_6detail15normal_iteratorINS6_10device_ptrIKyEEEESL_NS6_8equal_toIyEEEENSG_9not_fun_tINSD_8identityEEEEENSD_19counting_iterator_tIlEES8_S8_S8_S8_S8_S8_S8_S8_EEEEPS9_S9_NSD_9__find_if7functorIS9_EEEE10hipError_tPvRmT1_T2_T3_mT4_P12ihipStream_tbEUlT_E1_NS1_11comp_targetILNS1_3genE8ELNS1_11target_archE1030ELNS1_3gpuE2ELNS1_3repE0EEENS1_30default_config_static_selectorELNS0_4arch9wavefront6targetE0EEEvS14_,"axG",@progbits,_ZN7rocprim17ROCPRIM_400000_NS6detail17trampoline_kernelINS0_14default_configENS1_22reduce_config_selectorIN6thrust23THRUST_200600_302600_NS5tupleIblNS6_9null_typeES8_S8_S8_S8_S8_S8_S8_EEEEZNS1_11reduce_implILb1ES3_NS6_12zip_iteratorINS7_INS6_11hip_rocprim26transform_input_iterator_tIbNSD_35transform_pair_of_input_iterators_tIbNS6_6detail15normal_iteratorINS6_10device_ptrIKyEEEESL_NS6_8equal_toIyEEEENSG_9not_fun_tINSD_8identityEEEEENSD_19counting_iterator_tIlEES8_S8_S8_S8_S8_S8_S8_S8_EEEEPS9_S9_NSD_9__find_if7functorIS9_EEEE10hipError_tPvRmT1_T2_T3_mT4_P12ihipStream_tbEUlT_E1_NS1_11comp_targetILNS1_3genE8ELNS1_11target_archE1030ELNS1_3gpuE2ELNS1_3repE0EEENS1_30default_config_static_selectorELNS0_4arch9wavefront6targetE0EEEvS14_,comdat
	.protected	_ZN7rocprim17ROCPRIM_400000_NS6detail17trampoline_kernelINS0_14default_configENS1_22reduce_config_selectorIN6thrust23THRUST_200600_302600_NS5tupleIblNS6_9null_typeES8_S8_S8_S8_S8_S8_S8_EEEEZNS1_11reduce_implILb1ES3_NS6_12zip_iteratorINS7_INS6_11hip_rocprim26transform_input_iterator_tIbNSD_35transform_pair_of_input_iterators_tIbNS6_6detail15normal_iteratorINS6_10device_ptrIKyEEEESL_NS6_8equal_toIyEEEENSG_9not_fun_tINSD_8identityEEEEENSD_19counting_iterator_tIlEES8_S8_S8_S8_S8_S8_S8_S8_EEEEPS9_S9_NSD_9__find_if7functorIS9_EEEE10hipError_tPvRmT1_T2_T3_mT4_P12ihipStream_tbEUlT_E1_NS1_11comp_targetILNS1_3genE8ELNS1_11target_archE1030ELNS1_3gpuE2ELNS1_3repE0EEENS1_30default_config_static_selectorELNS0_4arch9wavefront6targetE0EEEvS14_ ; -- Begin function _ZN7rocprim17ROCPRIM_400000_NS6detail17trampoline_kernelINS0_14default_configENS1_22reduce_config_selectorIN6thrust23THRUST_200600_302600_NS5tupleIblNS6_9null_typeES8_S8_S8_S8_S8_S8_S8_EEEEZNS1_11reduce_implILb1ES3_NS6_12zip_iteratorINS7_INS6_11hip_rocprim26transform_input_iterator_tIbNSD_35transform_pair_of_input_iterators_tIbNS6_6detail15normal_iteratorINS6_10device_ptrIKyEEEESL_NS6_8equal_toIyEEEENSG_9not_fun_tINSD_8identityEEEEENSD_19counting_iterator_tIlEES8_S8_S8_S8_S8_S8_S8_S8_EEEEPS9_S9_NSD_9__find_if7functorIS9_EEEE10hipError_tPvRmT1_T2_T3_mT4_P12ihipStream_tbEUlT_E1_NS1_11comp_targetILNS1_3genE8ELNS1_11target_archE1030ELNS1_3gpuE2ELNS1_3repE0EEENS1_30default_config_static_selectorELNS0_4arch9wavefront6targetE0EEEvS14_
	.globl	_ZN7rocprim17ROCPRIM_400000_NS6detail17trampoline_kernelINS0_14default_configENS1_22reduce_config_selectorIN6thrust23THRUST_200600_302600_NS5tupleIblNS6_9null_typeES8_S8_S8_S8_S8_S8_S8_EEEEZNS1_11reduce_implILb1ES3_NS6_12zip_iteratorINS7_INS6_11hip_rocprim26transform_input_iterator_tIbNSD_35transform_pair_of_input_iterators_tIbNS6_6detail15normal_iteratorINS6_10device_ptrIKyEEEESL_NS6_8equal_toIyEEEENSG_9not_fun_tINSD_8identityEEEEENSD_19counting_iterator_tIlEES8_S8_S8_S8_S8_S8_S8_S8_EEEEPS9_S9_NSD_9__find_if7functorIS9_EEEE10hipError_tPvRmT1_T2_T3_mT4_P12ihipStream_tbEUlT_E1_NS1_11comp_targetILNS1_3genE8ELNS1_11target_archE1030ELNS1_3gpuE2ELNS1_3repE0EEENS1_30default_config_static_selectorELNS0_4arch9wavefront6targetE0EEEvS14_
	.p2align	8
	.type	_ZN7rocprim17ROCPRIM_400000_NS6detail17trampoline_kernelINS0_14default_configENS1_22reduce_config_selectorIN6thrust23THRUST_200600_302600_NS5tupleIblNS6_9null_typeES8_S8_S8_S8_S8_S8_S8_EEEEZNS1_11reduce_implILb1ES3_NS6_12zip_iteratorINS7_INS6_11hip_rocprim26transform_input_iterator_tIbNSD_35transform_pair_of_input_iterators_tIbNS6_6detail15normal_iteratorINS6_10device_ptrIKyEEEESL_NS6_8equal_toIyEEEENSG_9not_fun_tINSD_8identityEEEEENSD_19counting_iterator_tIlEES8_S8_S8_S8_S8_S8_S8_S8_EEEEPS9_S9_NSD_9__find_if7functorIS9_EEEE10hipError_tPvRmT1_T2_T3_mT4_P12ihipStream_tbEUlT_E1_NS1_11comp_targetILNS1_3genE8ELNS1_11target_archE1030ELNS1_3gpuE2ELNS1_3repE0EEENS1_30default_config_static_selectorELNS0_4arch9wavefront6targetE0EEEvS14_,@function
_ZN7rocprim17ROCPRIM_400000_NS6detail17trampoline_kernelINS0_14default_configENS1_22reduce_config_selectorIN6thrust23THRUST_200600_302600_NS5tupleIblNS6_9null_typeES8_S8_S8_S8_S8_S8_S8_EEEEZNS1_11reduce_implILb1ES3_NS6_12zip_iteratorINS7_INS6_11hip_rocprim26transform_input_iterator_tIbNSD_35transform_pair_of_input_iterators_tIbNS6_6detail15normal_iteratorINS6_10device_ptrIKyEEEESL_NS6_8equal_toIyEEEENSG_9not_fun_tINSD_8identityEEEEENSD_19counting_iterator_tIlEES8_S8_S8_S8_S8_S8_S8_S8_EEEEPS9_S9_NSD_9__find_if7functorIS9_EEEE10hipError_tPvRmT1_T2_T3_mT4_P12ihipStream_tbEUlT_E1_NS1_11comp_targetILNS1_3genE8ELNS1_11target_archE1030ELNS1_3gpuE2ELNS1_3repE0EEENS1_30default_config_static_selectorELNS0_4arch9wavefront6targetE0EEEvS14_: ; @_ZN7rocprim17ROCPRIM_400000_NS6detail17trampoline_kernelINS0_14default_configENS1_22reduce_config_selectorIN6thrust23THRUST_200600_302600_NS5tupleIblNS6_9null_typeES8_S8_S8_S8_S8_S8_S8_EEEEZNS1_11reduce_implILb1ES3_NS6_12zip_iteratorINS7_INS6_11hip_rocprim26transform_input_iterator_tIbNSD_35transform_pair_of_input_iterators_tIbNS6_6detail15normal_iteratorINS6_10device_ptrIKyEEEESL_NS6_8equal_toIyEEEENSG_9not_fun_tINSD_8identityEEEEENSD_19counting_iterator_tIlEES8_S8_S8_S8_S8_S8_S8_S8_EEEEPS9_S9_NSD_9__find_if7functorIS9_EEEE10hipError_tPvRmT1_T2_T3_mT4_P12ihipStream_tbEUlT_E1_NS1_11comp_targetILNS1_3genE8ELNS1_11target_archE1030ELNS1_3gpuE2ELNS1_3repE0EEENS1_30default_config_static_selectorELNS0_4arch9wavefront6targetE0EEEvS14_
; %bb.0:
	.section	.rodata,"a",@progbits
	.p2align	6, 0x0
	.amdhsa_kernel _ZN7rocprim17ROCPRIM_400000_NS6detail17trampoline_kernelINS0_14default_configENS1_22reduce_config_selectorIN6thrust23THRUST_200600_302600_NS5tupleIblNS6_9null_typeES8_S8_S8_S8_S8_S8_S8_EEEEZNS1_11reduce_implILb1ES3_NS6_12zip_iteratorINS7_INS6_11hip_rocprim26transform_input_iterator_tIbNSD_35transform_pair_of_input_iterators_tIbNS6_6detail15normal_iteratorINS6_10device_ptrIKyEEEESL_NS6_8equal_toIyEEEENSG_9not_fun_tINSD_8identityEEEEENSD_19counting_iterator_tIlEES8_S8_S8_S8_S8_S8_S8_S8_EEEEPS9_S9_NSD_9__find_if7functorIS9_EEEE10hipError_tPvRmT1_T2_T3_mT4_P12ihipStream_tbEUlT_E1_NS1_11comp_targetILNS1_3genE8ELNS1_11target_archE1030ELNS1_3gpuE2ELNS1_3repE0EEENS1_30default_config_static_selectorELNS0_4arch9wavefront6targetE0EEEvS14_
		.amdhsa_group_segment_fixed_size 0
		.amdhsa_private_segment_fixed_size 0
		.amdhsa_kernarg_size 88
		.amdhsa_user_sgpr_count 15
		.amdhsa_user_sgpr_dispatch_ptr 0
		.amdhsa_user_sgpr_queue_ptr 0
		.amdhsa_user_sgpr_kernarg_segment_ptr 1
		.amdhsa_user_sgpr_dispatch_id 0
		.amdhsa_user_sgpr_private_segment_size 0
		.amdhsa_wavefront_size32 1
		.amdhsa_uses_dynamic_stack 0
		.amdhsa_enable_private_segment 0
		.amdhsa_system_sgpr_workgroup_id_x 1
		.amdhsa_system_sgpr_workgroup_id_y 0
		.amdhsa_system_sgpr_workgroup_id_z 0
		.amdhsa_system_sgpr_workgroup_info 0
		.amdhsa_system_vgpr_workitem_id 0
		.amdhsa_next_free_vgpr 1
		.amdhsa_next_free_sgpr 1
		.amdhsa_reserve_vcc 0
		.amdhsa_float_round_mode_32 0
		.amdhsa_float_round_mode_16_64 0
		.amdhsa_float_denorm_mode_32 3
		.amdhsa_float_denorm_mode_16_64 3
		.amdhsa_dx10_clamp 1
		.amdhsa_ieee_mode 1
		.amdhsa_fp16_overflow 0
		.amdhsa_workgroup_processor_mode 1
		.amdhsa_memory_ordered 1
		.amdhsa_forward_progress 0
		.amdhsa_shared_vgpr_count 0
		.amdhsa_exception_fp_ieee_invalid_op 0
		.amdhsa_exception_fp_denorm_src 0
		.amdhsa_exception_fp_ieee_div_zero 0
		.amdhsa_exception_fp_ieee_overflow 0
		.amdhsa_exception_fp_ieee_underflow 0
		.amdhsa_exception_fp_ieee_inexact 0
		.amdhsa_exception_int_div_zero 0
	.end_amdhsa_kernel
	.section	.text._ZN7rocprim17ROCPRIM_400000_NS6detail17trampoline_kernelINS0_14default_configENS1_22reduce_config_selectorIN6thrust23THRUST_200600_302600_NS5tupleIblNS6_9null_typeES8_S8_S8_S8_S8_S8_S8_EEEEZNS1_11reduce_implILb1ES3_NS6_12zip_iteratorINS7_INS6_11hip_rocprim26transform_input_iterator_tIbNSD_35transform_pair_of_input_iterators_tIbNS6_6detail15normal_iteratorINS6_10device_ptrIKyEEEESL_NS6_8equal_toIyEEEENSG_9not_fun_tINSD_8identityEEEEENSD_19counting_iterator_tIlEES8_S8_S8_S8_S8_S8_S8_S8_EEEEPS9_S9_NSD_9__find_if7functorIS9_EEEE10hipError_tPvRmT1_T2_T3_mT4_P12ihipStream_tbEUlT_E1_NS1_11comp_targetILNS1_3genE8ELNS1_11target_archE1030ELNS1_3gpuE2ELNS1_3repE0EEENS1_30default_config_static_selectorELNS0_4arch9wavefront6targetE0EEEvS14_,"axG",@progbits,_ZN7rocprim17ROCPRIM_400000_NS6detail17trampoline_kernelINS0_14default_configENS1_22reduce_config_selectorIN6thrust23THRUST_200600_302600_NS5tupleIblNS6_9null_typeES8_S8_S8_S8_S8_S8_S8_EEEEZNS1_11reduce_implILb1ES3_NS6_12zip_iteratorINS7_INS6_11hip_rocprim26transform_input_iterator_tIbNSD_35transform_pair_of_input_iterators_tIbNS6_6detail15normal_iteratorINS6_10device_ptrIKyEEEESL_NS6_8equal_toIyEEEENSG_9not_fun_tINSD_8identityEEEEENSD_19counting_iterator_tIlEES8_S8_S8_S8_S8_S8_S8_S8_EEEEPS9_S9_NSD_9__find_if7functorIS9_EEEE10hipError_tPvRmT1_T2_T3_mT4_P12ihipStream_tbEUlT_E1_NS1_11comp_targetILNS1_3genE8ELNS1_11target_archE1030ELNS1_3gpuE2ELNS1_3repE0EEENS1_30default_config_static_selectorELNS0_4arch9wavefront6targetE0EEEvS14_,comdat
.Lfunc_end809:
	.size	_ZN7rocprim17ROCPRIM_400000_NS6detail17trampoline_kernelINS0_14default_configENS1_22reduce_config_selectorIN6thrust23THRUST_200600_302600_NS5tupleIblNS6_9null_typeES8_S8_S8_S8_S8_S8_S8_EEEEZNS1_11reduce_implILb1ES3_NS6_12zip_iteratorINS7_INS6_11hip_rocprim26transform_input_iterator_tIbNSD_35transform_pair_of_input_iterators_tIbNS6_6detail15normal_iteratorINS6_10device_ptrIKyEEEESL_NS6_8equal_toIyEEEENSG_9not_fun_tINSD_8identityEEEEENSD_19counting_iterator_tIlEES8_S8_S8_S8_S8_S8_S8_S8_EEEEPS9_S9_NSD_9__find_if7functorIS9_EEEE10hipError_tPvRmT1_T2_T3_mT4_P12ihipStream_tbEUlT_E1_NS1_11comp_targetILNS1_3genE8ELNS1_11target_archE1030ELNS1_3gpuE2ELNS1_3repE0EEENS1_30default_config_static_selectorELNS0_4arch9wavefront6targetE0EEEvS14_, .Lfunc_end809-_ZN7rocprim17ROCPRIM_400000_NS6detail17trampoline_kernelINS0_14default_configENS1_22reduce_config_selectorIN6thrust23THRUST_200600_302600_NS5tupleIblNS6_9null_typeES8_S8_S8_S8_S8_S8_S8_EEEEZNS1_11reduce_implILb1ES3_NS6_12zip_iteratorINS7_INS6_11hip_rocprim26transform_input_iterator_tIbNSD_35transform_pair_of_input_iterators_tIbNS6_6detail15normal_iteratorINS6_10device_ptrIKyEEEESL_NS6_8equal_toIyEEEENSG_9not_fun_tINSD_8identityEEEEENSD_19counting_iterator_tIlEES8_S8_S8_S8_S8_S8_S8_S8_EEEEPS9_S9_NSD_9__find_if7functorIS9_EEEE10hipError_tPvRmT1_T2_T3_mT4_P12ihipStream_tbEUlT_E1_NS1_11comp_targetILNS1_3genE8ELNS1_11target_archE1030ELNS1_3gpuE2ELNS1_3repE0EEENS1_30default_config_static_selectorELNS0_4arch9wavefront6targetE0EEEvS14_
                                        ; -- End function
	.section	.AMDGPU.csdata,"",@progbits
; Kernel info:
; codeLenInByte = 0
; NumSgprs: 0
; NumVgprs: 0
; ScratchSize: 0
; MemoryBound: 0
; FloatMode: 240
; IeeeMode: 1
; LDSByteSize: 0 bytes/workgroup (compile time only)
; SGPRBlocks: 0
; VGPRBlocks: 0
; NumSGPRsForWavesPerEU: 1
; NumVGPRsForWavesPerEU: 1
; Occupancy: 16
; WaveLimiterHint : 0
; COMPUTE_PGM_RSRC2:SCRATCH_EN: 0
; COMPUTE_PGM_RSRC2:USER_SGPR: 15
; COMPUTE_PGM_RSRC2:TRAP_HANDLER: 0
; COMPUTE_PGM_RSRC2:TGID_X_EN: 1
; COMPUTE_PGM_RSRC2:TGID_Y_EN: 0
; COMPUTE_PGM_RSRC2:TGID_Z_EN: 0
; COMPUTE_PGM_RSRC2:TIDIG_COMP_CNT: 0
	.section	.text._ZN6thrust23THRUST_200600_302600_NS11hip_rocprim14__parallel_for6kernelILj256ENS1_11__transform17unary_transform_fINS0_12zip_iteratorINS0_5tupleINS0_6detail15normal_iteratorINS0_10device_ptrIjEEEESC_NS0_9null_typeESD_SD_SD_SD_SD_SD_SD_EEEESF_NS4_14no_stencil_tagENS0_8identityINS7_IjjSD_SD_SD_SD_SD_SD_SD_SD_EEEENS4_21always_true_predicateEEElLj1EEEvT0_T1_SN_,"axG",@progbits,_ZN6thrust23THRUST_200600_302600_NS11hip_rocprim14__parallel_for6kernelILj256ENS1_11__transform17unary_transform_fINS0_12zip_iteratorINS0_5tupleINS0_6detail15normal_iteratorINS0_10device_ptrIjEEEESC_NS0_9null_typeESD_SD_SD_SD_SD_SD_SD_EEEESF_NS4_14no_stencil_tagENS0_8identityINS7_IjjSD_SD_SD_SD_SD_SD_SD_SD_EEEENS4_21always_true_predicateEEElLj1EEEvT0_T1_SN_,comdat
	.protected	_ZN6thrust23THRUST_200600_302600_NS11hip_rocprim14__parallel_for6kernelILj256ENS1_11__transform17unary_transform_fINS0_12zip_iteratorINS0_5tupleINS0_6detail15normal_iteratorINS0_10device_ptrIjEEEESC_NS0_9null_typeESD_SD_SD_SD_SD_SD_SD_EEEESF_NS4_14no_stencil_tagENS0_8identityINS7_IjjSD_SD_SD_SD_SD_SD_SD_SD_EEEENS4_21always_true_predicateEEElLj1EEEvT0_T1_SN_ ; -- Begin function _ZN6thrust23THRUST_200600_302600_NS11hip_rocprim14__parallel_for6kernelILj256ENS1_11__transform17unary_transform_fINS0_12zip_iteratorINS0_5tupleINS0_6detail15normal_iteratorINS0_10device_ptrIjEEEESC_NS0_9null_typeESD_SD_SD_SD_SD_SD_SD_EEEESF_NS4_14no_stencil_tagENS0_8identityINS7_IjjSD_SD_SD_SD_SD_SD_SD_SD_EEEENS4_21always_true_predicateEEElLj1EEEvT0_T1_SN_
	.globl	_ZN6thrust23THRUST_200600_302600_NS11hip_rocprim14__parallel_for6kernelILj256ENS1_11__transform17unary_transform_fINS0_12zip_iteratorINS0_5tupleINS0_6detail15normal_iteratorINS0_10device_ptrIjEEEESC_NS0_9null_typeESD_SD_SD_SD_SD_SD_SD_EEEESF_NS4_14no_stencil_tagENS0_8identityINS7_IjjSD_SD_SD_SD_SD_SD_SD_SD_EEEENS4_21always_true_predicateEEElLj1EEEvT0_T1_SN_
	.p2align	8
	.type	_ZN6thrust23THRUST_200600_302600_NS11hip_rocprim14__parallel_for6kernelILj256ENS1_11__transform17unary_transform_fINS0_12zip_iteratorINS0_5tupleINS0_6detail15normal_iteratorINS0_10device_ptrIjEEEESC_NS0_9null_typeESD_SD_SD_SD_SD_SD_SD_EEEESF_NS4_14no_stencil_tagENS0_8identityINS7_IjjSD_SD_SD_SD_SD_SD_SD_SD_EEEENS4_21always_true_predicateEEElLj1EEEvT0_T1_SN_,@function
_ZN6thrust23THRUST_200600_302600_NS11hip_rocprim14__parallel_for6kernelILj256ENS1_11__transform17unary_transform_fINS0_12zip_iteratorINS0_5tupleINS0_6detail15normal_iteratorINS0_10device_ptrIjEEEESC_NS0_9null_typeESD_SD_SD_SD_SD_SD_SD_EEEESF_NS4_14no_stencil_tagENS0_8identityINS7_IjjSD_SD_SD_SD_SD_SD_SD_SD_EEEENS4_21always_true_predicateEEElLj1EEEvT0_T1_SN_: ; @_ZN6thrust23THRUST_200600_302600_NS11hip_rocprim14__parallel_for6kernelILj256ENS1_11__transform17unary_transform_fINS0_12zip_iteratorINS0_5tupleINS0_6detail15normal_iteratorINS0_10device_ptrIjEEEESC_NS0_9null_typeESD_SD_SD_SD_SD_SD_SD_EEEESF_NS4_14no_stencil_tagENS0_8identityINS7_IjjSD_SD_SD_SD_SD_SD_SD_SD_EEEENS4_21always_true_predicateEEElLj1EEEvT0_T1_SN_
; %bb.0:
	s_clause 0x1
	s_load_b128 s[16:19], s[0:1], 0x28
	s_load_b256 s[0:7], s[0:1], 0x0
	s_lshl_b32 s8, s15, 8
	s_waitcnt lgkmcnt(0)
	s_add_u32 s8, s8, s18
	s_addc_u32 s9, 0, s19
	s_sub_u32 s10, s16, s8
	s_subb_u32 s11, s17, s9
	s_delay_alu instid0(SALU_CYCLE_1) | instskip(NEXT) | instid1(VALU_DEP_1)
	v_cmp_gt_i64_e64 s11, 0x100, s[10:11]
	s_and_b32 s11, s11, exec_lo
	s_cselect_b32 s11, s10, 0x100
	s_mov_b32 s10, -1
	s_cmpk_lg_i32 s11, 0x100
	s_cbranch_scc1 .LBB810_3
; %bb.1:
	s_and_not1_b32 vcc_lo, exec_lo, s10
	s_cbranch_vccz .LBB810_6
.LBB810_2:
	s_nop 0
	s_sendmsg sendmsg(MSG_DEALLOC_VGPRS)
	s_endpgm
.LBB810_3:
	s_mov_b32 s10, exec_lo
	v_cmpx_gt_u32_e64 s11, v0
	s_cbranch_execz .LBB810_5
; %bb.4:
	v_add_co_u32 v1, s11, s8, v0
	s_delay_alu instid0(VALU_DEP_1) | instskip(NEXT) | instid1(VALU_DEP_1)
	v_add_co_ci_u32_e64 v2, null, s9, 0, s11
	v_lshlrev_b64 v[1:2], 2, v[1:2]
	s_delay_alu instid0(VALU_DEP_1) | instskip(NEXT) | instid1(VALU_DEP_2)
	v_add_co_u32 v3, vcc_lo, s0, v1
	v_add_co_ci_u32_e32 v4, vcc_lo, s1, v2, vcc_lo
	v_add_co_u32 v5, vcc_lo, s2, v1
	v_add_co_ci_u32_e32 v6, vcc_lo, s3, v2, vcc_lo
	global_load_b32 v7, v[3:4], off
	global_load_b32 v5, v[5:6], off
	v_add_co_u32 v3, vcc_lo, s4, v1
	v_add_co_ci_u32_e32 v4, vcc_lo, s5, v2, vcc_lo
	v_add_co_u32 v1, vcc_lo, s6, v1
	v_add_co_ci_u32_e32 v2, vcc_lo, s7, v2, vcc_lo
	s_waitcnt vmcnt(1)
	global_store_b32 v[3:4], v7, off
	s_waitcnt vmcnt(0)
	global_store_b32 v[1:2], v5, off
.LBB810_5:
	s_or_b32 exec_lo, exec_lo, s10
	s_cbranch_execnz .LBB810_2
.LBB810_6:
	v_add_co_u32 v0, s8, s8, v0
	s_delay_alu instid0(VALU_DEP_1) | instskip(NEXT) | instid1(VALU_DEP_1)
	v_add_co_ci_u32_e64 v1, null, s9, 0, s8
	v_lshlrev_b64 v[0:1], 2, v[0:1]
	s_delay_alu instid0(VALU_DEP_1) | instskip(NEXT) | instid1(VALU_DEP_2)
	v_add_co_u32 v2, vcc_lo, s0, v0
	v_add_co_ci_u32_e32 v3, vcc_lo, s1, v1, vcc_lo
	v_add_co_u32 v4, vcc_lo, s2, v0
	v_add_co_ci_u32_e32 v5, vcc_lo, s3, v1, vcc_lo
	global_load_b32 v6, v[2:3], off
	global_load_b32 v4, v[4:5], off
	v_add_co_u32 v2, vcc_lo, s4, v0
	v_add_co_ci_u32_e32 v3, vcc_lo, s5, v1, vcc_lo
	v_add_co_u32 v0, vcc_lo, s6, v0
	v_add_co_ci_u32_e32 v1, vcc_lo, s7, v1, vcc_lo
	s_waitcnt vmcnt(1)
	global_store_b32 v[2:3], v6, off
	s_waitcnt vmcnt(0)
	global_store_b32 v[0:1], v4, off
	s_nop 0
	s_sendmsg sendmsg(MSG_DEALLOC_VGPRS)
	s_endpgm
	.section	.rodata,"a",@progbits
	.p2align	6, 0x0
	.amdhsa_kernel _ZN6thrust23THRUST_200600_302600_NS11hip_rocprim14__parallel_for6kernelILj256ENS1_11__transform17unary_transform_fINS0_12zip_iteratorINS0_5tupleINS0_6detail15normal_iteratorINS0_10device_ptrIjEEEESC_NS0_9null_typeESD_SD_SD_SD_SD_SD_SD_EEEESF_NS4_14no_stencil_tagENS0_8identityINS7_IjjSD_SD_SD_SD_SD_SD_SD_SD_EEEENS4_21always_true_predicateEEElLj1EEEvT0_T1_SN_
		.amdhsa_group_segment_fixed_size 0
		.amdhsa_private_segment_fixed_size 0
		.amdhsa_kernarg_size 56
		.amdhsa_user_sgpr_count 15
		.amdhsa_user_sgpr_dispatch_ptr 0
		.amdhsa_user_sgpr_queue_ptr 0
		.amdhsa_user_sgpr_kernarg_segment_ptr 1
		.amdhsa_user_sgpr_dispatch_id 0
		.amdhsa_user_sgpr_private_segment_size 0
		.amdhsa_wavefront_size32 1
		.amdhsa_uses_dynamic_stack 0
		.amdhsa_enable_private_segment 0
		.amdhsa_system_sgpr_workgroup_id_x 1
		.amdhsa_system_sgpr_workgroup_id_y 0
		.amdhsa_system_sgpr_workgroup_id_z 0
		.amdhsa_system_sgpr_workgroup_info 0
		.amdhsa_system_vgpr_workitem_id 0
		.amdhsa_next_free_vgpr 8
		.amdhsa_next_free_sgpr 20
		.amdhsa_reserve_vcc 1
		.amdhsa_float_round_mode_32 0
		.amdhsa_float_round_mode_16_64 0
		.amdhsa_float_denorm_mode_32 3
		.amdhsa_float_denorm_mode_16_64 3
		.amdhsa_dx10_clamp 1
		.amdhsa_ieee_mode 1
		.amdhsa_fp16_overflow 0
		.amdhsa_workgroup_processor_mode 1
		.amdhsa_memory_ordered 1
		.amdhsa_forward_progress 0
		.amdhsa_shared_vgpr_count 0
		.amdhsa_exception_fp_ieee_invalid_op 0
		.amdhsa_exception_fp_denorm_src 0
		.amdhsa_exception_fp_ieee_div_zero 0
		.amdhsa_exception_fp_ieee_overflow 0
		.amdhsa_exception_fp_ieee_underflow 0
		.amdhsa_exception_fp_ieee_inexact 0
		.amdhsa_exception_int_div_zero 0
	.end_amdhsa_kernel
	.section	.text._ZN6thrust23THRUST_200600_302600_NS11hip_rocprim14__parallel_for6kernelILj256ENS1_11__transform17unary_transform_fINS0_12zip_iteratorINS0_5tupleINS0_6detail15normal_iteratorINS0_10device_ptrIjEEEESC_NS0_9null_typeESD_SD_SD_SD_SD_SD_SD_EEEESF_NS4_14no_stencil_tagENS0_8identityINS7_IjjSD_SD_SD_SD_SD_SD_SD_SD_EEEENS4_21always_true_predicateEEElLj1EEEvT0_T1_SN_,"axG",@progbits,_ZN6thrust23THRUST_200600_302600_NS11hip_rocprim14__parallel_for6kernelILj256ENS1_11__transform17unary_transform_fINS0_12zip_iteratorINS0_5tupleINS0_6detail15normal_iteratorINS0_10device_ptrIjEEEESC_NS0_9null_typeESD_SD_SD_SD_SD_SD_SD_EEEESF_NS4_14no_stencil_tagENS0_8identityINS7_IjjSD_SD_SD_SD_SD_SD_SD_SD_EEEENS4_21always_true_predicateEEElLj1EEEvT0_T1_SN_,comdat
.Lfunc_end810:
	.size	_ZN6thrust23THRUST_200600_302600_NS11hip_rocprim14__parallel_for6kernelILj256ENS1_11__transform17unary_transform_fINS0_12zip_iteratorINS0_5tupleINS0_6detail15normal_iteratorINS0_10device_ptrIjEEEESC_NS0_9null_typeESD_SD_SD_SD_SD_SD_SD_EEEESF_NS4_14no_stencil_tagENS0_8identityINS7_IjjSD_SD_SD_SD_SD_SD_SD_SD_EEEENS4_21always_true_predicateEEElLj1EEEvT0_T1_SN_, .Lfunc_end810-_ZN6thrust23THRUST_200600_302600_NS11hip_rocprim14__parallel_for6kernelILj256ENS1_11__transform17unary_transform_fINS0_12zip_iteratorINS0_5tupleINS0_6detail15normal_iteratorINS0_10device_ptrIjEEEESC_NS0_9null_typeESD_SD_SD_SD_SD_SD_SD_EEEESF_NS4_14no_stencil_tagENS0_8identityINS7_IjjSD_SD_SD_SD_SD_SD_SD_SD_EEEENS4_21always_true_predicateEEElLj1EEEvT0_T1_SN_
                                        ; -- End function
	.section	.AMDGPU.csdata,"",@progbits
; Kernel info:
; codeLenInByte = 380
; NumSgprs: 22
; NumVgprs: 8
; ScratchSize: 0
; MemoryBound: 0
; FloatMode: 240
; IeeeMode: 1
; LDSByteSize: 0 bytes/workgroup (compile time only)
; SGPRBlocks: 2
; VGPRBlocks: 0
; NumSGPRsForWavesPerEU: 22
; NumVGPRsForWavesPerEU: 8
; Occupancy: 16
; WaveLimiterHint : 0
; COMPUTE_PGM_RSRC2:SCRATCH_EN: 0
; COMPUTE_PGM_RSRC2:USER_SGPR: 15
; COMPUTE_PGM_RSRC2:TRAP_HANDLER: 0
; COMPUTE_PGM_RSRC2:TGID_X_EN: 1
; COMPUTE_PGM_RSRC2:TGID_Y_EN: 0
; COMPUTE_PGM_RSRC2:TGID_Z_EN: 0
; COMPUTE_PGM_RSRC2:TIDIG_COMP_CNT: 0
	.section	.text._ZN7rocprim17ROCPRIM_400000_NS6detail17trampoline_kernelINS0_14default_configENS1_22reduce_config_selectorIN6thrust23THRUST_200600_302600_NS5tupleIblNS6_9null_typeES8_S8_S8_S8_S8_S8_S8_EEEEZNS1_11reduce_implILb1ES3_NS6_12zip_iteratorINS7_INS6_11hip_rocprim26transform_input_iterator_tIbNSD_35transform_pair_of_input_iterators_tIbNS6_6detail15normal_iteratorINS6_10device_ptrIKjEEEESL_NS6_8equal_toIjEEEENSG_9not_fun_tINSD_8identityEEEEENSD_19counting_iterator_tIlEES8_S8_S8_S8_S8_S8_S8_S8_EEEEPS9_S9_NSD_9__find_if7functorIS9_EEEE10hipError_tPvRmT1_T2_T3_mT4_P12ihipStream_tbEUlT_E0_NS1_11comp_targetILNS1_3genE0ELNS1_11target_archE4294967295ELNS1_3gpuE0ELNS1_3repE0EEENS1_30default_config_static_selectorELNS0_4arch9wavefront6targetE0EEEvS14_,"axG",@progbits,_ZN7rocprim17ROCPRIM_400000_NS6detail17trampoline_kernelINS0_14default_configENS1_22reduce_config_selectorIN6thrust23THRUST_200600_302600_NS5tupleIblNS6_9null_typeES8_S8_S8_S8_S8_S8_S8_EEEEZNS1_11reduce_implILb1ES3_NS6_12zip_iteratorINS7_INS6_11hip_rocprim26transform_input_iterator_tIbNSD_35transform_pair_of_input_iterators_tIbNS6_6detail15normal_iteratorINS6_10device_ptrIKjEEEESL_NS6_8equal_toIjEEEENSG_9not_fun_tINSD_8identityEEEEENSD_19counting_iterator_tIlEES8_S8_S8_S8_S8_S8_S8_S8_EEEEPS9_S9_NSD_9__find_if7functorIS9_EEEE10hipError_tPvRmT1_T2_T3_mT4_P12ihipStream_tbEUlT_E0_NS1_11comp_targetILNS1_3genE0ELNS1_11target_archE4294967295ELNS1_3gpuE0ELNS1_3repE0EEENS1_30default_config_static_selectorELNS0_4arch9wavefront6targetE0EEEvS14_,comdat
	.protected	_ZN7rocprim17ROCPRIM_400000_NS6detail17trampoline_kernelINS0_14default_configENS1_22reduce_config_selectorIN6thrust23THRUST_200600_302600_NS5tupleIblNS6_9null_typeES8_S8_S8_S8_S8_S8_S8_EEEEZNS1_11reduce_implILb1ES3_NS6_12zip_iteratorINS7_INS6_11hip_rocprim26transform_input_iterator_tIbNSD_35transform_pair_of_input_iterators_tIbNS6_6detail15normal_iteratorINS6_10device_ptrIKjEEEESL_NS6_8equal_toIjEEEENSG_9not_fun_tINSD_8identityEEEEENSD_19counting_iterator_tIlEES8_S8_S8_S8_S8_S8_S8_S8_EEEEPS9_S9_NSD_9__find_if7functorIS9_EEEE10hipError_tPvRmT1_T2_T3_mT4_P12ihipStream_tbEUlT_E0_NS1_11comp_targetILNS1_3genE0ELNS1_11target_archE4294967295ELNS1_3gpuE0ELNS1_3repE0EEENS1_30default_config_static_selectorELNS0_4arch9wavefront6targetE0EEEvS14_ ; -- Begin function _ZN7rocprim17ROCPRIM_400000_NS6detail17trampoline_kernelINS0_14default_configENS1_22reduce_config_selectorIN6thrust23THRUST_200600_302600_NS5tupleIblNS6_9null_typeES8_S8_S8_S8_S8_S8_S8_EEEEZNS1_11reduce_implILb1ES3_NS6_12zip_iteratorINS7_INS6_11hip_rocprim26transform_input_iterator_tIbNSD_35transform_pair_of_input_iterators_tIbNS6_6detail15normal_iteratorINS6_10device_ptrIKjEEEESL_NS6_8equal_toIjEEEENSG_9not_fun_tINSD_8identityEEEEENSD_19counting_iterator_tIlEES8_S8_S8_S8_S8_S8_S8_S8_EEEEPS9_S9_NSD_9__find_if7functorIS9_EEEE10hipError_tPvRmT1_T2_T3_mT4_P12ihipStream_tbEUlT_E0_NS1_11comp_targetILNS1_3genE0ELNS1_11target_archE4294967295ELNS1_3gpuE0ELNS1_3repE0EEENS1_30default_config_static_selectorELNS0_4arch9wavefront6targetE0EEEvS14_
	.globl	_ZN7rocprim17ROCPRIM_400000_NS6detail17trampoline_kernelINS0_14default_configENS1_22reduce_config_selectorIN6thrust23THRUST_200600_302600_NS5tupleIblNS6_9null_typeES8_S8_S8_S8_S8_S8_S8_EEEEZNS1_11reduce_implILb1ES3_NS6_12zip_iteratorINS7_INS6_11hip_rocprim26transform_input_iterator_tIbNSD_35transform_pair_of_input_iterators_tIbNS6_6detail15normal_iteratorINS6_10device_ptrIKjEEEESL_NS6_8equal_toIjEEEENSG_9not_fun_tINSD_8identityEEEEENSD_19counting_iterator_tIlEES8_S8_S8_S8_S8_S8_S8_S8_EEEEPS9_S9_NSD_9__find_if7functorIS9_EEEE10hipError_tPvRmT1_T2_T3_mT4_P12ihipStream_tbEUlT_E0_NS1_11comp_targetILNS1_3genE0ELNS1_11target_archE4294967295ELNS1_3gpuE0ELNS1_3repE0EEENS1_30default_config_static_selectorELNS0_4arch9wavefront6targetE0EEEvS14_
	.p2align	8
	.type	_ZN7rocprim17ROCPRIM_400000_NS6detail17trampoline_kernelINS0_14default_configENS1_22reduce_config_selectorIN6thrust23THRUST_200600_302600_NS5tupleIblNS6_9null_typeES8_S8_S8_S8_S8_S8_S8_EEEEZNS1_11reduce_implILb1ES3_NS6_12zip_iteratorINS7_INS6_11hip_rocprim26transform_input_iterator_tIbNSD_35transform_pair_of_input_iterators_tIbNS6_6detail15normal_iteratorINS6_10device_ptrIKjEEEESL_NS6_8equal_toIjEEEENSG_9not_fun_tINSD_8identityEEEEENSD_19counting_iterator_tIlEES8_S8_S8_S8_S8_S8_S8_S8_EEEEPS9_S9_NSD_9__find_if7functorIS9_EEEE10hipError_tPvRmT1_T2_T3_mT4_P12ihipStream_tbEUlT_E0_NS1_11comp_targetILNS1_3genE0ELNS1_11target_archE4294967295ELNS1_3gpuE0ELNS1_3repE0EEENS1_30default_config_static_selectorELNS0_4arch9wavefront6targetE0EEEvS14_,@function
_ZN7rocprim17ROCPRIM_400000_NS6detail17trampoline_kernelINS0_14default_configENS1_22reduce_config_selectorIN6thrust23THRUST_200600_302600_NS5tupleIblNS6_9null_typeES8_S8_S8_S8_S8_S8_S8_EEEEZNS1_11reduce_implILb1ES3_NS6_12zip_iteratorINS7_INS6_11hip_rocprim26transform_input_iterator_tIbNSD_35transform_pair_of_input_iterators_tIbNS6_6detail15normal_iteratorINS6_10device_ptrIKjEEEESL_NS6_8equal_toIjEEEENSG_9not_fun_tINSD_8identityEEEEENSD_19counting_iterator_tIlEES8_S8_S8_S8_S8_S8_S8_S8_EEEEPS9_S9_NSD_9__find_if7functorIS9_EEEE10hipError_tPvRmT1_T2_T3_mT4_P12ihipStream_tbEUlT_E0_NS1_11comp_targetILNS1_3genE0ELNS1_11target_archE4294967295ELNS1_3gpuE0ELNS1_3repE0EEENS1_30default_config_static_selectorELNS0_4arch9wavefront6targetE0EEEvS14_: ; @_ZN7rocprim17ROCPRIM_400000_NS6detail17trampoline_kernelINS0_14default_configENS1_22reduce_config_selectorIN6thrust23THRUST_200600_302600_NS5tupleIblNS6_9null_typeES8_S8_S8_S8_S8_S8_S8_EEEEZNS1_11reduce_implILb1ES3_NS6_12zip_iteratorINS7_INS6_11hip_rocprim26transform_input_iterator_tIbNSD_35transform_pair_of_input_iterators_tIbNS6_6detail15normal_iteratorINS6_10device_ptrIKjEEEESL_NS6_8equal_toIjEEEENSG_9not_fun_tINSD_8identityEEEEENSD_19counting_iterator_tIlEES8_S8_S8_S8_S8_S8_S8_S8_EEEEPS9_S9_NSD_9__find_if7functorIS9_EEEE10hipError_tPvRmT1_T2_T3_mT4_P12ihipStream_tbEUlT_E0_NS1_11comp_targetILNS1_3genE0ELNS1_11target_archE4294967295ELNS1_3gpuE0ELNS1_3repE0EEENS1_30default_config_static_selectorELNS0_4arch9wavefront6targetE0EEEvS14_
; %bb.0:
	.section	.rodata,"a",@progbits
	.p2align	6, 0x0
	.amdhsa_kernel _ZN7rocprim17ROCPRIM_400000_NS6detail17trampoline_kernelINS0_14default_configENS1_22reduce_config_selectorIN6thrust23THRUST_200600_302600_NS5tupleIblNS6_9null_typeES8_S8_S8_S8_S8_S8_S8_EEEEZNS1_11reduce_implILb1ES3_NS6_12zip_iteratorINS7_INS6_11hip_rocprim26transform_input_iterator_tIbNSD_35transform_pair_of_input_iterators_tIbNS6_6detail15normal_iteratorINS6_10device_ptrIKjEEEESL_NS6_8equal_toIjEEEENSG_9not_fun_tINSD_8identityEEEEENSD_19counting_iterator_tIlEES8_S8_S8_S8_S8_S8_S8_S8_EEEEPS9_S9_NSD_9__find_if7functorIS9_EEEE10hipError_tPvRmT1_T2_T3_mT4_P12ihipStream_tbEUlT_E0_NS1_11comp_targetILNS1_3genE0ELNS1_11target_archE4294967295ELNS1_3gpuE0ELNS1_3repE0EEENS1_30default_config_static_selectorELNS0_4arch9wavefront6targetE0EEEvS14_
		.amdhsa_group_segment_fixed_size 0
		.amdhsa_private_segment_fixed_size 0
		.amdhsa_kernarg_size 104
		.amdhsa_user_sgpr_count 15
		.amdhsa_user_sgpr_dispatch_ptr 0
		.amdhsa_user_sgpr_queue_ptr 0
		.amdhsa_user_sgpr_kernarg_segment_ptr 1
		.amdhsa_user_sgpr_dispatch_id 0
		.amdhsa_user_sgpr_private_segment_size 0
		.amdhsa_wavefront_size32 1
		.amdhsa_uses_dynamic_stack 0
		.amdhsa_enable_private_segment 0
		.amdhsa_system_sgpr_workgroup_id_x 1
		.amdhsa_system_sgpr_workgroup_id_y 0
		.amdhsa_system_sgpr_workgroup_id_z 0
		.amdhsa_system_sgpr_workgroup_info 0
		.amdhsa_system_vgpr_workitem_id 0
		.amdhsa_next_free_vgpr 1
		.amdhsa_next_free_sgpr 1
		.amdhsa_reserve_vcc 0
		.amdhsa_float_round_mode_32 0
		.amdhsa_float_round_mode_16_64 0
		.amdhsa_float_denorm_mode_32 3
		.amdhsa_float_denorm_mode_16_64 3
		.amdhsa_dx10_clamp 1
		.amdhsa_ieee_mode 1
		.amdhsa_fp16_overflow 0
		.amdhsa_workgroup_processor_mode 1
		.amdhsa_memory_ordered 1
		.amdhsa_forward_progress 0
		.amdhsa_shared_vgpr_count 0
		.amdhsa_exception_fp_ieee_invalid_op 0
		.amdhsa_exception_fp_denorm_src 0
		.amdhsa_exception_fp_ieee_div_zero 0
		.amdhsa_exception_fp_ieee_overflow 0
		.amdhsa_exception_fp_ieee_underflow 0
		.amdhsa_exception_fp_ieee_inexact 0
		.amdhsa_exception_int_div_zero 0
	.end_amdhsa_kernel
	.section	.text._ZN7rocprim17ROCPRIM_400000_NS6detail17trampoline_kernelINS0_14default_configENS1_22reduce_config_selectorIN6thrust23THRUST_200600_302600_NS5tupleIblNS6_9null_typeES8_S8_S8_S8_S8_S8_S8_EEEEZNS1_11reduce_implILb1ES3_NS6_12zip_iteratorINS7_INS6_11hip_rocprim26transform_input_iterator_tIbNSD_35transform_pair_of_input_iterators_tIbNS6_6detail15normal_iteratorINS6_10device_ptrIKjEEEESL_NS6_8equal_toIjEEEENSG_9not_fun_tINSD_8identityEEEEENSD_19counting_iterator_tIlEES8_S8_S8_S8_S8_S8_S8_S8_EEEEPS9_S9_NSD_9__find_if7functorIS9_EEEE10hipError_tPvRmT1_T2_T3_mT4_P12ihipStream_tbEUlT_E0_NS1_11comp_targetILNS1_3genE0ELNS1_11target_archE4294967295ELNS1_3gpuE0ELNS1_3repE0EEENS1_30default_config_static_selectorELNS0_4arch9wavefront6targetE0EEEvS14_,"axG",@progbits,_ZN7rocprim17ROCPRIM_400000_NS6detail17trampoline_kernelINS0_14default_configENS1_22reduce_config_selectorIN6thrust23THRUST_200600_302600_NS5tupleIblNS6_9null_typeES8_S8_S8_S8_S8_S8_S8_EEEEZNS1_11reduce_implILb1ES3_NS6_12zip_iteratorINS7_INS6_11hip_rocprim26transform_input_iterator_tIbNSD_35transform_pair_of_input_iterators_tIbNS6_6detail15normal_iteratorINS6_10device_ptrIKjEEEESL_NS6_8equal_toIjEEEENSG_9not_fun_tINSD_8identityEEEEENSD_19counting_iterator_tIlEES8_S8_S8_S8_S8_S8_S8_S8_EEEEPS9_S9_NSD_9__find_if7functorIS9_EEEE10hipError_tPvRmT1_T2_T3_mT4_P12ihipStream_tbEUlT_E0_NS1_11comp_targetILNS1_3genE0ELNS1_11target_archE4294967295ELNS1_3gpuE0ELNS1_3repE0EEENS1_30default_config_static_selectorELNS0_4arch9wavefront6targetE0EEEvS14_,comdat
.Lfunc_end811:
	.size	_ZN7rocprim17ROCPRIM_400000_NS6detail17trampoline_kernelINS0_14default_configENS1_22reduce_config_selectorIN6thrust23THRUST_200600_302600_NS5tupleIblNS6_9null_typeES8_S8_S8_S8_S8_S8_S8_EEEEZNS1_11reduce_implILb1ES3_NS6_12zip_iteratorINS7_INS6_11hip_rocprim26transform_input_iterator_tIbNSD_35transform_pair_of_input_iterators_tIbNS6_6detail15normal_iteratorINS6_10device_ptrIKjEEEESL_NS6_8equal_toIjEEEENSG_9not_fun_tINSD_8identityEEEEENSD_19counting_iterator_tIlEES8_S8_S8_S8_S8_S8_S8_S8_EEEEPS9_S9_NSD_9__find_if7functorIS9_EEEE10hipError_tPvRmT1_T2_T3_mT4_P12ihipStream_tbEUlT_E0_NS1_11comp_targetILNS1_3genE0ELNS1_11target_archE4294967295ELNS1_3gpuE0ELNS1_3repE0EEENS1_30default_config_static_selectorELNS0_4arch9wavefront6targetE0EEEvS14_, .Lfunc_end811-_ZN7rocprim17ROCPRIM_400000_NS6detail17trampoline_kernelINS0_14default_configENS1_22reduce_config_selectorIN6thrust23THRUST_200600_302600_NS5tupleIblNS6_9null_typeES8_S8_S8_S8_S8_S8_S8_EEEEZNS1_11reduce_implILb1ES3_NS6_12zip_iteratorINS7_INS6_11hip_rocprim26transform_input_iterator_tIbNSD_35transform_pair_of_input_iterators_tIbNS6_6detail15normal_iteratorINS6_10device_ptrIKjEEEESL_NS6_8equal_toIjEEEENSG_9not_fun_tINSD_8identityEEEEENSD_19counting_iterator_tIlEES8_S8_S8_S8_S8_S8_S8_S8_EEEEPS9_S9_NSD_9__find_if7functorIS9_EEEE10hipError_tPvRmT1_T2_T3_mT4_P12ihipStream_tbEUlT_E0_NS1_11comp_targetILNS1_3genE0ELNS1_11target_archE4294967295ELNS1_3gpuE0ELNS1_3repE0EEENS1_30default_config_static_selectorELNS0_4arch9wavefront6targetE0EEEvS14_
                                        ; -- End function
	.section	.AMDGPU.csdata,"",@progbits
; Kernel info:
; codeLenInByte = 0
; NumSgprs: 0
; NumVgprs: 0
; ScratchSize: 0
; MemoryBound: 0
; FloatMode: 240
; IeeeMode: 1
; LDSByteSize: 0 bytes/workgroup (compile time only)
; SGPRBlocks: 0
; VGPRBlocks: 0
; NumSGPRsForWavesPerEU: 1
; NumVGPRsForWavesPerEU: 1
; Occupancy: 16
; WaveLimiterHint : 0
; COMPUTE_PGM_RSRC2:SCRATCH_EN: 0
; COMPUTE_PGM_RSRC2:USER_SGPR: 15
; COMPUTE_PGM_RSRC2:TRAP_HANDLER: 0
; COMPUTE_PGM_RSRC2:TGID_X_EN: 1
; COMPUTE_PGM_RSRC2:TGID_Y_EN: 0
; COMPUTE_PGM_RSRC2:TGID_Z_EN: 0
; COMPUTE_PGM_RSRC2:TIDIG_COMP_CNT: 0
	.section	.text._ZN7rocprim17ROCPRIM_400000_NS6detail17trampoline_kernelINS0_14default_configENS1_22reduce_config_selectorIN6thrust23THRUST_200600_302600_NS5tupleIblNS6_9null_typeES8_S8_S8_S8_S8_S8_S8_EEEEZNS1_11reduce_implILb1ES3_NS6_12zip_iteratorINS7_INS6_11hip_rocprim26transform_input_iterator_tIbNSD_35transform_pair_of_input_iterators_tIbNS6_6detail15normal_iteratorINS6_10device_ptrIKjEEEESL_NS6_8equal_toIjEEEENSG_9not_fun_tINSD_8identityEEEEENSD_19counting_iterator_tIlEES8_S8_S8_S8_S8_S8_S8_S8_EEEEPS9_S9_NSD_9__find_if7functorIS9_EEEE10hipError_tPvRmT1_T2_T3_mT4_P12ihipStream_tbEUlT_E0_NS1_11comp_targetILNS1_3genE5ELNS1_11target_archE942ELNS1_3gpuE9ELNS1_3repE0EEENS1_30default_config_static_selectorELNS0_4arch9wavefront6targetE0EEEvS14_,"axG",@progbits,_ZN7rocprim17ROCPRIM_400000_NS6detail17trampoline_kernelINS0_14default_configENS1_22reduce_config_selectorIN6thrust23THRUST_200600_302600_NS5tupleIblNS6_9null_typeES8_S8_S8_S8_S8_S8_S8_EEEEZNS1_11reduce_implILb1ES3_NS6_12zip_iteratorINS7_INS6_11hip_rocprim26transform_input_iterator_tIbNSD_35transform_pair_of_input_iterators_tIbNS6_6detail15normal_iteratorINS6_10device_ptrIKjEEEESL_NS6_8equal_toIjEEEENSG_9not_fun_tINSD_8identityEEEEENSD_19counting_iterator_tIlEES8_S8_S8_S8_S8_S8_S8_S8_EEEEPS9_S9_NSD_9__find_if7functorIS9_EEEE10hipError_tPvRmT1_T2_T3_mT4_P12ihipStream_tbEUlT_E0_NS1_11comp_targetILNS1_3genE5ELNS1_11target_archE942ELNS1_3gpuE9ELNS1_3repE0EEENS1_30default_config_static_selectorELNS0_4arch9wavefront6targetE0EEEvS14_,comdat
	.protected	_ZN7rocprim17ROCPRIM_400000_NS6detail17trampoline_kernelINS0_14default_configENS1_22reduce_config_selectorIN6thrust23THRUST_200600_302600_NS5tupleIblNS6_9null_typeES8_S8_S8_S8_S8_S8_S8_EEEEZNS1_11reduce_implILb1ES3_NS6_12zip_iteratorINS7_INS6_11hip_rocprim26transform_input_iterator_tIbNSD_35transform_pair_of_input_iterators_tIbNS6_6detail15normal_iteratorINS6_10device_ptrIKjEEEESL_NS6_8equal_toIjEEEENSG_9not_fun_tINSD_8identityEEEEENSD_19counting_iterator_tIlEES8_S8_S8_S8_S8_S8_S8_S8_EEEEPS9_S9_NSD_9__find_if7functorIS9_EEEE10hipError_tPvRmT1_T2_T3_mT4_P12ihipStream_tbEUlT_E0_NS1_11comp_targetILNS1_3genE5ELNS1_11target_archE942ELNS1_3gpuE9ELNS1_3repE0EEENS1_30default_config_static_selectorELNS0_4arch9wavefront6targetE0EEEvS14_ ; -- Begin function _ZN7rocprim17ROCPRIM_400000_NS6detail17trampoline_kernelINS0_14default_configENS1_22reduce_config_selectorIN6thrust23THRUST_200600_302600_NS5tupleIblNS6_9null_typeES8_S8_S8_S8_S8_S8_S8_EEEEZNS1_11reduce_implILb1ES3_NS6_12zip_iteratorINS7_INS6_11hip_rocprim26transform_input_iterator_tIbNSD_35transform_pair_of_input_iterators_tIbNS6_6detail15normal_iteratorINS6_10device_ptrIKjEEEESL_NS6_8equal_toIjEEEENSG_9not_fun_tINSD_8identityEEEEENSD_19counting_iterator_tIlEES8_S8_S8_S8_S8_S8_S8_S8_EEEEPS9_S9_NSD_9__find_if7functorIS9_EEEE10hipError_tPvRmT1_T2_T3_mT4_P12ihipStream_tbEUlT_E0_NS1_11comp_targetILNS1_3genE5ELNS1_11target_archE942ELNS1_3gpuE9ELNS1_3repE0EEENS1_30default_config_static_selectorELNS0_4arch9wavefront6targetE0EEEvS14_
	.globl	_ZN7rocprim17ROCPRIM_400000_NS6detail17trampoline_kernelINS0_14default_configENS1_22reduce_config_selectorIN6thrust23THRUST_200600_302600_NS5tupleIblNS6_9null_typeES8_S8_S8_S8_S8_S8_S8_EEEEZNS1_11reduce_implILb1ES3_NS6_12zip_iteratorINS7_INS6_11hip_rocprim26transform_input_iterator_tIbNSD_35transform_pair_of_input_iterators_tIbNS6_6detail15normal_iteratorINS6_10device_ptrIKjEEEESL_NS6_8equal_toIjEEEENSG_9not_fun_tINSD_8identityEEEEENSD_19counting_iterator_tIlEES8_S8_S8_S8_S8_S8_S8_S8_EEEEPS9_S9_NSD_9__find_if7functorIS9_EEEE10hipError_tPvRmT1_T2_T3_mT4_P12ihipStream_tbEUlT_E0_NS1_11comp_targetILNS1_3genE5ELNS1_11target_archE942ELNS1_3gpuE9ELNS1_3repE0EEENS1_30default_config_static_selectorELNS0_4arch9wavefront6targetE0EEEvS14_
	.p2align	8
	.type	_ZN7rocprim17ROCPRIM_400000_NS6detail17trampoline_kernelINS0_14default_configENS1_22reduce_config_selectorIN6thrust23THRUST_200600_302600_NS5tupleIblNS6_9null_typeES8_S8_S8_S8_S8_S8_S8_EEEEZNS1_11reduce_implILb1ES3_NS6_12zip_iteratorINS7_INS6_11hip_rocprim26transform_input_iterator_tIbNSD_35transform_pair_of_input_iterators_tIbNS6_6detail15normal_iteratorINS6_10device_ptrIKjEEEESL_NS6_8equal_toIjEEEENSG_9not_fun_tINSD_8identityEEEEENSD_19counting_iterator_tIlEES8_S8_S8_S8_S8_S8_S8_S8_EEEEPS9_S9_NSD_9__find_if7functorIS9_EEEE10hipError_tPvRmT1_T2_T3_mT4_P12ihipStream_tbEUlT_E0_NS1_11comp_targetILNS1_3genE5ELNS1_11target_archE942ELNS1_3gpuE9ELNS1_3repE0EEENS1_30default_config_static_selectorELNS0_4arch9wavefront6targetE0EEEvS14_,@function
_ZN7rocprim17ROCPRIM_400000_NS6detail17trampoline_kernelINS0_14default_configENS1_22reduce_config_selectorIN6thrust23THRUST_200600_302600_NS5tupleIblNS6_9null_typeES8_S8_S8_S8_S8_S8_S8_EEEEZNS1_11reduce_implILb1ES3_NS6_12zip_iteratorINS7_INS6_11hip_rocprim26transform_input_iterator_tIbNSD_35transform_pair_of_input_iterators_tIbNS6_6detail15normal_iteratorINS6_10device_ptrIKjEEEESL_NS6_8equal_toIjEEEENSG_9not_fun_tINSD_8identityEEEEENSD_19counting_iterator_tIlEES8_S8_S8_S8_S8_S8_S8_S8_EEEEPS9_S9_NSD_9__find_if7functorIS9_EEEE10hipError_tPvRmT1_T2_T3_mT4_P12ihipStream_tbEUlT_E0_NS1_11comp_targetILNS1_3genE5ELNS1_11target_archE942ELNS1_3gpuE9ELNS1_3repE0EEENS1_30default_config_static_selectorELNS0_4arch9wavefront6targetE0EEEvS14_: ; @_ZN7rocprim17ROCPRIM_400000_NS6detail17trampoline_kernelINS0_14default_configENS1_22reduce_config_selectorIN6thrust23THRUST_200600_302600_NS5tupleIblNS6_9null_typeES8_S8_S8_S8_S8_S8_S8_EEEEZNS1_11reduce_implILb1ES3_NS6_12zip_iteratorINS7_INS6_11hip_rocprim26transform_input_iterator_tIbNSD_35transform_pair_of_input_iterators_tIbNS6_6detail15normal_iteratorINS6_10device_ptrIKjEEEESL_NS6_8equal_toIjEEEENSG_9not_fun_tINSD_8identityEEEEENSD_19counting_iterator_tIlEES8_S8_S8_S8_S8_S8_S8_S8_EEEEPS9_S9_NSD_9__find_if7functorIS9_EEEE10hipError_tPvRmT1_T2_T3_mT4_P12ihipStream_tbEUlT_E0_NS1_11comp_targetILNS1_3genE5ELNS1_11target_archE942ELNS1_3gpuE9ELNS1_3repE0EEENS1_30default_config_static_selectorELNS0_4arch9wavefront6targetE0EEEvS14_
; %bb.0:
	.section	.rodata,"a",@progbits
	.p2align	6, 0x0
	.amdhsa_kernel _ZN7rocprim17ROCPRIM_400000_NS6detail17trampoline_kernelINS0_14default_configENS1_22reduce_config_selectorIN6thrust23THRUST_200600_302600_NS5tupleIblNS6_9null_typeES8_S8_S8_S8_S8_S8_S8_EEEEZNS1_11reduce_implILb1ES3_NS6_12zip_iteratorINS7_INS6_11hip_rocprim26transform_input_iterator_tIbNSD_35transform_pair_of_input_iterators_tIbNS6_6detail15normal_iteratorINS6_10device_ptrIKjEEEESL_NS6_8equal_toIjEEEENSG_9not_fun_tINSD_8identityEEEEENSD_19counting_iterator_tIlEES8_S8_S8_S8_S8_S8_S8_S8_EEEEPS9_S9_NSD_9__find_if7functorIS9_EEEE10hipError_tPvRmT1_T2_T3_mT4_P12ihipStream_tbEUlT_E0_NS1_11comp_targetILNS1_3genE5ELNS1_11target_archE942ELNS1_3gpuE9ELNS1_3repE0EEENS1_30default_config_static_selectorELNS0_4arch9wavefront6targetE0EEEvS14_
		.amdhsa_group_segment_fixed_size 0
		.amdhsa_private_segment_fixed_size 0
		.amdhsa_kernarg_size 104
		.amdhsa_user_sgpr_count 15
		.amdhsa_user_sgpr_dispatch_ptr 0
		.amdhsa_user_sgpr_queue_ptr 0
		.amdhsa_user_sgpr_kernarg_segment_ptr 1
		.amdhsa_user_sgpr_dispatch_id 0
		.amdhsa_user_sgpr_private_segment_size 0
		.amdhsa_wavefront_size32 1
		.amdhsa_uses_dynamic_stack 0
		.amdhsa_enable_private_segment 0
		.amdhsa_system_sgpr_workgroup_id_x 1
		.amdhsa_system_sgpr_workgroup_id_y 0
		.amdhsa_system_sgpr_workgroup_id_z 0
		.amdhsa_system_sgpr_workgroup_info 0
		.amdhsa_system_vgpr_workitem_id 0
		.amdhsa_next_free_vgpr 1
		.amdhsa_next_free_sgpr 1
		.amdhsa_reserve_vcc 0
		.amdhsa_float_round_mode_32 0
		.amdhsa_float_round_mode_16_64 0
		.amdhsa_float_denorm_mode_32 3
		.amdhsa_float_denorm_mode_16_64 3
		.amdhsa_dx10_clamp 1
		.amdhsa_ieee_mode 1
		.amdhsa_fp16_overflow 0
		.amdhsa_workgroup_processor_mode 1
		.amdhsa_memory_ordered 1
		.amdhsa_forward_progress 0
		.amdhsa_shared_vgpr_count 0
		.amdhsa_exception_fp_ieee_invalid_op 0
		.amdhsa_exception_fp_denorm_src 0
		.amdhsa_exception_fp_ieee_div_zero 0
		.amdhsa_exception_fp_ieee_overflow 0
		.amdhsa_exception_fp_ieee_underflow 0
		.amdhsa_exception_fp_ieee_inexact 0
		.amdhsa_exception_int_div_zero 0
	.end_amdhsa_kernel
	.section	.text._ZN7rocprim17ROCPRIM_400000_NS6detail17trampoline_kernelINS0_14default_configENS1_22reduce_config_selectorIN6thrust23THRUST_200600_302600_NS5tupleIblNS6_9null_typeES8_S8_S8_S8_S8_S8_S8_EEEEZNS1_11reduce_implILb1ES3_NS6_12zip_iteratorINS7_INS6_11hip_rocprim26transform_input_iterator_tIbNSD_35transform_pair_of_input_iterators_tIbNS6_6detail15normal_iteratorINS6_10device_ptrIKjEEEESL_NS6_8equal_toIjEEEENSG_9not_fun_tINSD_8identityEEEEENSD_19counting_iterator_tIlEES8_S8_S8_S8_S8_S8_S8_S8_EEEEPS9_S9_NSD_9__find_if7functorIS9_EEEE10hipError_tPvRmT1_T2_T3_mT4_P12ihipStream_tbEUlT_E0_NS1_11comp_targetILNS1_3genE5ELNS1_11target_archE942ELNS1_3gpuE9ELNS1_3repE0EEENS1_30default_config_static_selectorELNS0_4arch9wavefront6targetE0EEEvS14_,"axG",@progbits,_ZN7rocprim17ROCPRIM_400000_NS6detail17trampoline_kernelINS0_14default_configENS1_22reduce_config_selectorIN6thrust23THRUST_200600_302600_NS5tupleIblNS6_9null_typeES8_S8_S8_S8_S8_S8_S8_EEEEZNS1_11reduce_implILb1ES3_NS6_12zip_iteratorINS7_INS6_11hip_rocprim26transform_input_iterator_tIbNSD_35transform_pair_of_input_iterators_tIbNS6_6detail15normal_iteratorINS6_10device_ptrIKjEEEESL_NS6_8equal_toIjEEEENSG_9not_fun_tINSD_8identityEEEEENSD_19counting_iterator_tIlEES8_S8_S8_S8_S8_S8_S8_S8_EEEEPS9_S9_NSD_9__find_if7functorIS9_EEEE10hipError_tPvRmT1_T2_T3_mT4_P12ihipStream_tbEUlT_E0_NS1_11comp_targetILNS1_3genE5ELNS1_11target_archE942ELNS1_3gpuE9ELNS1_3repE0EEENS1_30default_config_static_selectorELNS0_4arch9wavefront6targetE0EEEvS14_,comdat
.Lfunc_end812:
	.size	_ZN7rocprim17ROCPRIM_400000_NS6detail17trampoline_kernelINS0_14default_configENS1_22reduce_config_selectorIN6thrust23THRUST_200600_302600_NS5tupleIblNS6_9null_typeES8_S8_S8_S8_S8_S8_S8_EEEEZNS1_11reduce_implILb1ES3_NS6_12zip_iteratorINS7_INS6_11hip_rocprim26transform_input_iterator_tIbNSD_35transform_pair_of_input_iterators_tIbNS6_6detail15normal_iteratorINS6_10device_ptrIKjEEEESL_NS6_8equal_toIjEEEENSG_9not_fun_tINSD_8identityEEEEENSD_19counting_iterator_tIlEES8_S8_S8_S8_S8_S8_S8_S8_EEEEPS9_S9_NSD_9__find_if7functorIS9_EEEE10hipError_tPvRmT1_T2_T3_mT4_P12ihipStream_tbEUlT_E0_NS1_11comp_targetILNS1_3genE5ELNS1_11target_archE942ELNS1_3gpuE9ELNS1_3repE0EEENS1_30default_config_static_selectorELNS0_4arch9wavefront6targetE0EEEvS14_, .Lfunc_end812-_ZN7rocprim17ROCPRIM_400000_NS6detail17trampoline_kernelINS0_14default_configENS1_22reduce_config_selectorIN6thrust23THRUST_200600_302600_NS5tupleIblNS6_9null_typeES8_S8_S8_S8_S8_S8_S8_EEEEZNS1_11reduce_implILb1ES3_NS6_12zip_iteratorINS7_INS6_11hip_rocprim26transform_input_iterator_tIbNSD_35transform_pair_of_input_iterators_tIbNS6_6detail15normal_iteratorINS6_10device_ptrIKjEEEESL_NS6_8equal_toIjEEEENSG_9not_fun_tINSD_8identityEEEEENSD_19counting_iterator_tIlEES8_S8_S8_S8_S8_S8_S8_S8_EEEEPS9_S9_NSD_9__find_if7functorIS9_EEEE10hipError_tPvRmT1_T2_T3_mT4_P12ihipStream_tbEUlT_E0_NS1_11comp_targetILNS1_3genE5ELNS1_11target_archE942ELNS1_3gpuE9ELNS1_3repE0EEENS1_30default_config_static_selectorELNS0_4arch9wavefront6targetE0EEEvS14_
                                        ; -- End function
	.section	.AMDGPU.csdata,"",@progbits
; Kernel info:
; codeLenInByte = 0
; NumSgprs: 0
; NumVgprs: 0
; ScratchSize: 0
; MemoryBound: 0
; FloatMode: 240
; IeeeMode: 1
; LDSByteSize: 0 bytes/workgroup (compile time only)
; SGPRBlocks: 0
; VGPRBlocks: 0
; NumSGPRsForWavesPerEU: 1
; NumVGPRsForWavesPerEU: 1
; Occupancy: 16
; WaveLimiterHint : 0
; COMPUTE_PGM_RSRC2:SCRATCH_EN: 0
; COMPUTE_PGM_RSRC2:USER_SGPR: 15
; COMPUTE_PGM_RSRC2:TRAP_HANDLER: 0
; COMPUTE_PGM_RSRC2:TGID_X_EN: 1
; COMPUTE_PGM_RSRC2:TGID_Y_EN: 0
; COMPUTE_PGM_RSRC2:TGID_Z_EN: 0
; COMPUTE_PGM_RSRC2:TIDIG_COMP_CNT: 0
	.section	.text._ZN7rocprim17ROCPRIM_400000_NS6detail17trampoline_kernelINS0_14default_configENS1_22reduce_config_selectorIN6thrust23THRUST_200600_302600_NS5tupleIblNS6_9null_typeES8_S8_S8_S8_S8_S8_S8_EEEEZNS1_11reduce_implILb1ES3_NS6_12zip_iteratorINS7_INS6_11hip_rocprim26transform_input_iterator_tIbNSD_35transform_pair_of_input_iterators_tIbNS6_6detail15normal_iteratorINS6_10device_ptrIKjEEEESL_NS6_8equal_toIjEEEENSG_9not_fun_tINSD_8identityEEEEENSD_19counting_iterator_tIlEES8_S8_S8_S8_S8_S8_S8_S8_EEEEPS9_S9_NSD_9__find_if7functorIS9_EEEE10hipError_tPvRmT1_T2_T3_mT4_P12ihipStream_tbEUlT_E0_NS1_11comp_targetILNS1_3genE4ELNS1_11target_archE910ELNS1_3gpuE8ELNS1_3repE0EEENS1_30default_config_static_selectorELNS0_4arch9wavefront6targetE0EEEvS14_,"axG",@progbits,_ZN7rocprim17ROCPRIM_400000_NS6detail17trampoline_kernelINS0_14default_configENS1_22reduce_config_selectorIN6thrust23THRUST_200600_302600_NS5tupleIblNS6_9null_typeES8_S8_S8_S8_S8_S8_S8_EEEEZNS1_11reduce_implILb1ES3_NS6_12zip_iteratorINS7_INS6_11hip_rocprim26transform_input_iterator_tIbNSD_35transform_pair_of_input_iterators_tIbNS6_6detail15normal_iteratorINS6_10device_ptrIKjEEEESL_NS6_8equal_toIjEEEENSG_9not_fun_tINSD_8identityEEEEENSD_19counting_iterator_tIlEES8_S8_S8_S8_S8_S8_S8_S8_EEEEPS9_S9_NSD_9__find_if7functorIS9_EEEE10hipError_tPvRmT1_T2_T3_mT4_P12ihipStream_tbEUlT_E0_NS1_11comp_targetILNS1_3genE4ELNS1_11target_archE910ELNS1_3gpuE8ELNS1_3repE0EEENS1_30default_config_static_selectorELNS0_4arch9wavefront6targetE0EEEvS14_,comdat
	.protected	_ZN7rocprim17ROCPRIM_400000_NS6detail17trampoline_kernelINS0_14default_configENS1_22reduce_config_selectorIN6thrust23THRUST_200600_302600_NS5tupleIblNS6_9null_typeES8_S8_S8_S8_S8_S8_S8_EEEEZNS1_11reduce_implILb1ES3_NS6_12zip_iteratorINS7_INS6_11hip_rocprim26transform_input_iterator_tIbNSD_35transform_pair_of_input_iterators_tIbNS6_6detail15normal_iteratorINS6_10device_ptrIKjEEEESL_NS6_8equal_toIjEEEENSG_9not_fun_tINSD_8identityEEEEENSD_19counting_iterator_tIlEES8_S8_S8_S8_S8_S8_S8_S8_EEEEPS9_S9_NSD_9__find_if7functorIS9_EEEE10hipError_tPvRmT1_T2_T3_mT4_P12ihipStream_tbEUlT_E0_NS1_11comp_targetILNS1_3genE4ELNS1_11target_archE910ELNS1_3gpuE8ELNS1_3repE0EEENS1_30default_config_static_selectorELNS0_4arch9wavefront6targetE0EEEvS14_ ; -- Begin function _ZN7rocprim17ROCPRIM_400000_NS6detail17trampoline_kernelINS0_14default_configENS1_22reduce_config_selectorIN6thrust23THRUST_200600_302600_NS5tupleIblNS6_9null_typeES8_S8_S8_S8_S8_S8_S8_EEEEZNS1_11reduce_implILb1ES3_NS6_12zip_iteratorINS7_INS6_11hip_rocprim26transform_input_iterator_tIbNSD_35transform_pair_of_input_iterators_tIbNS6_6detail15normal_iteratorINS6_10device_ptrIKjEEEESL_NS6_8equal_toIjEEEENSG_9not_fun_tINSD_8identityEEEEENSD_19counting_iterator_tIlEES8_S8_S8_S8_S8_S8_S8_S8_EEEEPS9_S9_NSD_9__find_if7functorIS9_EEEE10hipError_tPvRmT1_T2_T3_mT4_P12ihipStream_tbEUlT_E0_NS1_11comp_targetILNS1_3genE4ELNS1_11target_archE910ELNS1_3gpuE8ELNS1_3repE0EEENS1_30default_config_static_selectorELNS0_4arch9wavefront6targetE0EEEvS14_
	.globl	_ZN7rocprim17ROCPRIM_400000_NS6detail17trampoline_kernelINS0_14default_configENS1_22reduce_config_selectorIN6thrust23THRUST_200600_302600_NS5tupleIblNS6_9null_typeES8_S8_S8_S8_S8_S8_S8_EEEEZNS1_11reduce_implILb1ES3_NS6_12zip_iteratorINS7_INS6_11hip_rocprim26transform_input_iterator_tIbNSD_35transform_pair_of_input_iterators_tIbNS6_6detail15normal_iteratorINS6_10device_ptrIKjEEEESL_NS6_8equal_toIjEEEENSG_9not_fun_tINSD_8identityEEEEENSD_19counting_iterator_tIlEES8_S8_S8_S8_S8_S8_S8_S8_EEEEPS9_S9_NSD_9__find_if7functorIS9_EEEE10hipError_tPvRmT1_T2_T3_mT4_P12ihipStream_tbEUlT_E0_NS1_11comp_targetILNS1_3genE4ELNS1_11target_archE910ELNS1_3gpuE8ELNS1_3repE0EEENS1_30default_config_static_selectorELNS0_4arch9wavefront6targetE0EEEvS14_
	.p2align	8
	.type	_ZN7rocprim17ROCPRIM_400000_NS6detail17trampoline_kernelINS0_14default_configENS1_22reduce_config_selectorIN6thrust23THRUST_200600_302600_NS5tupleIblNS6_9null_typeES8_S8_S8_S8_S8_S8_S8_EEEEZNS1_11reduce_implILb1ES3_NS6_12zip_iteratorINS7_INS6_11hip_rocprim26transform_input_iterator_tIbNSD_35transform_pair_of_input_iterators_tIbNS6_6detail15normal_iteratorINS6_10device_ptrIKjEEEESL_NS6_8equal_toIjEEEENSG_9not_fun_tINSD_8identityEEEEENSD_19counting_iterator_tIlEES8_S8_S8_S8_S8_S8_S8_S8_EEEEPS9_S9_NSD_9__find_if7functorIS9_EEEE10hipError_tPvRmT1_T2_T3_mT4_P12ihipStream_tbEUlT_E0_NS1_11comp_targetILNS1_3genE4ELNS1_11target_archE910ELNS1_3gpuE8ELNS1_3repE0EEENS1_30default_config_static_selectorELNS0_4arch9wavefront6targetE0EEEvS14_,@function
_ZN7rocprim17ROCPRIM_400000_NS6detail17trampoline_kernelINS0_14default_configENS1_22reduce_config_selectorIN6thrust23THRUST_200600_302600_NS5tupleIblNS6_9null_typeES8_S8_S8_S8_S8_S8_S8_EEEEZNS1_11reduce_implILb1ES3_NS6_12zip_iteratorINS7_INS6_11hip_rocprim26transform_input_iterator_tIbNSD_35transform_pair_of_input_iterators_tIbNS6_6detail15normal_iteratorINS6_10device_ptrIKjEEEESL_NS6_8equal_toIjEEEENSG_9not_fun_tINSD_8identityEEEEENSD_19counting_iterator_tIlEES8_S8_S8_S8_S8_S8_S8_S8_EEEEPS9_S9_NSD_9__find_if7functorIS9_EEEE10hipError_tPvRmT1_T2_T3_mT4_P12ihipStream_tbEUlT_E0_NS1_11comp_targetILNS1_3genE4ELNS1_11target_archE910ELNS1_3gpuE8ELNS1_3repE0EEENS1_30default_config_static_selectorELNS0_4arch9wavefront6targetE0EEEvS14_: ; @_ZN7rocprim17ROCPRIM_400000_NS6detail17trampoline_kernelINS0_14default_configENS1_22reduce_config_selectorIN6thrust23THRUST_200600_302600_NS5tupleIblNS6_9null_typeES8_S8_S8_S8_S8_S8_S8_EEEEZNS1_11reduce_implILb1ES3_NS6_12zip_iteratorINS7_INS6_11hip_rocprim26transform_input_iterator_tIbNSD_35transform_pair_of_input_iterators_tIbNS6_6detail15normal_iteratorINS6_10device_ptrIKjEEEESL_NS6_8equal_toIjEEEENSG_9not_fun_tINSD_8identityEEEEENSD_19counting_iterator_tIlEES8_S8_S8_S8_S8_S8_S8_S8_EEEEPS9_S9_NSD_9__find_if7functorIS9_EEEE10hipError_tPvRmT1_T2_T3_mT4_P12ihipStream_tbEUlT_E0_NS1_11comp_targetILNS1_3genE4ELNS1_11target_archE910ELNS1_3gpuE8ELNS1_3repE0EEENS1_30default_config_static_selectorELNS0_4arch9wavefront6targetE0EEEvS14_
; %bb.0:
	.section	.rodata,"a",@progbits
	.p2align	6, 0x0
	.amdhsa_kernel _ZN7rocprim17ROCPRIM_400000_NS6detail17trampoline_kernelINS0_14default_configENS1_22reduce_config_selectorIN6thrust23THRUST_200600_302600_NS5tupleIblNS6_9null_typeES8_S8_S8_S8_S8_S8_S8_EEEEZNS1_11reduce_implILb1ES3_NS6_12zip_iteratorINS7_INS6_11hip_rocprim26transform_input_iterator_tIbNSD_35transform_pair_of_input_iterators_tIbNS6_6detail15normal_iteratorINS6_10device_ptrIKjEEEESL_NS6_8equal_toIjEEEENSG_9not_fun_tINSD_8identityEEEEENSD_19counting_iterator_tIlEES8_S8_S8_S8_S8_S8_S8_S8_EEEEPS9_S9_NSD_9__find_if7functorIS9_EEEE10hipError_tPvRmT1_T2_T3_mT4_P12ihipStream_tbEUlT_E0_NS1_11comp_targetILNS1_3genE4ELNS1_11target_archE910ELNS1_3gpuE8ELNS1_3repE0EEENS1_30default_config_static_selectorELNS0_4arch9wavefront6targetE0EEEvS14_
		.amdhsa_group_segment_fixed_size 0
		.amdhsa_private_segment_fixed_size 0
		.amdhsa_kernarg_size 104
		.amdhsa_user_sgpr_count 15
		.amdhsa_user_sgpr_dispatch_ptr 0
		.amdhsa_user_sgpr_queue_ptr 0
		.amdhsa_user_sgpr_kernarg_segment_ptr 1
		.amdhsa_user_sgpr_dispatch_id 0
		.amdhsa_user_sgpr_private_segment_size 0
		.amdhsa_wavefront_size32 1
		.amdhsa_uses_dynamic_stack 0
		.amdhsa_enable_private_segment 0
		.amdhsa_system_sgpr_workgroup_id_x 1
		.amdhsa_system_sgpr_workgroup_id_y 0
		.amdhsa_system_sgpr_workgroup_id_z 0
		.amdhsa_system_sgpr_workgroup_info 0
		.amdhsa_system_vgpr_workitem_id 0
		.amdhsa_next_free_vgpr 1
		.amdhsa_next_free_sgpr 1
		.amdhsa_reserve_vcc 0
		.amdhsa_float_round_mode_32 0
		.amdhsa_float_round_mode_16_64 0
		.amdhsa_float_denorm_mode_32 3
		.amdhsa_float_denorm_mode_16_64 3
		.amdhsa_dx10_clamp 1
		.amdhsa_ieee_mode 1
		.amdhsa_fp16_overflow 0
		.amdhsa_workgroup_processor_mode 1
		.amdhsa_memory_ordered 1
		.amdhsa_forward_progress 0
		.amdhsa_shared_vgpr_count 0
		.amdhsa_exception_fp_ieee_invalid_op 0
		.amdhsa_exception_fp_denorm_src 0
		.amdhsa_exception_fp_ieee_div_zero 0
		.amdhsa_exception_fp_ieee_overflow 0
		.amdhsa_exception_fp_ieee_underflow 0
		.amdhsa_exception_fp_ieee_inexact 0
		.amdhsa_exception_int_div_zero 0
	.end_amdhsa_kernel
	.section	.text._ZN7rocprim17ROCPRIM_400000_NS6detail17trampoline_kernelINS0_14default_configENS1_22reduce_config_selectorIN6thrust23THRUST_200600_302600_NS5tupleIblNS6_9null_typeES8_S8_S8_S8_S8_S8_S8_EEEEZNS1_11reduce_implILb1ES3_NS6_12zip_iteratorINS7_INS6_11hip_rocprim26transform_input_iterator_tIbNSD_35transform_pair_of_input_iterators_tIbNS6_6detail15normal_iteratorINS6_10device_ptrIKjEEEESL_NS6_8equal_toIjEEEENSG_9not_fun_tINSD_8identityEEEEENSD_19counting_iterator_tIlEES8_S8_S8_S8_S8_S8_S8_S8_EEEEPS9_S9_NSD_9__find_if7functorIS9_EEEE10hipError_tPvRmT1_T2_T3_mT4_P12ihipStream_tbEUlT_E0_NS1_11comp_targetILNS1_3genE4ELNS1_11target_archE910ELNS1_3gpuE8ELNS1_3repE0EEENS1_30default_config_static_selectorELNS0_4arch9wavefront6targetE0EEEvS14_,"axG",@progbits,_ZN7rocprim17ROCPRIM_400000_NS6detail17trampoline_kernelINS0_14default_configENS1_22reduce_config_selectorIN6thrust23THRUST_200600_302600_NS5tupleIblNS6_9null_typeES8_S8_S8_S8_S8_S8_S8_EEEEZNS1_11reduce_implILb1ES3_NS6_12zip_iteratorINS7_INS6_11hip_rocprim26transform_input_iterator_tIbNSD_35transform_pair_of_input_iterators_tIbNS6_6detail15normal_iteratorINS6_10device_ptrIKjEEEESL_NS6_8equal_toIjEEEENSG_9not_fun_tINSD_8identityEEEEENSD_19counting_iterator_tIlEES8_S8_S8_S8_S8_S8_S8_S8_EEEEPS9_S9_NSD_9__find_if7functorIS9_EEEE10hipError_tPvRmT1_T2_T3_mT4_P12ihipStream_tbEUlT_E0_NS1_11comp_targetILNS1_3genE4ELNS1_11target_archE910ELNS1_3gpuE8ELNS1_3repE0EEENS1_30default_config_static_selectorELNS0_4arch9wavefront6targetE0EEEvS14_,comdat
.Lfunc_end813:
	.size	_ZN7rocprim17ROCPRIM_400000_NS6detail17trampoline_kernelINS0_14default_configENS1_22reduce_config_selectorIN6thrust23THRUST_200600_302600_NS5tupleIblNS6_9null_typeES8_S8_S8_S8_S8_S8_S8_EEEEZNS1_11reduce_implILb1ES3_NS6_12zip_iteratorINS7_INS6_11hip_rocprim26transform_input_iterator_tIbNSD_35transform_pair_of_input_iterators_tIbNS6_6detail15normal_iteratorINS6_10device_ptrIKjEEEESL_NS6_8equal_toIjEEEENSG_9not_fun_tINSD_8identityEEEEENSD_19counting_iterator_tIlEES8_S8_S8_S8_S8_S8_S8_S8_EEEEPS9_S9_NSD_9__find_if7functorIS9_EEEE10hipError_tPvRmT1_T2_T3_mT4_P12ihipStream_tbEUlT_E0_NS1_11comp_targetILNS1_3genE4ELNS1_11target_archE910ELNS1_3gpuE8ELNS1_3repE0EEENS1_30default_config_static_selectorELNS0_4arch9wavefront6targetE0EEEvS14_, .Lfunc_end813-_ZN7rocprim17ROCPRIM_400000_NS6detail17trampoline_kernelINS0_14default_configENS1_22reduce_config_selectorIN6thrust23THRUST_200600_302600_NS5tupleIblNS6_9null_typeES8_S8_S8_S8_S8_S8_S8_EEEEZNS1_11reduce_implILb1ES3_NS6_12zip_iteratorINS7_INS6_11hip_rocprim26transform_input_iterator_tIbNSD_35transform_pair_of_input_iterators_tIbNS6_6detail15normal_iteratorINS6_10device_ptrIKjEEEESL_NS6_8equal_toIjEEEENSG_9not_fun_tINSD_8identityEEEEENSD_19counting_iterator_tIlEES8_S8_S8_S8_S8_S8_S8_S8_EEEEPS9_S9_NSD_9__find_if7functorIS9_EEEE10hipError_tPvRmT1_T2_T3_mT4_P12ihipStream_tbEUlT_E0_NS1_11comp_targetILNS1_3genE4ELNS1_11target_archE910ELNS1_3gpuE8ELNS1_3repE0EEENS1_30default_config_static_selectorELNS0_4arch9wavefront6targetE0EEEvS14_
                                        ; -- End function
	.section	.AMDGPU.csdata,"",@progbits
; Kernel info:
; codeLenInByte = 0
; NumSgprs: 0
; NumVgprs: 0
; ScratchSize: 0
; MemoryBound: 0
; FloatMode: 240
; IeeeMode: 1
; LDSByteSize: 0 bytes/workgroup (compile time only)
; SGPRBlocks: 0
; VGPRBlocks: 0
; NumSGPRsForWavesPerEU: 1
; NumVGPRsForWavesPerEU: 1
; Occupancy: 16
; WaveLimiterHint : 0
; COMPUTE_PGM_RSRC2:SCRATCH_EN: 0
; COMPUTE_PGM_RSRC2:USER_SGPR: 15
; COMPUTE_PGM_RSRC2:TRAP_HANDLER: 0
; COMPUTE_PGM_RSRC2:TGID_X_EN: 1
; COMPUTE_PGM_RSRC2:TGID_Y_EN: 0
; COMPUTE_PGM_RSRC2:TGID_Z_EN: 0
; COMPUTE_PGM_RSRC2:TIDIG_COMP_CNT: 0
	.section	.text._ZN7rocprim17ROCPRIM_400000_NS6detail17trampoline_kernelINS0_14default_configENS1_22reduce_config_selectorIN6thrust23THRUST_200600_302600_NS5tupleIblNS6_9null_typeES8_S8_S8_S8_S8_S8_S8_EEEEZNS1_11reduce_implILb1ES3_NS6_12zip_iteratorINS7_INS6_11hip_rocprim26transform_input_iterator_tIbNSD_35transform_pair_of_input_iterators_tIbNS6_6detail15normal_iteratorINS6_10device_ptrIKjEEEESL_NS6_8equal_toIjEEEENSG_9not_fun_tINSD_8identityEEEEENSD_19counting_iterator_tIlEES8_S8_S8_S8_S8_S8_S8_S8_EEEEPS9_S9_NSD_9__find_if7functorIS9_EEEE10hipError_tPvRmT1_T2_T3_mT4_P12ihipStream_tbEUlT_E0_NS1_11comp_targetILNS1_3genE3ELNS1_11target_archE908ELNS1_3gpuE7ELNS1_3repE0EEENS1_30default_config_static_selectorELNS0_4arch9wavefront6targetE0EEEvS14_,"axG",@progbits,_ZN7rocprim17ROCPRIM_400000_NS6detail17trampoline_kernelINS0_14default_configENS1_22reduce_config_selectorIN6thrust23THRUST_200600_302600_NS5tupleIblNS6_9null_typeES8_S8_S8_S8_S8_S8_S8_EEEEZNS1_11reduce_implILb1ES3_NS6_12zip_iteratorINS7_INS6_11hip_rocprim26transform_input_iterator_tIbNSD_35transform_pair_of_input_iterators_tIbNS6_6detail15normal_iteratorINS6_10device_ptrIKjEEEESL_NS6_8equal_toIjEEEENSG_9not_fun_tINSD_8identityEEEEENSD_19counting_iterator_tIlEES8_S8_S8_S8_S8_S8_S8_S8_EEEEPS9_S9_NSD_9__find_if7functorIS9_EEEE10hipError_tPvRmT1_T2_T3_mT4_P12ihipStream_tbEUlT_E0_NS1_11comp_targetILNS1_3genE3ELNS1_11target_archE908ELNS1_3gpuE7ELNS1_3repE0EEENS1_30default_config_static_selectorELNS0_4arch9wavefront6targetE0EEEvS14_,comdat
	.protected	_ZN7rocprim17ROCPRIM_400000_NS6detail17trampoline_kernelINS0_14default_configENS1_22reduce_config_selectorIN6thrust23THRUST_200600_302600_NS5tupleIblNS6_9null_typeES8_S8_S8_S8_S8_S8_S8_EEEEZNS1_11reduce_implILb1ES3_NS6_12zip_iteratorINS7_INS6_11hip_rocprim26transform_input_iterator_tIbNSD_35transform_pair_of_input_iterators_tIbNS6_6detail15normal_iteratorINS6_10device_ptrIKjEEEESL_NS6_8equal_toIjEEEENSG_9not_fun_tINSD_8identityEEEEENSD_19counting_iterator_tIlEES8_S8_S8_S8_S8_S8_S8_S8_EEEEPS9_S9_NSD_9__find_if7functorIS9_EEEE10hipError_tPvRmT1_T2_T3_mT4_P12ihipStream_tbEUlT_E0_NS1_11comp_targetILNS1_3genE3ELNS1_11target_archE908ELNS1_3gpuE7ELNS1_3repE0EEENS1_30default_config_static_selectorELNS0_4arch9wavefront6targetE0EEEvS14_ ; -- Begin function _ZN7rocprim17ROCPRIM_400000_NS6detail17trampoline_kernelINS0_14default_configENS1_22reduce_config_selectorIN6thrust23THRUST_200600_302600_NS5tupleIblNS6_9null_typeES8_S8_S8_S8_S8_S8_S8_EEEEZNS1_11reduce_implILb1ES3_NS6_12zip_iteratorINS7_INS6_11hip_rocprim26transform_input_iterator_tIbNSD_35transform_pair_of_input_iterators_tIbNS6_6detail15normal_iteratorINS6_10device_ptrIKjEEEESL_NS6_8equal_toIjEEEENSG_9not_fun_tINSD_8identityEEEEENSD_19counting_iterator_tIlEES8_S8_S8_S8_S8_S8_S8_S8_EEEEPS9_S9_NSD_9__find_if7functorIS9_EEEE10hipError_tPvRmT1_T2_T3_mT4_P12ihipStream_tbEUlT_E0_NS1_11comp_targetILNS1_3genE3ELNS1_11target_archE908ELNS1_3gpuE7ELNS1_3repE0EEENS1_30default_config_static_selectorELNS0_4arch9wavefront6targetE0EEEvS14_
	.globl	_ZN7rocprim17ROCPRIM_400000_NS6detail17trampoline_kernelINS0_14default_configENS1_22reduce_config_selectorIN6thrust23THRUST_200600_302600_NS5tupleIblNS6_9null_typeES8_S8_S8_S8_S8_S8_S8_EEEEZNS1_11reduce_implILb1ES3_NS6_12zip_iteratorINS7_INS6_11hip_rocprim26transform_input_iterator_tIbNSD_35transform_pair_of_input_iterators_tIbNS6_6detail15normal_iteratorINS6_10device_ptrIKjEEEESL_NS6_8equal_toIjEEEENSG_9not_fun_tINSD_8identityEEEEENSD_19counting_iterator_tIlEES8_S8_S8_S8_S8_S8_S8_S8_EEEEPS9_S9_NSD_9__find_if7functorIS9_EEEE10hipError_tPvRmT1_T2_T3_mT4_P12ihipStream_tbEUlT_E0_NS1_11comp_targetILNS1_3genE3ELNS1_11target_archE908ELNS1_3gpuE7ELNS1_3repE0EEENS1_30default_config_static_selectorELNS0_4arch9wavefront6targetE0EEEvS14_
	.p2align	8
	.type	_ZN7rocprim17ROCPRIM_400000_NS6detail17trampoline_kernelINS0_14default_configENS1_22reduce_config_selectorIN6thrust23THRUST_200600_302600_NS5tupleIblNS6_9null_typeES8_S8_S8_S8_S8_S8_S8_EEEEZNS1_11reduce_implILb1ES3_NS6_12zip_iteratorINS7_INS6_11hip_rocprim26transform_input_iterator_tIbNSD_35transform_pair_of_input_iterators_tIbNS6_6detail15normal_iteratorINS6_10device_ptrIKjEEEESL_NS6_8equal_toIjEEEENSG_9not_fun_tINSD_8identityEEEEENSD_19counting_iterator_tIlEES8_S8_S8_S8_S8_S8_S8_S8_EEEEPS9_S9_NSD_9__find_if7functorIS9_EEEE10hipError_tPvRmT1_T2_T3_mT4_P12ihipStream_tbEUlT_E0_NS1_11comp_targetILNS1_3genE3ELNS1_11target_archE908ELNS1_3gpuE7ELNS1_3repE0EEENS1_30default_config_static_selectorELNS0_4arch9wavefront6targetE0EEEvS14_,@function
_ZN7rocprim17ROCPRIM_400000_NS6detail17trampoline_kernelINS0_14default_configENS1_22reduce_config_selectorIN6thrust23THRUST_200600_302600_NS5tupleIblNS6_9null_typeES8_S8_S8_S8_S8_S8_S8_EEEEZNS1_11reduce_implILb1ES3_NS6_12zip_iteratorINS7_INS6_11hip_rocprim26transform_input_iterator_tIbNSD_35transform_pair_of_input_iterators_tIbNS6_6detail15normal_iteratorINS6_10device_ptrIKjEEEESL_NS6_8equal_toIjEEEENSG_9not_fun_tINSD_8identityEEEEENSD_19counting_iterator_tIlEES8_S8_S8_S8_S8_S8_S8_S8_EEEEPS9_S9_NSD_9__find_if7functorIS9_EEEE10hipError_tPvRmT1_T2_T3_mT4_P12ihipStream_tbEUlT_E0_NS1_11comp_targetILNS1_3genE3ELNS1_11target_archE908ELNS1_3gpuE7ELNS1_3repE0EEENS1_30default_config_static_selectorELNS0_4arch9wavefront6targetE0EEEvS14_: ; @_ZN7rocprim17ROCPRIM_400000_NS6detail17trampoline_kernelINS0_14default_configENS1_22reduce_config_selectorIN6thrust23THRUST_200600_302600_NS5tupleIblNS6_9null_typeES8_S8_S8_S8_S8_S8_S8_EEEEZNS1_11reduce_implILb1ES3_NS6_12zip_iteratorINS7_INS6_11hip_rocprim26transform_input_iterator_tIbNSD_35transform_pair_of_input_iterators_tIbNS6_6detail15normal_iteratorINS6_10device_ptrIKjEEEESL_NS6_8equal_toIjEEEENSG_9not_fun_tINSD_8identityEEEEENSD_19counting_iterator_tIlEES8_S8_S8_S8_S8_S8_S8_S8_EEEEPS9_S9_NSD_9__find_if7functorIS9_EEEE10hipError_tPvRmT1_T2_T3_mT4_P12ihipStream_tbEUlT_E0_NS1_11comp_targetILNS1_3genE3ELNS1_11target_archE908ELNS1_3gpuE7ELNS1_3repE0EEENS1_30default_config_static_selectorELNS0_4arch9wavefront6targetE0EEEvS14_
; %bb.0:
	.section	.rodata,"a",@progbits
	.p2align	6, 0x0
	.amdhsa_kernel _ZN7rocprim17ROCPRIM_400000_NS6detail17trampoline_kernelINS0_14default_configENS1_22reduce_config_selectorIN6thrust23THRUST_200600_302600_NS5tupleIblNS6_9null_typeES8_S8_S8_S8_S8_S8_S8_EEEEZNS1_11reduce_implILb1ES3_NS6_12zip_iteratorINS7_INS6_11hip_rocprim26transform_input_iterator_tIbNSD_35transform_pair_of_input_iterators_tIbNS6_6detail15normal_iteratorINS6_10device_ptrIKjEEEESL_NS6_8equal_toIjEEEENSG_9not_fun_tINSD_8identityEEEEENSD_19counting_iterator_tIlEES8_S8_S8_S8_S8_S8_S8_S8_EEEEPS9_S9_NSD_9__find_if7functorIS9_EEEE10hipError_tPvRmT1_T2_T3_mT4_P12ihipStream_tbEUlT_E0_NS1_11comp_targetILNS1_3genE3ELNS1_11target_archE908ELNS1_3gpuE7ELNS1_3repE0EEENS1_30default_config_static_selectorELNS0_4arch9wavefront6targetE0EEEvS14_
		.amdhsa_group_segment_fixed_size 0
		.amdhsa_private_segment_fixed_size 0
		.amdhsa_kernarg_size 104
		.amdhsa_user_sgpr_count 15
		.amdhsa_user_sgpr_dispatch_ptr 0
		.amdhsa_user_sgpr_queue_ptr 0
		.amdhsa_user_sgpr_kernarg_segment_ptr 1
		.amdhsa_user_sgpr_dispatch_id 0
		.amdhsa_user_sgpr_private_segment_size 0
		.amdhsa_wavefront_size32 1
		.amdhsa_uses_dynamic_stack 0
		.amdhsa_enable_private_segment 0
		.amdhsa_system_sgpr_workgroup_id_x 1
		.amdhsa_system_sgpr_workgroup_id_y 0
		.amdhsa_system_sgpr_workgroup_id_z 0
		.amdhsa_system_sgpr_workgroup_info 0
		.amdhsa_system_vgpr_workitem_id 0
		.amdhsa_next_free_vgpr 1
		.amdhsa_next_free_sgpr 1
		.amdhsa_reserve_vcc 0
		.amdhsa_float_round_mode_32 0
		.amdhsa_float_round_mode_16_64 0
		.amdhsa_float_denorm_mode_32 3
		.amdhsa_float_denorm_mode_16_64 3
		.amdhsa_dx10_clamp 1
		.amdhsa_ieee_mode 1
		.amdhsa_fp16_overflow 0
		.amdhsa_workgroup_processor_mode 1
		.amdhsa_memory_ordered 1
		.amdhsa_forward_progress 0
		.amdhsa_shared_vgpr_count 0
		.amdhsa_exception_fp_ieee_invalid_op 0
		.amdhsa_exception_fp_denorm_src 0
		.amdhsa_exception_fp_ieee_div_zero 0
		.amdhsa_exception_fp_ieee_overflow 0
		.amdhsa_exception_fp_ieee_underflow 0
		.amdhsa_exception_fp_ieee_inexact 0
		.amdhsa_exception_int_div_zero 0
	.end_amdhsa_kernel
	.section	.text._ZN7rocprim17ROCPRIM_400000_NS6detail17trampoline_kernelINS0_14default_configENS1_22reduce_config_selectorIN6thrust23THRUST_200600_302600_NS5tupleIblNS6_9null_typeES8_S8_S8_S8_S8_S8_S8_EEEEZNS1_11reduce_implILb1ES3_NS6_12zip_iteratorINS7_INS6_11hip_rocprim26transform_input_iterator_tIbNSD_35transform_pair_of_input_iterators_tIbNS6_6detail15normal_iteratorINS6_10device_ptrIKjEEEESL_NS6_8equal_toIjEEEENSG_9not_fun_tINSD_8identityEEEEENSD_19counting_iterator_tIlEES8_S8_S8_S8_S8_S8_S8_S8_EEEEPS9_S9_NSD_9__find_if7functorIS9_EEEE10hipError_tPvRmT1_T2_T3_mT4_P12ihipStream_tbEUlT_E0_NS1_11comp_targetILNS1_3genE3ELNS1_11target_archE908ELNS1_3gpuE7ELNS1_3repE0EEENS1_30default_config_static_selectorELNS0_4arch9wavefront6targetE0EEEvS14_,"axG",@progbits,_ZN7rocprim17ROCPRIM_400000_NS6detail17trampoline_kernelINS0_14default_configENS1_22reduce_config_selectorIN6thrust23THRUST_200600_302600_NS5tupleIblNS6_9null_typeES8_S8_S8_S8_S8_S8_S8_EEEEZNS1_11reduce_implILb1ES3_NS6_12zip_iteratorINS7_INS6_11hip_rocprim26transform_input_iterator_tIbNSD_35transform_pair_of_input_iterators_tIbNS6_6detail15normal_iteratorINS6_10device_ptrIKjEEEESL_NS6_8equal_toIjEEEENSG_9not_fun_tINSD_8identityEEEEENSD_19counting_iterator_tIlEES8_S8_S8_S8_S8_S8_S8_S8_EEEEPS9_S9_NSD_9__find_if7functorIS9_EEEE10hipError_tPvRmT1_T2_T3_mT4_P12ihipStream_tbEUlT_E0_NS1_11comp_targetILNS1_3genE3ELNS1_11target_archE908ELNS1_3gpuE7ELNS1_3repE0EEENS1_30default_config_static_selectorELNS0_4arch9wavefront6targetE0EEEvS14_,comdat
.Lfunc_end814:
	.size	_ZN7rocprim17ROCPRIM_400000_NS6detail17trampoline_kernelINS0_14default_configENS1_22reduce_config_selectorIN6thrust23THRUST_200600_302600_NS5tupleIblNS6_9null_typeES8_S8_S8_S8_S8_S8_S8_EEEEZNS1_11reduce_implILb1ES3_NS6_12zip_iteratorINS7_INS6_11hip_rocprim26transform_input_iterator_tIbNSD_35transform_pair_of_input_iterators_tIbNS6_6detail15normal_iteratorINS6_10device_ptrIKjEEEESL_NS6_8equal_toIjEEEENSG_9not_fun_tINSD_8identityEEEEENSD_19counting_iterator_tIlEES8_S8_S8_S8_S8_S8_S8_S8_EEEEPS9_S9_NSD_9__find_if7functorIS9_EEEE10hipError_tPvRmT1_T2_T3_mT4_P12ihipStream_tbEUlT_E0_NS1_11comp_targetILNS1_3genE3ELNS1_11target_archE908ELNS1_3gpuE7ELNS1_3repE0EEENS1_30default_config_static_selectorELNS0_4arch9wavefront6targetE0EEEvS14_, .Lfunc_end814-_ZN7rocprim17ROCPRIM_400000_NS6detail17trampoline_kernelINS0_14default_configENS1_22reduce_config_selectorIN6thrust23THRUST_200600_302600_NS5tupleIblNS6_9null_typeES8_S8_S8_S8_S8_S8_S8_EEEEZNS1_11reduce_implILb1ES3_NS6_12zip_iteratorINS7_INS6_11hip_rocprim26transform_input_iterator_tIbNSD_35transform_pair_of_input_iterators_tIbNS6_6detail15normal_iteratorINS6_10device_ptrIKjEEEESL_NS6_8equal_toIjEEEENSG_9not_fun_tINSD_8identityEEEEENSD_19counting_iterator_tIlEES8_S8_S8_S8_S8_S8_S8_S8_EEEEPS9_S9_NSD_9__find_if7functorIS9_EEEE10hipError_tPvRmT1_T2_T3_mT4_P12ihipStream_tbEUlT_E0_NS1_11comp_targetILNS1_3genE3ELNS1_11target_archE908ELNS1_3gpuE7ELNS1_3repE0EEENS1_30default_config_static_selectorELNS0_4arch9wavefront6targetE0EEEvS14_
                                        ; -- End function
	.section	.AMDGPU.csdata,"",@progbits
; Kernel info:
; codeLenInByte = 0
; NumSgprs: 0
; NumVgprs: 0
; ScratchSize: 0
; MemoryBound: 0
; FloatMode: 240
; IeeeMode: 1
; LDSByteSize: 0 bytes/workgroup (compile time only)
; SGPRBlocks: 0
; VGPRBlocks: 0
; NumSGPRsForWavesPerEU: 1
; NumVGPRsForWavesPerEU: 1
; Occupancy: 16
; WaveLimiterHint : 0
; COMPUTE_PGM_RSRC2:SCRATCH_EN: 0
; COMPUTE_PGM_RSRC2:USER_SGPR: 15
; COMPUTE_PGM_RSRC2:TRAP_HANDLER: 0
; COMPUTE_PGM_RSRC2:TGID_X_EN: 1
; COMPUTE_PGM_RSRC2:TGID_Y_EN: 0
; COMPUTE_PGM_RSRC2:TGID_Z_EN: 0
; COMPUTE_PGM_RSRC2:TIDIG_COMP_CNT: 0
	.section	.text._ZN7rocprim17ROCPRIM_400000_NS6detail17trampoline_kernelINS0_14default_configENS1_22reduce_config_selectorIN6thrust23THRUST_200600_302600_NS5tupleIblNS6_9null_typeES8_S8_S8_S8_S8_S8_S8_EEEEZNS1_11reduce_implILb1ES3_NS6_12zip_iteratorINS7_INS6_11hip_rocprim26transform_input_iterator_tIbNSD_35transform_pair_of_input_iterators_tIbNS6_6detail15normal_iteratorINS6_10device_ptrIKjEEEESL_NS6_8equal_toIjEEEENSG_9not_fun_tINSD_8identityEEEEENSD_19counting_iterator_tIlEES8_S8_S8_S8_S8_S8_S8_S8_EEEEPS9_S9_NSD_9__find_if7functorIS9_EEEE10hipError_tPvRmT1_T2_T3_mT4_P12ihipStream_tbEUlT_E0_NS1_11comp_targetILNS1_3genE2ELNS1_11target_archE906ELNS1_3gpuE6ELNS1_3repE0EEENS1_30default_config_static_selectorELNS0_4arch9wavefront6targetE0EEEvS14_,"axG",@progbits,_ZN7rocprim17ROCPRIM_400000_NS6detail17trampoline_kernelINS0_14default_configENS1_22reduce_config_selectorIN6thrust23THRUST_200600_302600_NS5tupleIblNS6_9null_typeES8_S8_S8_S8_S8_S8_S8_EEEEZNS1_11reduce_implILb1ES3_NS6_12zip_iteratorINS7_INS6_11hip_rocprim26transform_input_iterator_tIbNSD_35transform_pair_of_input_iterators_tIbNS6_6detail15normal_iteratorINS6_10device_ptrIKjEEEESL_NS6_8equal_toIjEEEENSG_9not_fun_tINSD_8identityEEEEENSD_19counting_iterator_tIlEES8_S8_S8_S8_S8_S8_S8_S8_EEEEPS9_S9_NSD_9__find_if7functorIS9_EEEE10hipError_tPvRmT1_T2_T3_mT4_P12ihipStream_tbEUlT_E0_NS1_11comp_targetILNS1_3genE2ELNS1_11target_archE906ELNS1_3gpuE6ELNS1_3repE0EEENS1_30default_config_static_selectorELNS0_4arch9wavefront6targetE0EEEvS14_,comdat
	.protected	_ZN7rocprim17ROCPRIM_400000_NS6detail17trampoline_kernelINS0_14default_configENS1_22reduce_config_selectorIN6thrust23THRUST_200600_302600_NS5tupleIblNS6_9null_typeES8_S8_S8_S8_S8_S8_S8_EEEEZNS1_11reduce_implILb1ES3_NS6_12zip_iteratorINS7_INS6_11hip_rocprim26transform_input_iterator_tIbNSD_35transform_pair_of_input_iterators_tIbNS6_6detail15normal_iteratorINS6_10device_ptrIKjEEEESL_NS6_8equal_toIjEEEENSG_9not_fun_tINSD_8identityEEEEENSD_19counting_iterator_tIlEES8_S8_S8_S8_S8_S8_S8_S8_EEEEPS9_S9_NSD_9__find_if7functorIS9_EEEE10hipError_tPvRmT1_T2_T3_mT4_P12ihipStream_tbEUlT_E0_NS1_11comp_targetILNS1_3genE2ELNS1_11target_archE906ELNS1_3gpuE6ELNS1_3repE0EEENS1_30default_config_static_selectorELNS0_4arch9wavefront6targetE0EEEvS14_ ; -- Begin function _ZN7rocprim17ROCPRIM_400000_NS6detail17trampoline_kernelINS0_14default_configENS1_22reduce_config_selectorIN6thrust23THRUST_200600_302600_NS5tupleIblNS6_9null_typeES8_S8_S8_S8_S8_S8_S8_EEEEZNS1_11reduce_implILb1ES3_NS6_12zip_iteratorINS7_INS6_11hip_rocprim26transform_input_iterator_tIbNSD_35transform_pair_of_input_iterators_tIbNS6_6detail15normal_iteratorINS6_10device_ptrIKjEEEESL_NS6_8equal_toIjEEEENSG_9not_fun_tINSD_8identityEEEEENSD_19counting_iterator_tIlEES8_S8_S8_S8_S8_S8_S8_S8_EEEEPS9_S9_NSD_9__find_if7functorIS9_EEEE10hipError_tPvRmT1_T2_T3_mT4_P12ihipStream_tbEUlT_E0_NS1_11comp_targetILNS1_3genE2ELNS1_11target_archE906ELNS1_3gpuE6ELNS1_3repE0EEENS1_30default_config_static_selectorELNS0_4arch9wavefront6targetE0EEEvS14_
	.globl	_ZN7rocprim17ROCPRIM_400000_NS6detail17trampoline_kernelINS0_14default_configENS1_22reduce_config_selectorIN6thrust23THRUST_200600_302600_NS5tupleIblNS6_9null_typeES8_S8_S8_S8_S8_S8_S8_EEEEZNS1_11reduce_implILb1ES3_NS6_12zip_iteratorINS7_INS6_11hip_rocprim26transform_input_iterator_tIbNSD_35transform_pair_of_input_iterators_tIbNS6_6detail15normal_iteratorINS6_10device_ptrIKjEEEESL_NS6_8equal_toIjEEEENSG_9not_fun_tINSD_8identityEEEEENSD_19counting_iterator_tIlEES8_S8_S8_S8_S8_S8_S8_S8_EEEEPS9_S9_NSD_9__find_if7functorIS9_EEEE10hipError_tPvRmT1_T2_T3_mT4_P12ihipStream_tbEUlT_E0_NS1_11comp_targetILNS1_3genE2ELNS1_11target_archE906ELNS1_3gpuE6ELNS1_3repE0EEENS1_30default_config_static_selectorELNS0_4arch9wavefront6targetE0EEEvS14_
	.p2align	8
	.type	_ZN7rocprim17ROCPRIM_400000_NS6detail17trampoline_kernelINS0_14default_configENS1_22reduce_config_selectorIN6thrust23THRUST_200600_302600_NS5tupleIblNS6_9null_typeES8_S8_S8_S8_S8_S8_S8_EEEEZNS1_11reduce_implILb1ES3_NS6_12zip_iteratorINS7_INS6_11hip_rocprim26transform_input_iterator_tIbNSD_35transform_pair_of_input_iterators_tIbNS6_6detail15normal_iteratorINS6_10device_ptrIKjEEEESL_NS6_8equal_toIjEEEENSG_9not_fun_tINSD_8identityEEEEENSD_19counting_iterator_tIlEES8_S8_S8_S8_S8_S8_S8_S8_EEEEPS9_S9_NSD_9__find_if7functorIS9_EEEE10hipError_tPvRmT1_T2_T3_mT4_P12ihipStream_tbEUlT_E0_NS1_11comp_targetILNS1_3genE2ELNS1_11target_archE906ELNS1_3gpuE6ELNS1_3repE0EEENS1_30default_config_static_selectorELNS0_4arch9wavefront6targetE0EEEvS14_,@function
_ZN7rocprim17ROCPRIM_400000_NS6detail17trampoline_kernelINS0_14default_configENS1_22reduce_config_selectorIN6thrust23THRUST_200600_302600_NS5tupleIblNS6_9null_typeES8_S8_S8_S8_S8_S8_S8_EEEEZNS1_11reduce_implILb1ES3_NS6_12zip_iteratorINS7_INS6_11hip_rocprim26transform_input_iterator_tIbNSD_35transform_pair_of_input_iterators_tIbNS6_6detail15normal_iteratorINS6_10device_ptrIKjEEEESL_NS6_8equal_toIjEEEENSG_9not_fun_tINSD_8identityEEEEENSD_19counting_iterator_tIlEES8_S8_S8_S8_S8_S8_S8_S8_EEEEPS9_S9_NSD_9__find_if7functorIS9_EEEE10hipError_tPvRmT1_T2_T3_mT4_P12ihipStream_tbEUlT_E0_NS1_11comp_targetILNS1_3genE2ELNS1_11target_archE906ELNS1_3gpuE6ELNS1_3repE0EEENS1_30default_config_static_selectorELNS0_4arch9wavefront6targetE0EEEvS14_: ; @_ZN7rocprim17ROCPRIM_400000_NS6detail17trampoline_kernelINS0_14default_configENS1_22reduce_config_selectorIN6thrust23THRUST_200600_302600_NS5tupleIblNS6_9null_typeES8_S8_S8_S8_S8_S8_S8_EEEEZNS1_11reduce_implILb1ES3_NS6_12zip_iteratorINS7_INS6_11hip_rocprim26transform_input_iterator_tIbNSD_35transform_pair_of_input_iterators_tIbNS6_6detail15normal_iteratorINS6_10device_ptrIKjEEEESL_NS6_8equal_toIjEEEENSG_9not_fun_tINSD_8identityEEEEENSD_19counting_iterator_tIlEES8_S8_S8_S8_S8_S8_S8_S8_EEEEPS9_S9_NSD_9__find_if7functorIS9_EEEE10hipError_tPvRmT1_T2_T3_mT4_P12ihipStream_tbEUlT_E0_NS1_11comp_targetILNS1_3genE2ELNS1_11target_archE906ELNS1_3gpuE6ELNS1_3repE0EEENS1_30default_config_static_selectorELNS0_4arch9wavefront6targetE0EEEvS14_
; %bb.0:
	.section	.rodata,"a",@progbits
	.p2align	6, 0x0
	.amdhsa_kernel _ZN7rocprim17ROCPRIM_400000_NS6detail17trampoline_kernelINS0_14default_configENS1_22reduce_config_selectorIN6thrust23THRUST_200600_302600_NS5tupleIblNS6_9null_typeES8_S8_S8_S8_S8_S8_S8_EEEEZNS1_11reduce_implILb1ES3_NS6_12zip_iteratorINS7_INS6_11hip_rocprim26transform_input_iterator_tIbNSD_35transform_pair_of_input_iterators_tIbNS6_6detail15normal_iteratorINS6_10device_ptrIKjEEEESL_NS6_8equal_toIjEEEENSG_9not_fun_tINSD_8identityEEEEENSD_19counting_iterator_tIlEES8_S8_S8_S8_S8_S8_S8_S8_EEEEPS9_S9_NSD_9__find_if7functorIS9_EEEE10hipError_tPvRmT1_T2_T3_mT4_P12ihipStream_tbEUlT_E0_NS1_11comp_targetILNS1_3genE2ELNS1_11target_archE906ELNS1_3gpuE6ELNS1_3repE0EEENS1_30default_config_static_selectorELNS0_4arch9wavefront6targetE0EEEvS14_
		.amdhsa_group_segment_fixed_size 0
		.amdhsa_private_segment_fixed_size 0
		.amdhsa_kernarg_size 104
		.amdhsa_user_sgpr_count 15
		.amdhsa_user_sgpr_dispatch_ptr 0
		.amdhsa_user_sgpr_queue_ptr 0
		.amdhsa_user_sgpr_kernarg_segment_ptr 1
		.amdhsa_user_sgpr_dispatch_id 0
		.amdhsa_user_sgpr_private_segment_size 0
		.amdhsa_wavefront_size32 1
		.amdhsa_uses_dynamic_stack 0
		.amdhsa_enable_private_segment 0
		.amdhsa_system_sgpr_workgroup_id_x 1
		.amdhsa_system_sgpr_workgroup_id_y 0
		.amdhsa_system_sgpr_workgroup_id_z 0
		.amdhsa_system_sgpr_workgroup_info 0
		.amdhsa_system_vgpr_workitem_id 0
		.amdhsa_next_free_vgpr 1
		.amdhsa_next_free_sgpr 1
		.amdhsa_reserve_vcc 0
		.amdhsa_float_round_mode_32 0
		.amdhsa_float_round_mode_16_64 0
		.amdhsa_float_denorm_mode_32 3
		.amdhsa_float_denorm_mode_16_64 3
		.amdhsa_dx10_clamp 1
		.amdhsa_ieee_mode 1
		.amdhsa_fp16_overflow 0
		.amdhsa_workgroup_processor_mode 1
		.amdhsa_memory_ordered 1
		.amdhsa_forward_progress 0
		.amdhsa_shared_vgpr_count 0
		.amdhsa_exception_fp_ieee_invalid_op 0
		.amdhsa_exception_fp_denorm_src 0
		.amdhsa_exception_fp_ieee_div_zero 0
		.amdhsa_exception_fp_ieee_overflow 0
		.amdhsa_exception_fp_ieee_underflow 0
		.amdhsa_exception_fp_ieee_inexact 0
		.amdhsa_exception_int_div_zero 0
	.end_amdhsa_kernel
	.section	.text._ZN7rocprim17ROCPRIM_400000_NS6detail17trampoline_kernelINS0_14default_configENS1_22reduce_config_selectorIN6thrust23THRUST_200600_302600_NS5tupleIblNS6_9null_typeES8_S8_S8_S8_S8_S8_S8_EEEEZNS1_11reduce_implILb1ES3_NS6_12zip_iteratorINS7_INS6_11hip_rocprim26transform_input_iterator_tIbNSD_35transform_pair_of_input_iterators_tIbNS6_6detail15normal_iteratorINS6_10device_ptrIKjEEEESL_NS6_8equal_toIjEEEENSG_9not_fun_tINSD_8identityEEEEENSD_19counting_iterator_tIlEES8_S8_S8_S8_S8_S8_S8_S8_EEEEPS9_S9_NSD_9__find_if7functorIS9_EEEE10hipError_tPvRmT1_T2_T3_mT4_P12ihipStream_tbEUlT_E0_NS1_11comp_targetILNS1_3genE2ELNS1_11target_archE906ELNS1_3gpuE6ELNS1_3repE0EEENS1_30default_config_static_selectorELNS0_4arch9wavefront6targetE0EEEvS14_,"axG",@progbits,_ZN7rocprim17ROCPRIM_400000_NS6detail17trampoline_kernelINS0_14default_configENS1_22reduce_config_selectorIN6thrust23THRUST_200600_302600_NS5tupleIblNS6_9null_typeES8_S8_S8_S8_S8_S8_S8_EEEEZNS1_11reduce_implILb1ES3_NS6_12zip_iteratorINS7_INS6_11hip_rocprim26transform_input_iterator_tIbNSD_35transform_pair_of_input_iterators_tIbNS6_6detail15normal_iteratorINS6_10device_ptrIKjEEEESL_NS6_8equal_toIjEEEENSG_9not_fun_tINSD_8identityEEEEENSD_19counting_iterator_tIlEES8_S8_S8_S8_S8_S8_S8_S8_EEEEPS9_S9_NSD_9__find_if7functorIS9_EEEE10hipError_tPvRmT1_T2_T3_mT4_P12ihipStream_tbEUlT_E0_NS1_11comp_targetILNS1_3genE2ELNS1_11target_archE906ELNS1_3gpuE6ELNS1_3repE0EEENS1_30default_config_static_selectorELNS0_4arch9wavefront6targetE0EEEvS14_,comdat
.Lfunc_end815:
	.size	_ZN7rocprim17ROCPRIM_400000_NS6detail17trampoline_kernelINS0_14default_configENS1_22reduce_config_selectorIN6thrust23THRUST_200600_302600_NS5tupleIblNS6_9null_typeES8_S8_S8_S8_S8_S8_S8_EEEEZNS1_11reduce_implILb1ES3_NS6_12zip_iteratorINS7_INS6_11hip_rocprim26transform_input_iterator_tIbNSD_35transform_pair_of_input_iterators_tIbNS6_6detail15normal_iteratorINS6_10device_ptrIKjEEEESL_NS6_8equal_toIjEEEENSG_9not_fun_tINSD_8identityEEEEENSD_19counting_iterator_tIlEES8_S8_S8_S8_S8_S8_S8_S8_EEEEPS9_S9_NSD_9__find_if7functorIS9_EEEE10hipError_tPvRmT1_T2_T3_mT4_P12ihipStream_tbEUlT_E0_NS1_11comp_targetILNS1_3genE2ELNS1_11target_archE906ELNS1_3gpuE6ELNS1_3repE0EEENS1_30default_config_static_selectorELNS0_4arch9wavefront6targetE0EEEvS14_, .Lfunc_end815-_ZN7rocprim17ROCPRIM_400000_NS6detail17trampoline_kernelINS0_14default_configENS1_22reduce_config_selectorIN6thrust23THRUST_200600_302600_NS5tupleIblNS6_9null_typeES8_S8_S8_S8_S8_S8_S8_EEEEZNS1_11reduce_implILb1ES3_NS6_12zip_iteratorINS7_INS6_11hip_rocprim26transform_input_iterator_tIbNSD_35transform_pair_of_input_iterators_tIbNS6_6detail15normal_iteratorINS6_10device_ptrIKjEEEESL_NS6_8equal_toIjEEEENSG_9not_fun_tINSD_8identityEEEEENSD_19counting_iterator_tIlEES8_S8_S8_S8_S8_S8_S8_S8_EEEEPS9_S9_NSD_9__find_if7functorIS9_EEEE10hipError_tPvRmT1_T2_T3_mT4_P12ihipStream_tbEUlT_E0_NS1_11comp_targetILNS1_3genE2ELNS1_11target_archE906ELNS1_3gpuE6ELNS1_3repE0EEENS1_30default_config_static_selectorELNS0_4arch9wavefront6targetE0EEEvS14_
                                        ; -- End function
	.section	.AMDGPU.csdata,"",@progbits
; Kernel info:
; codeLenInByte = 0
; NumSgprs: 0
; NumVgprs: 0
; ScratchSize: 0
; MemoryBound: 0
; FloatMode: 240
; IeeeMode: 1
; LDSByteSize: 0 bytes/workgroup (compile time only)
; SGPRBlocks: 0
; VGPRBlocks: 0
; NumSGPRsForWavesPerEU: 1
; NumVGPRsForWavesPerEU: 1
; Occupancy: 16
; WaveLimiterHint : 0
; COMPUTE_PGM_RSRC2:SCRATCH_EN: 0
; COMPUTE_PGM_RSRC2:USER_SGPR: 15
; COMPUTE_PGM_RSRC2:TRAP_HANDLER: 0
; COMPUTE_PGM_RSRC2:TGID_X_EN: 1
; COMPUTE_PGM_RSRC2:TGID_Y_EN: 0
; COMPUTE_PGM_RSRC2:TGID_Z_EN: 0
; COMPUTE_PGM_RSRC2:TIDIG_COMP_CNT: 0
	.section	.text._ZN7rocprim17ROCPRIM_400000_NS6detail17trampoline_kernelINS0_14default_configENS1_22reduce_config_selectorIN6thrust23THRUST_200600_302600_NS5tupleIblNS6_9null_typeES8_S8_S8_S8_S8_S8_S8_EEEEZNS1_11reduce_implILb1ES3_NS6_12zip_iteratorINS7_INS6_11hip_rocprim26transform_input_iterator_tIbNSD_35transform_pair_of_input_iterators_tIbNS6_6detail15normal_iteratorINS6_10device_ptrIKjEEEESL_NS6_8equal_toIjEEEENSG_9not_fun_tINSD_8identityEEEEENSD_19counting_iterator_tIlEES8_S8_S8_S8_S8_S8_S8_S8_EEEEPS9_S9_NSD_9__find_if7functorIS9_EEEE10hipError_tPvRmT1_T2_T3_mT4_P12ihipStream_tbEUlT_E0_NS1_11comp_targetILNS1_3genE10ELNS1_11target_archE1201ELNS1_3gpuE5ELNS1_3repE0EEENS1_30default_config_static_selectorELNS0_4arch9wavefront6targetE0EEEvS14_,"axG",@progbits,_ZN7rocprim17ROCPRIM_400000_NS6detail17trampoline_kernelINS0_14default_configENS1_22reduce_config_selectorIN6thrust23THRUST_200600_302600_NS5tupleIblNS6_9null_typeES8_S8_S8_S8_S8_S8_S8_EEEEZNS1_11reduce_implILb1ES3_NS6_12zip_iteratorINS7_INS6_11hip_rocprim26transform_input_iterator_tIbNSD_35transform_pair_of_input_iterators_tIbNS6_6detail15normal_iteratorINS6_10device_ptrIKjEEEESL_NS6_8equal_toIjEEEENSG_9not_fun_tINSD_8identityEEEEENSD_19counting_iterator_tIlEES8_S8_S8_S8_S8_S8_S8_S8_EEEEPS9_S9_NSD_9__find_if7functorIS9_EEEE10hipError_tPvRmT1_T2_T3_mT4_P12ihipStream_tbEUlT_E0_NS1_11comp_targetILNS1_3genE10ELNS1_11target_archE1201ELNS1_3gpuE5ELNS1_3repE0EEENS1_30default_config_static_selectorELNS0_4arch9wavefront6targetE0EEEvS14_,comdat
	.protected	_ZN7rocprim17ROCPRIM_400000_NS6detail17trampoline_kernelINS0_14default_configENS1_22reduce_config_selectorIN6thrust23THRUST_200600_302600_NS5tupleIblNS6_9null_typeES8_S8_S8_S8_S8_S8_S8_EEEEZNS1_11reduce_implILb1ES3_NS6_12zip_iteratorINS7_INS6_11hip_rocprim26transform_input_iterator_tIbNSD_35transform_pair_of_input_iterators_tIbNS6_6detail15normal_iteratorINS6_10device_ptrIKjEEEESL_NS6_8equal_toIjEEEENSG_9not_fun_tINSD_8identityEEEEENSD_19counting_iterator_tIlEES8_S8_S8_S8_S8_S8_S8_S8_EEEEPS9_S9_NSD_9__find_if7functorIS9_EEEE10hipError_tPvRmT1_T2_T3_mT4_P12ihipStream_tbEUlT_E0_NS1_11comp_targetILNS1_3genE10ELNS1_11target_archE1201ELNS1_3gpuE5ELNS1_3repE0EEENS1_30default_config_static_selectorELNS0_4arch9wavefront6targetE0EEEvS14_ ; -- Begin function _ZN7rocprim17ROCPRIM_400000_NS6detail17trampoline_kernelINS0_14default_configENS1_22reduce_config_selectorIN6thrust23THRUST_200600_302600_NS5tupleIblNS6_9null_typeES8_S8_S8_S8_S8_S8_S8_EEEEZNS1_11reduce_implILb1ES3_NS6_12zip_iteratorINS7_INS6_11hip_rocprim26transform_input_iterator_tIbNSD_35transform_pair_of_input_iterators_tIbNS6_6detail15normal_iteratorINS6_10device_ptrIKjEEEESL_NS6_8equal_toIjEEEENSG_9not_fun_tINSD_8identityEEEEENSD_19counting_iterator_tIlEES8_S8_S8_S8_S8_S8_S8_S8_EEEEPS9_S9_NSD_9__find_if7functorIS9_EEEE10hipError_tPvRmT1_T2_T3_mT4_P12ihipStream_tbEUlT_E0_NS1_11comp_targetILNS1_3genE10ELNS1_11target_archE1201ELNS1_3gpuE5ELNS1_3repE0EEENS1_30default_config_static_selectorELNS0_4arch9wavefront6targetE0EEEvS14_
	.globl	_ZN7rocprim17ROCPRIM_400000_NS6detail17trampoline_kernelINS0_14default_configENS1_22reduce_config_selectorIN6thrust23THRUST_200600_302600_NS5tupleIblNS6_9null_typeES8_S8_S8_S8_S8_S8_S8_EEEEZNS1_11reduce_implILb1ES3_NS6_12zip_iteratorINS7_INS6_11hip_rocprim26transform_input_iterator_tIbNSD_35transform_pair_of_input_iterators_tIbNS6_6detail15normal_iteratorINS6_10device_ptrIKjEEEESL_NS6_8equal_toIjEEEENSG_9not_fun_tINSD_8identityEEEEENSD_19counting_iterator_tIlEES8_S8_S8_S8_S8_S8_S8_S8_EEEEPS9_S9_NSD_9__find_if7functorIS9_EEEE10hipError_tPvRmT1_T2_T3_mT4_P12ihipStream_tbEUlT_E0_NS1_11comp_targetILNS1_3genE10ELNS1_11target_archE1201ELNS1_3gpuE5ELNS1_3repE0EEENS1_30default_config_static_selectorELNS0_4arch9wavefront6targetE0EEEvS14_
	.p2align	8
	.type	_ZN7rocprim17ROCPRIM_400000_NS6detail17trampoline_kernelINS0_14default_configENS1_22reduce_config_selectorIN6thrust23THRUST_200600_302600_NS5tupleIblNS6_9null_typeES8_S8_S8_S8_S8_S8_S8_EEEEZNS1_11reduce_implILb1ES3_NS6_12zip_iteratorINS7_INS6_11hip_rocprim26transform_input_iterator_tIbNSD_35transform_pair_of_input_iterators_tIbNS6_6detail15normal_iteratorINS6_10device_ptrIKjEEEESL_NS6_8equal_toIjEEEENSG_9not_fun_tINSD_8identityEEEEENSD_19counting_iterator_tIlEES8_S8_S8_S8_S8_S8_S8_S8_EEEEPS9_S9_NSD_9__find_if7functorIS9_EEEE10hipError_tPvRmT1_T2_T3_mT4_P12ihipStream_tbEUlT_E0_NS1_11comp_targetILNS1_3genE10ELNS1_11target_archE1201ELNS1_3gpuE5ELNS1_3repE0EEENS1_30default_config_static_selectorELNS0_4arch9wavefront6targetE0EEEvS14_,@function
_ZN7rocprim17ROCPRIM_400000_NS6detail17trampoline_kernelINS0_14default_configENS1_22reduce_config_selectorIN6thrust23THRUST_200600_302600_NS5tupleIblNS6_9null_typeES8_S8_S8_S8_S8_S8_S8_EEEEZNS1_11reduce_implILb1ES3_NS6_12zip_iteratorINS7_INS6_11hip_rocprim26transform_input_iterator_tIbNSD_35transform_pair_of_input_iterators_tIbNS6_6detail15normal_iteratorINS6_10device_ptrIKjEEEESL_NS6_8equal_toIjEEEENSG_9not_fun_tINSD_8identityEEEEENSD_19counting_iterator_tIlEES8_S8_S8_S8_S8_S8_S8_S8_EEEEPS9_S9_NSD_9__find_if7functorIS9_EEEE10hipError_tPvRmT1_T2_T3_mT4_P12ihipStream_tbEUlT_E0_NS1_11comp_targetILNS1_3genE10ELNS1_11target_archE1201ELNS1_3gpuE5ELNS1_3repE0EEENS1_30default_config_static_selectorELNS0_4arch9wavefront6targetE0EEEvS14_: ; @_ZN7rocprim17ROCPRIM_400000_NS6detail17trampoline_kernelINS0_14default_configENS1_22reduce_config_selectorIN6thrust23THRUST_200600_302600_NS5tupleIblNS6_9null_typeES8_S8_S8_S8_S8_S8_S8_EEEEZNS1_11reduce_implILb1ES3_NS6_12zip_iteratorINS7_INS6_11hip_rocprim26transform_input_iterator_tIbNSD_35transform_pair_of_input_iterators_tIbNS6_6detail15normal_iteratorINS6_10device_ptrIKjEEEESL_NS6_8equal_toIjEEEENSG_9not_fun_tINSD_8identityEEEEENSD_19counting_iterator_tIlEES8_S8_S8_S8_S8_S8_S8_S8_EEEEPS9_S9_NSD_9__find_if7functorIS9_EEEE10hipError_tPvRmT1_T2_T3_mT4_P12ihipStream_tbEUlT_E0_NS1_11comp_targetILNS1_3genE10ELNS1_11target_archE1201ELNS1_3gpuE5ELNS1_3repE0EEENS1_30default_config_static_selectorELNS0_4arch9wavefront6targetE0EEEvS14_
; %bb.0:
	.section	.rodata,"a",@progbits
	.p2align	6, 0x0
	.amdhsa_kernel _ZN7rocprim17ROCPRIM_400000_NS6detail17trampoline_kernelINS0_14default_configENS1_22reduce_config_selectorIN6thrust23THRUST_200600_302600_NS5tupleIblNS6_9null_typeES8_S8_S8_S8_S8_S8_S8_EEEEZNS1_11reduce_implILb1ES3_NS6_12zip_iteratorINS7_INS6_11hip_rocprim26transform_input_iterator_tIbNSD_35transform_pair_of_input_iterators_tIbNS6_6detail15normal_iteratorINS6_10device_ptrIKjEEEESL_NS6_8equal_toIjEEEENSG_9not_fun_tINSD_8identityEEEEENSD_19counting_iterator_tIlEES8_S8_S8_S8_S8_S8_S8_S8_EEEEPS9_S9_NSD_9__find_if7functorIS9_EEEE10hipError_tPvRmT1_T2_T3_mT4_P12ihipStream_tbEUlT_E0_NS1_11comp_targetILNS1_3genE10ELNS1_11target_archE1201ELNS1_3gpuE5ELNS1_3repE0EEENS1_30default_config_static_selectorELNS0_4arch9wavefront6targetE0EEEvS14_
		.amdhsa_group_segment_fixed_size 0
		.amdhsa_private_segment_fixed_size 0
		.amdhsa_kernarg_size 104
		.amdhsa_user_sgpr_count 15
		.amdhsa_user_sgpr_dispatch_ptr 0
		.amdhsa_user_sgpr_queue_ptr 0
		.amdhsa_user_sgpr_kernarg_segment_ptr 1
		.amdhsa_user_sgpr_dispatch_id 0
		.amdhsa_user_sgpr_private_segment_size 0
		.amdhsa_wavefront_size32 1
		.amdhsa_uses_dynamic_stack 0
		.amdhsa_enable_private_segment 0
		.amdhsa_system_sgpr_workgroup_id_x 1
		.amdhsa_system_sgpr_workgroup_id_y 0
		.amdhsa_system_sgpr_workgroup_id_z 0
		.amdhsa_system_sgpr_workgroup_info 0
		.amdhsa_system_vgpr_workitem_id 0
		.amdhsa_next_free_vgpr 1
		.amdhsa_next_free_sgpr 1
		.amdhsa_reserve_vcc 0
		.amdhsa_float_round_mode_32 0
		.amdhsa_float_round_mode_16_64 0
		.amdhsa_float_denorm_mode_32 3
		.amdhsa_float_denorm_mode_16_64 3
		.amdhsa_dx10_clamp 1
		.amdhsa_ieee_mode 1
		.amdhsa_fp16_overflow 0
		.amdhsa_workgroup_processor_mode 1
		.amdhsa_memory_ordered 1
		.amdhsa_forward_progress 0
		.amdhsa_shared_vgpr_count 0
		.amdhsa_exception_fp_ieee_invalid_op 0
		.amdhsa_exception_fp_denorm_src 0
		.amdhsa_exception_fp_ieee_div_zero 0
		.amdhsa_exception_fp_ieee_overflow 0
		.amdhsa_exception_fp_ieee_underflow 0
		.amdhsa_exception_fp_ieee_inexact 0
		.amdhsa_exception_int_div_zero 0
	.end_amdhsa_kernel
	.section	.text._ZN7rocprim17ROCPRIM_400000_NS6detail17trampoline_kernelINS0_14default_configENS1_22reduce_config_selectorIN6thrust23THRUST_200600_302600_NS5tupleIblNS6_9null_typeES8_S8_S8_S8_S8_S8_S8_EEEEZNS1_11reduce_implILb1ES3_NS6_12zip_iteratorINS7_INS6_11hip_rocprim26transform_input_iterator_tIbNSD_35transform_pair_of_input_iterators_tIbNS6_6detail15normal_iteratorINS6_10device_ptrIKjEEEESL_NS6_8equal_toIjEEEENSG_9not_fun_tINSD_8identityEEEEENSD_19counting_iterator_tIlEES8_S8_S8_S8_S8_S8_S8_S8_EEEEPS9_S9_NSD_9__find_if7functorIS9_EEEE10hipError_tPvRmT1_T2_T3_mT4_P12ihipStream_tbEUlT_E0_NS1_11comp_targetILNS1_3genE10ELNS1_11target_archE1201ELNS1_3gpuE5ELNS1_3repE0EEENS1_30default_config_static_selectorELNS0_4arch9wavefront6targetE0EEEvS14_,"axG",@progbits,_ZN7rocprim17ROCPRIM_400000_NS6detail17trampoline_kernelINS0_14default_configENS1_22reduce_config_selectorIN6thrust23THRUST_200600_302600_NS5tupleIblNS6_9null_typeES8_S8_S8_S8_S8_S8_S8_EEEEZNS1_11reduce_implILb1ES3_NS6_12zip_iteratorINS7_INS6_11hip_rocprim26transform_input_iterator_tIbNSD_35transform_pair_of_input_iterators_tIbNS6_6detail15normal_iteratorINS6_10device_ptrIKjEEEESL_NS6_8equal_toIjEEEENSG_9not_fun_tINSD_8identityEEEEENSD_19counting_iterator_tIlEES8_S8_S8_S8_S8_S8_S8_S8_EEEEPS9_S9_NSD_9__find_if7functorIS9_EEEE10hipError_tPvRmT1_T2_T3_mT4_P12ihipStream_tbEUlT_E0_NS1_11comp_targetILNS1_3genE10ELNS1_11target_archE1201ELNS1_3gpuE5ELNS1_3repE0EEENS1_30default_config_static_selectorELNS0_4arch9wavefront6targetE0EEEvS14_,comdat
.Lfunc_end816:
	.size	_ZN7rocprim17ROCPRIM_400000_NS6detail17trampoline_kernelINS0_14default_configENS1_22reduce_config_selectorIN6thrust23THRUST_200600_302600_NS5tupleIblNS6_9null_typeES8_S8_S8_S8_S8_S8_S8_EEEEZNS1_11reduce_implILb1ES3_NS6_12zip_iteratorINS7_INS6_11hip_rocprim26transform_input_iterator_tIbNSD_35transform_pair_of_input_iterators_tIbNS6_6detail15normal_iteratorINS6_10device_ptrIKjEEEESL_NS6_8equal_toIjEEEENSG_9not_fun_tINSD_8identityEEEEENSD_19counting_iterator_tIlEES8_S8_S8_S8_S8_S8_S8_S8_EEEEPS9_S9_NSD_9__find_if7functorIS9_EEEE10hipError_tPvRmT1_T2_T3_mT4_P12ihipStream_tbEUlT_E0_NS1_11comp_targetILNS1_3genE10ELNS1_11target_archE1201ELNS1_3gpuE5ELNS1_3repE0EEENS1_30default_config_static_selectorELNS0_4arch9wavefront6targetE0EEEvS14_, .Lfunc_end816-_ZN7rocprim17ROCPRIM_400000_NS6detail17trampoline_kernelINS0_14default_configENS1_22reduce_config_selectorIN6thrust23THRUST_200600_302600_NS5tupleIblNS6_9null_typeES8_S8_S8_S8_S8_S8_S8_EEEEZNS1_11reduce_implILb1ES3_NS6_12zip_iteratorINS7_INS6_11hip_rocprim26transform_input_iterator_tIbNSD_35transform_pair_of_input_iterators_tIbNS6_6detail15normal_iteratorINS6_10device_ptrIKjEEEESL_NS6_8equal_toIjEEEENSG_9not_fun_tINSD_8identityEEEEENSD_19counting_iterator_tIlEES8_S8_S8_S8_S8_S8_S8_S8_EEEEPS9_S9_NSD_9__find_if7functorIS9_EEEE10hipError_tPvRmT1_T2_T3_mT4_P12ihipStream_tbEUlT_E0_NS1_11comp_targetILNS1_3genE10ELNS1_11target_archE1201ELNS1_3gpuE5ELNS1_3repE0EEENS1_30default_config_static_selectorELNS0_4arch9wavefront6targetE0EEEvS14_
                                        ; -- End function
	.section	.AMDGPU.csdata,"",@progbits
; Kernel info:
; codeLenInByte = 0
; NumSgprs: 0
; NumVgprs: 0
; ScratchSize: 0
; MemoryBound: 0
; FloatMode: 240
; IeeeMode: 1
; LDSByteSize: 0 bytes/workgroup (compile time only)
; SGPRBlocks: 0
; VGPRBlocks: 0
; NumSGPRsForWavesPerEU: 1
; NumVGPRsForWavesPerEU: 1
; Occupancy: 16
; WaveLimiterHint : 0
; COMPUTE_PGM_RSRC2:SCRATCH_EN: 0
; COMPUTE_PGM_RSRC2:USER_SGPR: 15
; COMPUTE_PGM_RSRC2:TRAP_HANDLER: 0
; COMPUTE_PGM_RSRC2:TGID_X_EN: 1
; COMPUTE_PGM_RSRC2:TGID_Y_EN: 0
; COMPUTE_PGM_RSRC2:TGID_Z_EN: 0
; COMPUTE_PGM_RSRC2:TIDIG_COMP_CNT: 0
	.section	.text._ZN7rocprim17ROCPRIM_400000_NS6detail17trampoline_kernelINS0_14default_configENS1_22reduce_config_selectorIN6thrust23THRUST_200600_302600_NS5tupleIblNS6_9null_typeES8_S8_S8_S8_S8_S8_S8_EEEEZNS1_11reduce_implILb1ES3_NS6_12zip_iteratorINS7_INS6_11hip_rocprim26transform_input_iterator_tIbNSD_35transform_pair_of_input_iterators_tIbNS6_6detail15normal_iteratorINS6_10device_ptrIKjEEEESL_NS6_8equal_toIjEEEENSG_9not_fun_tINSD_8identityEEEEENSD_19counting_iterator_tIlEES8_S8_S8_S8_S8_S8_S8_S8_EEEEPS9_S9_NSD_9__find_if7functorIS9_EEEE10hipError_tPvRmT1_T2_T3_mT4_P12ihipStream_tbEUlT_E0_NS1_11comp_targetILNS1_3genE10ELNS1_11target_archE1200ELNS1_3gpuE4ELNS1_3repE0EEENS1_30default_config_static_selectorELNS0_4arch9wavefront6targetE0EEEvS14_,"axG",@progbits,_ZN7rocprim17ROCPRIM_400000_NS6detail17trampoline_kernelINS0_14default_configENS1_22reduce_config_selectorIN6thrust23THRUST_200600_302600_NS5tupleIblNS6_9null_typeES8_S8_S8_S8_S8_S8_S8_EEEEZNS1_11reduce_implILb1ES3_NS6_12zip_iteratorINS7_INS6_11hip_rocprim26transform_input_iterator_tIbNSD_35transform_pair_of_input_iterators_tIbNS6_6detail15normal_iteratorINS6_10device_ptrIKjEEEESL_NS6_8equal_toIjEEEENSG_9not_fun_tINSD_8identityEEEEENSD_19counting_iterator_tIlEES8_S8_S8_S8_S8_S8_S8_S8_EEEEPS9_S9_NSD_9__find_if7functorIS9_EEEE10hipError_tPvRmT1_T2_T3_mT4_P12ihipStream_tbEUlT_E0_NS1_11comp_targetILNS1_3genE10ELNS1_11target_archE1200ELNS1_3gpuE4ELNS1_3repE0EEENS1_30default_config_static_selectorELNS0_4arch9wavefront6targetE0EEEvS14_,comdat
	.protected	_ZN7rocprim17ROCPRIM_400000_NS6detail17trampoline_kernelINS0_14default_configENS1_22reduce_config_selectorIN6thrust23THRUST_200600_302600_NS5tupleIblNS6_9null_typeES8_S8_S8_S8_S8_S8_S8_EEEEZNS1_11reduce_implILb1ES3_NS6_12zip_iteratorINS7_INS6_11hip_rocprim26transform_input_iterator_tIbNSD_35transform_pair_of_input_iterators_tIbNS6_6detail15normal_iteratorINS6_10device_ptrIKjEEEESL_NS6_8equal_toIjEEEENSG_9not_fun_tINSD_8identityEEEEENSD_19counting_iterator_tIlEES8_S8_S8_S8_S8_S8_S8_S8_EEEEPS9_S9_NSD_9__find_if7functorIS9_EEEE10hipError_tPvRmT1_T2_T3_mT4_P12ihipStream_tbEUlT_E0_NS1_11comp_targetILNS1_3genE10ELNS1_11target_archE1200ELNS1_3gpuE4ELNS1_3repE0EEENS1_30default_config_static_selectorELNS0_4arch9wavefront6targetE0EEEvS14_ ; -- Begin function _ZN7rocprim17ROCPRIM_400000_NS6detail17trampoline_kernelINS0_14default_configENS1_22reduce_config_selectorIN6thrust23THRUST_200600_302600_NS5tupleIblNS6_9null_typeES8_S8_S8_S8_S8_S8_S8_EEEEZNS1_11reduce_implILb1ES3_NS6_12zip_iteratorINS7_INS6_11hip_rocprim26transform_input_iterator_tIbNSD_35transform_pair_of_input_iterators_tIbNS6_6detail15normal_iteratorINS6_10device_ptrIKjEEEESL_NS6_8equal_toIjEEEENSG_9not_fun_tINSD_8identityEEEEENSD_19counting_iterator_tIlEES8_S8_S8_S8_S8_S8_S8_S8_EEEEPS9_S9_NSD_9__find_if7functorIS9_EEEE10hipError_tPvRmT1_T2_T3_mT4_P12ihipStream_tbEUlT_E0_NS1_11comp_targetILNS1_3genE10ELNS1_11target_archE1200ELNS1_3gpuE4ELNS1_3repE0EEENS1_30default_config_static_selectorELNS0_4arch9wavefront6targetE0EEEvS14_
	.globl	_ZN7rocprim17ROCPRIM_400000_NS6detail17trampoline_kernelINS0_14default_configENS1_22reduce_config_selectorIN6thrust23THRUST_200600_302600_NS5tupleIblNS6_9null_typeES8_S8_S8_S8_S8_S8_S8_EEEEZNS1_11reduce_implILb1ES3_NS6_12zip_iteratorINS7_INS6_11hip_rocprim26transform_input_iterator_tIbNSD_35transform_pair_of_input_iterators_tIbNS6_6detail15normal_iteratorINS6_10device_ptrIKjEEEESL_NS6_8equal_toIjEEEENSG_9not_fun_tINSD_8identityEEEEENSD_19counting_iterator_tIlEES8_S8_S8_S8_S8_S8_S8_S8_EEEEPS9_S9_NSD_9__find_if7functorIS9_EEEE10hipError_tPvRmT1_T2_T3_mT4_P12ihipStream_tbEUlT_E0_NS1_11comp_targetILNS1_3genE10ELNS1_11target_archE1200ELNS1_3gpuE4ELNS1_3repE0EEENS1_30default_config_static_selectorELNS0_4arch9wavefront6targetE0EEEvS14_
	.p2align	8
	.type	_ZN7rocprim17ROCPRIM_400000_NS6detail17trampoline_kernelINS0_14default_configENS1_22reduce_config_selectorIN6thrust23THRUST_200600_302600_NS5tupleIblNS6_9null_typeES8_S8_S8_S8_S8_S8_S8_EEEEZNS1_11reduce_implILb1ES3_NS6_12zip_iteratorINS7_INS6_11hip_rocprim26transform_input_iterator_tIbNSD_35transform_pair_of_input_iterators_tIbNS6_6detail15normal_iteratorINS6_10device_ptrIKjEEEESL_NS6_8equal_toIjEEEENSG_9not_fun_tINSD_8identityEEEEENSD_19counting_iterator_tIlEES8_S8_S8_S8_S8_S8_S8_S8_EEEEPS9_S9_NSD_9__find_if7functorIS9_EEEE10hipError_tPvRmT1_T2_T3_mT4_P12ihipStream_tbEUlT_E0_NS1_11comp_targetILNS1_3genE10ELNS1_11target_archE1200ELNS1_3gpuE4ELNS1_3repE0EEENS1_30default_config_static_selectorELNS0_4arch9wavefront6targetE0EEEvS14_,@function
_ZN7rocprim17ROCPRIM_400000_NS6detail17trampoline_kernelINS0_14default_configENS1_22reduce_config_selectorIN6thrust23THRUST_200600_302600_NS5tupleIblNS6_9null_typeES8_S8_S8_S8_S8_S8_S8_EEEEZNS1_11reduce_implILb1ES3_NS6_12zip_iteratorINS7_INS6_11hip_rocprim26transform_input_iterator_tIbNSD_35transform_pair_of_input_iterators_tIbNS6_6detail15normal_iteratorINS6_10device_ptrIKjEEEESL_NS6_8equal_toIjEEEENSG_9not_fun_tINSD_8identityEEEEENSD_19counting_iterator_tIlEES8_S8_S8_S8_S8_S8_S8_S8_EEEEPS9_S9_NSD_9__find_if7functorIS9_EEEE10hipError_tPvRmT1_T2_T3_mT4_P12ihipStream_tbEUlT_E0_NS1_11comp_targetILNS1_3genE10ELNS1_11target_archE1200ELNS1_3gpuE4ELNS1_3repE0EEENS1_30default_config_static_selectorELNS0_4arch9wavefront6targetE0EEEvS14_: ; @_ZN7rocprim17ROCPRIM_400000_NS6detail17trampoline_kernelINS0_14default_configENS1_22reduce_config_selectorIN6thrust23THRUST_200600_302600_NS5tupleIblNS6_9null_typeES8_S8_S8_S8_S8_S8_S8_EEEEZNS1_11reduce_implILb1ES3_NS6_12zip_iteratorINS7_INS6_11hip_rocprim26transform_input_iterator_tIbNSD_35transform_pair_of_input_iterators_tIbNS6_6detail15normal_iteratorINS6_10device_ptrIKjEEEESL_NS6_8equal_toIjEEEENSG_9not_fun_tINSD_8identityEEEEENSD_19counting_iterator_tIlEES8_S8_S8_S8_S8_S8_S8_S8_EEEEPS9_S9_NSD_9__find_if7functorIS9_EEEE10hipError_tPvRmT1_T2_T3_mT4_P12ihipStream_tbEUlT_E0_NS1_11comp_targetILNS1_3genE10ELNS1_11target_archE1200ELNS1_3gpuE4ELNS1_3repE0EEENS1_30default_config_static_selectorELNS0_4arch9wavefront6targetE0EEEvS14_
; %bb.0:
	.section	.rodata,"a",@progbits
	.p2align	6, 0x0
	.amdhsa_kernel _ZN7rocprim17ROCPRIM_400000_NS6detail17trampoline_kernelINS0_14default_configENS1_22reduce_config_selectorIN6thrust23THRUST_200600_302600_NS5tupleIblNS6_9null_typeES8_S8_S8_S8_S8_S8_S8_EEEEZNS1_11reduce_implILb1ES3_NS6_12zip_iteratorINS7_INS6_11hip_rocprim26transform_input_iterator_tIbNSD_35transform_pair_of_input_iterators_tIbNS6_6detail15normal_iteratorINS6_10device_ptrIKjEEEESL_NS6_8equal_toIjEEEENSG_9not_fun_tINSD_8identityEEEEENSD_19counting_iterator_tIlEES8_S8_S8_S8_S8_S8_S8_S8_EEEEPS9_S9_NSD_9__find_if7functorIS9_EEEE10hipError_tPvRmT1_T2_T3_mT4_P12ihipStream_tbEUlT_E0_NS1_11comp_targetILNS1_3genE10ELNS1_11target_archE1200ELNS1_3gpuE4ELNS1_3repE0EEENS1_30default_config_static_selectorELNS0_4arch9wavefront6targetE0EEEvS14_
		.amdhsa_group_segment_fixed_size 0
		.amdhsa_private_segment_fixed_size 0
		.amdhsa_kernarg_size 104
		.amdhsa_user_sgpr_count 15
		.amdhsa_user_sgpr_dispatch_ptr 0
		.amdhsa_user_sgpr_queue_ptr 0
		.amdhsa_user_sgpr_kernarg_segment_ptr 1
		.amdhsa_user_sgpr_dispatch_id 0
		.amdhsa_user_sgpr_private_segment_size 0
		.amdhsa_wavefront_size32 1
		.amdhsa_uses_dynamic_stack 0
		.amdhsa_enable_private_segment 0
		.amdhsa_system_sgpr_workgroup_id_x 1
		.amdhsa_system_sgpr_workgroup_id_y 0
		.amdhsa_system_sgpr_workgroup_id_z 0
		.amdhsa_system_sgpr_workgroup_info 0
		.amdhsa_system_vgpr_workitem_id 0
		.amdhsa_next_free_vgpr 1
		.amdhsa_next_free_sgpr 1
		.amdhsa_reserve_vcc 0
		.amdhsa_float_round_mode_32 0
		.amdhsa_float_round_mode_16_64 0
		.amdhsa_float_denorm_mode_32 3
		.amdhsa_float_denorm_mode_16_64 3
		.amdhsa_dx10_clamp 1
		.amdhsa_ieee_mode 1
		.amdhsa_fp16_overflow 0
		.amdhsa_workgroup_processor_mode 1
		.amdhsa_memory_ordered 1
		.amdhsa_forward_progress 0
		.amdhsa_shared_vgpr_count 0
		.amdhsa_exception_fp_ieee_invalid_op 0
		.amdhsa_exception_fp_denorm_src 0
		.amdhsa_exception_fp_ieee_div_zero 0
		.amdhsa_exception_fp_ieee_overflow 0
		.amdhsa_exception_fp_ieee_underflow 0
		.amdhsa_exception_fp_ieee_inexact 0
		.amdhsa_exception_int_div_zero 0
	.end_amdhsa_kernel
	.section	.text._ZN7rocprim17ROCPRIM_400000_NS6detail17trampoline_kernelINS0_14default_configENS1_22reduce_config_selectorIN6thrust23THRUST_200600_302600_NS5tupleIblNS6_9null_typeES8_S8_S8_S8_S8_S8_S8_EEEEZNS1_11reduce_implILb1ES3_NS6_12zip_iteratorINS7_INS6_11hip_rocprim26transform_input_iterator_tIbNSD_35transform_pair_of_input_iterators_tIbNS6_6detail15normal_iteratorINS6_10device_ptrIKjEEEESL_NS6_8equal_toIjEEEENSG_9not_fun_tINSD_8identityEEEEENSD_19counting_iterator_tIlEES8_S8_S8_S8_S8_S8_S8_S8_EEEEPS9_S9_NSD_9__find_if7functorIS9_EEEE10hipError_tPvRmT1_T2_T3_mT4_P12ihipStream_tbEUlT_E0_NS1_11comp_targetILNS1_3genE10ELNS1_11target_archE1200ELNS1_3gpuE4ELNS1_3repE0EEENS1_30default_config_static_selectorELNS0_4arch9wavefront6targetE0EEEvS14_,"axG",@progbits,_ZN7rocprim17ROCPRIM_400000_NS6detail17trampoline_kernelINS0_14default_configENS1_22reduce_config_selectorIN6thrust23THRUST_200600_302600_NS5tupleIblNS6_9null_typeES8_S8_S8_S8_S8_S8_S8_EEEEZNS1_11reduce_implILb1ES3_NS6_12zip_iteratorINS7_INS6_11hip_rocprim26transform_input_iterator_tIbNSD_35transform_pair_of_input_iterators_tIbNS6_6detail15normal_iteratorINS6_10device_ptrIKjEEEESL_NS6_8equal_toIjEEEENSG_9not_fun_tINSD_8identityEEEEENSD_19counting_iterator_tIlEES8_S8_S8_S8_S8_S8_S8_S8_EEEEPS9_S9_NSD_9__find_if7functorIS9_EEEE10hipError_tPvRmT1_T2_T3_mT4_P12ihipStream_tbEUlT_E0_NS1_11comp_targetILNS1_3genE10ELNS1_11target_archE1200ELNS1_3gpuE4ELNS1_3repE0EEENS1_30default_config_static_selectorELNS0_4arch9wavefront6targetE0EEEvS14_,comdat
.Lfunc_end817:
	.size	_ZN7rocprim17ROCPRIM_400000_NS6detail17trampoline_kernelINS0_14default_configENS1_22reduce_config_selectorIN6thrust23THRUST_200600_302600_NS5tupleIblNS6_9null_typeES8_S8_S8_S8_S8_S8_S8_EEEEZNS1_11reduce_implILb1ES3_NS6_12zip_iteratorINS7_INS6_11hip_rocprim26transform_input_iterator_tIbNSD_35transform_pair_of_input_iterators_tIbNS6_6detail15normal_iteratorINS6_10device_ptrIKjEEEESL_NS6_8equal_toIjEEEENSG_9not_fun_tINSD_8identityEEEEENSD_19counting_iterator_tIlEES8_S8_S8_S8_S8_S8_S8_S8_EEEEPS9_S9_NSD_9__find_if7functorIS9_EEEE10hipError_tPvRmT1_T2_T3_mT4_P12ihipStream_tbEUlT_E0_NS1_11comp_targetILNS1_3genE10ELNS1_11target_archE1200ELNS1_3gpuE4ELNS1_3repE0EEENS1_30default_config_static_selectorELNS0_4arch9wavefront6targetE0EEEvS14_, .Lfunc_end817-_ZN7rocprim17ROCPRIM_400000_NS6detail17trampoline_kernelINS0_14default_configENS1_22reduce_config_selectorIN6thrust23THRUST_200600_302600_NS5tupleIblNS6_9null_typeES8_S8_S8_S8_S8_S8_S8_EEEEZNS1_11reduce_implILb1ES3_NS6_12zip_iteratorINS7_INS6_11hip_rocprim26transform_input_iterator_tIbNSD_35transform_pair_of_input_iterators_tIbNS6_6detail15normal_iteratorINS6_10device_ptrIKjEEEESL_NS6_8equal_toIjEEEENSG_9not_fun_tINSD_8identityEEEEENSD_19counting_iterator_tIlEES8_S8_S8_S8_S8_S8_S8_S8_EEEEPS9_S9_NSD_9__find_if7functorIS9_EEEE10hipError_tPvRmT1_T2_T3_mT4_P12ihipStream_tbEUlT_E0_NS1_11comp_targetILNS1_3genE10ELNS1_11target_archE1200ELNS1_3gpuE4ELNS1_3repE0EEENS1_30default_config_static_selectorELNS0_4arch9wavefront6targetE0EEEvS14_
                                        ; -- End function
	.section	.AMDGPU.csdata,"",@progbits
; Kernel info:
; codeLenInByte = 0
; NumSgprs: 0
; NumVgprs: 0
; ScratchSize: 0
; MemoryBound: 0
; FloatMode: 240
; IeeeMode: 1
; LDSByteSize: 0 bytes/workgroup (compile time only)
; SGPRBlocks: 0
; VGPRBlocks: 0
; NumSGPRsForWavesPerEU: 1
; NumVGPRsForWavesPerEU: 1
; Occupancy: 16
; WaveLimiterHint : 0
; COMPUTE_PGM_RSRC2:SCRATCH_EN: 0
; COMPUTE_PGM_RSRC2:USER_SGPR: 15
; COMPUTE_PGM_RSRC2:TRAP_HANDLER: 0
; COMPUTE_PGM_RSRC2:TGID_X_EN: 1
; COMPUTE_PGM_RSRC2:TGID_Y_EN: 0
; COMPUTE_PGM_RSRC2:TGID_Z_EN: 0
; COMPUTE_PGM_RSRC2:TIDIG_COMP_CNT: 0
	.section	.text._ZN7rocprim17ROCPRIM_400000_NS6detail17trampoline_kernelINS0_14default_configENS1_22reduce_config_selectorIN6thrust23THRUST_200600_302600_NS5tupleIblNS6_9null_typeES8_S8_S8_S8_S8_S8_S8_EEEEZNS1_11reduce_implILb1ES3_NS6_12zip_iteratorINS7_INS6_11hip_rocprim26transform_input_iterator_tIbNSD_35transform_pair_of_input_iterators_tIbNS6_6detail15normal_iteratorINS6_10device_ptrIKjEEEESL_NS6_8equal_toIjEEEENSG_9not_fun_tINSD_8identityEEEEENSD_19counting_iterator_tIlEES8_S8_S8_S8_S8_S8_S8_S8_EEEEPS9_S9_NSD_9__find_if7functorIS9_EEEE10hipError_tPvRmT1_T2_T3_mT4_P12ihipStream_tbEUlT_E0_NS1_11comp_targetILNS1_3genE9ELNS1_11target_archE1100ELNS1_3gpuE3ELNS1_3repE0EEENS1_30default_config_static_selectorELNS0_4arch9wavefront6targetE0EEEvS14_,"axG",@progbits,_ZN7rocprim17ROCPRIM_400000_NS6detail17trampoline_kernelINS0_14default_configENS1_22reduce_config_selectorIN6thrust23THRUST_200600_302600_NS5tupleIblNS6_9null_typeES8_S8_S8_S8_S8_S8_S8_EEEEZNS1_11reduce_implILb1ES3_NS6_12zip_iteratorINS7_INS6_11hip_rocprim26transform_input_iterator_tIbNSD_35transform_pair_of_input_iterators_tIbNS6_6detail15normal_iteratorINS6_10device_ptrIKjEEEESL_NS6_8equal_toIjEEEENSG_9not_fun_tINSD_8identityEEEEENSD_19counting_iterator_tIlEES8_S8_S8_S8_S8_S8_S8_S8_EEEEPS9_S9_NSD_9__find_if7functorIS9_EEEE10hipError_tPvRmT1_T2_T3_mT4_P12ihipStream_tbEUlT_E0_NS1_11comp_targetILNS1_3genE9ELNS1_11target_archE1100ELNS1_3gpuE3ELNS1_3repE0EEENS1_30default_config_static_selectorELNS0_4arch9wavefront6targetE0EEEvS14_,comdat
	.protected	_ZN7rocprim17ROCPRIM_400000_NS6detail17trampoline_kernelINS0_14default_configENS1_22reduce_config_selectorIN6thrust23THRUST_200600_302600_NS5tupleIblNS6_9null_typeES8_S8_S8_S8_S8_S8_S8_EEEEZNS1_11reduce_implILb1ES3_NS6_12zip_iteratorINS7_INS6_11hip_rocprim26transform_input_iterator_tIbNSD_35transform_pair_of_input_iterators_tIbNS6_6detail15normal_iteratorINS6_10device_ptrIKjEEEESL_NS6_8equal_toIjEEEENSG_9not_fun_tINSD_8identityEEEEENSD_19counting_iterator_tIlEES8_S8_S8_S8_S8_S8_S8_S8_EEEEPS9_S9_NSD_9__find_if7functorIS9_EEEE10hipError_tPvRmT1_T2_T3_mT4_P12ihipStream_tbEUlT_E0_NS1_11comp_targetILNS1_3genE9ELNS1_11target_archE1100ELNS1_3gpuE3ELNS1_3repE0EEENS1_30default_config_static_selectorELNS0_4arch9wavefront6targetE0EEEvS14_ ; -- Begin function _ZN7rocprim17ROCPRIM_400000_NS6detail17trampoline_kernelINS0_14default_configENS1_22reduce_config_selectorIN6thrust23THRUST_200600_302600_NS5tupleIblNS6_9null_typeES8_S8_S8_S8_S8_S8_S8_EEEEZNS1_11reduce_implILb1ES3_NS6_12zip_iteratorINS7_INS6_11hip_rocprim26transform_input_iterator_tIbNSD_35transform_pair_of_input_iterators_tIbNS6_6detail15normal_iteratorINS6_10device_ptrIKjEEEESL_NS6_8equal_toIjEEEENSG_9not_fun_tINSD_8identityEEEEENSD_19counting_iterator_tIlEES8_S8_S8_S8_S8_S8_S8_S8_EEEEPS9_S9_NSD_9__find_if7functorIS9_EEEE10hipError_tPvRmT1_T2_T3_mT4_P12ihipStream_tbEUlT_E0_NS1_11comp_targetILNS1_3genE9ELNS1_11target_archE1100ELNS1_3gpuE3ELNS1_3repE0EEENS1_30default_config_static_selectorELNS0_4arch9wavefront6targetE0EEEvS14_
	.globl	_ZN7rocprim17ROCPRIM_400000_NS6detail17trampoline_kernelINS0_14default_configENS1_22reduce_config_selectorIN6thrust23THRUST_200600_302600_NS5tupleIblNS6_9null_typeES8_S8_S8_S8_S8_S8_S8_EEEEZNS1_11reduce_implILb1ES3_NS6_12zip_iteratorINS7_INS6_11hip_rocprim26transform_input_iterator_tIbNSD_35transform_pair_of_input_iterators_tIbNS6_6detail15normal_iteratorINS6_10device_ptrIKjEEEESL_NS6_8equal_toIjEEEENSG_9not_fun_tINSD_8identityEEEEENSD_19counting_iterator_tIlEES8_S8_S8_S8_S8_S8_S8_S8_EEEEPS9_S9_NSD_9__find_if7functorIS9_EEEE10hipError_tPvRmT1_T2_T3_mT4_P12ihipStream_tbEUlT_E0_NS1_11comp_targetILNS1_3genE9ELNS1_11target_archE1100ELNS1_3gpuE3ELNS1_3repE0EEENS1_30default_config_static_selectorELNS0_4arch9wavefront6targetE0EEEvS14_
	.p2align	8
	.type	_ZN7rocprim17ROCPRIM_400000_NS6detail17trampoline_kernelINS0_14default_configENS1_22reduce_config_selectorIN6thrust23THRUST_200600_302600_NS5tupleIblNS6_9null_typeES8_S8_S8_S8_S8_S8_S8_EEEEZNS1_11reduce_implILb1ES3_NS6_12zip_iteratorINS7_INS6_11hip_rocprim26transform_input_iterator_tIbNSD_35transform_pair_of_input_iterators_tIbNS6_6detail15normal_iteratorINS6_10device_ptrIKjEEEESL_NS6_8equal_toIjEEEENSG_9not_fun_tINSD_8identityEEEEENSD_19counting_iterator_tIlEES8_S8_S8_S8_S8_S8_S8_S8_EEEEPS9_S9_NSD_9__find_if7functorIS9_EEEE10hipError_tPvRmT1_T2_T3_mT4_P12ihipStream_tbEUlT_E0_NS1_11comp_targetILNS1_3genE9ELNS1_11target_archE1100ELNS1_3gpuE3ELNS1_3repE0EEENS1_30default_config_static_selectorELNS0_4arch9wavefront6targetE0EEEvS14_,@function
_ZN7rocprim17ROCPRIM_400000_NS6detail17trampoline_kernelINS0_14default_configENS1_22reduce_config_selectorIN6thrust23THRUST_200600_302600_NS5tupleIblNS6_9null_typeES8_S8_S8_S8_S8_S8_S8_EEEEZNS1_11reduce_implILb1ES3_NS6_12zip_iteratorINS7_INS6_11hip_rocprim26transform_input_iterator_tIbNSD_35transform_pair_of_input_iterators_tIbNS6_6detail15normal_iteratorINS6_10device_ptrIKjEEEESL_NS6_8equal_toIjEEEENSG_9not_fun_tINSD_8identityEEEEENSD_19counting_iterator_tIlEES8_S8_S8_S8_S8_S8_S8_S8_EEEEPS9_S9_NSD_9__find_if7functorIS9_EEEE10hipError_tPvRmT1_T2_T3_mT4_P12ihipStream_tbEUlT_E0_NS1_11comp_targetILNS1_3genE9ELNS1_11target_archE1100ELNS1_3gpuE3ELNS1_3repE0EEENS1_30default_config_static_selectorELNS0_4arch9wavefront6targetE0EEEvS14_: ; @_ZN7rocprim17ROCPRIM_400000_NS6detail17trampoline_kernelINS0_14default_configENS1_22reduce_config_selectorIN6thrust23THRUST_200600_302600_NS5tupleIblNS6_9null_typeES8_S8_S8_S8_S8_S8_S8_EEEEZNS1_11reduce_implILb1ES3_NS6_12zip_iteratorINS7_INS6_11hip_rocprim26transform_input_iterator_tIbNSD_35transform_pair_of_input_iterators_tIbNS6_6detail15normal_iteratorINS6_10device_ptrIKjEEEESL_NS6_8equal_toIjEEEENSG_9not_fun_tINSD_8identityEEEEENSD_19counting_iterator_tIlEES8_S8_S8_S8_S8_S8_S8_S8_EEEEPS9_S9_NSD_9__find_if7functorIS9_EEEE10hipError_tPvRmT1_T2_T3_mT4_P12ihipStream_tbEUlT_E0_NS1_11comp_targetILNS1_3genE9ELNS1_11target_archE1100ELNS1_3gpuE3ELNS1_3repE0EEENS1_30default_config_static_selectorELNS0_4arch9wavefront6targetE0EEEvS14_
; %bb.0:
	s_clause 0x1
	s_load_b256 s[4:11], s[0:1], 0x20
	s_load_b128 s[24:27], s[0:1], 0x0
	s_mov_b32 s16, s15
	s_load_b128 s[12:15], s[0:1], 0x40
	s_mov_b32 s23, 0
	v_lshlrev_b32_e32 v9, 2, v0
	s_mov_b32 s17, s23
	s_waitcnt lgkmcnt(0)
	s_lshl_b64 s[2:3], s[6:7], 2
	s_delay_alu instid0(SALU_CYCLE_1)
	s_add_u32 s18, s24, s2
	s_addc_u32 s19, s25, s3
	s_add_u32 s20, s26, s2
	s_addc_u32 s21, s27, s3
	s_lshl_b32 s22, s16, 10
	s_lshr_b64 s[24:25], s[8:9], 10
	s_lshl_b64 s[2:3], s[22:23], 2
	s_delay_alu instid0(SALU_CYCLE_1)
	s_add_u32 s18, s18, s2
	s_addc_u32 s19, s19, s3
	s_add_u32 s20, s20, s2
	s_addc_u32 s21, s21, s3
	;; [unrolled: 2-line block ×4, first 2 shown]
	s_cmp_lg_u64 s[24:25], s[16:17]
	s_cbranch_scc0 .LBB818_16
; %bb.1:
	s_clause 0x7
	global_load_b32 v1, v9, s[20:21] offset:1024
	global_load_b32 v2, v9, s[18:19] offset:1024
	global_load_b32 v3, v9, s[18:19]
	global_load_b32 v4, v9, s[20:21]
	global_load_b32 v5, v9, s[18:19] offset:2048
	global_load_b32 v6, v9, s[20:21] offset:2048
	;; [unrolled: 1-line block ×4, first 2 shown]
	v_mov_b32_e32 v10, 0x100
	s_waitcnt vmcnt(6)
	v_cmp_ne_u32_e32 vcc_lo, v2, v1
	s_waitcnt vmcnt(4)
	v_cmp_ne_u32_e64 s2, v3, v4
	s_waitcnt vmcnt(2)
	v_cmp_ne_u32_e64 s3, v5, v6
	v_cndmask_b32_e32 v1, 0x200, v10, vcc_lo
	s_waitcnt vmcnt(0)
	v_cmp_ne_u32_e64 s4, v8, v7
	s_delay_alu instid0(VALU_DEP_2) | instskip(SKIP_1) | instid1(SALU_CYCLE_1)
	v_cndmask_b32_e64 v1, v1, 0, s2
	s_or_b32 s2, s2, vcc_lo
	s_or_b32 vcc_lo, s2, s3
	v_add_co_u32 v2, s2, s5, v0
	s_delay_alu instid0(VALU_DEP_2) | instskip(SKIP_3) | instid1(VALU_DEP_3)
	v_cndmask_b32_e32 v1, 0x300, v1, vcc_lo
	s_or_b32 s3, vcc_lo, s4
	v_add_co_ci_u32_e64 v3, null, s23, 0, s2
	v_cndmask_b32_e64 v5, 0, 1, s3
	v_add_co_u32 v1, vcc_lo, v2, v1
	s_delay_alu instid0(VALU_DEP_3) | instskip(NEXT) | instid1(VALU_DEP_3)
	v_add_co_ci_u32_e32 v2, vcc_lo, 0, v3, vcc_lo
	v_mov_b32_dpp v6, v5 quad_perm:[1,0,3,2] row_mask:0xf bank_mask:0xf
	s_delay_alu instid0(VALU_DEP_3) | instskip(SKIP_1) | instid1(VALU_DEP_3)
	v_mov_b32_dpp v3, v1 quad_perm:[1,0,3,2] row_mask:0xf bank_mask:0xf
	s_mov_b32 s4, exec_lo
	v_mov_b32_dpp v4, v2 quad_perm:[1,0,3,2] row_mask:0xf bank_mask:0xf
	s_delay_alu instid0(VALU_DEP_3) | instskip(NEXT) | instid1(VALU_DEP_1)
	v_and_b32_e32 v7, 1, v6
	v_cmpx_eq_u32_e32 1, v7
; %bb.2:
	v_cndmask_b32_e64 v5, v6, 1, s3
	s_delay_alu instid0(VALU_DEP_4) | instskip(NEXT) | instid1(VALU_DEP_2)
	v_cmp_lt_i64_e32 vcc_lo, v[1:2], v[3:4]
	v_and_b32_e32 v6, 1, v5
	v_and_b32_e32 v5, 0xff, v5
	s_and_b32 vcc_lo, s3, vcc_lo
	s_and_not1_b32 s3, s3, exec_lo
	v_dual_cndmask_b32 v2, v4, v2 :: v_dual_cndmask_b32 v1, v3, v1
	v_cmp_eq_u32_e64 s2, 1, v6
	s_delay_alu instid0(VALU_DEP_1) | instskip(NEXT) | instid1(SALU_CYCLE_1)
	s_and_b32 s2, s2, exec_lo
	s_or_b32 s3, s3, s2
; %bb.3:
	s_or_b32 exec_lo, exec_lo, s4
	v_mov_b32_dpp v6, v5 quad_perm:[2,3,0,1] row_mask:0xf bank_mask:0xf
	v_mov_b32_dpp v3, v1 quad_perm:[2,3,0,1] row_mask:0xf bank_mask:0xf
	;; [unrolled: 1-line block ×3, first 2 shown]
	s_mov_b32 s4, exec_lo
	s_delay_alu instid0(VALU_DEP_3) | instskip(NEXT) | instid1(VALU_DEP_1)
	v_and_b32_e32 v7, 1, v6
	v_cmpx_eq_u32_e32 1, v7
; %bb.4:
	v_cndmask_b32_e64 v5, v6, 1, s3
	v_cmp_lt_i64_e32 vcc_lo, v[1:2], v[3:4]
	s_delay_alu instid0(VALU_DEP_2)
	v_and_b32_e32 v6, 1, v5
	v_and_b32_e32 v5, 0xff, v5
	s_and_b32 vcc_lo, s3, vcc_lo
	s_and_not1_b32 s3, s3, exec_lo
	v_dual_cndmask_b32 v2, v4, v2 :: v_dual_cndmask_b32 v1, v3, v1
	v_cmp_eq_u32_e64 s2, 1, v6
	s_delay_alu instid0(VALU_DEP_1) | instskip(NEXT) | instid1(SALU_CYCLE_1)
	s_and_b32 s2, s2, exec_lo
	s_or_b32 s3, s3, s2
; %bb.5:
	s_or_b32 exec_lo, exec_lo, s4
	v_mov_b32_dpp v6, v5 row_ror:4 row_mask:0xf bank_mask:0xf
	v_mov_b32_dpp v3, v1 row_ror:4 row_mask:0xf bank_mask:0xf
	;; [unrolled: 1-line block ×3, first 2 shown]
	s_mov_b32 s4, exec_lo
	s_delay_alu instid0(VALU_DEP_3) | instskip(NEXT) | instid1(VALU_DEP_1)
	v_and_b32_e32 v7, 1, v6
	v_cmpx_eq_u32_e32 1, v7
; %bb.6:
	v_cndmask_b32_e64 v5, v6, 1, s3
	v_cmp_lt_i64_e32 vcc_lo, v[1:2], v[3:4]
	s_delay_alu instid0(VALU_DEP_2)
	v_and_b32_e32 v6, 1, v5
	v_and_b32_e32 v5, 0xff, v5
	s_and_b32 vcc_lo, s3, vcc_lo
	s_and_not1_b32 s3, s3, exec_lo
	v_dual_cndmask_b32 v2, v4, v2 :: v_dual_cndmask_b32 v1, v3, v1
	v_cmp_eq_u32_e64 s2, 1, v6
	s_delay_alu instid0(VALU_DEP_1) | instskip(NEXT) | instid1(SALU_CYCLE_1)
	s_and_b32 s2, s2, exec_lo
	s_or_b32 s3, s3, s2
; %bb.7:
	s_or_b32 exec_lo, exec_lo, s4
	v_mov_b32_dpp v6, v5 row_ror:8 row_mask:0xf bank_mask:0xf
	v_mov_b32_dpp v3, v1 row_ror:8 row_mask:0xf bank_mask:0xf
	;; [unrolled: 1-line block ×3, first 2 shown]
	s_mov_b32 s4, exec_lo
	s_delay_alu instid0(VALU_DEP_3) | instskip(NEXT) | instid1(VALU_DEP_1)
	v_and_b32_e32 v7, 1, v6
	v_cmpx_eq_u32_e32 1, v7
; %bb.8:
	v_cndmask_b32_e64 v5, v6, 1, s3
	v_cmp_lt_i64_e32 vcc_lo, v[1:2], v[3:4]
	s_delay_alu instid0(VALU_DEP_2)
	v_and_b32_e32 v6, 1, v5
	v_and_b32_e32 v5, 0xff, v5
	s_and_b32 vcc_lo, s3, vcc_lo
	s_and_not1_b32 s3, s3, exec_lo
	v_dual_cndmask_b32 v2, v4, v2 :: v_dual_cndmask_b32 v1, v3, v1
	v_cmp_eq_u32_e64 s2, 1, v6
	s_delay_alu instid0(VALU_DEP_1) | instskip(NEXT) | instid1(SALU_CYCLE_1)
	s_and_b32 s2, s2, exec_lo
	s_or_b32 s3, s3, s2
; %bb.9:
	s_or_b32 exec_lo, exec_lo, s4
	ds_swizzle_b32 v6, v5 offset:swizzle(BROADCAST,32,15)
	ds_swizzle_b32 v3, v1 offset:swizzle(BROADCAST,32,15)
	;; [unrolled: 1-line block ×3, first 2 shown]
	s_mov_b32 s2, exec_lo
	s_waitcnt lgkmcnt(2)
	v_and_b32_e32 v7, 1, v6
	s_delay_alu instid0(VALU_DEP_1)
	v_cmpx_eq_u32_e32 1, v7
	s_cbranch_execz .LBB818_11
; %bb.10:
	s_waitcnt lgkmcnt(0)
	v_cmp_lt_i64_e32 vcc_lo, v[1:2], v[3:4]
	v_and_b32_e32 v5, 0xff, v6
	s_delay_alu instid0(VALU_DEP_1)
	v_cndmask_b32_e64 v5, v5, 1, s3
	s_and_b32 vcc_lo, s3, vcc_lo
	v_dual_cndmask_b32 v1, v3, v1 :: v_dual_cndmask_b32 v2, v4, v2
.LBB818_11:
	s_or_b32 exec_lo, exec_lo, s2
	s_waitcnt lgkmcnt(1)
	v_mov_b32_e32 v3, 0
	s_mov_b32 s2, exec_lo
	ds_bpermute_b32 v6, v3, v5 offset:124
	ds_bpermute_b32 v1, v3, v1 offset:124
	;; [unrolled: 1-line block ×3, first 2 shown]
	v_mbcnt_lo_u32_b32 v3, -1, 0
	s_delay_alu instid0(VALU_DEP_1)
	v_cmpx_eq_u32_e32 0, v3
	s_cbranch_execz .LBB818_13
; %bb.12:
	s_waitcnt lgkmcnt(3)
	v_lshrrev_b32_e32 v4, 1, v0
	s_delay_alu instid0(VALU_DEP_1)
	v_and_b32_e32 v4, 0x70, v4
	s_waitcnt lgkmcnt(2)
	ds_store_b8 v4, v6
	s_waitcnt lgkmcnt(1)
	ds_store_b64 v4, v[1:2] offset:8
.LBB818_13:
	s_or_b32 exec_lo, exec_lo, s2
	s_delay_alu instid0(SALU_CYCLE_1)
	s_mov_b32 s4, exec_lo
	s_waitcnt lgkmcnt(0)
	s_barrier
	buffer_gl0_inv
	v_cmpx_gt_u32_e32 32, v0
	s_cbranch_execz .LBB818_15
; %bb.14:
	v_and_b32_e32 v6, 7, v3
	s_delay_alu instid0(VALU_DEP_1)
	v_lshlrev_b32_e32 v1, 4, v6
	v_cmp_ne_u32_e32 vcc_lo, 7, v6
	ds_load_u8 v7, v1
	ds_load_b64 v[1:2], v1 offset:8
	v_add_co_ci_u32_e32 v4, vcc_lo, 0, v3, vcc_lo
	v_cmp_gt_u32_e32 vcc_lo, 6, v6
	s_delay_alu instid0(VALU_DEP_2)
	v_lshlrev_b32_e32 v5, 2, v4
	v_cndmask_b32_e64 v11, 0, 1, vcc_lo
	s_waitcnt lgkmcnt(1)
	v_and_b32_e32 v4, 0xff, v7
	v_and_b32_e32 v12, 1, v7
	ds_bpermute_b32 v8, v5, v4
	s_waitcnt lgkmcnt(1)
	ds_bpermute_b32 v4, v5, v1
	ds_bpermute_b32 v5, v5, v2
	v_cmp_eq_u32_e64 s3, 1, v12
	s_waitcnt lgkmcnt(2)
	v_and_b32_e32 v10, 1, v8
	s_waitcnt lgkmcnt(0)
	v_cmp_lt_i64_e64 s2, v[4:5], v[1:2]
	s_delay_alu instid0(VALU_DEP_2) | instskip(SKIP_2) | instid1(VALU_DEP_4)
	v_cmp_eq_u32_e32 vcc_lo, 1, v10
	v_lshlrev_b32_e32 v10, 1, v11
	v_cndmask_b32_e64 v7, v7, 1, vcc_lo
	s_and_b32 vcc_lo, vcc_lo, s2
	v_dual_cndmask_b32 v1, v1, v4 :: v_dual_cndmask_b32 v2, v2, v5
	s_delay_alu instid0(VALU_DEP_2) | instskip(SKIP_2) | instid1(VALU_DEP_4)
	v_cndmask_b32_e64 v7, v8, v7, s3
	v_add_lshl_u32 v8, v10, v3, 2
	v_cmp_gt_u32_e32 vcc_lo, 4, v6
	v_cndmask_b32_e64 v1, v4, v1, s3
	v_cndmask_b32_e64 v2, v5, v2, s3
	v_and_b32_e32 v10, 0xff, v7
	v_cndmask_b32_e64 v6, 0, 1, vcc_lo
	ds_bpermute_b32 v4, v8, v1
	ds_bpermute_b32 v5, v8, v2
	;; [unrolled: 1-line block ×3, first 2 shown]
	v_and_b32_e32 v11, 1, v7
	v_lshlrev_b32_e32 v6, 2, v6
	s_delay_alu instid0(VALU_DEP_1) | instskip(SKIP_4) | instid1(VALU_DEP_1)
	v_add_lshl_u32 v6, v6, v3, 2
	s_waitcnt lgkmcnt(1)
	v_cmp_lt_i64_e64 s2, v[4:5], v[1:2]
	s_waitcnt lgkmcnt(0)
	v_and_b32_e32 v8, 1, v10
	v_cmp_eq_u32_e32 vcc_lo, 1, v8
	v_cndmask_b32_e64 v7, v7, 1, vcc_lo
	s_delay_alu instid0(VALU_DEP_4) | instskip(SKIP_3) | instid1(VALU_DEP_2)
	s_and_b32 vcc_lo, vcc_lo, s2
	v_cndmask_b32_e32 v2, v2, v5, vcc_lo
	v_cmp_eq_u32_e64 s3, 1, v11
	v_cndmask_b32_e32 v1, v1, v4, vcc_lo
	v_cndmask_b32_e64 v7, v10, v7, s3
	s_delay_alu instid0(VALU_DEP_4) | instskip(NEXT) | instid1(VALU_DEP_3)
	v_cndmask_b32_e64 v2, v5, v2, s3
	v_cndmask_b32_e64 v1, v4, v1, s3
	ds_bpermute_b32 v4, v6, v2
	v_and_b32_e32 v3, 0xff, v7
	ds_bpermute_b32 v5, v6, v3
	ds_bpermute_b32 v3, v6, v1
	s_waitcnt lgkmcnt(1)
	v_and_b32_e32 v6, 1, v5
	s_waitcnt lgkmcnt(0)
	v_cmp_lt_i64_e32 vcc_lo, v[3:4], v[1:2]
	s_delay_alu instid0(VALU_DEP_2) | instskip(SKIP_1) | instid1(VALU_DEP_2)
	v_cmp_eq_u32_e64 s2, 1, v6
	v_and_b32_e32 v6, 1, v7
	v_cndmask_b32_e64 v7, v7, 1, s2
	s_and_b32 vcc_lo, s2, vcc_lo
	s_delay_alu instid0(VALU_DEP_2) | instskip(SKIP_1) | instid1(VALU_DEP_2)
	v_cmp_eq_u32_e64 s2, 1, v6
	v_dual_cndmask_b32 v2, v2, v4 :: v_dual_cndmask_b32 v1, v1, v3
	v_cndmask_b32_e64 v5, v5, v7, s2
	s_delay_alu instid0(VALU_DEP_2) | instskip(NEXT) | instid1(VALU_DEP_3)
	v_cndmask_b32_e64 v2, v4, v2, s2
	v_cndmask_b32_e64 v1, v3, v1, s2
	s_delay_alu instid0(VALU_DEP_3)
	v_and_b32_e32 v6, 0xff, v5
.LBB818_15:
	s_or_b32 exec_lo, exec_lo, s4
	s_load_b64 s[6:7], s[0:1], 0x58
	s_branch .LBB818_49
.LBB818_16:
                                        ; implicit-def: $vgpr1_vgpr2
                                        ; implicit-def: $vgpr6
	s_load_b64 s[6:7], s[0:1], 0x58
	s_cbranch_execz .LBB818_49
; %bb.17:
	v_dual_mov_b32 v5, 0 :: v_dual_mov_b32 v12, 0
	v_mov_b32_e32 v6, 0
	s_delay_alu instid0(VALU_DEP_2) | instskip(SKIP_2) | instid1(VALU_DEP_2)
	v_dual_mov_b32 v1, v5 :: v_dual_mov_b32 v10, 0
	s_sub_i32 s22, s8, s22
	s_mov_b32 s2, exec_lo
	v_mov_b32_e32 v2, v6
	v_cmpx_gt_u32_e64 s22, v0
	s_cbranch_execz .LBB818_19
; %bb.18:
	s_clause 0x1
	global_load_b32 v3, v9, s[18:19]
	global_load_b32 v4, v9, s[20:21]
	v_add_co_u32 v1, s3, s5, v0
	s_delay_alu instid0(VALU_DEP_1)
	v_add_co_ci_u32_e64 v2, null, s23, 0, s3
	s_waitcnt vmcnt(0)
	v_cmp_ne_u32_e32 vcc_lo, v3, v4
	v_cndmask_b32_e64 v10, 0, 1, vcc_lo
.LBB818_19:
	s_or_b32 exec_lo, exec_lo, s2
	v_or_b32_e32 v3, 0x100, v0
	s_delay_alu instid0(VALU_DEP_1) | instskip(NEXT) | instid1(VALU_DEP_1)
	v_cmp_gt_u32_e64 s3, s22, v3
	s_and_saveexec_b32 s2, s3
	s_cbranch_execz .LBB818_21
; %bb.20:
	s_clause 0x1
	global_load_b32 v4, v9, s[18:19] offset:1024
	global_load_b32 v7, v9, s[20:21] offset:1024
	v_add_co_u32 v5, s4, s5, v3
	s_delay_alu instid0(VALU_DEP_1)
	v_add_co_ci_u32_e64 v6, null, s23, 0, s4
	s_waitcnt vmcnt(0)
	v_cmp_ne_u32_e32 vcc_lo, v4, v7
	v_cndmask_b32_e64 v12, 0, 1, vcc_lo
.LBB818_21:
	s_or_b32 exec_lo, exec_lo, s2
	v_mov_b32_e32 v3, 0
	v_dual_mov_b32 v4, 0 :: v_dual_mov_b32 v11, 0
	v_or_b32_e32 v14, 0x200, v0
	s_delay_alu instid0(VALU_DEP_2) | instskip(NEXT) | instid1(VALU_DEP_4)
	v_dual_mov_b32 v13, 0 :: v_dual_mov_b32 v8, v4
	v_mov_b32_e32 v7, v3
	s_delay_alu instid0(VALU_DEP_3) | instskip(NEXT) | instid1(VALU_DEP_1)
	v_cmp_gt_u32_e64 s2, s22, v14
	s_and_saveexec_b32 s4, s2
	s_cbranch_execz .LBB818_23
; %bb.22:
	s_clause 0x1
	global_load_b32 v13, v9, s[18:19] offset:2048
	global_load_b32 v15, v9, s[20:21] offset:2048
	v_add_co_u32 v7, s24, s5, v14
	s_delay_alu instid0(VALU_DEP_1)
	v_add_co_ci_u32_e64 v8, null, s23, 0, s24
	s_waitcnt vmcnt(0)
	v_cmp_ne_u32_e32 vcc_lo, v13, v15
	v_cndmask_b32_e64 v13, 0, 1, vcc_lo
.LBB818_23:
	s_or_b32 exec_lo, exec_lo, s4
	v_or_b32_e32 v14, 0x300, v0
	s_delay_alu instid0(VALU_DEP_1)
	v_cmp_gt_u32_e32 vcc_lo, s22, v14
	s_and_saveexec_b32 s24, vcc_lo
	s_cbranch_execnz .LBB818_52
; %bb.24:
	s_or_b32 exec_lo, exec_lo, s24
	s_and_saveexec_b32 s5, s3
	s_cbranch_execnz .LBB818_53
.LBB818_25:
	s_or_b32 exec_lo, exec_lo, s5
	s_and_saveexec_b32 s4, s2
	s_cbranch_execnz .LBB818_54
.LBB818_26:
	s_or_b32 exec_lo, exec_lo, s4
	s_and_saveexec_b32 s3, vcc_lo
.LBB818_27:
	v_and_b32_e32 v5, 1, v11
	v_cmp_lt_i64_e32 vcc_lo, v[3:4], v[1:2]
	s_delay_alu instid0(VALU_DEP_2) | instskip(SKIP_1) | instid1(VALU_DEP_2)
	v_cmp_eq_u32_e64 s2, 1, v5
	v_and_b32_e32 v5, 1, v10
	s_and_b32 vcc_lo, s2, vcc_lo
	v_cndmask_b32_e64 v6, v10, 1, s2
	v_dual_cndmask_b32 v2, v2, v4 :: v_dual_cndmask_b32 v1, v1, v3
	s_delay_alu instid0(VALU_DEP_3) | instskip(NEXT) | instid1(VALU_DEP_3)
	v_cmp_eq_u32_e32 vcc_lo, 1, v5
	v_cndmask_b32_e32 v10, v11, v6, vcc_lo
	s_delay_alu instid0(VALU_DEP_3)
	v_dual_cndmask_b32 v2, v4, v2 :: v_dual_cndmask_b32 v1, v3, v1
.LBB818_28:
	s_or_b32 exec_lo, exec_lo, s3
	v_mbcnt_lo_u32_b32 v5, -1, 0
	v_and_b32_e32 v7, 0xe0, v0
	s_min_u32 s3, s22, 0x100
	v_and_b32_e32 v6, 0xffff, v10
	s_delay_alu instid0(VALU_DEP_3) | instskip(NEXT) | instid1(VALU_DEP_3)
	v_cmp_ne_u32_e32 vcc_lo, 31, v5
	v_sub_nc_u32_e64 v8, s3, v7 clamp
	v_add_nc_u32_e32 v7, 1, v5
	v_add_co_ci_u32_e32 v3, vcc_lo, 0, v5, vcc_lo
	s_delay_alu instid0(VALU_DEP_2) | instskip(NEXT) | instid1(VALU_DEP_2)
	v_cmp_lt_u32_e32 vcc_lo, v7, v8
	v_dual_mov_b32 v7, v6 :: v_dual_lshlrev_b32 v4, 2, v3
	ds_bpermute_b32 v9, v4, v6
	ds_bpermute_b32 v3, v4, v1
	;; [unrolled: 1-line block ×3, first 2 shown]
	s_and_saveexec_b32 s2, vcc_lo
	s_delay_alu instid0(SALU_CYCLE_1)
	s_xor_b32 s4, exec_lo, s2
	s_cbranch_execz .LBB818_30
; %bb.29:
	s_waitcnt lgkmcnt(0)
	v_and_b32_e32 v7, 1, v9
	v_cmp_lt_i64_e32 vcc_lo, v[3:4], v[1:2]
	s_delay_alu instid0(VALU_DEP_2) | instskip(SKIP_1) | instid1(VALU_DEP_2)
	v_cmp_eq_u32_e64 s2, 1, v7
	v_and_b32_e32 v7, 1, v10
	v_cndmask_b32_e64 v6, v6, 1, s2
	s_and_b32 vcc_lo, s2, vcc_lo
	s_delay_alu instid0(VALU_DEP_2) | instskip(SKIP_1) | instid1(VALU_DEP_2)
	v_cmp_eq_u32_e64 s2, 1, v7
	v_dual_cndmask_b32 v2, v2, v4 :: v_dual_cndmask_b32 v1, v1, v3
	v_cndmask_b32_e64 v7, v9, v6, s2
	s_delay_alu instid0(VALU_DEP_2) | instskip(NEXT) | instid1(VALU_DEP_3)
	v_cndmask_b32_e64 v2, v4, v2, s2
	v_cndmask_b32_e64 v1, v3, v1, s2
	s_delay_alu instid0(VALU_DEP_3)
	v_and_b32_e32 v6, 0xff, v7
.LBB818_30:
	s_or_b32 exec_lo, exec_lo, s4
	v_cmp_gt_u32_e32 vcc_lo, 30, v5
	v_add_nc_u32_e32 v10, 2, v5
	s_mov_b32 s4, exec_lo
	s_waitcnt lgkmcnt(0)
	v_cndmask_b32_e64 v3, 0, 1, vcc_lo
	s_delay_alu instid0(VALU_DEP_1) | instskip(NEXT) | instid1(VALU_DEP_1)
	v_lshlrev_b32_e32 v3, 1, v3
	v_add_lshl_u32 v4, v3, v5, 2
	ds_bpermute_b32 v9, v4, v6
	ds_bpermute_b32 v3, v4, v1
	ds_bpermute_b32 v4, v4, v2
	v_cmpx_lt_u32_e64 v10, v8
	s_cbranch_execz .LBB818_32
; %bb.31:
	s_waitcnt lgkmcnt(2)
	v_and_b32_e32 v6, 1, v9
	s_waitcnt lgkmcnt(0)
	v_cmp_lt_i64_e32 vcc_lo, v[3:4], v[1:2]
	s_delay_alu instid0(VALU_DEP_2) | instskip(SKIP_1) | instid1(VALU_DEP_2)
	v_cmp_eq_u32_e64 s2, 1, v6
	v_and_b32_e32 v6, 1, v7
	v_cndmask_b32_e64 v7, v7, 1, s2
	s_and_b32 vcc_lo, s2, vcc_lo
	s_delay_alu instid0(VALU_DEP_2) | instskip(SKIP_1) | instid1(VALU_DEP_2)
	v_cmp_eq_u32_e64 s2, 1, v6
	v_dual_cndmask_b32 v1, v1, v3 :: v_dual_cndmask_b32 v2, v2, v4
	v_cndmask_b32_e64 v7, v9, v7, s2
	s_delay_alu instid0(VALU_DEP_2) | instskip(NEXT) | instid1(VALU_DEP_3)
	v_cndmask_b32_e64 v1, v3, v1, s2
	v_cndmask_b32_e64 v2, v4, v2, s2
	s_delay_alu instid0(VALU_DEP_3)
	v_and_b32_e32 v6, 0xff, v7
.LBB818_32:
	s_or_b32 exec_lo, exec_lo, s4
	v_cmp_gt_u32_e32 vcc_lo, 28, v5
	v_add_nc_u32_e32 v10, 4, v5
	s_mov_b32 s4, exec_lo
	s_waitcnt lgkmcnt(1)
	v_cndmask_b32_e64 v3, 0, 1, vcc_lo
	s_delay_alu instid0(VALU_DEP_1) | instskip(SKIP_1) | instid1(VALU_DEP_1)
	v_lshlrev_b32_e32 v3, 2, v3
	s_waitcnt lgkmcnt(0)
	v_add_lshl_u32 v4, v3, v5, 2
	ds_bpermute_b32 v9, v4, v6
	ds_bpermute_b32 v3, v4, v1
	ds_bpermute_b32 v4, v4, v2
	v_cmpx_lt_u32_e64 v10, v8
	s_cbranch_execz .LBB818_34
; %bb.33:
	s_waitcnt lgkmcnt(2)
	v_and_b32_e32 v6, 1, v9
	s_waitcnt lgkmcnt(0)
	v_cmp_lt_i64_e32 vcc_lo, v[3:4], v[1:2]
	s_delay_alu instid0(VALU_DEP_2) | instskip(SKIP_1) | instid1(VALU_DEP_2)
	v_cmp_eq_u32_e64 s2, 1, v6
	v_and_b32_e32 v6, 1, v7
	v_cndmask_b32_e64 v7, v7, 1, s2
	s_and_b32 vcc_lo, s2, vcc_lo
	s_delay_alu instid0(VALU_DEP_2) | instskip(SKIP_1) | instid1(VALU_DEP_2)
	v_cmp_eq_u32_e64 s2, 1, v6
	v_dual_cndmask_b32 v1, v1, v3 :: v_dual_cndmask_b32 v2, v2, v4
	v_cndmask_b32_e64 v7, v9, v7, s2
	s_delay_alu instid0(VALU_DEP_2) | instskip(NEXT) | instid1(VALU_DEP_3)
	v_cndmask_b32_e64 v1, v3, v1, s2
	v_cndmask_b32_e64 v2, v4, v2, s2
	s_delay_alu instid0(VALU_DEP_3)
	v_and_b32_e32 v6, 0xff, v7
.LBB818_34:
	s_or_b32 exec_lo, exec_lo, s4
	v_cmp_gt_u32_e32 vcc_lo, 24, v5
	v_add_nc_u32_e32 v10, 8, v5
	s_mov_b32 s4, exec_lo
	s_waitcnt lgkmcnt(1)
	v_cndmask_b32_e64 v3, 0, 1, vcc_lo
	s_delay_alu instid0(VALU_DEP_1) | instskip(SKIP_1) | instid1(VALU_DEP_1)
	v_lshlrev_b32_e32 v3, 3, v3
	s_waitcnt lgkmcnt(0)
	;; [unrolled: 35-line block ×3, first 2 shown]
	v_add_lshl_u32 v4, v3, v5, 2
	ds_bpermute_b32 v9, v4, v6
	ds_bpermute_b32 v3, v4, v1
	;; [unrolled: 1-line block ×3, first 2 shown]
	v_cmpx_lt_u32_e64 v10, v8
	s_cbranch_execz .LBB818_38
; %bb.37:
	s_waitcnt lgkmcnt(2)
	v_and_b32_e32 v6, 1, v9
	s_waitcnt lgkmcnt(0)
	v_cmp_lt_i64_e32 vcc_lo, v[3:4], v[1:2]
	s_delay_alu instid0(VALU_DEP_2) | instskip(SKIP_1) | instid1(VALU_DEP_2)
	v_cmp_eq_u32_e64 s2, 1, v6
	v_and_b32_e32 v6, 1, v7
	v_cndmask_b32_e64 v7, v7, 1, s2
	s_and_b32 vcc_lo, s2, vcc_lo
	s_delay_alu instid0(VALU_DEP_2) | instskip(SKIP_1) | instid1(VALU_DEP_2)
	v_cmp_eq_u32_e64 s2, 1, v6
	v_dual_cndmask_b32 v1, v1, v3 :: v_dual_cndmask_b32 v2, v2, v4
	v_cndmask_b32_e64 v7, v9, v7, s2
	s_delay_alu instid0(VALU_DEP_2) | instskip(NEXT) | instid1(VALU_DEP_3)
	v_cndmask_b32_e64 v1, v3, v1, s2
	v_cndmask_b32_e64 v2, v4, v2, s2
	s_delay_alu instid0(VALU_DEP_3)
	v_and_b32_e32 v6, 0xff, v7
.LBB818_38:
	s_or_b32 exec_lo, exec_lo, s4
	s_delay_alu instid0(SALU_CYCLE_1)
	s_mov_b32 s2, exec_lo
	v_cmpx_eq_u32_e32 0, v5
	s_cbranch_execz .LBB818_40
; %bb.39:
	s_waitcnt lgkmcnt(1)
	v_lshrrev_b32_e32 v3, 1, v0
	s_delay_alu instid0(VALU_DEP_1)
	v_and_b32_e32 v3, 0x70, v3
	ds_store_b8 v3, v7 offset:128
	ds_store_b64 v3, v[1:2] offset:136
.LBB818_40:
	s_or_b32 exec_lo, exec_lo, s2
	s_delay_alu instid0(SALU_CYCLE_1)
	s_mov_b32 s4, exec_lo
	s_waitcnt lgkmcnt(0)
	s_barrier
	buffer_gl0_inv
	v_cmpx_gt_u32_e32 8, v0
	s_cbranch_execz .LBB818_48
; %bb.41:
	v_lshlrev_b32_e32 v1, 4, v5
	v_and_b32_e32 v8, 7, v5
	s_add_i32 s3, s3, 31
	s_mov_b32 s5, exec_lo
	s_lshr_b32 s3, s3, 5
	ds_load_u8 v7, v1 offset:128
	ds_load_b64 v[1:2], v1 offset:136
	v_cmp_ne_u32_e32 vcc_lo, 7, v8
	v_add_nc_u32_e32 v10, 1, v8
	v_add_co_ci_u32_e32 v3, vcc_lo, 0, v5, vcc_lo
	s_delay_alu instid0(VALU_DEP_1)
	v_lshlrev_b32_e32 v4, 2, v3
	s_waitcnt lgkmcnt(1)
	v_and_b32_e32 v6, 0xff, v7
	s_waitcnt lgkmcnt(0)
	ds_bpermute_b32 v3, v4, v1
	ds_bpermute_b32 v9, v4, v6
	;; [unrolled: 1-line block ×3, first 2 shown]
	v_cmpx_gt_u32_e64 s3, v10
	s_cbranch_execz .LBB818_43
; %bb.42:
	s_waitcnt lgkmcnt(1)
	v_and_b32_e32 v6, 1, v9
	s_waitcnt lgkmcnt(0)
	v_cmp_lt_i64_e32 vcc_lo, v[3:4], v[1:2]
	s_delay_alu instid0(VALU_DEP_2) | instskip(SKIP_1) | instid1(VALU_DEP_2)
	v_cmp_eq_u32_e64 s2, 1, v6
	v_and_b32_e32 v6, 1, v7
	v_cndmask_b32_e64 v7, v7, 1, s2
	s_and_b32 vcc_lo, s2, vcc_lo
	s_delay_alu instid0(VALU_DEP_2) | instskip(SKIP_1) | instid1(VALU_DEP_2)
	v_cmp_eq_u32_e64 s2, 1, v6
	v_dual_cndmask_b32 v1, v1, v3 :: v_dual_cndmask_b32 v2, v2, v4
	v_cndmask_b32_e64 v7, v9, v7, s2
	s_delay_alu instid0(VALU_DEP_2) | instskip(NEXT) | instid1(VALU_DEP_3)
	v_cndmask_b32_e64 v1, v3, v1, s2
	v_cndmask_b32_e64 v2, v4, v2, s2
	s_delay_alu instid0(VALU_DEP_3)
	v_and_b32_e32 v6, 0xff, v7
.LBB818_43:
	s_or_b32 exec_lo, exec_lo, s5
	v_cmp_gt_u32_e32 vcc_lo, 6, v8
	v_add_nc_u32_e32 v10, 2, v8
	s_mov_b32 s5, exec_lo
	s_waitcnt lgkmcnt(2)
	v_cndmask_b32_e64 v3, 0, 1, vcc_lo
	s_delay_alu instid0(VALU_DEP_1) | instskip(SKIP_1) | instid1(VALU_DEP_1)
	v_lshlrev_b32_e32 v3, 1, v3
	s_waitcnt lgkmcnt(0)
	v_add_lshl_u32 v4, v3, v5, 2
	ds_bpermute_b32 v9, v4, v6
	ds_bpermute_b32 v3, v4, v1
	;; [unrolled: 1-line block ×3, first 2 shown]
	v_cmpx_gt_u32_e64 s3, v10
	s_cbranch_execz .LBB818_45
; %bb.44:
	s_waitcnt lgkmcnt(2)
	v_and_b32_e32 v6, 1, v9
	s_waitcnt lgkmcnt(0)
	v_cmp_lt_i64_e32 vcc_lo, v[3:4], v[1:2]
	s_delay_alu instid0(VALU_DEP_2) | instskip(SKIP_1) | instid1(VALU_DEP_2)
	v_cmp_eq_u32_e64 s2, 1, v6
	v_and_b32_e32 v6, 1, v7
	v_cndmask_b32_e64 v7, v7, 1, s2
	s_and_b32 vcc_lo, s2, vcc_lo
	s_delay_alu instid0(VALU_DEP_2) | instskip(SKIP_1) | instid1(VALU_DEP_2)
	v_cmp_eq_u32_e64 s2, 1, v6
	v_dual_cndmask_b32 v1, v1, v3 :: v_dual_cndmask_b32 v2, v2, v4
	v_cndmask_b32_e64 v7, v9, v7, s2
	s_delay_alu instid0(VALU_DEP_2) | instskip(NEXT) | instid1(VALU_DEP_3)
	v_cndmask_b32_e64 v1, v3, v1, s2
	v_cndmask_b32_e64 v2, v4, v2, s2
	s_delay_alu instid0(VALU_DEP_3)
	v_and_b32_e32 v6, 0xff, v7
.LBB818_45:
	s_or_b32 exec_lo, exec_lo, s5
	v_cmp_gt_u32_e32 vcc_lo, 4, v8
	v_add_nc_u32_e32 v8, 4, v8
	s_waitcnt lgkmcnt(1)
	v_cndmask_b32_e64 v3, 0, 1, vcc_lo
	s_delay_alu instid0(VALU_DEP_2) | instskip(NEXT) | instid1(VALU_DEP_2)
	v_cmp_gt_u32_e32 vcc_lo, s3, v8
	v_lshlrev_b32_e32 v3, 2, v3
	s_waitcnt lgkmcnt(0)
	s_delay_alu instid0(VALU_DEP_1)
	v_add_lshl_u32 v4, v3, v5, 2
	ds_bpermute_b32 v5, v4, v6
	ds_bpermute_b32 v3, v4, v1
	;; [unrolled: 1-line block ×3, first 2 shown]
	s_and_saveexec_b32 s3, vcc_lo
	s_cbranch_execz .LBB818_47
; %bb.46:
	s_waitcnt lgkmcnt(2)
	v_and_b32_e32 v6, 1, v5
	s_waitcnt lgkmcnt(0)
	v_cmp_lt_i64_e32 vcc_lo, v[3:4], v[1:2]
	s_delay_alu instid0(VALU_DEP_2) | instskip(SKIP_1) | instid1(VALU_DEP_2)
	v_cmp_eq_u32_e64 s2, 1, v6
	v_and_b32_e32 v6, 1, v7
	v_cndmask_b32_e64 v7, v7, 1, s2
	s_and_b32 vcc_lo, s2, vcc_lo
	s_delay_alu instid0(VALU_DEP_2) | instskip(SKIP_1) | instid1(VALU_DEP_2)
	v_cmp_eq_u32_e64 s2, 1, v6
	v_dual_cndmask_b32 v1, v1, v3 :: v_dual_cndmask_b32 v2, v2, v4
	v_cndmask_b32_e64 v5, v5, v7, s2
	s_delay_alu instid0(VALU_DEP_2) | instskip(NEXT) | instid1(VALU_DEP_3)
	v_cndmask_b32_e64 v1, v3, v1, s2
	v_cndmask_b32_e64 v2, v4, v2, s2
	s_delay_alu instid0(VALU_DEP_3)
	v_and_b32_e32 v6, 0xff, v5
.LBB818_47:
	s_or_b32 exec_lo, exec_lo, s3
.LBB818_48:
	s_delay_alu instid0(SALU_CYCLE_1)
	s_or_b32 exec_lo, exec_lo, s4
.LBB818_49:
	s_load_b32 s0, s[0:1], 0x50
	s_mov_b32 s1, exec_lo
	v_cmpx_eq_u32_e32 0, v0
	s_cbranch_execz .LBB818_51
; %bb.50:
	s_mul_i32 s1, s14, s13
	s_mul_hi_u32 s2, s14, s12
	s_mul_i32 s3, s15, s12
	s_add_i32 s1, s2, s1
	s_mul_i32 s2, s14, s12
	s_add_i32 s3, s1, s3
	v_mov_b32_e32 v0, 0
	s_lshl_b64 s[2:3], s[2:3], 4
	s_delay_alu instid0(SALU_CYCLE_1)
	s_add_u32 s1, s10, s2
	s_addc_u32 s4, s11, s3
	s_cmp_eq_u64 s[8:9], 0
	s_cselect_b32 s5, -1, 0
	s_lshl_b64 s[2:3], s[16:17], 4
	s_waitcnt lgkmcnt(0)
	v_cndmask_b32_e64 v3, v6, s0, s5
	v_cndmask_b32_e64 v2, v2, s7, s5
	;; [unrolled: 1-line block ×3, first 2 shown]
	s_add_u32 s0, s1, s2
	s_addc_u32 s1, s4, s3
	s_clause 0x1
	global_store_b8 v0, v3, s[0:1]
	global_store_b64 v0, v[1:2], s[0:1] offset:8
.LBB818_51:
	s_nop 0
	s_sendmsg sendmsg(MSG_DEALLOC_VGPRS)
	s_endpgm
.LBB818_52:
	s_clause 0x1
	global_load_b32 v11, v9, s[18:19] offset:3072
	global_load_b32 v9, v9, s[20:21] offset:3072
	v_add_co_u32 v3, s4, s5, v14
	s_delay_alu instid0(VALU_DEP_1) | instskip(SKIP_2) | instid1(VALU_DEP_1)
	v_add_co_ci_u32_e64 v4, null, s23, 0, s4
	s_waitcnt vmcnt(0)
	v_cmp_ne_u32_e64 s4, v11, v9
	v_cndmask_b32_e64 v11, 0, 1, s4
	s_or_b32 exec_lo, exec_lo, s24
	s_and_saveexec_b32 s5, s3
	s_cbranch_execz .LBB818_25
.LBB818_53:
	v_and_b32_e32 v9, 1, v12
	v_cmp_lt_i64_e64 s3, v[5:6], v[1:2]
	s_delay_alu instid0(VALU_DEP_2) | instskip(SKIP_1) | instid1(VALU_DEP_2)
	v_cmp_eq_u32_e64 s4, 1, v9
	v_and_b32_e32 v9, 1, v10
	s_and_b32 s3, s4, s3
	v_cndmask_b32_e64 v10, v10, 1, s4
	v_cndmask_b32_e64 v1, v1, v5, s3
	;; [unrolled: 1-line block ×3, first 2 shown]
	v_cmp_eq_u32_e64 s3, 1, v9
	s_delay_alu instid0(VALU_DEP_1) | instskip(NEXT) | instid1(VALU_DEP_3)
	v_cndmask_b32_e64 v10, v12, v10, s3
	v_cndmask_b32_e64 v2, v6, v2, s3
	;; [unrolled: 1-line block ×3, first 2 shown]
	s_or_b32 exec_lo, exec_lo, s5
	s_and_saveexec_b32 s4, s2
	s_cbranch_execz .LBB818_26
.LBB818_54:
	v_and_b32_e32 v5, 1, v13
	v_cmp_lt_i64_e64 s2, v[7:8], v[1:2]
	s_delay_alu instid0(VALU_DEP_2) | instskip(SKIP_1) | instid1(VALU_DEP_2)
	v_cmp_eq_u32_e64 s3, 1, v5
	v_and_b32_e32 v5, 1, v10
	s_and_b32 s2, s3, s2
	v_cndmask_b32_e64 v6, v10, 1, s3
	v_cndmask_b32_e64 v1, v1, v7, s2
	;; [unrolled: 1-line block ×3, first 2 shown]
	v_cmp_eq_u32_e64 s2, 1, v5
	s_delay_alu instid0(VALU_DEP_1) | instskip(NEXT) | instid1(VALU_DEP_3)
	v_cndmask_b32_e64 v10, v13, v6, s2
	v_cndmask_b32_e64 v2, v8, v2, s2
	;; [unrolled: 1-line block ×3, first 2 shown]
	s_or_b32 exec_lo, exec_lo, s4
	s_and_saveexec_b32 s3, vcc_lo
	s_cbranch_execnz .LBB818_27
	s_branch .LBB818_28
	.section	.rodata,"a",@progbits
	.p2align	6, 0x0
	.amdhsa_kernel _ZN7rocprim17ROCPRIM_400000_NS6detail17trampoline_kernelINS0_14default_configENS1_22reduce_config_selectorIN6thrust23THRUST_200600_302600_NS5tupleIblNS6_9null_typeES8_S8_S8_S8_S8_S8_S8_EEEEZNS1_11reduce_implILb1ES3_NS6_12zip_iteratorINS7_INS6_11hip_rocprim26transform_input_iterator_tIbNSD_35transform_pair_of_input_iterators_tIbNS6_6detail15normal_iteratorINS6_10device_ptrIKjEEEESL_NS6_8equal_toIjEEEENSG_9not_fun_tINSD_8identityEEEEENSD_19counting_iterator_tIlEES8_S8_S8_S8_S8_S8_S8_S8_EEEEPS9_S9_NSD_9__find_if7functorIS9_EEEE10hipError_tPvRmT1_T2_T3_mT4_P12ihipStream_tbEUlT_E0_NS1_11comp_targetILNS1_3genE9ELNS1_11target_archE1100ELNS1_3gpuE3ELNS1_3repE0EEENS1_30default_config_static_selectorELNS0_4arch9wavefront6targetE0EEEvS14_
		.amdhsa_group_segment_fixed_size 256
		.amdhsa_private_segment_fixed_size 0
		.amdhsa_kernarg_size 104
		.amdhsa_user_sgpr_count 15
		.amdhsa_user_sgpr_dispatch_ptr 0
		.amdhsa_user_sgpr_queue_ptr 0
		.amdhsa_user_sgpr_kernarg_segment_ptr 1
		.amdhsa_user_sgpr_dispatch_id 0
		.amdhsa_user_sgpr_private_segment_size 0
		.amdhsa_wavefront_size32 1
		.amdhsa_uses_dynamic_stack 0
		.amdhsa_enable_private_segment 0
		.amdhsa_system_sgpr_workgroup_id_x 1
		.amdhsa_system_sgpr_workgroup_id_y 0
		.amdhsa_system_sgpr_workgroup_id_z 0
		.amdhsa_system_sgpr_workgroup_info 0
		.amdhsa_system_vgpr_workitem_id 0
		.amdhsa_next_free_vgpr 16
		.amdhsa_next_free_sgpr 28
		.amdhsa_reserve_vcc 1
		.amdhsa_float_round_mode_32 0
		.amdhsa_float_round_mode_16_64 0
		.amdhsa_float_denorm_mode_32 3
		.amdhsa_float_denorm_mode_16_64 3
		.amdhsa_dx10_clamp 1
		.amdhsa_ieee_mode 1
		.amdhsa_fp16_overflow 0
		.amdhsa_workgroup_processor_mode 1
		.amdhsa_memory_ordered 1
		.amdhsa_forward_progress 0
		.amdhsa_shared_vgpr_count 0
		.amdhsa_exception_fp_ieee_invalid_op 0
		.amdhsa_exception_fp_denorm_src 0
		.amdhsa_exception_fp_ieee_div_zero 0
		.amdhsa_exception_fp_ieee_overflow 0
		.amdhsa_exception_fp_ieee_underflow 0
		.amdhsa_exception_fp_ieee_inexact 0
		.amdhsa_exception_int_div_zero 0
	.end_amdhsa_kernel
	.section	.text._ZN7rocprim17ROCPRIM_400000_NS6detail17trampoline_kernelINS0_14default_configENS1_22reduce_config_selectorIN6thrust23THRUST_200600_302600_NS5tupleIblNS6_9null_typeES8_S8_S8_S8_S8_S8_S8_EEEEZNS1_11reduce_implILb1ES3_NS6_12zip_iteratorINS7_INS6_11hip_rocprim26transform_input_iterator_tIbNSD_35transform_pair_of_input_iterators_tIbNS6_6detail15normal_iteratorINS6_10device_ptrIKjEEEESL_NS6_8equal_toIjEEEENSG_9not_fun_tINSD_8identityEEEEENSD_19counting_iterator_tIlEES8_S8_S8_S8_S8_S8_S8_S8_EEEEPS9_S9_NSD_9__find_if7functorIS9_EEEE10hipError_tPvRmT1_T2_T3_mT4_P12ihipStream_tbEUlT_E0_NS1_11comp_targetILNS1_3genE9ELNS1_11target_archE1100ELNS1_3gpuE3ELNS1_3repE0EEENS1_30default_config_static_selectorELNS0_4arch9wavefront6targetE0EEEvS14_,"axG",@progbits,_ZN7rocprim17ROCPRIM_400000_NS6detail17trampoline_kernelINS0_14default_configENS1_22reduce_config_selectorIN6thrust23THRUST_200600_302600_NS5tupleIblNS6_9null_typeES8_S8_S8_S8_S8_S8_S8_EEEEZNS1_11reduce_implILb1ES3_NS6_12zip_iteratorINS7_INS6_11hip_rocprim26transform_input_iterator_tIbNSD_35transform_pair_of_input_iterators_tIbNS6_6detail15normal_iteratorINS6_10device_ptrIKjEEEESL_NS6_8equal_toIjEEEENSG_9not_fun_tINSD_8identityEEEEENSD_19counting_iterator_tIlEES8_S8_S8_S8_S8_S8_S8_S8_EEEEPS9_S9_NSD_9__find_if7functorIS9_EEEE10hipError_tPvRmT1_T2_T3_mT4_P12ihipStream_tbEUlT_E0_NS1_11comp_targetILNS1_3genE9ELNS1_11target_archE1100ELNS1_3gpuE3ELNS1_3repE0EEENS1_30default_config_static_selectorELNS0_4arch9wavefront6targetE0EEEvS14_,comdat
.Lfunc_end818:
	.size	_ZN7rocprim17ROCPRIM_400000_NS6detail17trampoline_kernelINS0_14default_configENS1_22reduce_config_selectorIN6thrust23THRUST_200600_302600_NS5tupleIblNS6_9null_typeES8_S8_S8_S8_S8_S8_S8_EEEEZNS1_11reduce_implILb1ES3_NS6_12zip_iteratorINS7_INS6_11hip_rocprim26transform_input_iterator_tIbNSD_35transform_pair_of_input_iterators_tIbNS6_6detail15normal_iteratorINS6_10device_ptrIKjEEEESL_NS6_8equal_toIjEEEENSG_9not_fun_tINSD_8identityEEEEENSD_19counting_iterator_tIlEES8_S8_S8_S8_S8_S8_S8_S8_EEEEPS9_S9_NSD_9__find_if7functorIS9_EEEE10hipError_tPvRmT1_T2_T3_mT4_P12ihipStream_tbEUlT_E0_NS1_11comp_targetILNS1_3genE9ELNS1_11target_archE1100ELNS1_3gpuE3ELNS1_3repE0EEENS1_30default_config_static_selectorELNS0_4arch9wavefront6targetE0EEEvS14_, .Lfunc_end818-_ZN7rocprim17ROCPRIM_400000_NS6detail17trampoline_kernelINS0_14default_configENS1_22reduce_config_selectorIN6thrust23THRUST_200600_302600_NS5tupleIblNS6_9null_typeES8_S8_S8_S8_S8_S8_S8_EEEEZNS1_11reduce_implILb1ES3_NS6_12zip_iteratorINS7_INS6_11hip_rocprim26transform_input_iterator_tIbNSD_35transform_pair_of_input_iterators_tIbNS6_6detail15normal_iteratorINS6_10device_ptrIKjEEEESL_NS6_8equal_toIjEEEENSG_9not_fun_tINSD_8identityEEEEENSD_19counting_iterator_tIlEES8_S8_S8_S8_S8_S8_S8_S8_EEEEPS9_S9_NSD_9__find_if7functorIS9_EEEE10hipError_tPvRmT1_T2_T3_mT4_P12ihipStream_tbEUlT_E0_NS1_11comp_targetILNS1_3genE9ELNS1_11target_archE1100ELNS1_3gpuE3ELNS1_3repE0EEENS1_30default_config_static_selectorELNS0_4arch9wavefront6targetE0EEEvS14_
                                        ; -- End function
	.section	.AMDGPU.csdata,"",@progbits
; Kernel info:
; codeLenInByte = 4024
; NumSgprs: 30
; NumVgprs: 16
; ScratchSize: 0
; MemoryBound: 0
; FloatMode: 240
; IeeeMode: 1
; LDSByteSize: 256 bytes/workgroup (compile time only)
; SGPRBlocks: 3
; VGPRBlocks: 1
; NumSGPRsForWavesPerEU: 30
; NumVGPRsForWavesPerEU: 16
; Occupancy: 16
; WaveLimiterHint : 0
; COMPUTE_PGM_RSRC2:SCRATCH_EN: 0
; COMPUTE_PGM_RSRC2:USER_SGPR: 15
; COMPUTE_PGM_RSRC2:TRAP_HANDLER: 0
; COMPUTE_PGM_RSRC2:TGID_X_EN: 1
; COMPUTE_PGM_RSRC2:TGID_Y_EN: 0
; COMPUTE_PGM_RSRC2:TGID_Z_EN: 0
; COMPUTE_PGM_RSRC2:TIDIG_COMP_CNT: 0
	.section	.text._ZN7rocprim17ROCPRIM_400000_NS6detail17trampoline_kernelINS0_14default_configENS1_22reduce_config_selectorIN6thrust23THRUST_200600_302600_NS5tupleIblNS6_9null_typeES8_S8_S8_S8_S8_S8_S8_EEEEZNS1_11reduce_implILb1ES3_NS6_12zip_iteratorINS7_INS6_11hip_rocprim26transform_input_iterator_tIbNSD_35transform_pair_of_input_iterators_tIbNS6_6detail15normal_iteratorINS6_10device_ptrIKjEEEESL_NS6_8equal_toIjEEEENSG_9not_fun_tINSD_8identityEEEEENSD_19counting_iterator_tIlEES8_S8_S8_S8_S8_S8_S8_S8_EEEEPS9_S9_NSD_9__find_if7functorIS9_EEEE10hipError_tPvRmT1_T2_T3_mT4_P12ihipStream_tbEUlT_E0_NS1_11comp_targetILNS1_3genE8ELNS1_11target_archE1030ELNS1_3gpuE2ELNS1_3repE0EEENS1_30default_config_static_selectorELNS0_4arch9wavefront6targetE0EEEvS14_,"axG",@progbits,_ZN7rocprim17ROCPRIM_400000_NS6detail17trampoline_kernelINS0_14default_configENS1_22reduce_config_selectorIN6thrust23THRUST_200600_302600_NS5tupleIblNS6_9null_typeES8_S8_S8_S8_S8_S8_S8_EEEEZNS1_11reduce_implILb1ES3_NS6_12zip_iteratorINS7_INS6_11hip_rocprim26transform_input_iterator_tIbNSD_35transform_pair_of_input_iterators_tIbNS6_6detail15normal_iteratorINS6_10device_ptrIKjEEEESL_NS6_8equal_toIjEEEENSG_9not_fun_tINSD_8identityEEEEENSD_19counting_iterator_tIlEES8_S8_S8_S8_S8_S8_S8_S8_EEEEPS9_S9_NSD_9__find_if7functorIS9_EEEE10hipError_tPvRmT1_T2_T3_mT4_P12ihipStream_tbEUlT_E0_NS1_11comp_targetILNS1_3genE8ELNS1_11target_archE1030ELNS1_3gpuE2ELNS1_3repE0EEENS1_30default_config_static_selectorELNS0_4arch9wavefront6targetE0EEEvS14_,comdat
	.protected	_ZN7rocprim17ROCPRIM_400000_NS6detail17trampoline_kernelINS0_14default_configENS1_22reduce_config_selectorIN6thrust23THRUST_200600_302600_NS5tupleIblNS6_9null_typeES8_S8_S8_S8_S8_S8_S8_EEEEZNS1_11reduce_implILb1ES3_NS6_12zip_iteratorINS7_INS6_11hip_rocprim26transform_input_iterator_tIbNSD_35transform_pair_of_input_iterators_tIbNS6_6detail15normal_iteratorINS6_10device_ptrIKjEEEESL_NS6_8equal_toIjEEEENSG_9not_fun_tINSD_8identityEEEEENSD_19counting_iterator_tIlEES8_S8_S8_S8_S8_S8_S8_S8_EEEEPS9_S9_NSD_9__find_if7functorIS9_EEEE10hipError_tPvRmT1_T2_T3_mT4_P12ihipStream_tbEUlT_E0_NS1_11comp_targetILNS1_3genE8ELNS1_11target_archE1030ELNS1_3gpuE2ELNS1_3repE0EEENS1_30default_config_static_selectorELNS0_4arch9wavefront6targetE0EEEvS14_ ; -- Begin function _ZN7rocprim17ROCPRIM_400000_NS6detail17trampoline_kernelINS0_14default_configENS1_22reduce_config_selectorIN6thrust23THRUST_200600_302600_NS5tupleIblNS6_9null_typeES8_S8_S8_S8_S8_S8_S8_EEEEZNS1_11reduce_implILb1ES3_NS6_12zip_iteratorINS7_INS6_11hip_rocprim26transform_input_iterator_tIbNSD_35transform_pair_of_input_iterators_tIbNS6_6detail15normal_iteratorINS6_10device_ptrIKjEEEESL_NS6_8equal_toIjEEEENSG_9not_fun_tINSD_8identityEEEEENSD_19counting_iterator_tIlEES8_S8_S8_S8_S8_S8_S8_S8_EEEEPS9_S9_NSD_9__find_if7functorIS9_EEEE10hipError_tPvRmT1_T2_T3_mT4_P12ihipStream_tbEUlT_E0_NS1_11comp_targetILNS1_3genE8ELNS1_11target_archE1030ELNS1_3gpuE2ELNS1_3repE0EEENS1_30default_config_static_selectorELNS0_4arch9wavefront6targetE0EEEvS14_
	.globl	_ZN7rocprim17ROCPRIM_400000_NS6detail17trampoline_kernelINS0_14default_configENS1_22reduce_config_selectorIN6thrust23THRUST_200600_302600_NS5tupleIblNS6_9null_typeES8_S8_S8_S8_S8_S8_S8_EEEEZNS1_11reduce_implILb1ES3_NS6_12zip_iteratorINS7_INS6_11hip_rocprim26transform_input_iterator_tIbNSD_35transform_pair_of_input_iterators_tIbNS6_6detail15normal_iteratorINS6_10device_ptrIKjEEEESL_NS6_8equal_toIjEEEENSG_9not_fun_tINSD_8identityEEEEENSD_19counting_iterator_tIlEES8_S8_S8_S8_S8_S8_S8_S8_EEEEPS9_S9_NSD_9__find_if7functorIS9_EEEE10hipError_tPvRmT1_T2_T3_mT4_P12ihipStream_tbEUlT_E0_NS1_11comp_targetILNS1_3genE8ELNS1_11target_archE1030ELNS1_3gpuE2ELNS1_3repE0EEENS1_30default_config_static_selectorELNS0_4arch9wavefront6targetE0EEEvS14_
	.p2align	8
	.type	_ZN7rocprim17ROCPRIM_400000_NS6detail17trampoline_kernelINS0_14default_configENS1_22reduce_config_selectorIN6thrust23THRUST_200600_302600_NS5tupleIblNS6_9null_typeES8_S8_S8_S8_S8_S8_S8_EEEEZNS1_11reduce_implILb1ES3_NS6_12zip_iteratorINS7_INS6_11hip_rocprim26transform_input_iterator_tIbNSD_35transform_pair_of_input_iterators_tIbNS6_6detail15normal_iteratorINS6_10device_ptrIKjEEEESL_NS6_8equal_toIjEEEENSG_9not_fun_tINSD_8identityEEEEENSD_19counting_iterator_tIlEES8_S8_S8_S8_S8_S8_S8_S8_EEEEPS9_S9_NSD_9__find_if7functorIS9_EEEE10hipError_tPvRmT1_T2_T3_mT4_P12ihipStream_tbEUlT_E0_NS1_11comp_targetILNS1_3genE8ELNS1_11target_archE1030ELNS1_3gpuE2ELNS1_3repE0EEENS1_30default_config_static_selectorELNS0_4arch9wavefront6targetE0EEEvS14_,@function
_ZN7rocprim17ROCPRIM_400000_NS6detail17trampoline_kernelINS0_14default_configENS1_22reduce_config_selectorIN6thrust23THRUST_200600_302600_NS5tupleIblNS6_9null_typeES8_S8_S8_S8_S8_S8_S8_EEEEZNS1_11reduce_implILb1ES3_NS6_12zip_iteratorINS7_INS6_11hip_rocprim26transform_input_iterator_tIbNSD_35transform_pair_of_input_iterators_tIbNS6_6detail15normal_iteratorINS6_10device_ptrIKjEEEESL_NS6_8equal_toIjEEEENSG_9not_fun_tINSD_8identityEEEEENSD_19counting_iterator_tIlEES8_S8_S8_S8_S8_S8_S8_S8_EEEEPS9_S9_NSD_9__find_if7functorIS9_EEEE10hipError_tPvRmT1_T2_T3_mT4_P12ihipStream_tbEUlT_E0_NS1_11comp_targetILNS1_3genE8ELNS1_11target_archE1030ELNS1_3gpuE2ELNS1_3repE0EEENS1_30default_config_static_selectorELNS0_4arch9wavefront6targetE0EEEvS14_: ; @_ZN7rocprim17ROCPRIM_400000_NS6detail17trampoline_kernelINS0_14default_configENS1_22reduce_config_selectorIN6thrust23THRUST_200600_302600_NS5tupleIblNS6_9null_typeES8_S8_S8_S8_S8_S8_S8_EEEEZNS1_11reduce_implILb1ES3_NS6_12zip_iteratorINS7_INS6_11hip_rocprim26transform_input_iterator_tIbNSD_35transform_pair_of_input_iterators_tIbNS6_6detail15normal_iteratorINS6_10device_ptrIKjEEEESL_NS6_8equal_toIjEEEENSG_9not_fun_tINSD_8identityEEEEENSD_19counting_iterator_tIlEES8_S8_S8_S8_S8_S8_S8_S8_EEEEPS9_S9_NSD_9__find_if7functorIS9_EEEE10hipError_tPvRmT1_T2_T3_mT4_P12ihipStream_tbEUlT_E0_NS1_11comp_targetILNS1_3genE8ELNS1_11target_archE1030ELNS1_3gpuE2ELNS1_3repE0EEENS1_30default_config_static_selectorELNS0_4arch9wavefront6targetE0EEEvS14_
; %bb.0:
	.section	.rodata,"a",@progbits
	.p2align	6, 0x0
	.amdhsa_kernel _ZN7rocprim17ROCPRIM_400000_NS6detail17trampoline_kernelINS0_14default_configENS1_22reduce_config_selectorIN6thrust23THRUST_200600_302600_NS5tupleIblNS6_9null_typeES8_S8_S8_S8_S8_S8_S8_EEEEZNS1_11reduce_implILb1ES3_NS6_12zip_iteratorINS7_INS6_11hip_rocprim26transform_input_iterator_tIbNSD_35transform_pair_of_input_iterators_tIbNS6_6detail15normal_iteratorINS6_10device_ptrIKjEEEESL_NS6_8equal_toIjEEEENSG_9not_fun_tINSD_8identityEEEEENSD_19counting_iterator_tIlEES8_S8_S8_S8_S8_S8_S8_S8_EEEEPS9_S9_NSD_9__find_if7functorIS9_EEEE10hipError_tPvRmT1_T2_T3_mT4_P12ihipStream_tbEUlT_E0_NS1_11comp_targetILNS1_3genE8ELNS1_11target_archE1030ELNS1_3gpuE2ELNS1_3repE0EEENS1_30default_config_static_selectorELNS0_4arch9wavefront6targetE0EEEvS14_
		.amdhsa_group_segment_fixed_size 0
		.amdhsa_private_segment_fixed_size 0
		.amdhsa_kernarg_size 104
		.amdhsa_user_sgpr_count 15
		.amdhsa_user_sgpr_dispatch_ptr 0
		.amdhsa_user_sgpr_queue_ptr 0
		.amdhsa_user_sgpr_kernarg_segment_ptr 1
		.amdhsa_user_sgpr_dispatch_id 0
		.amdhsa_user_sgpr_private_segment_size 0
		.amdhsa_wavefront_size32 1
		.amdhsa_uses_dynamic_stack 0
		.amdhsa_enable_private_segment 0
		.amdhsa_system_sgpr_workgroup_id_x 1
		.amdhsa_system_sgpr_workgroup_id_y 0
		.amdhsa_system_sgpr_workgroup_id_z 0
		.amdhsa_system_sgpr_workgroup_info 0
		.amdhsa_system_vgpr_workitem_id 0
		.amdhsa_next_free_vgpr 1
		.amdhsa_next_free_sgpr 1
		.amdhsa_reserve_vcc 0
		.amdhsa_float_round_mode_32 0
		.amdhsa_float_round_mode_16_64 0
		.amdhsa_float_denorm_mode_32 3
		.amdhsa_float_denorm_mode_16_64 3
		.amdhsa_dx10_clamp 1
		.amdhsa_ieee_mode 1
		.amdhsa_fp16_overflow 0
		.amdhsa_workgroup_processor_mode 1
		.amdhsa_memory_ordered 1
		.amdhsa_forward_progress 0
		.amdhsa_shared_vgpr_count 0
		.amdhsa_exception_fp_ieee_invalid_op 0
		.amdhsa_exception_fp_denorm_src 0
		.amdhsa_exception_fp_ieee_div_zero 0
		.amdhsa_exception_fp_ieee_overflow 0
		.amdhsa_exception_fp_ieee_underflow 0
		.amdhsa_exception_fp_ieee_inexact 0
		.amdhsa_exception_int_div_zero 0
	.end_amdhsa_kernel
	.section	.text._ZN7rocprim17ROCPRIM_400000_NS6detail17trampoline_kernelINS0_14default_configENS1_22reduce_config_selectorIN6thrust23THRUST_200600_302600_NS5tupleIblNS6_9null_typeES8_S8_S8_S8_S8_S8_S8_EEEEZNS1_11reduce_implILb1ES3_NS6_12zip_iteratorINS7_INS6_11hip_rocprim26transform_input_iterator_tIbNSD_35transform_pair_of_input_iterators_tIbNS6_6detail15normal_iteratorINS6_10device_ptrIKjEEEESL_NS6_8equal_toIjEEEENSG_9not_fun_tINSD_8identityEEEEENSD_19counting_iterator_tIlEES8_S8_S8_S8_S8_S8_S8_S8_EEEEPS9_S9_NSD_9__find_if7functorIS9_EEEE10hipError_tPvRmT1_T2_T3_mT4_P12ihipStream_tbEUlT_E0_NS1_11comp_targetILNS1_3genE8ELNS1_11target_archE1030ELNS1_3gpuE2ELNS1_3repE0EEENS1_30default_config_static_selectorELNS0_4arch9wavefront6targetE0EEEvS14_,"axG",@progbits,_ZN7rocprim17ROCPRIM_400000_NS6detail17trampoline_kernelINS0_14default_configENS1_22reduce_config_selectorIN6thrust23THRUST_200600_302600_NS5tupleIblNS6_9null_typeES8_S8_S8_S8_S8_S8_S8_EEEEZNS1_11reduce_implILb1ES3_NS6_12zip_iteratorINS7_INS6_11hip_rocprim26transform_input_iterator_tIbNSD_35transform_pair_of_input_iterators_tIbNS6_6detail15normal_iteratorINS6_10device_ptrIKjEEEESL_NS6_8equal_toIjEEEENSG_9not_fun_tINSD_8identityEEEEENSD_19counting_iterator_tIlEES8_S8_S8_S8_S8_S8_S8_S8_EEEEPS9_S9_NSD_9__find_if7functorIS9_EEEE10hipError_tPvRmT1_T2_T3_mT4_P12ihipStream_tbEUlT_E0_NS1_11comp_targetILNS1_3genE8ELNS1_11target_archE1030ELNS1_3gpuE2ELNS1_3repE0EEENS1_30default_config_static_selectorELNS0_4arch9wavefront6targetE0EEEvS14_,comdat
.Lfunc_end819:
	.size	_ZN7rocprim17ROCPRIM_400000_NS6detail17trampoline_kernelINS0_14default_configENS1_22reduce_config_selectorIN6thrust23THRUST_200600_302600_NS5tupleIblNS6_9null_typeES8_S8_S8_S8_S8_S8_S8_EEEEZNS1_11reduce_implILb1ES3_NS6_12zip_iteratorINS7_INS6_11hip_rocprim26transform_input_iterator_tIbNSD_35transform_pair_of_input_iterators_tIbNS6_6detail15normal_iteratorINS6_10device_ptrIKjEEEESL_NS6_8equal_toIjEEEENSG_9not_fun_tINSD_8identityEEEEENSD_19counting_iterator_tIlEES8_S8_S8_S8_S8_S8_S8_S8_EEEEPS9_S9_NSD_9__find_if7functorIS9_EEEE10hipError_tPvRmT1_T2_T3_mT4_P12ihipStream_tbEUlT_E0_NS1_11comp_targetILNS1_3genE8ELNS1_11target_archE1030ELNS1_3gpuE2ELNS1_3repE0EEENS1_30default_config_static_selectorELNS0_4arch9wavefront6targetE0EEEvS14_, .Lfunc_end819-_ZN7rocprim17ROCPRIM_400000_NS6detail17trampoline_kernelINS0_14default_configENS1_22reduce_config_selectorIN6thrust23THRUST_200600_302600_NS5tupleIblNS6_9null_typeES8_S8_S8_S8_S8_S8_S8_EEEEZNS1_11reduce_implILb1ES3_NS6_12zip_iteratorINS7_INS6_11hip_rocprim26transform_input_iterator_tIbNSD_35transform_pair_of_input_iterators_tIbNS6_6detail15normal_iteratorINS6_10device_ptrIKjEEEESL_NS6_8equal_toIjEEEENSG_9not_fun_tINSD_8identityEEEEENSD_19counting_iterator_tIlEES8_S8_S8_S8_S8_S8_S8_S8_EEEEPS9_S9_NSD_9__find_if7functorIS9_EEEE10hipError_tPvRmT1_T2_T3_mT4_P12ihipStream_tbEUlT_E0_NS1_11comp_targetILNS1_3genE8ELNS1_11target_archE1030ELNS1_3gpuE2ELNS1_3repE0EEENS1_30default_config_static_selectorELNS0_4arch9wavefront6targetE0EEEvS14_
                                        ; -- End function
	.section	.AMDGPU.csdata,"",@progbits
; Kernel info:
; codeLenInByte = 0
; NumSgprs: 0
; NumVgprs: 0
; ScratchSize: 0
; MemoryBound: 0
; FloatMode: 240
; IeeeMode: 1
; LDSByteSize: 0 bytes/workgroup (compile time only)
; SGPRBlocks: 0
; VGPRBlocks: 0
; NumSGPRsForWavesPerEU: 1
; NumVGPRsForWavesPerEU: 1
; Occupancy: 16
; WaveLimiterHint : 0
; COMPUTE_PGM_RSRC2:SCRATCH_EN: 0
; COMPUTE_PGM_RSRC2:USER_SGPR: 15
; COMPUTE_PGM_RSRC2:TRAP_HANDLER: 0
; COMPUTE_PGM_RSRC2:TGID_X_EN: 1
; COMPUTE_PGM_RSRC2:TGID_Y_EN: 0
; COMPUTE_PGM_RSRC2:TGID_Z_EN: 0
; COMPUTE_PGM_RSRC2:TIDIG_COMP_CNT: 0
	.section	.text._ZN7rocprim17ROCPRIM_400000_NS6detail17trampoline_kernelINS0_14default_configENS1_22reduce_config_selectorIN6thrust23THRUST_200600_302600_NS5tupleIblNS6_9null_typeES8_S8_S8_S8_S8_S8_S8_EEEEZNS1_11reduce_implILb1ES3_NS6_12zip_iteratorINS7_INS6_11hip_rocprim26transform_input_iterator_tIbNSD_35transform_pair_of_input_iterators_tIbNS6_6detail15normal_iteratorINS6_10device_ptrIKjEEEESL_NS6_8equal_toIjEEEENSG_9not_fun_tINSD_8identityEEEEENSD_19counting_iterator_tIlEES8_S8_S8_S8_S8_S8_S8_S8_EEEEPS9_S9_NSD_9__find_if7functorIS9_EEEE10hipError_tPvRmT1_T2_T3_mT4_P12ihipStream_tbEUlT_E1_NS1_11comp_targetILNS1_3genE0ELNS1_11target_archE4294967295ELNS1_3gpuE0ELNS1_3repE0EEENS1_30default_config_static_selectorELNS0_4arch9wavefront6targetE0EEEvS14_,"axG",@progbits,_ZN7rocprim17ROCPRIM_400000_NS6detail17trampoline_kernelINS0_14default_configENS1_22reduce_config_selectorIN6thrust23THRUST_200600_302600_NS5tupleIblNS6_9null_typeES8_S8_S8_S8_S8_S8_S8_EEEEZNS1_11reduce_implILb1ES3_NS6_12zip_iteratorINS7_INS6_11hip_rocprim26transform_input_iterator_tIbNSD_35transform_pair_of_input_iterators_tIbNS6_6detail15normal_iteratorINS6_10device_ptrIKjEEEESL_NS6_8equal_toIjEEEENSG_9not_fun_tINSD_8identityEEEEENSD_19counting_iterator_tIlEES8_S8_S8_S8_S8_S8_S8_S8_EEEEPS9_S9_NSD_9__find_if7functorIS9_EEEE10hipError_tPvRmT1_T2_T3_mT4_P12ihipStream_tbEUlT_E1_NS1_11comp_targetILNS1_3genE0ELNS1_11target_archE4294967295ELNS1_3gpuE0ELNS1_3repE0EEENS1_30default_config_static_selectorELNS0_4arch9wavefront6targetE0EEEvS14_,comdat
	.protected	_ZN7rocprim17ROCPRIM_400000_NS6detail17trampoline_kernelINS0_14default_configENS1_22reduce_config_selectorIN6thrust23THRUST_200600_302600_NS5tupleIblNS6_9null_typeES8_S8_S8_S8_S8_S8_S8_EEEEZNS1_11reduce_implILb1ES3_NS6_12zip_iteratorINS7_INS6_11hip_rocprim26transform_input_iterator_tIbNSD_35transform_pair_of_input_iterators_tIbNS6_6detail15normal_iteratorINS6_10device_ptrIKjEEEESL_NS6_8equal_toIjEEEENSG_9not_fun_tINSD_8identityEEEEENSD_19counting_iterator_tIlEES8_S8_S8_S8_S8_S8_S8_S8_EEEEPS9_S9_NSD_9__find_if7functorIS9_EEEE10hipError_tPvRmT1_T2_T3_mT4_P12ihipStream_tbEUlT_E1_NS1_11comp_targetILNS1_3genE0ELNS1_11target_archE4294967295ELNS1_3gpuE0ELNS1_3repE0EEENS1_30default_config_static_selectorELNS0_4arch9wavefront6targetE0EEEvS14_ ; -- Begin function _ZN7rocprim17ROCPRIM_400000_NS6detail17trampoline_kernelINS0_14default_configENS1_22reduce_config_selectorIN6thrust23THRUST_200600_302600_NS5tupleIblNS6_9null_typeES8_S8_S8_S8_S8_S8_S8_EEEEZNS1_11reduce_implILb1ES3_NS6_12zip_iteratorINS7_INS6_11hip_rocprim26transform_input_iterator_tIbNSD_35transform_pair_of_input_iterators_tIbNS6_6detail15normal_iteratorINS6_10device_ptrIKjEEEESL_NS6_8equal_toIjEEEENSG_9not_fun_tINSD_8identityEEEEENSD_19counting_iterator_tIlEES8_S8_S8_S8_S8_S8_S8_S8_EEEEPS9_S9_NSD_9__find_if7functorIS9_EEEE10hipError_tPvRmT1_T2_T3_mT4_P12ihipStream_tbEUlT_E1_NS1_11comp_targetILNS1_3genE0ELNS1_11target_archE4294967295ELNS1_3gpuE0ELNS1_3repE0EEENS1_30default_config_static_selectorELNS0_4arch9wavefront6targetE0EEEvS14_
	.globl	_ZN7rocprim17ROCPRIM_400000_NS6detail17trampoline_kernelINS0_14default_configENS1_22reduce_config_selectorIN6thrust23THRUST_200600_302600_NS5tupleIblNS6_9null_typeES8_S8_S8_S8_S8_S8_S8_EEEEZNS1_11reduce_implILb1ES3_NS6_12zip_iteratorINS7_INS6_11hip_rocprim26transform_input_iterator_tIbNSD_35transform_pair_of_input_iterators_tIbNS6_6detail15normal_iteratorINS6_10device_ptrIKjEEEESL_NS6_8equal_toIjEEEENSG_9not_fun_tINSD_8identityEEEEENSD_19counting_iterator_tIlEES8_S8_S8_S8_S8_S8_S8_S8_EEEEPS9_S9_NSD_9__find_if7functorIS9_EEEE10hipError_tPvRmT1_T2_T3_mT4_P12ihipStream_tbEUlT_E1_NS1_11comp_targetILNS1_3genE0ELNS1_11target_archE4294967295ELNS1_3gpuE0ELNS1_3repE0EEENS1_30default_config_static_selectorELNS0_4arch9wavefront6targetE0EEEvS14_
	.p2align	8
	.type	_ZN7rocprim17ROCPRIM_400000_NS6detail17trampoline_kernelINS0_14default_configENS1_22reduce_config_selectorIN6thrust23THRUST_200600_302600_NS5tupleIblNS6_9null_typeES8_S8_S8_S8_S8_S8_S8_EEEEZNS1_11reduce_implILb1ES3_NS6_12zip_iteratorINS7_INS6_11hip_rocprim26transform_input_iterator_tIbNSD_35transform_pair_of_input_iterators_tIbNS6_6detail15normal_iteratorINS6_10device_ptrIKjEEEESL_NS6_8equal_toIjEEEENSG_9not_fun_tINSD_8identityEEEEENSD_19counting_iterator_tIlEES8_S8_S8_S8_S8_S8_S8_S8_EEEEPS9_S9_NSD_9__find_if7functorIS9_EEEE10hipError_tPvRmT1_T2_T3_mT4_P12ihipStream_tbEUlT_E1_NS1_11comp_targetILNS1_3genE0ELNS1_11target_archE4294967295ELNS1_3gpuE0ELNS1_3repE0EEENS1_30default_config_static_selectorELNS0_4arch9wavefront6targetE0EEEvS14_,@function
_ZN7rocprim17ROCPRIM_400000_NS6detail17trampoline_kernelINS0_14default_configENS1_22reduce_config_selectorIN6thrust23THRUST_200600_302600_NS5tupleIblNS6_9null_typeES8_S8_S8_S8_S8_S8_S8_EEEEZNS1_11reduce_implILb1ES3_NS6_12zip_iteratorINS7_INS6_11hip_rocprim26transform_input_iterator_tIbNSD_35transform_pair_of_input_iterators_tIbNS6_6detail15normal_iteratorINS6_10device_ptrIKjEEEESL_NS6_8equal_toIjEEEENSG_9not_fun_tINSD_8identityEEEEENSD_19counting_iterator_tIlEES8_S8_S8_S8_S8_S8_S8_S8_EEEEPS9_S9_NSD_9__find_if7functorIS9_EEEE10hipError_tPvRmT1_T2_T3_mT4_P12ihipStream_tbEUlT_E1_NS1_11comp_targetILNS1_3genE0ELNS1_11target_archE4294967295ELNS1_3gpuE0ELNS1_3repE0EEENS1_30default_config_static_selectorELNS0_4arch9wavefront6targetE0EEEvS14_: ; @_ZN7rocprim17ROCPRIM_400000_NS6detail17trampoline_kernelINS0_14default_configENS1_22reduce_config_selectorIN6thrust23THRUST_200600_302600_NS5tupleIblNS6_9null_typeES8_S8_S8_S8_S8_S8_S8_EEEEZNS1_11reduce_implILb1ES3_NS6_12zip_iteratorINS7_INS6_11hip_rocprim26transform_input_iterator_tIbNSD_35transform_pair_of_input_iterators_tIbNS6_6detail15normal_iteratorINS6_10device_ptrIKjEEEESL_NS6_8equal_toIjEEEENSG_9not_fun_tINSD_8identityEEEEENSD_19counting_iterator_tIlEES8_S8_S8_S8_S8_S8_S8_S8_EEEEPS9_S9_NSD_9__find_if7functorIS9_EEEE10hipError_tPvRmT1_T2_T3_mT4_P12ihipStream_tbEUlT_E1_NS1_11comp_targetILNS1_3genE0ELNS1_11target_archE4294967295ELNS1_3gpuE0ELNS1_3repE0EEENS1_30default_config_static_selectorELNS0_4arch9wavefront6targetE0EEEvS14_
; %bb.0:
	.section	.rodata,"a",@progbits
	.p2align	6, 0x0
	.amdhsa_kernel _ZN7rocprim17ROCPRIM_400000_NS6detail17trampoline_kernelINS0_14default_configENS1_22reduce_config_selectorIN6thrust23THRUST_200600_302600_NS5tupleIblNS6_9null_typeES8_S8_S8_S8_S8_S8_S8_EEEEZNS1_11reduce_implILb1ES3_NS6_12zip_iteratorINS7_INS6_11hip_rocprim26transform_input_iterator_tIbNSD_35transform_pair_of_input_iterators_tIbNS6_6detail15normal_iteratorINS6_10device_ptrIKjEEEESL_NS6_8equal_toIjEEEENSG_9not_fun_tINSD_8identityEEEEENSD_19counting_iterator_tIlEES8_S8_S8_S8_S8_S8_S8_S8_EEEEPS9_S9_NSD_9__find_if7functorIS9_EEEE10hipError_tPvRmT1_T2_T3_mT4_P12ihipStream_tbEUlT_E1_NS1_11comp_targetILNS1_3genE0ELNS1_11target_archE4294967295ELNS1_3gpuE0ELNS1_3repE0EEENS1_30default_config_static_selectorELNS0_4arch9wavefront6targetE0EEEvS14_
		.amdhsa_group_segment_fixed_size 0
		.amdhsa_private_segment_fixed_size 0
		.amdhsa_kernarg_size 88
		.amdhsa_user_sgpr_count 15
		.amdhsa_user_sgpr_dispatch_ptr 0
		.amdhsa_user_sgpr_queue_ptr 0
		.amdhsa_user_sgpr_kernarg_segment_ptr 1
		.amdhsa_user_sgpr_dispatch_id 0
		.amdhsa_user_sgpr_private_segment_size 0
		.amdhsa_wavefront_size32 1
		.amdhsa_uses_dynamic_stack 0
		.amdhsa_enable_private_segment 0
		.amdhsa_system_sgpr_workgroup_id_x 1
		.amdhsa_system_sgpr_workgroup_id_y 0
		.amdhsa_system_sgpr_workgroup_id_z 0
		.amdhsa_system_sgpr_workgroup_info 0
		.amdhsa_system_vgpr_workitem_id 0
		.amdhsa_next_free_vgpr 1
		.amdhsa_next_free_sgpr 1
		.amdhsa_reserve_vcc 0
		.amdhsa_float_round_mode_32 0
		.amdhsa_float_round_mode_16_64 0
		.amdhsa_float_denorm_mode_32 3
		.amdhsa_float_denorm_mode_16_64 3
		.amdhsa_dx10_clamp 1
		.amdhsa_ieee_mode 1
		.amdhsa_fp16_overflow 0
		.amdhsa_workgroup_processor_mode 1
		.amdhsa_memory_ordered 1
		.amdhsa_forward_progress 0
		.amdhsa_shared_vgpr_count 0
		.amdhsa_exception_fp_ieee_invalid_op 0
		.amdhsa_exception_fp_denorm_src 0
		.amdhsa_exception_fp_ieee_div_zero 0
		.amdhsa_exception_fp_ieee_overflow 0
		.amdhsa_exception_fp_ieee_underflow 0
		.amdhsa_exception_fp_ieee_inexact 0
		.amdhsa_exception_int_div_zero 0
	.end_amdhsa_kernel
	.section	.text._ZN7rocprim17ROCPRIM_400000_NS6detail17trampoline_kernelINS0_14default_configENS1_22reduce_config_selectorIN6thrust23THRUST_200600_302600_NS5tupleIblNS6_9null_typeES8_S8_S8_S8_S8_S8_S8_EEEEZNS1_11reduce_implILb1ES3_NS6_12zip_iteratorINS7_INS6_11hip_rocprim26transform_input_iterator_tIbNSD_35transform_pair_of_input_iterators_tIbNS6_6detail15normal_iteratorINS6_10device_ptrIKjEEEESL_NS6_8equal_toIjEEEENSG_9not_fun_tINSD_8identityEEEEENSD_19counting_iterator_tIlEES8_S8_S8_S8_S8_S8_S8_S8_EEEEPS9_S9_NSD_9__find_if7functorIS9_EEEE10hipError_tPvRmT1_T2_T3_mT4_P12ihipStream_tbEUlT_E1_NS1_11comp_targetILNS1_3genE0ELNS1_11target_archE4294967295ELNS1_3gpuE0ELNS1_3repE0EEENS1_30default_config_static_selectorELNS0_4arch9wavefront6targetE0EEEvS14_,"axG",@progbits,_ZN7rocprim17ROCPRIM_400000_NS6detail17trampoline_kernelINS0_14default_configENS1_22reduce_config_selectorIN6thrust23THRUST_200600_302600_NS5tupleIblNS6_9null_typeES8_S8_S8_S8_S8_S8_S8_EEEEZNS1_11reduce_implILb1ES3_NS6_12zip_iteratorINS7_INS6_11hip_rocprim26transform_input_iterator_tIbNSD_35transform_pair_of_input_iterators_tIbNS6_6detail15normal_iteratorINS6_10device_ptrIKjEEEESL_NS6_8equal_toIjEEEENSG_9not_fun_tINSD_8identityEEEEENSD_19counting_iterator_tIlEES8_S8_S8_S8_S8_S8_S8_S8_EEEEPS9_S9_NSD_9__find_if7functorIS9_EEEE10hipError_tPvRmT1_T2_T3_mT4_P12ihipStream_tbEUlT_E1_NS1_11comp_targetILNS1_3genE0ELNS1_11target_archE4294967295ELNS1_3gpuE0ELNS1_3repE0EEENS1_30default_config_static_selectorELNS0_4arch9wavefront6targetE0EEEvS14_,comdat
.Lfunc_end820:
	.size	_ZN7rocprim17ROCPRIM_400000_NS6detail17trampoline_kernelINS0_14default_configENS1_22reduce_config_selectorIN6thrust23THRUST_200600_302600_NS5tupleIblNS6_9null_typeES8_S8_S8_S8_S8_S8_S8_EEEEZNS1_11reduce_implILb1ES3_NS6_12zip_iteratorINS7_INS6_11hip_rocprim26transform_input_iterator_tIbNSD_35transform_pair_of_input_iterators_tIbNS6_6detail15normal_iteratorINS6_10device_ptrIKjEEEESL_NS6_8equal_toIjEEEENSG_9not_fun_tINSD_8identityEEEEENSD_19counting_iterator_tIlEES8_S8_S8_S8_S8_S8_S8_S8_EEEEPS9_S9_NSD_9__find_if7functorIS9_EEEE10hipError_tPvRmT1_T2_T3_mT4_P12ihipStream_tbEUlT_E1_NS1_11comp_targetILNS1_3genE0ELNS1_11target_archE4294967295ELNS1_3gpuE0ELNS1_3repE0EEENS1_30default_config_static_selectorELNS0_4arch9wavefront6targetE0EEEvS14_, .Lfunc_end820-_ZN7rocprim17ROCPRIM_400000_NS6detail17trampoline_kernelINS0_14default_configENS1_22reduce_config_selectorIN6thrust23THRUST_200600_302600_NS5tupleIblNS6_9null_typeES8_S8_S8_S8_S8_S8_S8_EEEEZNS1_11reduce_implILb1ES3_NS6_12zip_iteratorINS7_INS6_11hip_rocprim26transform_input_iterator_tIbNSD_35transform_pair_of_input_iterators_tIbNS6_6detail15normal_iteratorINS6_10device_ptrIKjEEEESL_NS6_8equal_toIjEEEENSG_9not_fun_tINSD_8identityEEEEENSD_19counting_iterator_tIlEES8_S8_S8_S8_S8_S8_S8_S8_EEEEPS9_S9_NSD_9__find_if7functorIS9_EEEE10hipError_tPvRmT1_T2_T3_mT4_P12ihipStream_tbEUlT_E1_NS1_11comp_targetILNS1_3genE0ELNS1_11target_archE4294967295ELNS1_3gpuE0ELNS1_3repE0EEENS1_30default_config_static_selectorELNS0_4arch9wavefront6targetE0EEEvS14_
                                        ; -- End function
	.section	.AMDGPU.csdata,"",@progbits
; Kernel info:
; codeLenInByte = 0
; NumSgprs: 0
; NumVgprs: 0
; ScratchSize: 0
; MemoryBound: 0
; FloatMode: 240
; IeeeMode: 1
; LDSByteSize: 0 bytes/workgroup (compile time only)
; SGPRBlocks: 0
; VGPRBlocks: 0
; NumSGPRsForWavesPerEU: 1
; NumVGPRsForWavesPerEU: 1
; Occupancy: 16
; WaveLimiterHint : 0
; COMPUTE_PGM_RSRC2:SCRATCH_EN: 0
; COMPUTE_PGM_RSRC2:USER_SGPR: 15
; COMPUTE_PGM_RSRC2:TRAP_HANDLER: 0
; COMPUTE_PGM_RSRC2:TGID_X_EN: 1
; COMPUTE_PGM_RSRC2:TGID_Y_EN: 0
; COMPUTE_PGM_RSRC2:TGID_Z_EN: 0
; COMPUTE_PGM_RSRC2:TIDIG_COMP_CNT: 0
	.section	.text._ZN7rocprim17ROCPRIM_400000_NS6detail17trampoline_kernelINS0_14default_configENS1_22reduce_config_selectorIN6thrust23THRUST_200600_302600_NS5tupleIblNS6_9null_typeES8_S8_S8_S8_S8_S8_S8_EEEEZNS1_11reduce_implILb1ES3_NS6_12zip_iteratorINS7_INS6_11hip_rocprim26transform_input_iterator_tIbNSD_35transform_pair_of_input_iterators_tIbNS6_6detail15normal_iteratorINS6_10device_ptrIKjEEEESL_NS6_8equal_toIjEEEENSG_9not_fun_tINSD_8identityEEEEENSD_19counting_iterator_tIlEES8_S8_S8_S8_S8_S8_S8_S8_EEEEPS9_S9_NSD_9__find_if7functorIS9_EEEE10hipError_tPvRmT1_T2_T3_mT4_P12ihipStream_tbEUlT_E1_NS1_11comp_targetILNS1_3genE5ELNS1_11target_archE942ELNS1_3gpuE9ELNS1_3repE0EEENS1_30default_config_static_selectorELNS0_4arch9wavefront6targetE0EEEvS14_,"axG",@progbits,_ZN7rocprim17ROCPRIM_400000_NS6detail17trampoline_kernelINS0_14default_configENS1_22reduce_config_selectorIN6thrust23THRUST_200600_302600_NS5tupleIblNS6_9null_typeES8_S8_S8_S8_S8_S8_S8_EEEEZNS1_11reduce_implILb1ES3_NS6_12zip_iteratorINS7_INS6_11hip_rocprim26transform_input_iterator_tIbNSD_35transform_pair_of_input_iterators_tIbNS6_6detail15normal_iteratorINS6_10device_ptrIKjEEEESL_NS6_8equal_toIjEEEENSG_9not_fun_tINSD_8identityEEEEENSD_19counting_iterator_tIlEES8_S8_S8_S8_S8_S8_S8_S8_EEEEPS9_S9_NSD_9__find_if7functorIS9_EEEE10hipError_tPvRmT1_T2_T3_mT4_P12ihipStream_tbEUlT_E1_NS1_11comp_targetILNS1_3genE5ELNS1_11target_archE942ELNS1_3gpuE9ELNS1_3repE0EEENS1_30default_config_static_selectorELNS0_4arch9wavefront6targetE0EEEvS14_,comdat
	.protected	_ZN7rocprim17ROCPRIM_400000_NS6detail17trampoline_kernelINS0_14default_configENS1_22reduce_config_selectorIN6thrust23THRUST_200600_302600_NS5tupleIblNS6_9null_typeES8_S8_S8_S8_S8_S8_S8_EEEEZNS1_11reduce_implILb1ES3_NS6_12zip_iteratorINS7_INS6_11hip_rocprim26transform_input_iterator_tIbNSD_35transform_pair_of_input_iterators_tIbNS6_6detail15normal_iteratorINS6_10device_ptrIKjEEEESL_NS6_8equal_toIjEEEENSG_9not_fun_tINSD_8identityEEEEENSD_19counting_iterator_tIlEES8_S8_S8_S8_S8_S8_S8_S8_EEEEPS9_S9_NSD_9__find_if7functorIS9_EEEE10hipError_tPvRmT1_T2_T3_mT4_P12ihipStream_tbEUlT_E1_NS1_11comp_targetILNS1_3genE5ELNS1_11target_archE942ELNS1_3gpuE9ELNS1_3repE0EEENS1_30default_config_static_selectorELNS0_4arch9wavefront6targetE0EEEvS14_ ; -- Begin function _ZN7rocprim17ROCPRIM_400000_NS6detail17trampoline_kernelINS0_14default_configENS1_22reduce_config_selectorIN6thrust23THRUST_200600_302600_NS5tupleIblNS6_9null_typeES8_S8_S8_S8_S8_S8_S8_EEEEZNS1_11reduce_implILb1ES3_NS6_12zip_iteratorINS7_INS6_11hip_rocprim26transform_input_iterator_tIbNSD_35transform_pair_of_input_iterators_tIbNS6_6detail15normal_iteratorINS6_10device_ptrIKjEEEESL_NS6_8equal_toIjEEEENSG_9not_fun_tINSD_8identityEEEEENSD_19counting_iterator_tIlEES8_S8_S8_S8_S8_S8_S8_S8_EEEEPS9_S9_NSD_9__find_if7functorIS9_EEEE10hipError_tPvRmT1_T2_T3_mT4_P12ihipStream_tbEUlT_E1_NS1_11comp_targetILNS1_3genE5ELNS1_11target_archE942ELNS1_3gpuE9ELNS1_3repE0EEENS1_30default_config_static_selectorELNS0_4arch9wavefront6targetE0EEEvS14_
	.globl	_ZN7rocprim17ROCPRIM_400000_NS6detail17trampoline_kernelINS0_14default_configENS1_22reduce_config_selectorIN6thrust23THRUST_200600_302600_NS5tupleIblNS6_9null_typeES8_S8_S8_S8_S8_S8_S8_EEEEZNS1_11reduce_implILb1ES3_NS6_12zip_iteratorINS7_INS6_11hip_rocprim26transform_input_iterator_tIbNSD_35transform_pair_of_input_iterators_tIbNS6_6detail15normal_iteratorINS6_10device_ptrIKjEEEESL_NS6_8equal_toIjEEEENSG_9not_fun_tINSD_8identityEEEEENSD_19counting_iterator_tIlEES8_S8_S8_S8_S8_S8_S8_S8_EEEEPS9_S9_NSD_9__find_if7functorIS9_EEEE10hipError_tPvRmT1_T2_T3_mT4_P12ihipStream_tbEUlT_E1_NS1_11comp_targetILNS1_3genE5ELNS1_11target_archE942ELNS1_3gpuE9ELNS1_3repE0EEENS1_30default_config_static_selectorELNS0_4arch9wavefront6targetE0EEEvS14_
	.p2align	8
	.type	_ZN7rocprim17ROCPRIM_400000_NS6detail17trampoline_kernelINS0_14default_configENS1_22reduce_config_selectorIN6thrust23THRUST_200600_302600_NS5tupleIblNS6_9null_typeES8_S8_S8_S8_S8_S8_S8_EEEEZNS1_11reduce_implILb1ES3_NS6_12zip_iteratorINS7_INS6_11hip_rocprim26transform_input_iterator_tIbNSD_35transform_pair_of_input_iterators_tIbNS6_6detail15normal_iteratorINS6_10device_ptrIKjEEEESL_NS6_8equal_toIjEEEENSG_9not_fun_tINSD_8identityEEEEENSD_19counting_iterator_tIlEES8_S8_S8_S8_S8_S8_S8_S8_EEEEPS9_S9_NSD_9__find_if7functorIS9_EEEE10hipError_tPvRmT1_T2_T3_mT4_P12ihipStream_tbEUlT_E1_NS1_11comp_targetILNS1_3genE5ELNS1_11target_archE942ELNS1_3gpuE9ELNS1_3repE0EEENS1_30default_config_static_selectorELNS0_4arch9wavefront6targetE0EEEvS14_,@function
_ZN7rocprim17ROCPRIM_400000_NS6detail17trampoline_kernelINS0_14default_configENS1_22reduce_config_selectorIN6thrust23THRUST_200600_302600_NS5tupleIblNS6_9null_typeES8_S8_S8_S8_S8_S8_S8_EEEEZNS1_11reduce_implILb1ES3_NS6_12zip_iteratorINS7_INS6_11hip_rocprim26transform_input_iterator_tIbNSD_35transform_pair_of_input_iterators_tIbNS6_6detail15normal_iteratorINS6_10device_ptrIKjEEEESL_NS6_8equal_toIjEEEENSG_9not_fun_tINSD_8identityEEEEENSD_19counting_iterator_tIlEES8_S8_S8_S8_S8_S8_S8_S8_EEEEPS9_S9_NSD_9__find_if7functorIS9_EEEE10hipError_tPvRmT1_T2_T3_mT4_P12ihipStream_tbEUlT_E1_NS1_11comp_targetILNS1_3genE5ELNS1_11target_archE942ELNS1_3gpuE9ELNS1_3repE0EEENS1_30default_config_static_selectorELNS0_4arch9wavefront6targetE0EEEvS14_: ; @_ZN7rocprim17ROCPRIM_400000_NS6detail17trampoline_kernelINS0_14default_configENS1_22reduce_config_selectorIN6thrust23THRUST_200600_302600_NS5tupleIblNS6_9null_typeES8_S8_S8_S8_S8_S8_S8_EEEEZNS1_11reduce_implILb1ES3_NS6_12zip_iteratorINS7_INS6_11hip_rocprim26transform_input_iterator_tIbNSD_35transform_pair_of_input_iterators_tIbNS6_6detail15normal_iteratorINS6_10device_ptrIKjEEEESL_NS6_8equal_toIjEEEENSG_9not_fun_tINSD_8identityEEEEENSD_19counting_iterator_tIlEES8_S8_S8_S8_S8_S8_S8_S8_EEEEPS9_S9_NSD_9__find_if7functorIS9_EEEE10hipError_tPvRmT1_T2_T3_mT4_P12ihipStream_tbEUlT_E1_NS1_11comp_targetILNS1_3genE5ELNS1_11target_archE942ELNS1_3gpuE9ELNS1_3repE0EEENS1_30default_config_static_selectorELNS0_4arch9wavefront6targetE0EEEvS14_
; %bb.0:
	.section	.rodata,"a",@progbits
	.p2align	6, 0x0
	.amdhsa_kernel _ZN7rocprim17ROCPRIM_400000_NS6detail17trampoline_kernelINS0_14default_configENS1_22reduce_config_selectorIN6thrust23THRUST_200600_302600_NS5tupleIblNS6_9null_typeES8_S8_S8_S8_S8_S8_S8_EEEEZNS1_11reduce_implILb1ES3_NS6_12zip_iteratorINS7_INS6_11hip_rocprim26transform_input_iterator_tIbNSD_35transform_pair_of_input_iterators_tIbNS6_6detail15normal_iteratorINS6_10device_ptrIKjEEEESL_NS6_8equal_toIjEEEENSG_9not_fun_tINSD_8identityEEEEENSD_19counting_iterator_tIlEES8_S8_S8_S8_S8_S8_S8_S8_EEEEPS9_S9_NSD_9__find_if7functorIS9_EEEE10hipError_tPvRmT1_T2_T3_mT4_P12ihipStream_tbEUlT_E1_NS1_11comp_targetILNS1_3genE5ELNS1_11target_archE942ELNS1_3gpuE9ELNS1_3repE0EEENS1_30default_config_static_selectorELNS0_4arch9wavefront6targetE0EEEvS14_
		.amdhsa_group_segment_fixed_size 0
		.amdhsa_private_segment_fixed_size 0
		.amdhsa_kernarg_size 88
		.amdhsa_user_sgpr_count 15
		.amdhsa_user_sgpr_dispatch_ptr 0
		.amdhsa_user_sgpr_queue_ptr 0
		.amdhsa_user_sgpr_kernarg_segment_ptr 1
		.amdhsa_user_sgpr_dispatch_id 0
		.amdhsa_user_sgpr_private_segment_size 0
		.amdhsa_wavefront_size32 1
		.amdhsa_uses_dynamic_stack 0
		.amdhsa_enable_private_segment 0
		.amdhsa_system_sgpr_workgroup_id_x 1
		.amdhsa_system_sgpr_workgroup_id_y 0
		.amdhsa_system_sgpr_workgroup_id_z 0
		.amdhsa_system_sgpr_workgroup_info 0
		.amdhsa_system_vgpr_workitem_id 0
		.amdhsa_next_free_vgpr 1
		.amdhsa_next_free_sgpr 1
		.amdhsa_reserve_vcc 0
		.amdhsa_float_round_mode_32 0
		.amdhsa_float_round_mode_16_64 0
		.amdhsa_float_denorm_mode_32 3
		.amdhsa_float_denorm_mode_16_64 3
		.amdhsa_dx10_clamp 1
		.amdhsa_ieee_mode 1
		.amdhsa_fp16_overflow 0
		.amdhsa_workgroup_processor_mode 1
		.amdhsa_memory_ordered 1
		.amdhsa_forward_progress 0
		.amdhsa_shared_vgpr_count 0
		.amdhsa_exception_fp_ieee_invalid_op 0
		.amdhsa_exception_fp_denorm_src 0
		.amdhsa_exception_fp_ieee_div_zero 0
		.amdhsa_exception_fp_ieee_overflow 0
		.amdhsa_exception_fp_ieee_underflow 0
		.amdhsa_exception_fp_ieee_inexact 0
		.amdhsa_exception_int_div_zero 0
	.end_amdhsa_kernel
	.section	.text._ZN7rocprim17ROCPRIM_400000_NS6detail17trampoline_kernelINS0_14default_configENS1_22reduce_config_selectorIN6thrust23THRUST_200600_302600_NS5tupleIblNS6_9null_typeES8_S8_S8_S8_S8_S8_S8_EEEEZNS1_11reduce_implILb1ES3_NS6_12zip_iteratorINS7_INS6_11hip_rocprim26transform_input_iterator_tIbNSD_35transform_pair_of_input_iterators_tIbNS6_6detail15normal_iteratorINS6_10device_ptrIKjEEEESL_NS6_8equal_toIjEEEENSG_9not_fun_tINSD_8identityEEEEENSD_19counting_iterator_tIlEES8_S8_S8_S8_S8_S8_S8_S8_EEEEPS9_S9_NSD_9__find_if7functorIS9_EEEE10hipError_tPvRmT1_T2_T3_mT4_P12ihipStream_tbEUlT_E1_NS1_11comp_targetILNS1_3genE5ELNS1_11target_archE942ELNS1_3gpuE9ELNS1_3repE0EEENS1_30default_config_static_selectorELNS0_4arch9wavefront6targetE0EEEvS14_,"axG",@progbits,_ZN7rocprim17ROCPRIM_400000_NS6detail17trampoline_kernelINS0_14default_configENS1_22reduce_config_selectorIN6thrust23THRUST_200600_302600_NS5tupleIblNS6_9null_typeES8_S8_S8_S8_S8_S8_S8_EEEEZNS1_11reduce_implILb1ES3_NS6_12zip_iteratorINS7_INS6_11hip_rocprim26transform_input_iterator_tIbNSD_35transform_pair_of_input_iterators_tIbNS6_6detail15normal_iteratorINS6_10device_ptrIKjEEEESL_NS6_8equal_toIjEEEENSG_9not_fun_tINSD_8identityEEEEENSD_19counting_iterator_tIlEES8_S8_S8_S8_S8_S8_S8_S8_EEEEPS9_S9_NSD_9__find_if7functorIS9_EEEE10hipError_tPvRmT1_T2_T3_mT4_P12ihipStream_tbEUlT_E1_NS1_11comp_targetILNS1_3genE5ELNS1_11target_archE942ELNS1_3gpuE9ELNS1_3repE0EEENS1_30default_config_static_selectorELNS0_4arch9wavefront6targetE0EEEvS14_,comdat
.Lfunc_end821:
	.size	_ZN7rocprim17ROCPRIM_400000_NS6detail17trampoline_kernelINS0_14default_configENS1_22reduce_config_selectorIN6thrust23THRUST_200600_302600_NS5tupleIblNS6_9null_typeES8_S8_S8_S8_S8_S8_S8_EEEEZNS1_11reduce_implILb1ES3_NS6_12zip_iteratorINS7_INS6_11hip_rocprim26transform_input_iterator_tIbNSD_35transform_pair_of_input_iterators_tIbNS6_6detail15normal_iteratorINS6_10device_ptrIKjEEEESL_NS6_8equal_toIjEEEENSG_9not_fun_tINSD_8identityEEEEENSD_19counting_iterator_tIlEES8_S8_S8_S8_S8_S8_S8_S8_EEEEPS9_S9_NSD_9__find_if7functorIS9_EEEE10hipError_tPvRmT1_T2_T3_mT4_P12ihipStream_tbEUlT_E1_NS1_11comp_targetILNS1_3genE5ELNS1_11target_archE942ELNS1_3gpuE9ELNS1_3repE0EEENS1_30default_config_static_selectorELNS0_4arch9wavefront6targetE0EEEvS14_, .Lfunc_end821-_ZN7rocprim17ROCPRIM_400000_NS6detail17trampoline_kernelINS0_14default_configENS1_22reduce_config_selectorIN6thrust23THRUST_200600_302600_NS5tupleIblNS6_9null_typeES8_S8_S8_S8_S8_S8_S8_EEEEZNS1_11reduce_implILb1ES3_NS6_12zip_iteratorINS7_INS6_11hip_rocprim26transform_input_iterator_tIbNSD_35transform_pair_of_input_iterators_tIbNS6_6detail15normal_iteratorINS6_10device_ptrIKjEEEESL_NS6_8equal_toIjEEEENSG_9not_fun_tINSD_8identityEEEEENSD_19counting_iterator_tIlEES8_S8_S8_S8_S8_S8_S8_S8_EEEEPS9_S9_NSD_9__find_if7functorIS9_EEEE10hipError_tPvRmT1_T2_T3_mT4_P12ihipStream_tbEUlT_E1_NS1_11comp_targetILNS1_3genE5ELNS1_11target_archE942ELNS1_3gpuE9ELNS1_3repE0EEENS1_30default_config_static_selectorELNS0_4arch9wavefront6targetE0EEEvS14_
                                        ; -- End function
	.section	.AMDGPU.csdata,"",@progbits
; Kernel info:
; codeLenInByte = 0
; NumSgprs: 0
; NumVgprs: 0
; ScratchSize: 0
; MemoryBound: 0
; FloatMode: 240
; IeeeMode: 1
; LDSByteSize: 0 bytes/workgroup (compile time only)
; SGPRBlocks: 0
; VGPRBlocks: 0
; NumSGPRsForWavesPerEU: 1
; NumVGPRsForWavesPerEU: 1
; Occupancy: 16
; WaveLimiterHint : 0
; COMPUTE_PGM_RSRC2:SCRATCH_EN: 0
; COMPUTE_PGM_RSRC2:USER_SGPR: 15
; COMPUTE_PGM_RSRC2:TRAP_HANDLER: 0
; COMPUTE_PGM_RSRC2:TGID_X_EN: 1
; COMPUTE_PGM_RSRC2:TGID_Y_EN: 0
; COMPUTE_PGM_RSRC2:TGID_Z_EN: 0
; COMPUTE_PGM_RSRC2:TIDIG_COMP_CNT: 0
	.section	.text._ZN7rocprim17ROCPRIM_400000_NS6detail17trampoline_kernelINS0_14default_configENS1_22reduce_config_selectorIN6thrust23THRUST_200600_302600_NS5tupleIblNS6_9null_typeES8_S8_S8_S8_S8_S8_S8_EEEEZNS1_11reduce_implILb1ES3_NS6_12zip_iteratorINS7_INS6_11hip_rocprim26transform_input_iterator_tIbNSD_35transform_pair_of_input_iterators_tIbNS6_6detail15normal_iteratorINS6_10device_ptrIKjEEEESL_NS6_8equal_toIjEEEENSG_9not_fun_tINSD_8identityEEEEENSD_19counting_iterator_tIlEES8_S8_S8_S8_S8_S8_S8_S8_EEEEPS9_S9_NSD_9__find_if7functorIS9_EEEE10hipError_tPvRmT1_T2_T3_mT4_P12ihipStream_tbEUlT_E1_NS1_11comp_targetILNS1_3genE4ELNS1_11target_archE910ELNS1_3gpuE8ELNS1_3repE0EEENS1_30default_config_static_selectorELNS0_4arch9wavefront6targetE0EEEvS14_,"axG",@progbits,_ZN7rocprim17ROCPRIM_400000_NS6detail17trampoline_kernelINS0_14default_configENS1_22reduce_config_selectorIN6thrust23THRUST_200600_302600_NS5tupleIblNS6_9null_typeES8_S8_S8_S8_S8_S8_S8_EEEEZNS1_11reduce_implILb1ES3_NS6_12zip_iteratorINS7_INS6_11hip_rocprim26transform_input_iterator_tIbNSD_35transform_pair_of_input_iterators_tIbNS6_6detail15normal_iteratorINS6_10device_ptrIKjEEEESL_NS6_8equal_toIjEEEENSG_9not_fun_tINSD_8identityEEEEENSD_19counting_iterator_tIlEES8_S8_S8_S8_S8_S8_S8_S8_EEEEPS9_S9_NSD_9__find_if7functorIS9_EEEE10hipError_tPvRmT1_T2_T3_mT4_P12ihipStream_tbEUlT_E1_NS1_11comp_targetILNS1_3genE4ELNS1_11target_archE910ELNS1_3gpuE8ELNS1_3repE0EEENS1_30default_config_static_selectorELNS0_4arch9wavefront6targetE0EEEvS14_,comdat
	.protected	_ZN7rocprim17ROCPRIM_400000_NS6detail17trampoline_kernelINS0_14default_configENS1_22reduce_config_selectorIN6thrust23THRUST_200600_302600_NS5tupleIblNS6_9null_typeES8_S8_S8_S8_S8_S8_S8_EEEEZNS1_11reduce_implILb1ES3_NS6_12zip_iteratorINS7_INS6_11hip_rocprim26transform_input_iterator_tIbNSD_35transform_pair_of_input_iterators_tIbNS6_6detail15normal_iteratorINS6_10device_ptrIKjEEEESL_NS6_8equal_toIjEEEENSG_9not_fun_tINSD_8identityEEEEENSD_19counting_iterator_tIlEES8_S8_S8_S8_S8_S8_S8_S8_EEEEPS9_S9_NSD_9__find_if7functorIS9_EEEE10hipError_tPvRmT1_T2_T3_mT4_P12ihipStream_tbEUlT_E1_NS1_11comp_targetILNS1_3genE4ELNS1_11target_archE910ELNS1_3gpuE8ELNS1_3repE0EEENS1_30default_config_static_selectorELNS0_4arch9wavefront6targetE0EEEvS14_ ; -- Begin function _ZN7rocprim17ROCPRIM_400000_NS6detail17trampoline_kernelINS0_14default_configENS1_22reduce_config_selectorIN6thrust23THRUST_200600_302600_NS5tupleIblNS6_9null_typeES8_S8_S8_S8_S8_S8_S8_EEEEZNS1_11reduce_implILb1ES3_NS6_12zip_iteratorINS7_INS6_11hip_rocprim26transform_input_iterator_tIbNSD_35transform_pair_of_input_iterators_tIbNS6_6detail15normal_iteratorINS6_10device_ptrIKjEEEESL_NS6_8equal_toIjEEEENSG_9not_fun_tINSD_8identityEEEEENSD_19counting_iterator_tIlEES8_S8_S8_S8_S8_S8_S8_S8_EEEEPS9_S9_NSD_9__find_if7functorIS9_EEEE10hipError_tPvRmT1_T2_T3_mT4_P12ihipStream_tbEUlT_E1_NS1_11comp_targetILNS1_3genE4ELNS1_11target_archE910ELNS1_3gpuE8ELNS1_3repE0EEENS1_30default_config_static_selectorELNS0_4arch9wavefront6targetE0EEEvS14_
	.globl	_ZN7rocprim17ROCPRIM_400000_NS6detail17trampoline_kernelINS0_14default_configENS1_22reduce_config_selectorIN6thrust23THRUST_200600_302600_NS5tupleIblNS6_9null_typeES8_S8_S8_S8_S8_S8_S8_EEEEZNS1_11reduce_implILb1ES3_NS6_12zip_iteratorINS7_INS6_11hip_rocprim26transform_input_iterator_tIbNSD_35transform_pair_of_input_iterators_tIbNS6_6detail15normal_iteratorINS6_10device_ptrIKjEEEESL_NS6_8equal_toIjEEEENSG_9not_fun_tINSD_8identityEEEEENSD_19counting_iterator_tIlEES8_S8_S8_S8_S8_S8_S8_S8_EEEEPS9_S9_NSD_9__find_if7functorIS9_EEEE10hipError_tPvRmT1_T2_T3_mT4_P12ihipStream_tbEUlT_E1_NS1_11comp_targetILNS1_3genE4ELNS1_11target_archE910ELNS1_3gpuE8ELNS1_3repE0EEENS1_30default_config_static_selectorELNS0_4arch9wavefront6targetE0EEEvS14_
	.p2align	8
	.type	_ZN7rocprim17ROCPRIM_400000_NS6detail17trampoline_kernelINS0_14default_configENS1_22reduce_config_selectorIN6thrust23THRUST_200600_302600_NS5tupleIblNS6_9null_typeES8_S8_S8_S8_S8_S8_S8_EEEEZNS1_11reduce_implILb1ES3_NS6_12zip_iteratorINS7_INS6_11hip_rocprim26transform_input_iterator_tIbNSD_35transform_pair_of_input_iterators_tIbNS6_6detail15normal_iteratorINS6_10device_ptrIKjEEEESL_NS6_8equal_toIjEEEENSG_9not_fun_tINSD_8identityEEEEENSD_19counting_iterator_tIlEES8_S8_S8_S8_S8_S8_S8_S8_EEEEPS9_S9_NSD_9__find_if7functorIS9_EEEE10hipError_tPvRmT1_T2_T3_mT4_P12ihipStream_tbEUlT_E1_NS1_11comp_targetILNS1_3genE4ELNS1_11target_archE910ELNS1_3gpuE8ELNS1_3repE0EEENS1_30default_config_static_selectorELNS0_4arch9wavefront6targetE0EEEvS14_,@function
_ZN7rocprim17ROCPRIM_400000_NS6detail17trampoline_kernelINS0_14default_configENS1_22reduce_config_selectorIN6thrust23THRUST_200600_302600_NS5tupleIblNS6_9null_typeES8_S8_S8_S8_S8_S8_S8_EEEEZNS1_11reduce_implILb1ES3_NS6_12zip_iteratorINS7_INS6_11hip_rocprim26transform_input_iterator_tIbNSD_35transform_pair_of_input_iterators_tIbNS6_6detail15normal_iteratorINS6_10device_ptrIKjEEEESL_NS6_8equal_toIjEEEENSG_9not_fun_tINSD_8identityEEEEENSD_19counting_iterator_tIlEES8_S8_S8_S8_S8_S8_S8_S8_EEEEPS9_S9_NSD_9__find_if7functorIS9_EEEE10hipError_tPvRmT1_T2_T3_mT4_P12ihipStream_tbEUlT_E1_NS1_11comp_targetILNS1_3genE4ELNS1_11target_archE910ELNS1_3gpuE8ELNS1_3repE0EEENS1_30default_config_static_selectorELNS0_4arch9wavefront6targetE0EEEvS14_: ; @_ZN7rocprim17ROCPRIM_400000_NS6detail17trampoline_kernelINS0_14default_configENS1_22reduce_config_selectorIN6thrust23THRUST_200600_302600_NS5tupleIblNS6_9null_typeES8_S8_S8_S8_S8_S8_S8_EEEEZNS1_11reduce_implILb1ES3_NS6_12zip_iteratorINS7_INS6_11hip_rocprim26transform_input_iterator_tIbNSD_35transform_pair_of_input_iterators_tIbNS6_6detail15normal_iteratorINS6_10device_ptrIKjEEEESL_NS6_8equal_toIjEEEENSG_9not_fun_tINSD_8identityEEEEENSD_19counting_iterator_tIlEES8_S8_S8_S8_S8_S8_S8_S8_EEEEPS9_S9_NSD_9__find_if7functorIS9_EEEE10hipError_tPvRmT1_T2_T3_mT4_P12ihipStream_tbEUlT_E1_NS1_11comp_targetILNS1_3genE4ELNS1_11target_archE910ELNS1_3gpuE8ELNS1_3repE0EEENS1_30default_config_static_selectorELNS0_4arch9wavefront6targetE0EEEvS14_
; %bb.0:
	.section	.rodata,"a",@progbits
	.p2align	6, 0x0
	.amdhsa_kernel _ZN7rocprim17ROCPRIM_400000_NS6detail17trampoline_kernelINS0_14default_configENS1_22reduce_config_selectorIN6thrust23THRUST_200600_302600_NS5tupleIblNS6_9null_typeES8_S8_S8_S8_S8_S8_S8_EEEEZNS1_11reduce_implILb1ES3_NS6_12zip_iteratorINS7_INS6_11hip_rocprim26transform_input_iterator_tIbNSD_35transform_pair_of_input_iterators_tIbNS6_6detail15normal_iteratorINS6_10device_ptrIKjEEEESL_NS6_8equal_toIjEEEENSG_9not_fun_tINSD_8identityEEEEENSD_19counting_iterator_tIlEES8_S8_S8_S8_S8_S8_S8_S8_EEEEPS9_S9_NSD_9__find_if7functorIS9_EEEE10hipError_tPvRmT1_T2_T3_mT4_P12ihipStream_tbEUlT_E1_NS1_11comp_targetILNS1_3genE4ELNS1_11target_archE910ELNS1_3gpuE8ELNS1_3repE0EEENS1_30default_config_static_selectorELNS0_4arch9wavefront6targetE0EEEvS14_
		.amdhsa_group_segment_fixed_size 0
		.amdhsa_private_segment_fixed_size 0
		.amdhsa_kernarg_size 88
		.amdhsa_user_sgpr_count 15
		.amdhsa_user_sgpr_dispatch_ptr 0
		.amdhsa_user_sgpr_queue_ptr 0
		.amdhsa_user_sgpr_kernarg_segment_ptr 1
		.amdhsa_user_sgpr_dispatch_id 0
		.amdhsa_user_sgpr_private_segment_size 0
		.amdhsa_wavefront_size32 1
		.amdhsa_uses_dynamic_stack 0
		.amdhsa_enable_private_segment 0
		.amdhsa_system_sgpr_workgroup_id_x 1
		.amdhsa_system_sgpr_workgroup_id_y 0
		.amdhsa_system_sgpr_workgroup_id_z 0
		.amdhsa_system_sgpr_workgroup_info 0
		.amdhsa_system_vgpr_workitem_id 0
		.amdhsa_next_free_vgpr 1
		.amdhsa_next_free_sgpr 1
		.amdhsa_reserve_vcc 0
		.amdhsa_float_round_mode_32 0
		.amdhsa_float_round_mode_16_64 0
		.amdhsa_float_denorm_mode_32 3
		.amdhsa_float_denorm_mode_16_64 3
		.amdhsa_dx10_clamp 1
		.amdhsa_ieee_mode 1
		.amdhsa_fp16_overflow 0
		.amdhsa_workgroup_processor_mode 1
		.amdhsa_memory_ordered 1
		.amdhsa_forward_progress 0
		.amdhsa_shared_vgpr_count 0
		.amdhsa_exception_fp_ieee_invalid_op 0
		.amdhsa_exception_fp_denorm_src 0
		.amdhsa_exception_fp_ieee_div_zero 0
		.amdhsa_exception_fp_ieee_overflow 0
		.amdhsa_exception_fp_ieee_underflow 0
		.amdhsa_exception_fp_ieee_inexact 0
		.amdhsa_exception_int_div_zero 0
	.end_amdhsa_kernel
	.section	.text._ZN7rocprim17ROCPRIM_400000_NS6detail17trampoline_kernelINS0_14default_configENS1_22reduce_config_selectorIN6thrust23THRUST_200600_302600_NS5tupleIblNS6_9null_typeES8_S8_S8_S8_S8_S8_S8_EEEEZNS1_11reduce_implILb1ES3_NS6_12zip_iteratorINS7_INS6_11hip_rocprim26transform_input_iterator_tIbNSD_35transform_pair_of_input_iterators_tIbNS6_6detail15normal_iteratorINS6_10device_ptrIKjEEEESL_NS6_8equal_toIjEEEENSG_9not_fun_tINSD_8identityEEEEENSD_19counting_iterator_tIlEES8_S8_S8_S8_S8_S8_S8_S8_EEEEPS9_S9_NSD_9__find_if7functorIS9_EEEE10hipError_tPvRmT1_T2_T3_mT4_P12ihipStream_tbEUlT_E1_NS1_11comp_targetILNS1_3genE4ELNS1_11target_archE910ELNS1_3gpuE8ELNS1_3repE0EEENS1_30default_config_static_selectorELNS0_4arch9wavefront6targetE0EEEvS14_,"axG",@progbits,_ZN7rocprim17ROCPRIM_400000_NS6detail17trampoline_kernelINS0_14default_configENS1_22reduce_config_selectorIN6thrust23THRUST_200600_302600_NS5tupleIblNS6_9null_typeES8_S8_S8_S8_S8_S8_S8_EEEEZNS1_11reduce_implILb1ES3_NS6_12zip_iteratorINS7_INS6_11hip_rocprim26transform_input_iterator_tIbNSD_35transform_pair_of_input_iterators_tIbNS6_6detail15normal_iteratorINS6_10device_ptrIKjEEEESL_NS6_8equal_toIjEEEENSG_9not_fun_tINSD_8identityEEEEENSD_19counting_iterator_tIlEES8_S8_S8_S8_S8_S8_S8_S8_EEEEPS9_S9_NSD_9__find_if7functorIS9_EEEE10hipError_tPvRmT1_T2_T3_mT4_P12ihipStream_tbEUlT_E1_NS1_11comp_targetILNS1_3genE4ELNS1_11target_archE910ELNS1_3gpuE8ELNS1_3repE0EEENS1_30default_config_static_selectorELNS0_4arch9wavefront6targetE0EEEvS14_,comdat
.Lfunc_end822:
	.size	_ZN7rocprim17ROCPRIM_400000_NS6detail17trampoline_kernelINS0_14default_configENS1_22reduce_config_selectorIN6thrust23THRUST_200600_302600_NS5tupleIblNS6_9null_typeES8_S8_S8_S8_S8_S8_S8_EEEEZNS1_11reduce_implILb1ES3_NS6_12zip_iteratorINS7_INS6_11hip_rocprim26transform_input_iterator_tIbNSD_35transform_pair_of_input_iterators_tIbNS6_6detail15normal_iteratorINS6_10device_ptrIKjEEEESL_NS6_8equal_toIjEEEENSG_9not_fun_tINSD_8identityEEEEENSD_19counting_iterator_tIlEES8_S8_S8_S8_S8_S8_S8_S8_EEEEPS9_S9_NSD_9__find_if7functorIS9_EEEE10hipError_tPvRmT1_T2_T3_mT4_P12ihipStream_tbEUlT_E1_NS1_11comp_targetILNS1_3genE4ELNS1_11target_archE910ELNS1_3gpuE8ELNS1_3repE0EEENS1_30default_config_static_selectorELNS0_4arch9wavefront6targetE0EEEvS14_, .Lfunc_end822-_ZN7rocprim17ROCPRIM_400000_NS6detail17trampoline_kernelINS0_14default_configENS1_22reduce_config_selectorIN6thrust23THRUST_200600_302600_NS5tupleIblNS6_9null_typeES8_S8_S8_S8_S8_S8_S8_EEEEZNS1_11reduce_implILb1ES3_NS6_12zip_iteratorINS7_INS6_11hip_rocprim26transform_input_iterator_tIbNSD_35transform_pair_of_input_iterators_tIbNS6_6detail15normal_iteratorINS6_10device_ptrIKjEEEESL_NS6_8equal_toIjEEEENSG_9not_fun_tINSD_8identityEEEEENSD_19counting_iterator_tIlEES8_S8_S8_S8_S8_S8_S8_S8_EEEEPS9_S9_NSD_9__find_if7functorIS9_EEEE10hipError_tPvRmT1_T2_T3_mT4_P12ihipStream_tbEUlT_E1_NS1_11comp_targetILNS1_3genE4ELNS1_11target_archE910ELNS1_3gpuE8ELNS1_3repE0EEENS1_30default_config_static_selectorELNS0_4arch9wavefront6targetE0EEEvS14_
                                        ; -- End function
	.section	.AMDGPU.csdata,"",@progbits
; Kernel info:
; codeLenInByte = 0
; NumSgprs: 0
; NumVgprs: 0
; ScratchSize: 0
; MemoryBound: 0
; FloatMode: 240
; IeeeMode: 1
; LDSByteSize: 0 bytes/workgroup (compile time only)
; SGPRBlocks: 0
; VGPRBlocks: 0
; NumSGPRsForWavesPerEU: 1
; NumVGPRsForWavesPerEU: 1
; Occupancy: 16
; WaveLimiterHint : 0
; COMPUTE_PGM_RSRC2:SCRATCH_EN: 0
; COMPUTE_PGM_RSRC2:USER_SGPR: 15
; COMPUTE_PGM_RSRC2:TRAP_HANDLER: 0
; COMPUTE_PGM_RSRC2:TGID_X_EN: 1
; COMPUTE_PGM_RSRC2:TGID_Y_EN: 0
; COMPUTE_PGM_RSRC2:TGID_Z_EN: 0
; COMPUTE_PGM_RSRC2:TIDIG_COMP_CNT: 0
	.section	.text._ZN7rocprim17ROCPRIM_400000_NS6detail17trampoline_kernelINS0_14default_configENS1_22reduce_config_selectorIN6thrust23THRUST_200600_302600_NS5tupleIblNS6_9null_typeES8_S8_S8_S8_S8_S8_S8_EEEEZNS1_11reduce_implILb1ES3_NS6_12zip_iteratorINS7_INS6_11hip_rocprim26transform_input_iterator_tIbNSD_35transform_pair_of_input_iterators_tIbNS6_6detail15normal_iteratorINS6_10device_ptrIKjEEEESL_NS6_8equal_toIjEEEENSG_9not_fun_tINSD_8identityEEEEENSD_19counting_iterator_tIlEES8_S8_S8_S8_S8_S8_S8_S8_EEEEPS9_S9_NSD_9__find_if7functorIS9_EEEE10hipError_tPvRmT1_T2_T3_mT4_P12ihipStream_tbEUlT_E1_NS1_11comp_targetILNS1_3genE3ELNS1_11target_archE908ELNS1_3gpuE7ELNS1_3repE0EEENS1_30default_config_static_selectorELNS0_4arch9wavefront6targetE0EEEvS14_,"axG",@progbits,_ZN7rocprim17ROCPRIM_400000_NS6detail17trampoline_kernelINS0_14default_configENS1_22reduce_config_selectorIN6thrust23THRUST_200600_302600_NS5tupleIblNS6_9null_typeES8_S8_S8_S8_S8_S8_S8_EEEEZNS1_11reduce_implILb1ES3_NS6_12zip_iteratorINS7_INS6_11hip_rocprim26transform_input_iterator_tIbNSD_35transform_pair_of_input_iterators_tIbNS6_6detail15normal_iteratorINS6_10device_ptrIKjEEEESL_NS6_8equal_toIjEEEENSG_9not_fun_tINSD_8identityEEEEENSD_19counting_iterator_tIlEES8_S8_S8_S8_S8_S8_S8_S8_EEEEPS9_S9_NSD_9__find_if7functorIS9_EEEE10hipError_tPvRmT1_T2_T3_mT4_P12ihipStream_tbEUlT_E1_NS1_11comp_targetILNS1_3genE3ELNS1_11target_archE908ELNS1_3gpuE7ELNS1_3repE0EEENS1_30default_config_static_selectorELNS0_4arch9wavefront6targetE0EEEvS14_,comdat
	.protected	_ZN7rocprim17ROCPRIM_400000_NS6detail17trampoline_kernelINS0_14default_configENS1_22reduce_config_selectorIN6thrust23THRUST_200600_302600_NS5tupleIblNS6_9null_typeES8_S8_S8_S8_S8_S8_S8_EEEEZNS1_11reduce_implILb1ES3_NS6_12zip_iteratorINS7_INS6_11hip_rocprim26transform_input_iterator_tIbNSD_35transform_pair_of_input_iterators_tIbNS6_6detail15normal_iteratorINS6_10device_ptrIKjEEEESL_NS6_8equal_toIjEEEENSG_9not_fun_tINSD_8identityEEEEENSD_19counting_iterator_tIlEES8_S8_S8_S8_S8_S8_S8_S8_EEEEPS9_S9_NSD_9__find_if7functorIS9_EEEE10hipError_tPvRmT1_T2_T3_mT4_P12ihipStream_tbEUlT_E1_NS1_11comp_targetILNS1_3genE3ELNS1_11target_archE908ELNS1_3gpuE7ELNS1_3repE0EEENS1_30default_config_static_selectorELNS0_4arch9wavefront6targetE0EEEvS14_ ; -- Begin function _ZN7rocprim17ROCPRIM_400000_NS6detail17trampoline_kernelINS0_14default_configENS1_22reduce_config_selectorIN6thrust23THRUST_200600_302600_NS5tupleIblNS6_9null_typeES8_S8_S8_S8_S8_S8_S8_EEEEZNS1_11reduce_implILb1ES3_NS6_12zip_iteratorINS7_INS6_11hip_rocprim26transform_input_iterator_tIbNSD_35transform_pair_of_input_iterators_tIbNS6_6detail15normal_iteratorINS6_10device_ptrIKjEEEESL_NS6_8equal_toIjEEEENSG_9not_fun_tINSD_8identityEEEEENSD_19counting_iterator_tIlEES8_S8_S8_S8_S8_S8_S8_S8_EEEEPS9_S9_NSD_9__find_if7functorIS9_EEEE10hipError_tPvRmT1_T2_T3_mT4_P12ihipStream_tbEUlT_E1_NS1_11comp_targetILNS1_3genE3ELNS1_11target_archE908ELNS1_3gpuE7ELNS1_3repE0EEENS1_30default_config_static_selectorELNS0_4arch9wavefront6targetE0EEEvS14_
	.globl	_ZN7rocprim17ROCPRIM_400000_NS6detail17trampoline_kernelINS0_14default_configENS1_22reduce_config_selectorIN6thrust23THRUST_200600_302600_NS5tupleIblNS6_9null_typeES8_S8_S8_S8_S8_S8_S8_EEEEZNS1_11reduce_implILb1ES3_NS6_12zip_iteratorINS7_INS6_11hip_rocprim26transform_input_iterator_tIbNSD_35transform_pair_of_input_iterators_tIbNS6_6detail15normal_iteratorINS6_10device_ptrIKjEEEESL_NS6_8equal_toIjEEEENSG_9not_fun_tINSD_8identityEEEEENSD_19counting_iterator_tIlEES8_S8_S8_S8_S8_S8_S8_S8_EEEEPS9_S9_NSD_9__find_if7functorIS9_EEEE10hipError_tPvRmT1_T2_T3_mT4_P12ihipStream_tbEUlT_E1_NS1_11comp_targetILNS1_3genE3ELNS1_11target_archE908ELNS1_3gpuE7ELNS1_3repE0EEENS1_30default_config_static_selectorELNS0_4arch9wavefront6targetE0EEEvS14_
	.p2align	8
	.type	_ZN7rocprim17ROCPRIM_400000_NS6detail17trampoline_kernelINS0_14default_configENS1_22reduce_config_selectorIN6thrust23THRUST_200600_302600_NS5tupleIblNS6_9null_typeES8_S8_S8_S8_S8_S8_S8_EEEEZNS1_11reduce_implILb1ES3_NS6_12zip_iteratorINS7_INS6_11hip_rocprim26transform_input_iterator_tIbNSD_35transform_pair_of_input_iterators_tIbNS6_6detail15normal_iteratorINS6_10device_ptrIKjEEEESL_NS6_8equal_toIjEEEENSG_9not_fun_tINSD_8identityEEEEENSD_19counting_iterator_tIlEES8_S8_S8_S8_S8_S8_S8_S8_EEEEPS9_S9_NSD_9__find_if7functorIS9_EEEE10hipError_tPvRmT1_T2_T3_mT4_P12ihipStream_tbEUlT_E1_NS1_11comp_targetILNS1_3genE3ELNS1_11target_archE908ELNS1_3gpuE7ELNS1_3repE0EEENS1_30default_config_static_selectorELNS0_4arch9wavefront6targetE0EEEvS14_,@function
_ZN7rocprim17ROCPRIM_400000_NS6detail17trampoline_kernelINS0_14default_configENS1_22reduce_config_selectorIN6thrust23THRUST_200600_302600_NS5tupleIblNS6_9null_typeES8_S8_S8_S8_S8_S8_S8_EEEEZNS1_11reduce_implILb1ES3_NS6_12zip_iteratorINS7_INS6_11hip_rocprim26transform_input_iterator_tIbNSD_35transform_pair_of_input_iterators_tIbNS6_6detail15normal_iteratorINS6_10device_ptrIKjEEEESL_NS6_8equal_toIjEEEENSG_9not_fun_tINSD_8identityEEEEENSD_19counting_iterator_tIlEES8_S8_S8_S8_S8_S8_S8_S8_EEEEPS9_S9_NSD_9__find_if7functorIS9_EEEE10hipError_tPvRmT1_T2_T3_mT4_P12ihipStream_tbEUlT_E1_NS1_11comp_targetILNS1_3genE3ELNS1_11target_archE908ELNS1_3gpuE7ELNS1_3repE0EEENS1_30default_config_static_selectorELNS0_4arch9wavefront6targetE0EEEvS14_: ; @_ZN7rocprim17ROCPRIM_400000_NS6detail17trampoline_kernelINS0_14default_configENS1_22reduce_config_selectorIN6thrust23THRUST_200600_302600_NS5tupleIblNS6_9null_typeES8_S8_S8_S8_S8_S8_S8_EEEEZNS1_11reduce_implILb1ES3_NS6_12zip_iteratorINS7_INS6_11hip_rocprim26transform_input_iterator_tIbNSD_35transform_pair_of_input_iterators_tIbNS6_6detail15normal_iteratorINS6_10device_ptrIKjEEEESL_NS6_8equal_toIjEEEENSG_9not_fun_tINSD_8identityEEEEENSD_19counting_iterator_tIlEES8_S8_S8_S8_S8_S8_S8_S8_EEEEPS9_S9_NSD_9__find_if7functorIS9_EEEE10hipError_tPvRmT1_T2_T3_mT4_P12ihipStream_tbEUlT_E1_NS1_11comp_targetILNS1_3genE3ELNS1_11target_archE908ELNS1_3gpuE7ELNS1_3repE0EEENS1_30default_config_static_selectorELNS0_4arch9wavefront6targetE0EEEvS14_
; %bb.0:
	.section	.rodata,"a",@progbits
	.p2align	6, 0x0
	.amdhsa_kernel _ZN7rocprim17ROCPRIM_400000_NS6detail17trampoline_kernelINS0_14default_configENS1_22reduce_config_selectorIN6thrust23THRUST_200600_302600_NS5tupleIblNS6_9null_typeES8_S8_S8_S8_S8_S8_S8_EEEEZNS1_11reduce_implILb1ES3_NS6_12zip_iteratorINS7_INS6_11hip_rocprim26transform_input_iterator_tIbNSD_35transform_pair_of_input_iterators_tIbNS6_6detail15normal_iteratorINS6_10device_ptrIKjEEEESL_NS6_8equal_toIjEEEENSG_9not_fun_tINSD_8identityEEEEENSD_19counting_iterator_tIlEES8_S8_S8_S8_S8_S8_S8_S8_EEEEPS9_S9_NSD_9__find_if7functorIS9_EEEE10hipError_tPvRmT1_T2_T3_mT4_P12ihipStream_tbEUlT_E1_NS1_11comp_targetILNS1_3genE3ELNS1_11target_archE908ELNS1_3gpuE7ELNS1_3repE0EEENS1_30default_config_static_selectorELNS0_4arch9wavefront6targetE0EEEvS14_
		.amdhsa_group_segment_fixed_size 0
		.amdhsa_private_segment_fixed_size 0
		.amdhsa_kernarg_size 88
		.amdhsa_user_sgpr_count 15
		.amdhsa_user_sgpr_dispatch_ptr 0
		.amdhsa_user_sgpr_queue_ptr 0
		.amdhsa_user_sgpr_kernarg_segment_ptr 1
		.amdhsa_user_sgpr_dispatch_id 0
		.amdhsa_user_sgpr_private_segment_size 0
		.amdhsa_wavefront_size32 1
		.amdhsa_uses_dynamic_stack 0
		.amdhsa_enable_private_segment 0
		.amdhsa_system_sgpr_workgroup_id_x 1
		.amdhsa_system_sgpr_workgroup_id_y 0
		.amdhsa_system_sgpr_workgroup_id_z 0
		.amdhsa_system_sgpr_workgroup_info 0
		.amdhsa_system_vgpr_workitem_id 0
		.amdhsa_next_free_vgpr 1
		.amdhsa_next_free_sgpr 1
		.amdhsa_reserve_vcc 0
		.amdhsa_float_round_mode_32 0
		.amdhsa_float_round_mode_16_64 0
		.amdhsa_float_denorm_mode_32 3
		.amdhsa_float_denorm_mode_16_64 3
		.amdhsa_dx10_clamp 1
		.amdhsa_ieee_mode 1
		.amdhsa_fp16_overflow 0
		.amdhsa_workgroup_processor_mode 1
		.amdhsa_memory_ordered 1
		.amdhsa_forward_progress 0
		.amdhsa_shared_vgpr_count 0
		.amdhsa_exception_fp_ieee_invalid_op 0
		.amdhsa_exception_fp_denorm_src 0
		.amdhsa_exception_fp_ieee_div_zero 0
		.amdhsa_exception_fp_ieee_overflow 0
		.amdhsa_exception_fp_ieee_underflow 0
		.amdhsa_exception_fp_ieee_inexact 0
		.amdhsa_exception_int_div_zero 0
	.end_amdhsa_kernel
	.section	.text._ZN7rocprim17ROCPRIM_400000_NS6detail17trampoline_kernelINS0_14default_configENS1_22reduce_config_selectorIN6thrust23THRUST_200600_302600_NS5tupleIblNS6_9null_typeES8_S8_S8_S8_S8_S8_S8_EEEEZNS1_11reduce_implILb1ES3_NS6_12zip_iteratorINS7_INS6_11hip_rocprim26transform_input_iterator_tIbNSD_35transform_pair_of_input_iterators_tIbNS6_6detail15normal_iteratorINS6_10device_ptrIKjEEEESL_NS6_8equal_toIjEEEENSG_9not_fun_tINSD_8identityEEEEENSD_19counting_iterator_tIlEES8_S8_S8_S8_S8_S8_S8_S8_EEEEPS9_S9_NSD_9__find_if7functorIS9_EEEE10hipError_tPvRmT1_T2_T3_mT4_P12ihipStream_tbEUlT_E1_NS1_11comp_targetILNS1_3genE3ELNS1_11target_archE908ELNS1_3gpuE7ELNS1_3repE0EEENS1_30default_config_static_selectorELNS0_4arch9wavefront6targetE0EEEvS14_,"axG",@progbits,_ZN7rocprim17ROCPRIM_400000_NS6detail17trampoline_kernelINS0_14default_configENS1_22reduce_config_selectorIN6thrust23THRUST_200600_302600_NS5tupleIblNS6_9null_typeES8_S8_S8_S8_S8_S8_S8_EEEEZNS1_11reduce_implILb1ES3_NS6_12zip_iteratorINS7_INS6_11hip_rocprim26transform_input_iterator_tIbNSD_35transform_pair_of_input_iterators_tIbNS6_6detail15normal_iteratorINS6_10device_ptrIKjEEEESL_NS6_8equal_toIjEEEENSG_9not_fun_tINSD_8identityEEEEENSD_19counting_iterator_tIlEES8_S8_S8_S8_S8_S8_S8_S8_EEEEPS9_S9_NSD_9__find_if7functorIS9_EEEE10hipError_tPvRmT1_T2_T3_mT4_P12ihipStream_tbEUlT_E1_NS1_11comp_targetILNS1_3genE3ELNS1_11target_archE908ELNS1_3gpuE7ELNS1_3repE0EEENS1_30default_config_static_selectorELNS0_4arch9wavefront6targetE0EEEvS14_,comdat
.Lfunc_end823:
	.size	_ZN7rocprim17ROCPRIM_400000_NS6detail17trampoline_kernelINS0_14default_configENS1_22reduce_config_selectorIN6thrust23THRUST_200600_302600_NS5tupleIblNS6_9null_typeES8_S8_S8_S8_S8_S8_S8_EEEEZNS1_11reduce_implILb1ES3_NS6_12zip_iteratorINS7_INS6_11hip_rocprim26transform_input_iterator_tIbNSD_35transform_pair_of_input_iterators_tIbNS6_6detail15normal_iteratorINS6_10device_ptrIKjEEEESL_NS6_8equal_toIjEEEENSG_9not_fun_tINSD_8identityEEEEENSD_19counting_iterator_tIlEES8_S8_S8_S8_S8_S8_S8_S8_EEEEPS9_S9_NSD_9__find_if7functorIS9_EEEE10hipError_tPvRmT1_T2_T3_mT4_P12ihipStream_tbEUlT_E1_NS1_11comp_targetILNS1_3genE3ELNS1_11target_archE908ELNS1_3gpuE7ELNS1_3repE0EEENS1_30default_config_static_selectorELNS0_4arch9wavefront6targetE0EEEvS14_, .Lfunc_end823-_ZN7rocprim17ROCPRIM_400000_NS6detail17trampoline_kernelINS0_14default_configENS1_22reduce_config_selectorIN6thrust23THRUST_200600_302600_NS5tupleIblNS6_9null_typeES8_S8_S8_S8_S8_S8_S8_EEEEZNS1_11reduce_implILb1ES3_NS6_12zip_iteratorINS7_INS6_11hip_rocprim26transform_input_iterator_tIbNSD_35transform_pair_of_input_iterators_tIbNS6_6detail15normal_iteratorINS6_10device_ptrIKjEEEESL_NS6_8equal_toIjEEEENSG_9not_fun_tINSD_8identityEEEEENSD_19counting_iterator_tIlEES8_S8_S8_S8_S8_S8_S8_S8_EEEEPS9_S9_NSD_9__find_if7functorIS9_EEEE10hipError_tPvRmT1_T2_T3_mT4_P12ihipStream_tbEUlT_E1_NS1_11comp_targetILNS1_3genE3ELNS1_11target_archE908ELNS1_3gpuE7ELNS1_3repE0EEENS1_30default_config_static_selectorELNS0_4arch9wavefront6targetE0EEEvS14_
                                        ; -- End function
	.section	.AMDGPU.csdata,"",@progbits
; Kernel info:
; codeLenInByte = 0
; NumSgprs: 0
; NumVgprs: 0
; ScratchSize: 0
; MemoryBound: 0
; FloatMode: 240
; IeeeMode: 1
; LDSByteSize: 0 bytes/workgroup (compile time only)
; SGPRBlocks: 0
; VGPRBlocks: 0
; NumSGPRsForWavesPerEU: 1
; NumVGPRsForWavesPerEU: 1
; Occupancy: 16
; WaveLimiterHint : 0
; COMPUTE_PGM_RSRC2:SCRATCH_EN: 0
; COMPUTE_PGM_RSRC2:USER_SGPR: 15
; COMPUTE_PGM_RSRC2:TRAP_HANDLER: 0
; COMPUTE_PGM_RSRC2:TGID_X_EN: 1
; COMPUTE_PGM_RSRC2:TGID_Y_EN: 0
; COMPUTE_PGM_RSRC2:TGID_Z_EN: 0
; COMPUTE_PGM_RSRC2:TIDIG_COMP_CNT: 0
	.section	.text._ZN7rocprim17ROCPRIM_400000_NS6detail17trampoline_kernelINS0_14default_configENS1_22reduce_config_selectorIN6thrust23THRUST_200600_302600_NS5tupleIblNS6_9null_typeES8_S8_S8_S8_S8_S8_S8_EEEEZNS1_11reduce_implILb1ES3_NS6_12zip_iteratorINS7_INS6_11hip_rocprim26transform_input_iterator_tIbNSD_35transform_pair_of_input_iterators_tIbNS6_6detail15normal_iteratorINS6_10device_ptrIKjEEEESL_NS6_8equal_toIjEEEENSG_9not_fun_tINSD_8identityEEEEENSD_19counting_iterator_tIlEES8_S8_S8_S8_S8_S8_S8_S8_EEEEPS9_S9_NSD_9__find_if7functorIS9_EEEE10hipError_tPvRmT1_T2_T3_mT4_P12ihipStream_tbEUlT_E1_NS1_11comp_targetILNS1_3genE2ELNS1_11target_archE906ELNS1_3gpuE6ELNS1_3repE0EEENS1_30default_config_static_selectorELNS0_4arch9wavefront6targetE0EEEvS14_,"axG",@progbits,_ZN7rocprim17ROCPRIM_400000_NS6detail17trampoline_kernelINS0_14default_configENS1_22reduce_config_selectorIN6thrust23THRUST_200600_302600_NS5tupleIblNS6_9null_typeES8_S8_S8_S8_S8_S8_S8_EEEEZNS1_11reduce_implILb1ES3_NS6_12zip_iteratorINS7_INS6_11hip_rocprim26transform_input_iterator_tIbNSD_35transform_pair_of_input_iterators_tIbNS6_6detail15normal_iteratorINS6_10device_ptrIKjEEEESL_NS6_8equal_toIjEEEENSG_9not_fun_tINSD_8identityEEEEENSD_19counting_iterator_tIlEES8_S8_S8_S8_S8_S8_S8_S8_EEEEPS9_S9_NSD_9__find_if7functorIS9_EEEE10hipError_tPvRmT1_T2_T3_mT4_P12ihipStream_tbEUlT_E1_NS1_11comp_targetILNS1_3genE2ELNS1_11target_archE906ELNS1_3gpuE6ELNS1_3repE0EEENS1_30default_config_static_selectorELNS0_4arch9wavefront6targetE0EEEvS14_,comdat
	.protected	_ZN7rocprim17ROCPRIM_400000_NS6detail17trampoline_kernelINS0_14default_configENS1_22reduce_config_selectorIN6thrust23THRUST_200600_302600_NS5tupleIblNS6_9null_typeES8_S8_S8_S8_S8_S8_S8_EEEEZNS1_11reduce_implILb1ES3_NS6_12zip_iteratorINS7_INS6_11hip_rocprim26transform_input_iterator_tIbNSD_35transform_pair_of_input_iterators_tIbNS6_6detail15normal_iteratorINS6_10device_ptrIKjEEEESL_NS6_8equal_toIjEEEENSG_9not_fun_tINSD_8identityEEEEENSD_19counting_iterator_tIlEES8_S8_S8_S8_S8_S8_S8_S8_EEEEPS9_S9_NSD_9__find_if7functorIS9_EEEE10hipError_tPvRmT1_T2_T3_mT4_P12ihipStream_tbEUlT_E1_NS1_11comp_targetILNS1_3genE2ELNS1_11target_archE906ELNS1_3gpuE6ELNS1_3repE0EEENS1_30default_config_static_selectorELNS0_4arch9wavefront6targetE0EEEvS14_ ; -- Begin function _ZN7rocprim17ROCPRIM_400000_NS6detail17trampoline_kernelINS0_14default_configENS1_22reduce_config_selectorIN6thrust23THRUST_200600_302600_NS5tupleIblNS6_9null_typeES8_S8_S8_S8_S8_S8_S8_EEEEZNS1_11reduce_implILb1ES3_NS6_12zip_iteratorINS7_INS6_11hip_rocprim26transform_input_iterator_tIbNSD_35transform_pair_of_input_iterators_tIbNS6_6detail15normal_iteratorINS6_10device_ptrIKjEEEESL_NS6_8equal_toIjEEEENSG_9not_fun_tINSD_8identityEEEEENSD_19counting_iterator_tIlEES8_S8_S8_S8_S8_S8_S8_S8_EEEEPS9_S9_NSD_9__find_if7functorIS9_EEEE10hipError_tPvRmT1_T2_T3_mT4_P12ihipStream_tbEUlT_E1_NS1_11comp_targetILNS1_3genE2ELNS1_11target_archE906ELNS1_3gpuE6ELNS1_3repE0EEENS1_30default_config_static_selectorELNS0_4arch9wavefront6targetE0EEEvS14_
	.globl	_ZN7rocprim17ROCPRIM_400000_NS6detail17trampoline_kernelINS0_14default_configENS1_22reduce_config_selectorIN6thrust23THRUST_200600_302600_NS5tupleIblNS6_9null_typeES8_S8_S8_S8_S8_S8_S8_EEEEZNS1_11reduce_implILb1ES3_NS6_12zip_iteratorINS7_INS6_11hip_rocprim26transform_input_iterator_tIbNSD_35transform_pair_of_input_iterators_tIbNS6_6detail15normal_iteratorINS6_10device_ptrIKjEEEESL_NS6_8equal_toIjEEEENSG_9not_fun_tINSD_8identityEEEEENSD_19counting_iterator_tIlEES8_S8_S8_S8_S8_S8_S8_S8_EEEEPS9_S9_NSD_9__find_if7functorIS9_EEEE10hipError_tPvRmT1_T2_T3_mT4_P12ihipStream_tbEUlT_E1_NS1_11comp_targetILNS1_3genE2ELNS1_11target_archE906ELNS1_3gpuE6ELNS1_3repE0EEENS1_30default_config_static_selectorELNS0_4arch9wavefront6targetE0EEEvS14_
	.p2align	8
	.type	_ZN7rocprim17ROCPRIM_400000_NS6detail17trampoline_kernelINS0_14default_configENS1_22reduce_config_selectorIN6thrust23THRUST_200600_302600_NS5tupleIblNS6_9null_typeES8_S8_S8_S8_S8_S8_S8_EEEEZNS1_11reduce_implILb1ES3_NS6_12zip_iteratorINS7_INS6_11hip_rocprim26transform_input_iterator_tIbNSD_35transform_pair_of_input_iterators_tIbNS6_6detail15normal_iteratorINS6_10device_ptrIKjEEEESL_NS6_8equal_toIjEEEENSG_9not_fun_tINSD_8identityEEEEENSD_19counting_iterator_tIlEES8_S8_S8_S8_S8_S8_S8_S8_EEEEPS9_S9_NSD_9__find_if7functorIS9_EEEE10hipError_tPvRmT1_T2_T3_mT4_P12ihipStream_tbEUlT_E1_NS1_11comp_targetILNS1_3genE2ELNS1_11target_archE906ELNS1_3gpuE6ELNS1_3repE0EEENS1_30default_config_static_selectorELNS0_4arch9wavefront6targetE0EEEvS14_,@function
_ZN7rocprim17ROCPRIM_400000_NS6detail17trampoline_kernelINS0_14default_configENS1_22reduce_config_selectorIN6thrust23THRUST_200600_302600_NS5tupleIblNS6_9null_typeES8_S8_S8_S8_S8_S8_S8_EEEEZNS1_11reduce_implILb1ES3_NS6_12zip_iteratorINS7_INS6_11hip_rocprim26transform_input_iterator_tIbNSD_35transform_pair_of_input_iterators_tIbNS6_6detail15normal_iteratorINS6_10device_ptrIKjEEEESL_NS6_8equal_toIjEEEENSG_9not_fun_tINSD_8identityEEEEENSD_19counting_iterator_tIlEES8_S8_S8_S8_S8_S8_S8_S8_EEEEPS9_S9_NSD_9__find_if7functorIS9_EEEE10hipError_tPvRmT1_T2_T3_mT4_P12ihipStream_tbEUlT_E1_NS1_11comp_targetILNS1_3genE2ELNS1_11target_archE906ELNS1_3gpuE6ELNS1_3repE0EEENS1_30default_config_static_selectorELNS0_4arch9wavefront6targetE0EEEvS14_: ; @_ZN7rocprim17ROCPRIM_400000_NS6detail17trampoline_kernelINS0_14default_configENS1_22reduce_config_selectorIN6thrust23THRUST_200600_302600_NS5tupleIblNS6_9null_typeES8_S8_S8_S8_S8_S8_S8_EEEEZNS1_11reduce_implILb1ES3_NS6_12zip_iteratorINS7_INS6_11hip_rocprim26transform_input_iterator_tIbNSD_35transform_pair_of_input_iterators_tIbNS6_6detail15normal_iteratorINS6_10device_ptrIKjEEEESL_NS6_8equal_toIjEEEENSG_9not_fun_tINSD_8identityEEEEENSD_19counting_iterator_tIlEES8_S8_S8_S8_S8_S8_S8_S8_EEEEPS9_S9_NSD_9__find_if7functorIS9_EEEE10hipError_tPvRmT1_T2_T3_mT4_P12ihipStream_tbEUlT_E1_NS1_11comp_targetILNS1_3genE2ELNS1_11target_archE906ELNS1_3gpuE6ELNS1_3repE0EEENS1_30default_config_static_selectorELNS0_4arch9wavefront6targetE0EEEvS14_
; %bb.0:
	.section	.rodata,"a",@progbits
	.p2align	6, 0x0
	.amdhsa_kernel _ZN7rocprim17ROCPRIM_400000_NS6detail17trampoline_kernelINS0_14default_configENS1_22reduce_config_selectorIN6thrust23THRUST_200600_302600_NS5tupleIblNS6_9null_typeES8_S8_S8_S8_S8_S8_S8_EEEEZNS1_11reduce_implILb1ES3_NS6_12zip_iteratorINS7_INS6_11hip_rocprim26transform_input_iterator_tIbNSD_35transform_pair_of_input_iterators_tIbNS6_6detail15normal_iteratorINS6_10device_ptrIKjEEEESL_NS6_8equal_toIjEEEENSG_9not_fun_tINSD_8identityEEEEENSD_19counting_iterator_tIlEES8_S8_S8_S8_S8_S8_S8_S8_EEEEPS9_S9_NSD_9__find_if7functorIS9_EEEE10hipError_tPvRmT1_T2_T3_mT4_P12ihipStream_tbEUlT_E1_NS1_11comp_targetILNS1_3genE2ELNS1_11target_archE906ELNS1_3gpuE6ELNS1_3repE0EEENS1_30default_config_static_selectorELNS0_4arch9wavefront6targetE0EEEvS14_
		.amdhsa_group_segment_fixed_size 0
		.amdhsa_private_segment_fixed_size 0
		.amdhsa_kernarg_size 88
		.amdhsa_user_sgpr_count 15
		.amdhsa_user_sgpr_dispatch_ptr 0
		.amdhsa_user_sgpr_queue_ptr 0
		.amdhsa_user_sgpr_kernarg_segment_ptr 1
		.amdhsa_user_sgpr_dispatch_id 0
		.amdhsa_user_sgpr_private_segment_size 0
		.amdhsa_wavefront_size32 1
		.amdhsa_uses_dynamic_stack 0
		.amdhsa_enable_private_segment 0
		.amdhsa_system_sgpr_workgroup_id_x 1
		.amdhsa_system_sgpr_workgroup_id_y 0
		.amdhsa_system_sgpr_workgroup_id_z 0
		.amdhsa_system_sgpr_workgroup_info 0
		.amdhsa_system_vgpr_workitem_id 0
		.amdhsa_next_free_vgpr 1
		.amdhsa_next_free_sgpr 1
		.amdhsa_reserve_vcc 0
		.amdhsa_float_round_mode_32 0
		.amdhsa_float_round_mode_16_64 0
		.amdhsa_float_denorm_mode_32 3
		.amdhsa_float_denorm_mode_16_64 3
		.amdhsa_dx10_clamp 1
		.amdhsa_ieee_mode 1
		.amdhsa_fp16_overflow 0
		.amdhsa_workgroup_processor_mode 1
		.amdhsa_memory_ordered 1
		.amdhsa_forward_progress 0
		.amdhsa_shared_vgpr_count 0
		.amdhsa_exception_fp_ieee_invalid_op 0
		.amdhsa_exception_fp_denorm_src 0
		.amdhsa_exception_fp_ieee_div_zero 0
		.amdhsa_exception_fp_ieee_overflow 0
		.amdhsa_exception_fp_ieee_underflow 0
		.amdhsa_exception_fp_ieee_inexact 0
		.amdhsa_exception_int_div_zero 0
	.end_amdhsa_kernel
	.section	.text._ZN7rocprim17ROCPRIM_400000_NS6detail17trampoline_kernelINS0_14default_configENS1_22reduce_config_selectorIN6thrust23THRUST_200600_302600_NS5tupleIblNS6_9null_typeES8_S8_S8_S8_S8_S8_S8_EEEEZNS1_11reduce_implILb1ES3_NS6_12zip_iteratorINS7_INS6_11hip_rocprim26transform_input_iterator_tIbNSD_35transform_pair_of_input_iterators_tIbNS6_6detail15normal_iteratorINS6_10device_ptrIKjEEEESL_NS6_8equal_toIjEEEENSG_9not_fun_tINSD_8identityEEEEENSD_19counting_iterator_tIlEES8_S8_S8_S8_S8_S8_S8_S8_EEEEPS9_S9_NSD_9__find_if7functorIS9_EEEE10hipError_tPvRmT1_T2_T3_mT4_P12ihipStream_tbEUlT_E1_NS1_11comp_targetILNS1_3genE2ELNS1_11target_archE906ELNS1_3gpuE6ELNS1_3repE0EEENS1_30default_config_static_selectorELNS0_4arch9wavefront6targetE0EEEvS14_,"axG",@progbits,_ZN7rocprim17ROCPRIM_400000_NS6detail17trampoline_kernelINS0_14default_configENS1_22reduce_config_selectorIN6thrust23THRUST_200600_302600_NS5tupleIblNS6_9null_typeES8_S8_S8_S8_S8_S8_S8_EEEEZNS1_11reduce_implILb1ES3_NS6_12zip_iteratorINS7_INS6_11hip_rocprim26transform_input_iterator_tIbNSD_35transform_pair_of_input_iterators_tIbNS6_6detail15normal_iteratorINS6_10device_ptrIKjEEEESL_NS6_8equal_toIjEEEENSG_9not_fun_tINSD_8identityEEEEENSD_19counting_iterator_tIlEES8_S8_S8_S8_S8_S8_S8_S8_EEEEPS9_S9_NSD_9__find_if7functorIS9_EEEE10hipError_tPvRmT1_T2_T3_mT4_P12ihipStream_tbEUlT_E1_NS1_11comp_targetILNS1_3genE2ELNS1_11target_archE906ELNS1_3gpuE6ELNS1_3repE0EEENS1_30default_config_static_selectorELNS0_4arch9wavefront6targetE0EEEvS14_,comdat
.Lfunc_end824:
	.size	_ZN7rocprim17ROCPRIM_400000_NS6detail17trampoline_kernelINS0_14default_configENS1_22reduce_config_selectorIN6thrust23THRUST_200600_302600_NS5tupleIblNS6_9null_typeES8_S8_S8_S8_S8_S8_S8_EEEEZNS1_11reduce_implILb1ES3_NS6_12zip_iteratorINS7_INS6_11hip_rocprim26transform_input_iterator_tIbNSD_35transform_pair_of_input_iterators_tIbNS6_6detail15normal_iteratorINS6_10device_ptrIKjEEEESL_NS6_8equal_toIjEEEENSG_9not_fun_tINSD_8identityEEEEENSD_19counting_iterator_tIlEES8_S8_S8_S8_S8_S8_S8_S8_EEEEPS9_S9_NSD_9__find_if7functorIS9_EEEE10hipError_tPvRmT1_T2_T3_mT4_P12ihipStream_tbEUlT_E1_NS1_11comp_targetILNS1_3genE2ELNS1_11target_archE906ELNS1_3gpuE6ELNS1_3repE0EEENS1_30default_config_static_selectorELNS0_4arch9wavefront6targetE0EEEvS14_, .Lfunc_end824-_ZN7rocprim17ROCPRIM_400000_NS6detail17trampoline_kernelINS0_14default_configENS1_22reduce_config_selectorIN6thrust23THRUST_200600_302600_NS5tupleIblNS6_9null_typeES8_S8_S8_S8_S8_S8_S8_EEEEZNS1_11reduce_implILb1ES3_NS6_12zip_iteratorINS7_INS6_11hip_rocprim26transform_input_iterator_tIbNSD_35transform_pair_of_input_iterators_tIbNS6_6detail15normal_iteratorINS6_10device_ptrIKjEEEESL_NS6_8equal_toIjEEEENSG_9not_fun_tINSD_8identityEEEEENSD_19counting_iterator_tIlEES8_S8_S8_S8_S8_S8_S8_S8_EEEEPS9_S9_NSD_9__find_if7functorIS9_EEEE10hipError_tPvRmT1_T2_T3_mT4_P12ihipStream_tbEUlT_E1_NS1_11comp_targetILNS1_3genE2ELNS1_11target_archE906ELNS1_3gpuE6ELNS1_3repE0EEENS1_30default_config_static_selectorELNS0_4arch9wavefront6targetE0EEEvS14_
                                        ; -- End function
	.section	.AMDGPU.csdata,"",@progbits
; Kernel info:
; codeLenInByte = 0
; NumSgprs: 0
; NumVgprs: 0
; ScratchSize: 0
; MemoryBound: 0
; FloatMode: 240
; IeeeMode: 1
; LDSByteSize: 0 bytes/workgroup (compile time only)
; SGPRBlocks: 0
; VGPRBlocks: 0
; NumSGPRsForWavesPerEU: 1
; NumVGPRsForWavesPerEU: 1
; Occupancy: 16
; WaveLimiterHint : 0
; COMPUTE_PGM_RSRC2:SCRATCH_EN: 0
; COMPUTE_PGM_RSRC2:USER_SGPR: 15
; COMPUTE_PGM_RSRC2:TRAP_HANDLER: 0
; COMPUTE_PGM_RSRC2:TGID_X_EN: 1
; COMPUTE_PGM_RSRC2:TGID_Y_EN: 0
; COMPUTE_PGM_RSRC2:TGID_Z_EN: 0
; COMPUTE_PGM_RSRC2:TIDIG_COMP_CNT: 0
	.section	.text._ZN7rocprim17ROCPRIM_400000_NS6detail17trampoline_kernelINS0_14default_configENS1_22reduce_config_selectorIN6thrust23THRUST_200600_302600_NS5tupleIblNS6_9null_typeES8_S8_S8_S8_S8_S8_S8_EEEEZNS1_11reduce_implILb1ES3_NS6_12zip_iteratorINS7_INS6_11hip_rocprim26transform_input_iterator_tIbNSD_35transform_pair_of_input_iterators_tIbNS6_6detail15normal_iteratorINS6_10device_ptrIKjEEEESL_NS6_8equal_toIjEEEENSG_9not_fun_tINSD_8identityEEEEENSD_19counting_iterator_tIlEES8_S8_S8_S8_S8_S8_S8_S8_EEEEPS9_S9_NSD_9__find_if7functorIS9_EEEE10hipError_tPvRmT1_T2_T3_mT4_P12ihipStream_tbEUlT_E1_NS1_11comp_targetILNS1_3genE10ELNS1_11target_archE1201ELNS1_3gpuE5ELNS1_3repE0EEENS1_30default_config_static_selectorELNS0_4arch9wavefront6targetE0EEEvS14_,"axG",@progbits,_ZN7rocprim17ROCPRIM_400000_NS6detail17trampoline_kernelINS0_14default_configENS1_22reduce_config_selectorIN6thrust23THRUST_200600_302600_NS5tupleIblNS6_9null_typeES8_S8_S8_S8_S8_S8_S8_EEEEZNS1_11reduce_implILb1ES3_NS6_12zip_iteratorINS7_INS6_11hip_rocprim26transform_input_iterator_tIbNSD_35transform_pair_of_input_iterators_tIbNS6_6detail15normal_iteratorINS6_10device_ptrIKjEEEESL_NS6_8equal_toIjEEEENSG_9not_fun_tINSD_8identityEEEEENSD_19counting_iterator_tIlEES8_S8_S8_S8_S8_S8_S8_S8_EEEEPS9_S9_NSD_9__find_if7functorIS9_EEEE10hipError_tPvRmT1_T2_T3_mT4_P12ihipStream_tbEUlT_E1_NS1_11comp_targetILNS1_3genE10ELNS1_11target_archE1201ELNS1_3gpuE5ELNS1_3repE0EEENS1_30default_config_static_selectorELNS0_4arch9wavefront6targetE0EEEvS14_,comdat
	.protected	_ZN7rocprim17ROCPRIM_400000_NS6detail17trampoline_kernelINS0_14default_configENS1_22reduce_config_selectorIN6thrust23THRUST_200600_302600_NS5tupleIblNS6_9null_typeES8_S8_S8_S8_S8_S8_S8_EEEEZNS1_11reduce_implILb1ES3_NS6_12zip_iteratorINS7_INS6_11hip_rocprim26transform_input_iterator_tIbNSD_35transform_pair_of_input_iterators_tIbNS6_6detail15normal_iteratorINS6_10device_ptrIKjEEEESL_NS6_8equal_toIjEEEENSG_9not_fun_tINSD_8identityEEEEENSD_19counting_iterator_tIlEES8_S8_S8_S8_S8_S8_S8_S8_EEEEPS9_S9_NSD_9__find_if7functorIS9_EEEE10hipError_tPvRmT1_T2_T3_mT4_P12ihipStream_tbEUlT_E1_NS1_11comp_targetILNS1_3genE10ELNS1_11target_archE1201ELNS1_3gpuE5ELNS1_3repE0EEENS1_30default_config_static_selectorELNS0_4arch9wavefront6targetE0EEEvS14_ ; -- Begin function _ZN7rocprim17ROCPRIM_400000_NS6detail17trampoline_kernelINS0_14default_configENS1_22reduce_config_selectorIN6thrust23THRUST_200600_302600_NS5tupleIblNS6_9null_typeES8_S8_S8_S8_S8_S8_S8_EEEEZNS1_11reduce_implILb1ES3_NS6_12zip_iteratorINS7_INS6_11hip_rocprim26transform_input_iterator_tIbNSD_35transform_pair_of_input_iterators_tIbNS6_6detail15normal_iteratorINS6_10device_ptrIKjEEEESL_NS6_8equal_toIjEEEENSG_9not_fun_tINSD_8identityEEEEENSD_19counting_iterator_tIlEES8_S8_S8_S8_S8_S8_S8_S8_EEEEPS9_S9_NSD_9__find_if7functorIS9_EEEE10hipError_tPvRmT1_T2_T3_mT4_P12ihipStream_tbEUlT_E1_NS1_11comp_targetILNS1_3genE10ELNS1_11target_archE1201ELNS1_3gpuE5ELNS1_3repE0EEENS1_30default_config_static_selectorELNS0_4arch9wavefront6targetE0EEEvS14_
	.globl	_ZN7rocprim17ROCPRIM_400000_NS6detail17trampoline_kernelINS0_14default_configENS1_22reduce_config_selectorIN6thrust23THRUST_200600_302600_NS5tupleIblNS6_9null_typeES8_S8_S8_S8_S8_S8_S8_EEEEZNS1_11reduce_implILb1ES3_NS6_12zip_iteratorINS7_INS6_11hip_rocprim26transform_input_iterator_tIbNSD_35transform_pair_of_input_iterators_tIbNS6_6detail15normal_iteratorINS6_10device_ptrIKjEEEESL_NS6_8equal_toIjEEEENSG_9not_fun_tINSD_8identityEEEEENSD_19counting_iterator_tIlEES8_S8_S8_S8_S8_S8_S8_S8_EEEEPS9_S9_NSD_9__find_if7functorIS9_EEEE10hipError_tPvRmT1_T2_T3_mT4_P12ihipStream_tbEUlT_E1_NS1_11comp_targetILNS1_3genE10ELNS1_11target_archE1201ELNS1_3gpuE5ELNS1_3repE0EEENS1_30default_config_static_selectorELNS0_4arch9wavefront6targetE0EEEvS14_
	.p2align	8
	.type	_ZN7rocprim17ROCPRIM_400000_NS6detail17trampoline_kernelINS0_14default_configENS1_22reduce_config_selectorIN6thrust23THRUST_200600_302600_NS5tupleIblNS6_9null_typeES8_S8_S8_S8_S8_S8_S8_EEEEZNS1_11reduce_implILb1ES3_NS6_12zip_iteratorINS7_INS6_11hip_rocprim26transform_input_iterator_tIbNSD_35transform_pair_of_input_iterators_tIbNS6_6detail15normal_iteratorINS6_10device_ptrIKjEEEESL_NS6_8equal_toIjEEEENSG_9not_fun_tINSD_8identityEEEEENSD_19counting_iterator_tIlEES8_S8_S8_S8_S8_S8_S8_S8_EEEEPS9_S9_NSD_9__find_if7functorIS9_EEEE10hipError_tPvRmT1_T2_T3_mT4_P12ihipStream_tbEUlT_E1_NS1_11comp_targetILNS1_3genE10ELNS1_11target_archE1201ELNS1_3gpuE5ELNS1_3repE0EEENS1_30default_config_static_selectorELNS0_4arch9wavefront6targetE0EEEvS14_,@function
_ZN7rocprim17ROCPRIM_400000_NS6detail17trampoline_kernelINS0_14default_configENS1_22reduce_config_selectorIN6thrust23THRUST_200600_302600_NS5tupleIblNS6_9null_typeES8_S8_S8_S8_S8_S8_S8_EEEEZNS1_11reduce_implILb1ES3_NS6_12zip_iteratorINS7_INS6_11hip_rocprim26transform_input_iterator_tIbNSD_35transform_pair_of_input_iterators_tIbNS6_6detail15normal_iteratorINS6_10device_ptrIKjEEEESL_NS6_8equal_toIjEEEENSG_9not_fun_tINSD_8identityEEEEENSD_19counting_iterator_tIlEES8_S8_S8_S8_S8_S8_S8_S8_EEEEPS9_S9_NSD_9__find_if7functorIS9_EEEE10hipError_tPvRmT1_T2_T3_mT4_P12ihipStream_tbEUlT_E1_NS1_11comp_targetILNS1_3genE10ELNS1_11target_archE1201ELNS1_3gpuE5ELNS1_3repE0EEENS1_30default_config_static_selectorELNS0_4arch9wavefront6targetE0EEEvS14_: ; @_ZN7rocprim17ROCPRIM_400000_NS6detail17trampoline_kernelINS0_14default_configENS1_22reduce_config_selectorIN6thrust23THRUST_200600_302600_NS5tupleIblNS6_9null_typeES8_S8_S8_S8_S8_S8_S8_EEEEZNS1_11reduce_implILb1ES3_NS6_12zip_iteratorINS7_INS6_11hip_rocprim26transform_input_iterator_tIbNSD_35transform_pair_of_input_iterators_tIbNS6_6detail15normal_iteratorINS6_10device_ptrIKjEEEESL_NS6_8equal_toIjEEEENSG_9not_fun_tINSD_8identityEEEEENSD_19counting_iterator_tIlEES8_S8_S8_S8_S8_S8_S8_S8_EEEEPS9_S9_NSD_9__find_if7functorIS9_EEEE10hipError_tPvRmT1_T2_T3_mT4_P12ihipStream_tbEUlT_E1_NS1_11comp_targetILNS1_3genE10ELNS1_11target_archE1201ELNS1_3gpuE5ELNS1_3repE0EEENS1_30default_config_static_selectorELNS0_4arch9wavefront6targetE0EEEvS14_
; %bb.0:
	.section	.rodata,"a",@progbits
	.p2align	6, 0x0
	.amdhsa_kernel _ZN7rocprim17ROCPRIM_400000_NS6detail17trampoline_kernelINS0_14default_configENS1_22reduce_config_selectorIN6thrust23THRUST_200600_302600_NS5tupleIblNS6_9null_typeES8_S8_S8_S8_S8_S8_S8_EEEEZNS1_11reduce_implILb1ES3_NS6_12zip_iteratorINS7_INS6_11hip_rocprim26transform_input_iterator_tIbNSD_35transform_pair_of_input_iterators_tIbNS6_6detail15normal_iteratorINS6_10device_ptrIKjEEEESL_NS6_8equal_toIjEEEENSG_9not_fun_tINSD_8identityEEEEENSD_19counting_iterator_tIlEES8_S8_S8_S8_S8_S8_S8_S8_EEEEPS9_S9_NSD_9__find_if7functorIS9_EEEE10hipError_tPvRmT1_T2_T3_mT4_P12ihipStream_tbEUlT_E1_NS1_11comp_targetILNS1_3genE10ELNS1_11target_archE1201ELNS1_3gpuE5ELNS1_3repE0EEENS1_30default_config_static_selectorELNS0_4arch9wavefront6targetE0EEEvS14_
		.amdhsa_group_segment_fixed_size 0
		.amdhsa_private_segment_fixed_size 0
		.amdhsa_kernarg_size 88
		.amdhsa_user_sgpr_count 15
		.amdhsa_user_sgpr_dispatch_ptr 0
		.amdhsa_user_sgpr_queue_ptr 0
		.amdhsa_user_sgpr_kernarg_segment_ptr 1
		.amdhsa_user_sgpr_dispatch_id 0
		.amdhsa_user_sgpr_private_segment_size 0
		.amdhsa_wavefront_size32 1
		.amdhsa_uses_dynamic_stack 0
		.amdhsa_enable_private_segment 0
		.amdhsa_system_sgpr_workgroup_id_x 1
		.amdhsa_system_sgpr_workgroup_id_y 0
		.amdhsa_system_sgpr_workgroup_id_z 0
		.amdhsa_system_sgpr_workgroup_info 0
		.amdhsa_system_vgpr_workitem_id 0
		.amdhsa_next_free_vgpr 1
		.amdhsa_next_free_sgpr 1
		.amdhsa_reserve_vcc 0
		.amdhsa_float_round_mode_32 0
		.amdhsa_float_round_mode_16_64 0
		.amdhsa_float_denorm_mode_32 3
		.amdhsa_float_denorm_mode_16_64 3
		.amdhsa_dx10_clamp 1
		.amdhsa_ieee_mode 1
		.amdhsa_fp16_overflow 0
		.amdhsa_workgroup_processor_mode 1
		.amdhsa_memory_ordered 1
		.amdhsa_forward_progress 0
		.amdhsa_shared_vgpr_count 0
		.amdhsa_exception_fp_ieee_invalid_op 0
		.amdhsa_exception_fp_denorm_src 0
		.amdhsa_exception_fp_ieee_div_zero 0
		.amdhsa_exception_fp_ieee_overflow 0
		.amdhsa_exception_fp_ieee_underflow 0
		.amdhsa_exception_fp_ieee_inexact 0
		.amdhsa_exception_int_div_zero 0
	.end_amdhsa_kernel
	.section	.text._ZN7rocprim17ROCPRIM_400000_NS6detail17trampoline_kernelINS0_14default_configENS1_22reduce_config_selectorIN6thrust23THRUST_200600_302600_NS5tupleIblNS6_9null_typeES8_S8_S8_S8_S8_S8_S8_EEEEZNS1_11reduce_implILb1ES3_NS6_12zip_iteratorINS7_INS6_11hip_rocprim26transform_input_iterator_tIbNSD_35transform_pair_of_input_iterators_tIbNS6_6detail15normal_iteratorINS6_10device_ptrIKjEEEESL_NS6_8equal_toIjEEEENSG_9not_fun_tINSD_8identityEEEEENSD_19counting_iterator_tIlEES8_S8_S8_S8_S8_S8_S8_S8_EEEEPS9_S9_NSD_9__find_if7functorIS9_EEEE10hipError_tPvRmT1_T2_T3_mT4_P12ihipStream_tbEUlT_E1_NS1_11comp_targetILNS1_3genE10ELNS1_11target_archE1201ELNS1_3gpuE5ELNS1_3repE0EEENS1_30default_config_static_selectorELNS0_4arch9wavefront6targetE0EEEvS14_,"axG",@progbits,_ZN7rocprim17ROCPRIM_400000_NS6detail17trampoline_kernelINS0_14default_configENS1_22reduce_config_selectorIN6thrust23THRUST_200600_302600_NS5tupleIblNS6_9null_typeES8_S8_S8_S8_S8_S8_S8_EEEEZNS1_11reduce_implILb1ES3_NS6_12zip_iteratorINS7_INS6_11hip_rocprim26transform_input_iterator_tIbNSD_35transform_pair_of_input_iterators_tIbNS6_6detail15normal_iteratorINS6_10device_ptrIKjEEEESL_NS6_8equal_toIjEEEENSG_9not_fun_tINSD_8identityEEEEENSD_19counting_iterator_tIlEES8_S8_S8_S8_S8_S8_S8_S8_EEEEPS9_S9_NSD_9__find_if7functorIS9_EEEE10hipError_tPvRmT1_T2_T3_mT4_P12ihipStream_tbEUlT_E1_NS1_11comp_targetILNS1_3genE10ELNS1_11target_archE1201ELNS1_3gpuE5ELNS1_3repE0EEENS1_30default_config_static_selectorELNS0_4arch9wavefront6targetE0EEEvS14_,comdat
.Lfunc_end825:
	.size	_ZN7rocprim17ROCPRIM_400000_NS6detail17trampoline_kernelINS0_14default_configENS1_22reduce_config_selectorIN6thrust23THRUST_200600_302600_NS5tupleIblNS6_9null_typeES8_S8_S8_S8_S8_S8_S8_EEEEZNS1_11reduce_implILb1ES3_NS6_12zip_iteratorINS7_INS6_11hip_rocprim26transform_input_iterator_tIbNSD_35transform_pair_of_input_iterators_tIbNS6_6detail15normal_iteratorINS6_10device_ptrIKjEEEESL_NS6_8equal_toIjEEEENSG_9not_fun_tINSD_8identityEEEEENSD_19counting_iterator_tIlEES8_S8_S8_S8_S8_S8_S8_S8_EEEEPS9_S9_NSD_9__find_if7functorIS9_EEEE10hipError_tPvRmT1_T2_T3_mT4_P12ihipStream_tbEUlT_E1_NS1_11comp_targetILNS1_3genE10ELNS1_11target_archE1201ELNS1_3gpuE5ELNS1_3repE0EEENS1_30default_config_static_selectorELNS0_4arch9wavefront6targetE0EEEvS14_, .Lfunc_end825-_ZN7rocprim17ROCPRIM_400000_NS6detail17trampoline_kernelINS0_14default_configENS1_22reduce_config_selectorIN6thrust23THRUST_200600_302600_NS5tupleIblNS6_9null_typeES8_S8_S8_S8_S8_S8_S8_EEEEZNS1_11reduce_implILb1ES3_NS6_12zip_iteratorINS7_INS6_11hip_rocprim26transform_input_iterator_tIbNSD_35transform_pair_of_input_iterators_tIbNS6_6detail15normal_iteratorINS6_10device_ptrIKjEEEESL_NS6_8equal_toIjEEEENSG_9not_fun_tINSD_8identityEEEEENSD_19counting_iterator_tIlEES8_S8_S8_S8_S8_S8_S8_S8_EEEEPS9_S9_NSD_9__find_if7functorIS9_EEEE10hipError_tPvRmT1_T2_T3_mT4_P12ihipStream_tbEUlT_E1_NS1_11comp_targetILNS1_3genE10ELNS1_11target_archE1201ELNS1_3gpuE5ELNS1_3repE0EEENS1_30default_config_static_selectorELNS0_4arch9wavefront6targetE0EEEvS14_
                                        ; -- End function
	.section	.AMDGPU.csdata,"",@progbits
; Kernel info:
; codeLenInByte = 0
; NumSgprs: 0
; NumVgprs: 0
; ScratchSize: 0
; MemoryBound: 0
; FloatMode: 240
; IeeeMode: 1
; LDSByteSize: 0 bytes/workgroup (compile time only)
; SGPRBlocks: 0
; VGPRBlocks: 0
; NumSGPRsForWavesPerEU: 1
; NumVGPRsForWavesPerEU: 1
; Occupancy: 16
; WaveLimiterHint : 0
; COMPUTE_PGM_RSRC2:SCRATCH_EN: 0
; COMPUTE_PGM_RSRC2:USER_SGPR: 15
; COMPUTE_PGM_RSRC2:TRAP_HANDLER: 0
; COMPUTE_PGM_RSRC2:TGID_X_EN: 1
; COMPUTE_PGM_RSRC2:TGID_Y_EN: 0
; COMPUTE_PGM_RSRC2:TGID_Z_EN: 0
; COMPUTE_PGM_RSRC2:TIDIG_COMP_CNT: 0
	.section	.text._ZN7rocprim17ROCPRIM_400000_NS6detail17trampoline_kernelINS0_14default_configENS1_22reduce_config_selectorIN6thrust23THRUST_200600_302600_NS5tupleIblNS6_9null_typeES8_S8_S8_S8_S8_S8_S8_EEEEZNS1_11reduce_implILb1ES3_NS6_12zip_iteratorINS7_INS6_11hip_rocprim26transform_input_iterator_tIbNSD_35transform_pair_of_input_iterators_tIbNS6_6detail15normal_iteratorINS6_10device_ptrIKjEEEESL_NS6_8equal_toIjEEEENSG_9not_fun_tINSD_8identityEEEEENSD_19counting_iterator_tIlEES8_S8_S8_S8_S8_S8_S8_S8_EEEEPS9_S9_NSD_9__find_if7functorIS9_EEEE10hipError_tPvRmT1_T2_T3_mT4_P12ihipStream_tbEUlT_E1_NS1_11comp_targetILNS1_3genE10ELNS1_11target_archE1200ELNS1_3gpuE4ELNS1_3repE0EEENS1_30default_config_static_selectorELNS0_4arch9wavefront6targetE0EEEvS14_,"axG",@progbits,_ZN7rocprim17ROCPRIM_400000_NS6detail17trampoline_kernelINS0_14default_configENS1_22reduce_config_selectorIN6thrust23THRUST_200600_302600_NS5tupleIblNS6_9null_typeES8_S8_S8_S8_S8_S8_S8_EEEEZNS1_11reduce_implILb1ES3_NS6_12zip_iteratorINS7_INS6_11hip_rocprim26transform_input_iterator_tIbNSD_35transform_pair_of_input_iterators_tIbNS6_6detail15normal_iteratorINS6_10device_ptrIKjEEEESL_NS6_8equal_toIjEEEENSG_9not_fun_tINSD_8identityEEEEENSD_19counting_iterator_tIlEES8_S8_S8_S8_S8_S8_S8_S8_EEEEPS9_S9_NSD_9__find_if7functorIS9_EEEE10hipError_tPvRmT1_T2_T3_mT4_P12ihipStream_tbEUlT_E1_NS1_11comp_targetILNS1_3genE10ELNS1_11target_archE1200ELNS1_3gpuE4ELNS1_3repE0EEENS1_30default_config_static_selectorELNS0_4arch9wavefront6targetE0EEEvS14_,comdat
	.protected	_ZN7rocprim17ROCPRIM_400000_NS6detail17trampoline_kernelINS0_14default_configENS1_22reduce_config_selectorIN6thrust23THRUST_200600_302600_NS5tupleIblNS6_9null_typeES8_S8_S8_S8_S8_S8_S8_EEEEZNS1_11reduce_implILb1ES3_NS6_12zip_iteratorINS7_INS6_11hip_rocprim26transform_input_iterator_tIbNSD_35transform_pair_of_input_iterators_tIbNS6_6detail15normal_iteratorINS6_10device_ptrIKjEEEESL_NS6_8equal_toIjEEEENSG_9not_fun_tINSD_8identityEEEEENSD_19counting_iterator_tIlEES8_S8_S8_S8_S8_S8_S8_S8_EEEEPS9_S9_NSD_9__find_if7functorIS9_EEEE10hipError_tPvRmT1_T2_T3_mT4_P12ihipStream_tbEUlT_E1_NS1_11comp_targetILNS1_3genE10ELNS1_11target_archE1200ELNS1_3gpuE4ELNS1_3repE0EEENS1_30default_config_static_selectorELNS0_4arch9wavefront6targetE0EEEvS14_ ; -- Begin function _ZN7rocprim17ROCPRIM_400000_NS6detail17trampoline_kernelINS0_14default_configENS1_22reduce_config_selectorIN6thrust23THRUST_200600_302600_NS5tupleIblNS6_9null_typeES8_S8_S8_S8_S8_S8_S8_EEEEZNS1_11reduce_implILb1ES3_NS6_12zip_iteratorINS7_INS6_11hip_rocprim26transform_input_iterator_tIbNSD_35transform_pair_of_input_iterators_tIbNS6_6detail15normal_iteratorINS6_10device_ptrIKjEEEESL_NS6_8equal_toIjEEEENSG_9not_fun_tINSD_8identityEEEEENSD_19counting_iterator_tIlEES8_S8_S8_S8_S8_S8_S8_S8_EEEEPS9_S9_NSD_9__find_if7functorIS9_EEEE10hipError_tPvRmT1_T2_T3_mT4_P12ihipStream_tbEUlT_E1_NS1_11comp_targetILNS1_3genE10ELNS1_11target_archE1200ELNS1_3gpuE4ELNS1_3repE0EEENS1_30default_config_static_selectorELNS0_4arch9wavefront6targetE0EEEvS14_
	.globl	_ZN7rocprim17ROCPRIM_400000_NS6detail17trampoline_kernelINS0_14default_configENS1_22reduce_config_selectorIN6thrust23THRUST_200600_302600_NS5tupleIblNS6_9null_typeES8_S8_S8_S8_S8_S8_S8_EEEEZNS1_11reduce_implILb1ES3_NS6_12zip_iteratorINS7_INS6_11hip_rocprim26transform_input_iterator_tIbNSD_35transform_pair_of_input_iterators_tIbNS6_6detail15normal_iteratorINS6_10device_ptrIKjEEEESL_NS6_8equal_toIjEEEENSG_9not_fun_tINSD_8identityEEEEENSD_19counting_iterator_tIlEES8_S8_S8_S8_S8_S8_S8_S8_EEEEPS9_S9_NSD_9__find_if7functorIS9_EEEE10hipError_tPvRmT1_T2_T3_mT4_P12ihipStream_tbEUlT_E1_NS1_11comp_targetILNS1_3genE10ELNS1_11target_archE1200ELNS1_3gpuE4ELNS1_3repE0EEENS1_30default_config_static_selectorELNS0_4arch9wavefront6targetE0EEEvS14_
	.p2align	8
	.type	_ZN7rocprim17ROCPRIM_400000_NS6detail17trampoline_kernelINS0_14default_configENS1_22reduce_config_selectorIN6thrust23THRUST_200600_302600_NS5tupleIblNS6_9null_typeES8_S8_S8_S8_S8_S8_S8_EEEEZNS1_11reduce_implILb1ES3_NS6_12zip_iteratorINS7_INS6_11hip_rocprim26transform_input_iterator_tIbNSD_35transform_pair_of_input_iterators_tIbNS6_6detail15normal_iteratorINS6_10device_ptrIKjEEEESL_NS6_8equal_toIjEEEENSG_9not_fun_tINSD_8identityEEEEENSD_19counting_iterator_tIlEES8_S8_S8_S8_S8_S8_S8_S8_EEEEPS9_S9_NSD_9__find_if7functorIS9_EEEE10hipError_tPvRmT1_T2_T3_mT4_P12ihipStream_tbEUlT_E1_NS1_11comp_targetILNS1_3genE10ELNS1_11target_archE1200ELNS1_3gpuE4ELNS1_3repE0EEENS1_30default_config_static_selectorELNS0_4arch9wavefront6targetE0EEEvS14_,@function
_ZN7rocprim17ROCPRIM_400000_NS6detail17trampoline_kernelINS0_14default_configENS1_22reduce_config_selectorIN6thrust23THRUST_200600_302600_NS5tupleIblNS6_9null_typeES8_S8_S8_S8_S8_S8_S8_EEEEZNS1_11reduce_implILb1ES3_NS6_12zip_iteratorINS7_INS6_11hip_rocprim26transform_input_iterator_tIbNSD_35transform_pair_of_input_iterators_tIbNS6_6detail15normal_iteratorINS6_10device_ptrIKjEEEESL_NS6_8equal_toIjEEEENSG_9not_fun_tINSD_8identityEEEEENSD_19counting_iterator_tIlEES8_S8_S8_S8_S8_S8_S8_S8_EEEEPS9_S9_NSD_9__find_if7functorIS9_EEEE10hipError_tPvRmT1_T2_T3_mT4_P12ihipStream_tbEUlT_E1_NS1_11comp_targetILNS1_3genE10ELNS1_11target_archE1200ELNS1_3gpuE4ELNS1_3repE0EEENS1_30default_config_static_selectorELNS0_4arch9wavefront6targetE0EEEvS14_: ; @_ZN7rocprim17ROCPRIM_400000_NS6detail17trampoline_kernelINS0_14default_configENS1_22reduce_config_selectorIN6thrust23THRUST_200600_302600_NS5tupleIblNS6_9null_typeES8_S8_S8_S8_S8_S8_S8_EEEEZNS1_11reduce_implILb1ES3_NS6_12zip_iteratorINS7_INS6_11hip_rocprim26transform_input_iterator_tIbNSD_35transform_pair_of_input_iterators_tIbNS6_6detail15normal_iteratorINS6_10device_ptrIKjEEEESL_NS6_8equal_toIjEEEENSG_9not_fun_tINSD_8identityEEEEENSD_19counting_iterator_tIlEES8_S8_S8_S8_S8_S8_S8_S8_EEEEPS9_S9_NSD_9__find_if7functorIS9_EEEE10hipError_tPvRmT1_T2_T3_mT4_P12ihipStream_tbEUlT_E1_NS1_11comp_targetILNS1_3genE10ELNS1_11target_archE1200ELNS1_3gpuE4ELNS1_3repE0EEENS1_30default_config_static_selectorELNS0_4arch9wavefront6targetE0EEEvS14_
; %bb.0:
	.section	.rodata,"a",@progbits
	.p2align	6, 0x0
	.amdhsa_kernel _ZN7rocprim17ROCPRIM_400000_NS6detail17trampoline_kernelINS0_14default_configENS1_22reduce_config_selectorIN6thrust23THRUST_200600_302600_NS5tupleIblNS6_9null_typeES8_S8_S8_S8_S8_S8_S8_EEEEZNS1_11reduce_implILb1ES3_NS6_12zip_iteratorINS7_INS6_11hip_rocprim26transform_input_iterator_tIbNSD_35transform_pair_of_input_iterators_tIbNS6_6detail15normal_iteratorINS6_10device_ptrIKjEEEESL_NS6_8equal_toIjEEEENSG_9not_fun_tINSD_8identityEEEEENSD_19counting_iterator_tIlEES8_S8_S8_S8_S8_S8_S8_S8_EEEEPS9_S9_NSD_9__find_if7functorIS9_EEEE10hipError_tPvRmT1_T2_T3_mT4_P12ihipStream_tbEUlT_E1_NS1_11comp_targetILNS1_3genE10ELNS1_11target_archE1200ELNS1_3gpuE4ELNS1_3repE0EEENS1_30default_config_static_selectorELNS0_4arch9wavefront6targetE0EEEvS14_
		.amdhsa_group_segment_fixed_size 0
		.amdhsa_private_segment_fixed_size 0
		.amdhsa_kernarg_size 88
		.amdhsa_user_sgpr_count 15
		.amdhsa_user_sgpr_dispatch_ptr 0
		.amdhsa_user_sgpr_queue_ptr 0
		.amdhsa_user_sgpr_kernarg_segment_ptr 1
		.amdhsa_user_sgpr_dispatch_id 0
		.amdhsa_user_sgpr_private_segment_size 0
		.amdhsa_wavefront_size32 1
		.amdhsa_uses_dynamic_stack 0
		.amdhsa_enable_private_segment 0
		.amdhsa_system_sgpr_workgroup_id_x 1
		.amdhsa_system_sgpr_workgroup_id_y 0
		.amdhsa_system_sgpr_workgroup_id_z 0
		.amdhsa_system_sgpr_workgroup_info 0
		.amdhsa_system_vgpr_workitem_id 0
		.amdhsa_next_free_vgpr 1
		.amdhsa_next_free_sgpr 1
		.amdhsa_reserve_vcc 0
		.amdhsa_float_round_mode_32 0
		.amdhsa_float_round_mode_16_64 0
		.amdhsa_float_denorm_mode_32 3
		.amdhsa_float_denorm_mode_16_64 3
		.amdhsa_dx10_clamp 1
		.amdhsa_ieee_mode 1
		.amdhsa_fp16_overflow 0
		.amdhsa_workgroup_processor_mode 1
		.amdhsa_memory_ordered 1
		.amdhsa_forward_progress 0
		.amdhsa_shared_vgpr_count 0
		.amdhsa_exception_fp_ieee_invalid_op 0
		.amdhsa_exception_fp_denorm_src 0
		.amdhsa_exception_fp_ieee_div_zero 0
		.amdhsa_exception_fp_ieee_overflow 0
		.amdhsa_exception_fp_ieee_underflow 0
		.amdhsa_exception_fp_ieee_inexact 0
		.amdhsa_exception_int_div_zero 0
	.end_amdhsa_kernel
	.section	.text._ZN7rocprim17ROCPRIM_400000_NS6detail17trampoline_kernelINS0_14default_configENS1_22reduce_config_selectorIN6thrust23THRUST_200600_302600_NS5tupleIblNS6_9null_typeES8_S8_S8_S8_S8_S8_S8_EEEEZNS1_11reduce_implILb1ES3_NS6_12zip_iteratorINS7_INS6_11hip_rocprim26transform_input_iterator_tIbNSD_35transform_pair_of_input_iterators_tIbNS6_6detail15normal_iteratorINS6_10device_ptrIKjEEEESL_NS6_8equal_toIjEEEENSG_9not_fun_tINSD_8identityEEEEENSD_19counting_iterator_tIlEES8_S8_S8_S8_S8_S8_S8_S8_EEEEPS9_S9_NSD_9__find_if7functorIS9_EEEE10hipError_tPvRmT1_T2_T3_mT4_P12ihipStream_tbEUlT_E1_NS1_11comp_targetILNS1_3genE10ELNS1_11target_archE1200ELNS1_3gpuE4ELNS1_3repE0EEENS1_30default_config_static_selectorELNS0_4arch9wavefront6targetE0EEEvS14_,"axG",@progbits,_ZN7rocprim17ROCPRIM_400000_NS6detail17trampoline_kernelINS0_14default_configENS1_22reduce_config_selectorIN6thrust23THRUST_200600_302600_NS5tupleIblNS6_9null_typeES8_S8_S8_S8_S8_S8_S8_EEEEZNS1_11reduce_implILb1ES3_NS6_12zip_iteratorINS7_INS6_11hip_rocprim26transform_input_iterator_tIbNSD_35transform_pair_of_input_iterators_tIbNS6_6detail15normal_iteratorINS6_10device_ptrIKjEEEESL_NS6_8equal_toIjEEEENSG_9not_fun_tINSD_8identityEEEEENSD_19counting_iterator_tIlEES8_S8_S8_S8_S8_S8_S8_S8_EEEEPS9_S9_NSD_9__find_if7functorIS9_EEEE10hipError_tPvRmT1_T2_T3_mT4_P12ihipStream_tbEUlT_E1_NS1_11comp_targetILNS1_3genE10ELNS1_11target_archE1200ELNS1_3gpuE4ELNS1_3repE0EEENS1_30default_config_static_selectorELNS0_4arch9wavefront6targetE0EEEvS14_,comdat
.Lfunc_end826:
	.size	_ZN7rocprim17ROCPRIM_400000_NS6detail17trampoline_kernelINS0_14default_configENS1_22reduce_config_selectorIN6thrust23THRUST_200600_302600_NS5tupleIblNS6_9null_typeES8_S8_S8_S8_S8_S8_S8_EEEEZNS1_11reduce_implILb1ES3_NS6_12zip_iteratorINS7_INS6_11hip_rocprim26transform_input_iterator_tIbNSD_35transform_pair_of_input_iterators_tIbNS6_6detail15normal_iteratorINS6_10device_ptrIKjEEEESL_NS6_8equal_toIjEEEENSG_9not_fun_tINSD_8identityEEEEENSD_19counting_iterator_tIlEES8_S8_S8_S8_S8_S8_S8_S8_EEEEPS9_S9_NSD_9__find_if7functorIS9_EEEE10hipError_tPvRmT1_T2_T3_mT4_P12ihipStream_tbEUlT_E1_NS1_11comp_targetILNS1_3genE10ELNS1_11target_archE1200ELNS1_3gpuE4ELNS1_3repE0EEENS1_30default_config_static_selectorELNS0_4arch9wavefront6targetE0EEEvS14_, .Lfunc_end826-_ZN7rocprim17ROCPRIM_400000_NS6detail17trampoline_kernelINS0_14default_configENS1_22reduce_config_selectorIN6thrust23THRUST_200600_302600_NS5tupleIblNS6_9null_typeES8_S8_S8_S8_S8_S8_S8_EEEEZNS1_11reduce_implILb1ES3_NS6_12zip_iteratorINS7_INS6_11hip_rocprim26transform_input_iterator_tIbNSD_35transform_pair_of_input_iterators_tIbNS6_6detail15normal_iteratorINS6_10device_ptrIKjEEEESL_NS6_8equal_toIjEEEENSG_9not_fun_tINSD_8identityEEEEENSD_19counting_iterator_tIlEES8_S8_S8_S8_S8_S8_S8_S8_EEEEPS9_S9_NSD_9__find_if7functorIS9_EEEE10hipError_tPvRmT1_T2_T3_mT4_P12ihipStream_tbEUlT_E1_NS1_11comp_targetILNS1_3genE10ELNS1_11target_archE1200ELNS1_3gpuE4ELNS1_3repE0EEENS1_30default_config_static_selectorELNS0_4arch9wavefront6targetE0EEEvS14_
                                        ; -- End function
	.section	.AMDGPU.csdata,"",@progbits
; Kernel info:
; codeLenInByte = 0
; NumSgprs: 0
; NumVgprs: 0
; ScratchSize: 0
; MemoryBound: 0
; FloatMode: 240
; IeeeMode: 1
; LDSByteSize: 0 bytes/workgroup (compile time only)
; SGPRBlocks: 0
; VGPRBlocks: 0
; NumSGPRsForWavesPerEU: 1
; NumVGPRsForWavesPerEU: 1
; Occupancy: 16
; WaveLimiterHint : 0
; COMPUTE_PGM_RSRC2:SCRATCH_EN: 0
; COMPUTE_PGM_RSRC2:USER_SGPR: 15
; COMPUTE_PGM_RSRC2:TRAP_HANDLER: 0
; COMPUTE_PGM_RSRC2:TGID_X_EN: 1
; COMPUTE_PGM_RSRC2:TGID_Y_EN: 0
; COMPUTE_PGM_RSRC2:TGID_Z_EN: 0
; COMPUTE_PGM_RSRC2:TIDIG_COMP_CNT: 0
	.section	.text._ZN7rocprim17ROCPRIM_400000_NS6detail17trampoline_kernelINS0_14default_configENS1_22reduce_config_selectorIN6thrust23THRUST_200600_302600_NS5tupleIblNS6_9null_typeES8_S8_S8_S8_S8_S8_S8_EEEEZNS1_11reduce_implILb1ES3_NS6_12zip_iteratorINS7_INS6_11hip_rocprim26transform_input_iterator_tIbNSD_35transform_pair_of_input_iterators_tIbNS6_6detail15normal_iteratorINS6_10device_ptrIKjEEEESL_NS6_8equal_toIjEEEENSG_9not_fun_tINSD_8identityEEEEENSD_19counting_iterator_tIlEES8_S8_S8_S8_S8_S8_S8_S8_EEEEPS9_S9_NSD_9__find_if7functorIS9_EEEE10hipError_tPvRmT1_T2_T3_mT4_P12ihipStream_tbEUlT_E1_NS1_11comp_targetILNS1_3genE9ELNS1_11target_archE1100ELNS1_3gpuE3ELNS1_3repE0EEENS1_30default_config_static_selectorELNS0_4arch9wavefront6targetE0EEEvS14_,"axG",@progbits,_ZN7rocprim17ROCPRIM_400000_NS6detail17trampoline_kernelINS0_14default_configENS1_22reduce_config_selectorIN6thrust23THRUST_200600_302600_NS5tupleIblNS6_9null_typeES8_S8_S8_S8_S8_S8_S8_EEEEZNS1_11reduce_implILb1ES3_NS6_12zip_iteratorINS7_INS6_11hip_rocprim26transform_input_iterator_tIbNSD_35transform_pair_of_input_iterators_tIbNS6_6detail15normal_iteratorINS6_10device_ptrIKjEEEESL_NS6_8equal_toIjEEEENSG_9not_fun_tINSD_8identityEEEEENSD_19counting_iterator_tIlEES8_S8_S8_S8_S8_S8_S8_S8_EEEEPS9_S9_NSD_9__find_if7functorIS9_EEEE10hipError_tPvRmT1_T2_T3_mT4_P12ihipStream_tbEUlT_E1_NS1_11comp_targetILNS1_3genE9ELNS1_11target_archE1100ELNS1_3gpuE3ELNS1_3repE0EEENS1_30default_config_static_selectorELNS0_4arch9wavefront6targetE0EEEvS14_,comdat
	.protected	_ZN7rocprim17ROCPRIM_400000_NS6detail17trampoline_kernelINS0_14default_configENS1_22reduce_config_selectorIN6thrust23THRUST_200600_302600_NS5tupleIblNS6_9null_typeES8_S8_S8_S8_S8_S8_S8_EEEEZNS1_11reduce_implILb1ES3_NS6_12zip_iteratorINS7_INS6_11hip_rocprim26transform_input_iterator_tIbNSD_35transform_pair_of_input_iterators_tIbNS6_6detail15normal_iteratorINS6_10device_ptrIKjEEEESL_NS6_8equal_toIjEEEENSG_9not_fun_tINSD_8identityEEEEENSD_19counting_iterator_tIlEES8_S8_S8_S8_S8_S8_S8_S8_EEEEPS9_S9_NSD_9__find_if7functorIS9_EEEE10hipError_tPvRmT1_T2_T3_mT4_P12ihipStream_tbEUlT_E1_NS1_11comp_targetILNS1_3genE9ELNS1_11target_archE1100ELNS1_3gpuE3ELNS1_3repE0EEENS1_30default_config_static_selectorELNS0_4arch9wavefront6targetE0EEEvS14_ ; -- Begin function _ZN7rocprim17ROCPRIM_400000_NS6detail17trampoline_kernelINS0_14default_configENS1_22reduce_config_selectorIN6thrust23THRUST_200600_302600_NS5tupleIblNS6_9null_typeES8_S8_S8_S8_S8_S8_S8_EEEEZNS1_11reduce_implILb1ES3_NS6_12zip_iteratorINS7_INS6_11hip_rocprim26transform_input_iterator_tIbNSD_35transform_pair_of_input_iterators_tIbNS6_6detail15normal_iteratorINS6_10device_ptrIKjEEEESL_NS6_8equal_toIjEEEENSG_9not_fun_tINSD_8identityEEEEENSD_19counting_iterator_tIlEES8_S8_S8_S8_S8_S8_S8_S8_EEEEPS9_S9_NSD_9__find_if7functorIS9_EEEE10hipError_tPvRmT1_T2_T3_mT4_P12ihipStream_tbEUlT_E1_NS1_11comp_targetILNS1_3genE9ELNS1_11target_archE1100ELNS1_3gpuE3ELNS1_3repE0EEENS1_30default_config_static_selectorELNS0_4arch9wavefront6targetE0EEEvS14_
	.globl	_ZN7rocprim17ROCPRIM_400000_NS6detail17trampoline_kernelINS0_14default_configENS1_22reduce_config_selectorIN6thrust23THRUST_200600_302600_NS5tupleIblNS6_9null_typeES8_S8_S8_S8_S8_S8_S8_EEEEZNS1_11reduce_implILb1ES3_NS6_12zip_iteratorINS7_INS6_11hip_rocprim26transform_input_iterator_tIbNSD_35transform_pair_of_input_iterators_tIbNS6_6detail15normal_iteratorINS6_10device_ptrIKjEEEESL_NS6_8equal_toIjEEEENSG_9not_fun_tINSD_8identityEEEEENSD_19counting_iterator_tIlEES8_S8_S8_S8_S8_S8_S8_S8_EEEEPS9_S9_NSD_9__find_if7functorIS9_EEEE10hipError_tPvRmT1_T2_T3_mT4_P12ihipStream_tbEUlT_E1_NS1_11comp_targetILNS1_3genE9ELNS1_11target_archE1100ELNS1_3gpuE3ELNS1_3repE0EEENS1_30default_config_static_selectorELNS0_4arch9wavefront6targetE0EEEvS14_
	.p2align	8
	.type	_ZN7rocprim17ROCPRIM_400000_NS6detail17trampoline_kernelINS0_14default_configENS1_22reduce_config_selectorIN6thrust23THRUST_200600_302600_NS5tupleIblNS6_9null_typeES8_S8_S8_S8_S8_S8_S8_EEEEZNS1_11reduce_implILb1ES3_NS6_12zip_iteratorINS7_INS6_11hip_rocprim26transform_input_iterator_tIbNSD_35transform_pair_of_input_iterators_tIbNS6_6detail15normal_iteratorINS6_10device_ptrIKjEEEESL_NS6_8equal_toIjEEEENSG_9not_fun_tINSD_8identityEEEEENSD_19counting_iterator_tIlEES8_S8_S8_S8_S8_S8_S8_S8_EEEEPS9_S9_NSD_9__find_if7functorIS9_EEEE10hipError_tPvRmT1_T2_T3_mT4_P12ihipStream_tbEUlT_E1_NS1_11comp_targetILNS1_3genE9ELNS1_11target_archE1100ELNS1_3gpuE3ELNS1_3repE0EEENS1_30default_config_static_selectorELNS0_4arch9wavefront6targetE0EEEvS14_,@function
_ZN7rocprim17ROCPRIM_400000_NS6detail17trampoline_kernelINS0_14default_configENS1_22reduce_config_selectorIN6thrust23THRUST_200600_302600_NS5tupleIblNS6_9null_typeES8_S8_S8_S8_S8_S8_S8_EEEEZNS1_11reduce_implILb1ES3_NS6_12zip_iteratorINS7_INS6_11hip_rocprim26transform_input_iterator_tIbNSD_35transform_pair_of_input_iterators_tIbNS6_6detail15normal_iteratorINS6_10device_ptrIKjEEEESL_NS6_8equal_toIjEEEENSG_9not_fun_tINSD_8identityEEEEENSD_19counting_iterator_tIlEES8_S8_S8_S8_S8_S8_S8_S8_EEEEPS9_S9_NSD_9__find_if7functorIS9_EEEE10hipError_tPvRmT1_T2_T3_mT4_P12ihipStream_tbEUlT_E1_NS1_11comp_targetILNS1_3genE9ELNS1_11target_archE1100ELNS1_3gpuE3ELNS1_3repE0EEENS1_30default_config_static_selectorELNS0_4arch9wavefront6targetE0EEEvS14_: ; @_ZN7rocprim17ROCPRIM_400000_NS6detail17trampoline_kernelINS0_14default_configENS1_22reduce_config_selectorIN6thrust23THRUST_200600_302600_NS5tupleIblNS6_9null_typeES8_S8_S8_S8_S8_S8_S8_EEEEZNS1_11reduce_implILb1ES3_NS6_12zip_iteratorINS7_INS6_11hip_rocprim26transform_input_iterator_tIbNSD_35transform_pair_of_input_iterators_tIbNS6_6detail15normal_iteratorINS6_10device_ptrIKjEEEESL_NS6_8equal_toIjEEEENSG_9not_fun_tINSD_8identityEEEEENSD_19counting_iterator_tIlEES8_S8_S8_S8_S8_S8_S8_S8_EEEEPS9_S9_NSD_9__find_if7functorIS9_EEEE10hipError_tPvRmT1_T2_T3_mT4_P12ihipStream_tbEUlT_E1_NS1_11comp_targetILNS1_3genE9ELNS1_11target_archE1100ELNS1_3gpuE3ELNS1_3repE0EEENS1_30default_config_static_selectorELNS0_4arch9wavefront6targetE0EEEvS14_
; %bb.0:
	s_mov_b32 s10, s15
	s_clause 0x4
	s_load_b32 s25, s[0:1], 0x4
	s_load_b128 s[16:19], s[0:1], 0x8
	s_load_b128 s[12:15], s[0:1], 0x28
	s_load_b32 s24, s[0:1], 0x40
	s_load_b64 s[20:21], s[0:1], 0x48
	s_waitcnt lgkmcnt(0)
	s_cmp_lt_i32 s25, 4
	s_cbranch_scc1 .LBB827_19
; %bb.1:
	s_cmp_gt_i32 s25, 7
	s_cbranch_scc0 .LBB827_20
; %bb.2:
	s_cmp_eq_u32 s25, 8
	s_mov_b32 s27, 0
	s_cbranch_scc0 .LBB827_21
; %bb.3:
	s_mov_b32 s11, 0
	s_lshl_b32 s6, s10, 11
	s_mov_b32 s7, s11
	s_lshr_b64 s[4:5], s[14:15], 11
	s_lshl_b64 s[2:3], s[6:7], 2
	s_delay_alu instid0(SALU_CYCLE_1)
	s_add_u32 s8, s16, s2
	s_addc_u32 s9, s17, s3
	s_add_u32 s22, s18, s2
	s_addc_u32 s23, s19, s3
	;; [unrolled: 2-line block ×3, first 2 shown]
	s_cmp_lg_u64 s[4:5], s[10:11]
	s_cbranch_scc0 .LBB827_40
; %bb.4:
	v_lshlrev_b32_e32 v1, 2, v0
	s_clause 0x7
	global_load_b32 v6, v1, s[8:9]
	global_load_b32 v7, v1, s[8:9] offset:1024
	global_load_b32 v8, v1, s[8:9] offset:2048
	;; [unrolled: 1-line block ×5, first 2 shown]
	global_load_b32 v12, v1, s[22:23]
	global_load_b32 v13, v1, s[8:9] offset:3072
	v_add_co_u32 v3, s2, s8, v1
	s_delay_alu instid0(VALU_DEP_1) | instskip(SKIP_1) | instid1(VALU_DEP_1)
	v_add_co_ci_u32_e64 v4, null, s9, 0, s2
	v_add_co_u32 v2, s2, s22, v1
	v_add_co_ci_u32_e64 v5, null, s23, 0, s2
	s_delay_alu instid0(VALU_DEP_2) | instskip(NEXT) | instid1(VALU_DEP_2)
	v_add_co_u32 v1, vcc_lo, 0x1000, v2
	v_add_co_ci_u32_e32 v2, vcc_lo, 0, v5, vcc_lo
	v_add_co_u32 v3, vcc_lo, 0x1000, v3
	v_add_co_ci_u32_e32 v4, vcc_lo, 0, v4, vcc_lo
	global_load_b32 v5, v[1:2], off
	s_clause 0x1
	global_load_b32 v14, v[3:4], off
	global_load_b32 v15, v[3:4], off offset:1024
	s_clause 0x1
	global_load_b32 v16, v[1:2], off offset:1024
	global_load_b32 v17, v[1:2], off offset:2048
	s_clause 0x1
	global_load_b32 v18, v[3:4], off offset:2048
	global_load_b32 v3, v[3:4], off offset:3072
	;; [unrolled: 1-line block ×3, first 2 shown]
	v_mov_b32_e32 v2, 0x100
	v_mov_b32_e32 v4, 0x300
	s_waitcnt vmcnt(12)
	v_cmp_ne_u32_e32 vcc_lo, v7, v9
	s_waitcnt vmcnt(11)
	v_cmp_ne_u32_e64 s3, v8, v10
	s_waitcnt vmcnt(9)
	v_cmp_ne_u32_e64 s2, v6, v12
	;; [unrolled: 2-line block ×3, first 2 shown]
	v_cndmask_b32_e32 v2, 0x200, v2, vcc_lo
	v_mov_b32_e32 v6, 0x500
	s_delay_alu instid0(VALU_DEP_3) | instskip(NEXT) | instid1(VALU_DEP_3)
	v_cndmask_b32_e64 v4, 0x400, v4, s4
	v_cndmask_b32_e64 v2, v2, 0, s2
	s_or_b32 s2, s2, vcc_lo
	s_delay_alu instid0(SALU_CYCLE_1) | instskip(NEXT) | instid1(SALU_CYCLE_1)
	s_or_b32 s2, s2, s3
	s_or_b32 s4, s2, s4
	s_delay_alu instid0(VALU_DEP_1)
	v_cndmask_b32_e64 v2, v4, v2, s2
	s_waitcnt vmcnt(6)
	v_cmp_ne_u32_e32 vcc_lo, v14, v5
	s_waitcnt vmcnt(4)
	v_cmp_ne_u32_e64 s3, v15, v16
	s_waitcnt vmcnt(2)
	v_cmp_ne_u32_e64 s2, v18, v17
	s_or_b32 vcc_lo, s4, vcc_lo
	s_waitcnt vmcnt(0)
	v_cmp_ne_u32_e64 s4, v3, v1
	v_cndmask_b32_e64 v4, 0x600, v6, s3
	s_or_b32 s3, vcc_lo, s3
	s_delay_alu instid0(VALU_DEP_1) | instskip(SKIP_1) | instid1(SALU_CYCLE_1)
	v_cndmask_b32_e32 v2, v4, v2, vcc_lo
	s_or_b32 vcc_lo, s3, s2
	s_or_b32 s3, vcc_lo, s4
	s_mov_b32 s4, exec_lo
	s_delay_alu instid0(VALU_DEP_1) | instskip(SKIP_3) | instid1(VALU_DEP_3)
	v_cndmask_b32_e32 v1, 0x700, v2, vcc_lo
	v_add_co_u32 v2, s2, s26, v0
	v_cndmask_b32_e64 v5, 0, 1, s3
	v_add_co_ci_u32_e64 v3, null, s28, 0, s2
	v_add_co_u32 v1, vcc_lo, v2, v1
	s_delay_alu instid0(VALU_DEP_3) | instskip(NEXT) | instid1(VALU_DEP_3)
	v_mov_b32_dpp v6, v5 quad_perm:[1,0,3,2] row_mask:0xf bank_mask:0xf
	v_add_co_ci_u32_e32 v2, vcc_lo, 0, v3, vcc_lo
	s_delay_alu instid0(VALU_DEP_3) | instskip(NEXT) | instid1(VALU_DEP_3)
	v_mov_b32_dpp v3, v1 quad_perm:[1,0,3,2] row_mask:0xf bank_mask:0xf
	v_and_b32_e32 v7, 1, v6
	s_delay_alu instid0(VALU_DEP_3) | instskip(NEXT) | instid1(VALU_DEP_2)
	v_mov_b32_dpp v4, v2 quad_perm:[1,0,3,2] row_mask:0xf bank_mask:0xf
	v_cmpx_eq_u32_e32 1, v7
; %bb.5:
	v_cndmask_b32_e64 v5, v6, 1, s3
	s_delay_alu instid0(VALU_DEP_3) | instskip(NEXT) | instid1(VALU_DEP_2)
	v_cmp_lt_i64_e32 vcc_lo, v[1:2], v[3:4]
	v_and_b32_e32 v6, 1, v5
	v_and_b32_e32 v5, 0xff, v5
	s_and_b32 vcc_lo, s3, vcc_lo
	s_and_not1_b32 s3, s3, exec_lo
	v_dual_cndmask_b32 v2, v4, v2 :: v_dual_cndmask_b32 v1, v3, v1
	v_cmp_eq_u32_e64 s2, 1, v6
	s_delay_alu instid0(VALU_DEP_1) | instskip(NEXT) | instid1(SALU_CYCLE_1)
	s_and_b32 s2, s2, exec_lo
	s_or_b32 s3, s3, s2
; %bb.6:
	s_or_b32 exec_lo, exec_lo, s4
	v_mov_b32_dpp v6, v5 quad_perm:[2,3,0,1] row_mask:0xf bank_mask:0xf
	v_mov_b32_dpp v3, v1 quad_perm:[2,3,0,1] row_mask:0xf bank_mask:0xf
	v_mov_b32_dpp v4, v2 quad_perm:[2,3,0,1] row_mask:0xf bank_mask:0xf
	s_mov_b32 s4, exec_lo
	s_delay_alu instid0(VALU_DEP_3) | instskip(NEXT) | instid1(VALU_DEP_1)
	v_and_b32_e32 v7, 1, v6
	v_cmpx_eq_u32_e32 1, v7
; %bb.7:
	v_cndmask_b32_e64 v5, v6, 1, s3
	v_cmp_lt_i64_e32 vcc_lo, v[1:2], v[3:4]
	s_delay_alu instid0(VALU_DEP_2)
	v_and_b32_e32 v6, 1, v5
	v_and_b32_e32 v5, 0xff, v5
	s_and_b32 vcc_lo, s3, vcc_lo
	s_and_not1_b32 s3, s3, exec_lo
	v_dual_cndmask_b32 v2, v4, v2 :: v_dual_cndmask_b32 v1, v3, v1
	v_cmp_eq_u32_e64 s2, 1, v6
	s_delay_alu instid0(VALU_DEP_1) | instskip(NEXT) | instid1(SALU_CYCLE_1)
	s_and_b32 s2, s2, exec_lo
	s_or_b32 s3, s3, s2
; %bb.8:
	s_or_b32 exec_lo, exec_lo, s4
	v_mov_b32_dpp v6, v5 row_ror:4 row_mask:0xf bank_mask:0xf
	v_mov_b32_dpp v3, v1 row_ror:4 row_mask:0xf bank_mask:0xf
	;; [unrolled: 1-line block ×3, first 2 shown]
	s_mov_b32 s4, exec_lo
	s_delay_alu instid0(VALU_DEP_3) | instskip(NEXT) | instid1(VALU_DEP_1)
	v_and_b32_e32 v7, 1, v6
	v_cmpx_eq_u32_e32 1, v7
; %bb.9:
	v_cndmask_b32_e64 v5, v6, 1, s3
	v_cmp_lt_i64_e32 vcc_lo, v[1:2], v[3:4]
	s_delay_alu instid0(VALU_DEP_2)
	v_and_b32_e32 v6, 1, v5
	v_and_b32_e32 v5, 0xff, v5
	s_and_b32 vcc_lo, s3, vcc_lo
	s_and_not1_b32 s3, s3, exec_lo
	v_dual_cndmask_b32 v2, v4, v2 :: v_dual_cndmask_b32 v1, v3, v1
	v_cmp_eq_u32_e64 s2, 1, v6
	s_delay_alu instid0(VALU_DEP_1) | instskip(NEXT) | instid1(SALU_CYCLE_1)
	s_and_b32 s2, s2, exec_lo
	s_or_b32 s3, s3, s2
; %bb.10:
	s_or_b32 exec_lo, exec_lo, s4
	v_mov_b32_dpp v6, v5 row_ror:8 row_mask:0xf bank_mask:0xf
	v_mov_b32_dpp v3, v1 row_ror:8 row_mask:0xf bank_mask:0xf
	;; [unrolled: 1-line block ×3, first 2 shown]
	s_mov_b32 s4, exec_lo
	s_delay_alu instid0(VALU_DEP_3) | instskip(NEXT) | instid1(VALU_DEP_1)
	v_and_b32_e32 v7, 1, v6
	v_cmpx_eq_u32_e32 1, v7
; %bb.11:
	v_cndmask_b32_e64 v5, v6, 1, s3
	v_cmp_lt_i64_e32 vcc_lo, v[1:2], v[3:4]
	s_delay_alu instid0(VALU_DEP_2)
	v_and_b32_e32 v6, 1, v5
	v_and_b32_e32 v5, 0xff, v5
	s_and_b32 vcc_lo, s3, vcc_lo
	s_and_not1_b32 s3, s3, exec_lo
	v_dual_cndmask_b32 v2, v4, v2 :: v_dual_cndmask_b32 v1, v3, v1
	v_cmp_eq_u32_e64 s2, 1, v6
	s_delay_alu instid0(VALU_DEP_1) | instskip(NEXT) | instid1(SALU_CYCLE_1)
	s_and_b32 s2, s2, exec_lo
	s_or_b32 s3, s3, s2
; %bb.12:
	s_or_b32 exec_lo, exec_lo, s4
	ds_swizzle_b32 v6, v5 offset:swizzle(BROADCAST,32,15)
	ds_swizzle_b32 v3, v1 offset:swizzle(BROADCAST,32,15)
	;; [unrolled: 1-line block ×3, first 2 shown]
	s_mov_b32 s2, exec_lo
	s_waitcnt lgkmcnt(2)
	v_and_b32_e32 v7, 1, v6
	s_delay_alu instid0(VALU_DEP_1)
	v_cmpx_eq_u32_e32 1, v7
	s_cbranch_execz .LBB827_14
; %bb.13:
	s_waitcnt lgkmcnt(0)
	v_cmp_lt_i64_e32 vcc_lo, v[1:2], v[3:4]
	v_and_b32_e32 v5, 0xff, v6
	s_delay_alu instid0(VALU_DEP_1)
	v_cndmask_b32_e64 v5, v5, 1, s3
	s_and_b32 vcc_lo, s3, vcc_lo
	v_dual_cndmask_b32 v1, v3, v1 :: v_dual_cndmask_b32 v2, v4, v2
.LBB827_14:
	s_or_b32 exec_lo, exec_lo, s2
	s_waitcnt lgkmcnt(1)
	v_mov_b32_e32 v3, 0
	s_mov_b32 s2, exec_lo
	ds_bpermute_b32 v6, v3, v5 offset:124
	ds_bpermute_b32 v1, v3, v1 offset:124
	;; [unrolled: 1-line block ×3, first 2 shown]
	v_mbcnt_lo_u32_b32 v3, -1, 0
	s_delay_alu instid0(VALU_DEP_1)
	v_cmpx_eq_u32_e32 0, v3
	s_cbranch_execz .LBB827_16
; %bb.15:
	s_waitcnt lgkmcnt(3)
	v_lshrrev_b32_e32 v4, 1, v0
	s_delay_alu instid0(VALU_DEP_1)
	v_and_b32_e32 v4, 0x70, v4
	s_waitcnt lgkmcnt(2)
	ds_store_b8 v4, v6 offset:384
	s_waitcnt lgkmcnt(1)
	ds_store_b64 v4, v[1:2] offset:392
.LBB827_16:
	s_or_b32 exec_lo, exec_lo, s2
	s_delay_alu instid0(SALU_CYCLE_1)
	s_mov_b32 s4, exec_lo
	s_waitcnt lgkmcnt(0)
	s_barrier
	buffer_gl0_inv
	v_cmpx_gt_u32_e32 32, v0
	s_cbranch_execz .LBB827_18
; %bb.17:
	v_and_b32_e32 v6, 7, v3
	s_delay_alu instid0(VALU_DEP_1)
	v_lshlrev_b32_e32 v1, 4, v6
	v_cmp_ne_u32_e32 vcc_lo, 7, v6
	ds_load_u8 v7, v1 offset:384
	ds_load_b64 v[1:2], v1 offset:392
	v_add_co_ci_u32_e32 v4, vcc_lo, 0, v3, vcc_lo
	v_cmp_gt_u32_e32 vcc_lo, 6, v6
	s_delay_alu instid0(VALU_DEP_2)
	v_lshlrev_b32_e32 v5, 2, v4
	v_cndmask_b32_e64 v10, 0, 1, vcc_lo
	s_waitcnt lgkmcnt(1)
	v_and_b32_e32 v4, 0xff, v7
	v_and_b32_e32 v11, 1, v7
	ds_bpermute_b32 v8, v5, v4
	s_waitcnt lgkmcnt(1)
	ds_bpermute_b32 v4, v5, v1
	ds_bpermute_b32 v5, v5, v2
	v_cmp_eq_u32_e64 s3, 1, v11
	s_waitcnt lgkmcnt(2)
	v_and_b32_e32 v9, 1, v8
	s_waitcnt lgkmcnt(0)
	v_cmp_lt_i64_e64 s2, v[4:5], v[1:2]
	s_delay_alu instid0(VALU_DEP_2) | instskip(SKIP_2) | instid1(VALU_DEP_4)
	v_cmp_eq_u32_e32 vcc_lo, 1, v9
	v_lshlrev_b32_e32 v9, 1, v10
	v_cndmask_b32_e64 v7, v7, 1, vcc_lo
	s_and_b32 vcc_lo, vcc_lo, s2
	v_dual_cndmask_b32 v1, v1, v4 :: v_dual_cndmask_b32 v2, v2, v5
	s_delay_alu instid0(VALU_DEP_2) | instskip(SKIP_2) | instid1(VALU_DEP_4)
	v_cndmask_b32_e64 v7, v8, v7, s3
	v_add_lshl_u32 v8, v9, v3, 2
	v_cmp_gt_u32_e32 vcc_lo, 4, v6
	v_cndmask_b32_e64 v1, v4, v1, s3
	v_cndmask_b32_e64 v2, v5, v2, s3
	v_and_b32_e32 v9, 0xff, v7
	v_and_b32_e32 v10, 1, v7
	v_cndmask_b32_e64 v6, 0, 1, vcc_lo
	ds_bpermute_b32 v4, v8, v1
	ds_bpermute_b32 v5, v8, v2
	;; [unrolled: 1-line block ×3, first 2 shown]
	v_cmp_eq_u32_e64 s3, 1, v10
	s_waitcnt lgkmcnt(1)
	v_cmp_lt_i64_e64 s2, v[4:5], v[1:2]
	s_waitcnt lgkmcnt(0)
	v_and_b32_e32 v8, 1, v9
	s_delay_alu instid0(VALU_DEP_1) | instskip(SKIP_1) | instid1(VALU_DEP_4)
	v_cmp_eq_u32_e32 vcc_lo, 1, v8
	v_cndmask_b32_e64 v7, v7, 1, vcc_lo
	s_and_b32 vcc_lo, vcc_lo, s2
	v_dual_cndmask_b32 v1, v1, v4 :: v_dual_cndmask_b32 v2, v2, v5
	s_delay_alu instid0(VALU_DEP_2) | instskip(NEXT) | instid1(VALU_DEP_2)
	v_cndmask_b32_e64 v7, v9, v7, s3
	v_cndmask_b32_e64 v1, v4, v1, s3
	v_lshlrev_b32_e32 v6, 2, v6
	s_delay_alu instid0(VALU_DEP_4) | instskip(NEXT) | instid1(VALU_DEP_2)
	v_cndmask_b32_e64 v2, v5, v2, s3
	v_add_lshl_u32 v6, v6, v3, 2
	v_and_b32_e32 v3, 0xff, v7
	ds_bpermute_b32 v4, v6, v2
	ds_bpermute_b32 v5, v6, v3
	;; [unrolled: 1-line block ×3, first 2 shown]
	s_waitcnt lgkmcnt(1)
	v_and_b32_e32 v6, 1, v5
	s_waitcnt lgkmcnt(0)
	v_cmp_lt_i64_e32 vcc_lo, v[3:4], v[1:2]
	s_delay_alu instid0(VALU_DEP_2) | instskip(SKIP_1) | instid1(VALU_DEP_2)
	v_cmp_eq_u32_e64 s2, 1, v6
	v_and_b32_e32 v6, 1, v7
	v_cndmask_b32_e64 v7, v7, 1, s2
	s_and_b32 vcc_lo, s2, vcc_lo
	s_delay_alu instid0(VALU_DEP_2) | instskip(SKIP_1) | instid1(VALU_DEP_2)
	v_cmp_eq_u32_e64 s2, 1, v6
	v_dual_cndmask_b32 v1, v1, v3 :: v_dual_cndmask_b32 v2, v2, v4
	v_cndmask_b32_e64 v5, v5, v7, s2
	s_delay_alu instid0(VALU_DEP_2) | instskip(NEXT) | instid1(VALU_DEP_3)
	v_cndmask_b32_e64 v1, v3, v1, s2
	v_cndmask_b32_e64 v2, v4, v2, s2
	s_delay_alu instid0(VALU_DEP_3)
	v_and_b32_e32 v6, 0xff, v5
.LBB827_18:
	s_or_b32 exec_lo, exec_lo, s4
	s_branch .LBB827_85
.LBB827_19:
	s_mov_b32 s26, 0
                                        ; implicit-def: $vgpr3_vgpr4
                                        ; implicit-def: $vgpr5
	s_cbranch_execnz .LBB827_129
	s_branch .LBB827_200
.LBB827_20:
	s_mov_b32 s27, -1
.LBB827_21:
	s_mov_b32 s26, 0
                                        ; implicit-def: $vgpr3_vgpr4
                                        ; implicit-def: $vgpr5
	s_and_b32 vcc_lo, exec_lo, s27
	s_cbranch_vccz .LBB827_90
.LBB827_22:
	s_cmp_eq_u32 s25, 4
	s_cbranch_scc0 .LBB827_39
; %bb.23:
	s_mov_b32 s11, 0
	s_lshl_b32 s22, s10, 10
	s_mov_b32 s23, s11
	s_lshr_b64 s[28:29], s[14:15], 10
	s_lshl_b64 s[2:3], s[22:23], 2
	s_delay_alu instid0(SALU_CYCLE_1)
	s_add_u32 s6, s16, s2
	s_addc_u32 s7, s17, s3
	s_add_u32 s8, s18, s2
	s_addc_u32 s9, s19, s3
	s_add_u32 s5, s12, s22
	s_addc_u32 s23, s13, 0
	s_cmp_lg_u64 s[28:29], s[10:11]
	s_cbranch_scc0 .LBB827_91
; %bb.24:
	v_mov_b32_e32 v9, 0x100
	v_lshlrev_b32_e32 v1, 2, v0
	global_load_b32 v2, v1, s[8:9] offset:1024
	s_waitcnt lgkmcnt(1)
	global_load_b32 v3, v1, s[6:7] offset:1024
	s_waitcnt lgkmcnt(0)
	s_clause 0x5
	global_load_b32 v4, v1, s[6:7]
	global_load_b32 v5, v1, s[8:9]
	global_load_b32 v6, v1, s[6:7] offset:2048
	global_load_b32 v7, v1, s[8:9] offset:2048
	;; [unrolled: 1-line block ×4, first 2 shown]
	s_waitcnt vmcnt(6)
	v_cmp_ne_u32_e32 vcc_lo, v3, v2
	s_waitcnt vmcnt(4)
	v_cmp_ne_u32_e64 s2, v4, v5
	s_waitcnt vmcnt(2)
	v_cmp_ne_u32_e64 s3, v6, v7
	v_cndmask_b32_e32 v2, 0x200, v9, vcc_lo
	s_waitcnt vmcnt(0)
	v_cmp_ne_u32_e64 s4, v1, v8
	s_delay_alu instid0(VALU_DEP_2) | instskip(SKIP_1) | instid1(SALU_CYCLE_1)
	v_cndmask_b32_e64 v2, v2, 0, s2
	s_or_b32 s2, s2, vcc_lo
	s_or_b32 vcc_lo, s2, s3
	s_delay_alu instid0(VALU_DEP_1) | instskip(SKIP_4) | instid1(VALU_DEP_3)
	v_cndmask_b32_e32 v1, 0x300, v2, vcc_lo
	s_or_b32 s3, vcc_lo, s4
	v_add_co_u32 v2, s2, s5, v0
	v_cndmask_b32_e64 v5, 0, 1, s3
	v_add_co_ci_u32_e64 v3, null, s23, 0, s2
	v_add_co_u32 v1, vcc_lo, v2, v1
	s_delay_alu instid0(VALU_DEP_3) | instskip(NEXT) | instid1(VALU_DEP_3)
	v_mov_b32_dpp v6, v5 quad_perm:[1,0,3,2] row_mask:0xf bank_mask:0xf
	v_add_co_ci_u32_e32 v2, vcc_lo, 0, v3, vcc_lo
	s_delay_alu instid0(VALU_DEP_3) | instskip(SKIP_1) | instid1(VALU_DEP_3)
	v_mov_b32_dpp v3, v1 quad_perm:[1,0,3,2] row_mask:0xf bank_mask:0xf
	s_mov_b32 s4, exec_lo
	v_and_b32_e32 v7, 1, v6
	s_delay_alu instid0(VALU_DEP_3) | instskip(NEXT) | instid1(VALU_DEP_2)
	v_mov_b32_dpp v4, v2 quad_perm:[1,0,3,2] row_mask:0xf bank_mask:0xf
	v_cmpx_eq_u32_e32 1, v7
; %bb.25:
	v_cndmask_b32_e64 v5, v6, 1, s3
	s_delay_alu instid0(VALU_DEP_3) | instskip(NEXT) | instid1(VALU_DEP_2)
	v_cmp_lt_i64_e32 vcc_lo, v[1:2], v[3:4]
	v_and_b32_e32 v6, 1, v5
	v_and_b32_e32 v5, 0xff, v5
	s_and_b32 vcc_lo, s3, vcc_lo
	s_and_not1_b32 s3, s3, exec_lo
	v_dual_cndmask_b32 v2, v4, v2 :: v_dual_cndmask_b32 v1, v3, v1
	v_cmp_eq_u32_e64 s2, 1, v6
	s_delay_alu instid0(VALU_DEP_1) | instskip(NEXT) | instid1(SALU_CYCLE_1)
	s_and_b32 s2, s2, exec_lo
	s_or_b32 s3, s3, s2
; %bb.26:
	s_or_b32 exec_lo, exec_lo, s4
	v_mov_b32_dpp v6, v5 quad_perm:[2,3,0,1] row_mask:0xf bank_mask:0xf
	v_mov_b32_dpp v3, v1 quad_perm:[2,3,0,1] row_mask:0xf bank_mask:0xf
	;; [unrolled: 1-line block ×3, first 2 shown]
	s_mov_b32 s4, exec_lo
	s_delay_alu instid0(VALU_DEP_3) | instskip(NEXT) | instid1(VALU_DEP_1)
	v_and_b32_e32 v7, 1, v6
	v_cmpx_eq_u32_e32 1, v7
; %bb.27:
	v_cndmask_b32_e64 v5, v6, 1, s3
	v_cmp_lt_i64_e32 vcc_lo, v[1:2], v[3:4]
	s_delay_alu instid0(VALU_DEP_2)
	v_and_b32_e32 v6, 1, v5
	v_and_b32_e32 v5, 0xff, v5
	s_and_b32 vcc_lo, s3, vcc_lo
	s_and_not1_b32 s3, s3, exec_lo
	v_dual_cndmask_b32 v2, v4, v2 :: v_dual_cndmask_b32 v1, v3, v1
	v_cmp_eq_u32_e64 s2, 1, v6
	s_delay_alu instid0(VALU_DEP_1) | instskip(NEXT) | instid1(SALU_CYCLE_1)
	s_and_b32 s2, s2, exec_lo
	s_or_b32 s3, s3, s2
; %bb.28:
	s_or_b32 exec_lo, exec_lo, s4
	v_mov_b32_dpp v6, v5 row_ror:4 row_mask:0xf bank_mask:0xf
	v_mov_b32_dpp v3, v1 row_ror:4 row_mask:0xf bank_mask:0xf
	;; [unrolled: 1-line block ×3, first 2 shown]
	s_mov_b32 s4, exec_lo
	s_delay_alu instid0(VALU_DEP_3) | instskip(NEXT) | instid1(VALU_DEP_1)
	v_and_b32_e32 v7, 1, v6
	v_cmpx_eq_u32_e32 1, v7
; %bb.29:
	v_cndmask_b32_e64 v5, v6, 1, s3
	v_cmp_lt_i64_e32 vcc_lo, v[1:2], v[3:4]
	s_delay_alu instid0(VALU_DEP_2)
	v_and_b32_e32 v6, 1, v5
	v_and_b32_e32 v5, 0xff, v5
	s_and_b32 vcc_lo, s3, vcc_lo
	s_and_not1_b32 s3, s3, exec_lo
	v_dual_cndmask_b32 v2, v4, v2 :: v_dual_cndmask_b32 v1, v3, v1
	v_cmp_eq_u32_e64 s2, 1, v6
	s_delay_alu instid0(VALU_DEP_1) | instskip(NEXT) | instid1(SALU_CYCLE_1)
	s_and_b32 s2, s2, exec_lo
	s_or_b32 s3, s3, s2
; %bb.30:
	s_or_b32 exec_lo, exec_lo, s4
	v_mov_b32_dpp v6, v5 row_ror:8 row_mask:0xf bank_mask:0xf
	v_mov_b32_dpp v3, v1 row_ror:8 row_mask:0xf bank_mask:0xf
	;; [unrolled: 1-line block ×3, first 2 shown]
	s_mov_b32 s4, exec_lo
	s_delay_alu instid0(VALU_DEP_3) | instskip(NEXT) | instid1(VALU_DEP_1)
	v_and_b32_e32 v7, 1, v6
	v_cmpx_eq_u32_e32 1, v7
; %bb.31:
	v_cndmask_b32_e64 v5, v6, 1, s3
	v_cmp_lt_i64_e32 vcc_lo, v[1:2], v[3:4]
	s_delay_alu instid0(VALU_DEP_2)
	v_and_b32_e32 v6, 1, v5
	v_and_b32_e32 v5, 0xff, v5
	s_and_b32 vcc_lo, s3, vcc_lo
	s_and_not1_b32 s3, s3, exec_lo
	v_dual_cndmask_b32 v2, v4, v2 :: v_dual_cndmask_b32 v1, v3, v1
	v_cmp_eq_u32_e64 s2, 1, v6
	s_delay_alu instid0(VALU_DEP_1) | instskip(NEXT) | instid1(SALU_CYCLE_1)
	s_and_b32 s2, s2, exec_lo
	s_or_b32 s3, s3, s2
; %bb.32:
	s_or_b32 exec_lo, exec_lo, s4
	ds_swizzle_b32 v6, v5 offset:swizzle(BROADCAST,32,15)
	ds_swizzle_b32 v3, v1 offset:swizzle(BROADCAST,32,15)
	;; [unrolled: 1-line block ×3, first 2 shown]
	s_mov_b32 s2, exec_lo
	s_waitcnt lgkmcnt(2)
	v_and_b32_e32 v7, 1, v6
	s_delay_alu instid0(VALU_DEP_1)
	v_cmpx_eq_u32_e32 1, v7
	s_cbranch_execz .LBB827_34
; %bb.33:
	s_waitcnt lgkmcnt(0)
	v_cmp_lt_i64_e32 vcc_lo, v[1:2], v[3:4]
	v_and_b32_e32 v5, 0xff, v6
	s_delay_alu instid0(VALU_DEP_1)
	v_cndmask_b32_e64 v5, v5, 1, s3
	s_and_b32 vcc_lo, s3, vcc_lo
	v_dual_cndmask_b32 v1, v3, v1 :: v_dual_cndmask_b32 v2, v4, v2
.LBB827_34:
	s_or_b32 exec_lo, exec_lo, s2
	s_waitcnt lgkmcnt(1)
	v_mov_b32_e32 v3, 0
	s_mov_b32 s2, exec_lo
	ds_bpermute_b32 v6, v3, v5 offset:124
	ds_bpermute_b32 v1, v3, v1 offset:124
	ds_bpermute_b32 v2, v3, v2 offset:124
	v_mbcnt_lo_u32_b32 v3, -1, 0
	s_delay_alu instid0(VALU_DEP_1)
	v_cmpx_eq_u32_e32 0, v3
	s_cbranch_execz .LBB827_36
; %bb.35:
	s_waitcnt lgkmcnt(3)
	v_lshrrev_b32_e32 v4, 1, v0
	s_delay_alu instid0(VALU_DEP_1)
	v_and_b32_e32 v4, 0x70, v4
	s_waitcnt lgkmcnt(2)
	ds_store_b8 v4, v6 offset:256
	s_waitcnt lgkmcnt(1)
	ds_store_b64 v4, v[1:2] offset:264
.LBB827_36:
	s_or_b32 exec_lo, exec_lo, s2
	s_delay_alu instid0(SALU_CYCLE_1)
	s_mov_b32 s4, exec_lo
	s_waitcnt lgkmcnt(0)
	s_barrier
	buffer_gl0_inv
	v_cmpx_gt_u32_e32 32, v0
	s_cbranch_execz .LBB827_38
; %bb.37:
	v_and_b32_e32 v6, 7, v3
	s_delay_alu instid0(VALU_DEP_1)
	v_lshlrev_b32_e32 v1, 4, v6
	v_cmp_ne_u32_e32 vcc_lo, 7, v6
	ds_load_u8 v7, v1 offset:256
	ds_load_b64 v[1:2], v1 offset:264
	v_add_co_ci_u32_e32 v4, vcc_lo, 0, v3, vcc_lo
	v_cmp_gt_u32_e32 vcc_lo, 6, v6
	s_delay_alu instid0(VALU_DEP_2)
	v_lshlrev_b32_e32 v5, 2, v4
	v_cndmask_b32_e64 v10, 0, 1, vcc_lo
	s_waitcnt lgkmcnt(1)
	v_and_b32_e32 v4, 0xff, v7
	v_and_b32_e32 v11, 1, v7
	ds_bpermute_b32 v8, v5, v4
	s_waitcnt lgkmcnt(1)
	ds_bpermute_b32 v4, v5, v1
	ds_bpermute_b32 v5, v5, v2
	v_cmp_eq_u32_e64 s3, 1, v11
	s_waitcnt lgkmcnt(2)
	v_and_b32_e32 v9, 1, v8
	s_waitcnt lgkmcnt(0)
	v_cmp_lt_i64_e64 s2, v[4:5], v[1:2]
	s_delay_alu instid0(VALU_DEP_2) | instskip(SKIP_2) | instid1(VALU_DEP_4)
	v_cmp_eq_u32_e32 vcc_lo, 1, v9
	v_lshlrev_b32_e32 v9, 1, v10
	v_cndmask_b32_e64 v7, v7, 1, vcc_lo
	s_and_b32 vcc_lo, vcc_lo, s2
	v_dual_cndmask_b32 v1, v1, v4 :: v_dual_cndmask_b32 v2, v2, v5
	s_delay_alu instid0(VALU_DEP_2) | instskip(SKIP_2) | instid1(VALU_DEP_4)
	v_cndmask_b32_e64 v7, v8, v7, s3
	v_add_lshl_u32 v8, v9, v3, 2
	v_cmp_gt_u32_e32 vcc_lo, 4, v6
	v_cndmask_b32_e64 v1, v4, v1, s3
	v_cndmask_b32_e64 v2, v5, v2, s3
	v_and_b32_e32 v9, 0xff, v7
	v_and_b32_e32 v10, 1, v7
	v_cndmask_b32_e64 v6, 0, 1, vcc_lo
	ds_bpermute_b32 v4, v8, v1
	ds_bpermute_b32 v5, v8, v2
	;; [unrolled: 1-line block ×3, first 2 shown]
	v_cmp_eq_u32_e64 s3, 1, v10
	s_waitcnt lgkmcnt(1)
	v_cmp_lt_i64_e64 s2, v[4:5], v[1:2]
	s_waitcnt lgkmcnt(0)
	v_and_b32_e32 v8, 1, v9
	s_delay_alu instid0(VALU_DEP_1) | instskip(SKIP_1) | instid1(VALU_DEP_4)
	v_cmp_eq_u32_e32 vcc_lo, 1, v8
	v_cndmask_b32_e64 v7, v7, 1, vcc_lo
	s_and_b32 vcc_lo, vcc_lo, s2
	v_dual_cndmask_b32 v1, v1, v4 :: v_dual_cndmask_b32 v2, v2, v5
	s_delay_alu instid0(VALU_DEP_2) | instskip(NEXT) | instid1(VALU_DEP_2)
	v_cndmask_b32_e64 v7, v9, v7, s3
	v_cndmask_b32_e64 v1, v4, v1, s3
	v_lshlrev_b32_e32 v6, 2, v6
	s_delay_alu instid0(VALU_DEP_4) | instskip(NEXT) | instid1(VALU_DEP_2)
	v_cndmask_b32_e64 v2, v5, v2, s3
	v_add_lshl_u32 v6, v6, v3, 2
	v_and_b32_e32 v3, 0xff, v7
	ds_bpermute_b32 v4, v6, v2
	ds_bpermute_b32 v5, v6, v3
	;; [unrolled: 1-line block ×3, first 2 shown]
	s_waitcnt lgkmcnt(1)
	v_and_b32_e32 v6, 1, v5
	s_waitcnt lgkmcnt(0)
	v_cmp_lt_i64_e32 vcc_lo, v[3:4], v[1:2]
	s_delay_alu instid0(VALU_DEP_2) | instskip(SKIP_1) | instid1(VALU_DEP_2)
	v_cmp_eq_u32_e64 s2, 1, v6
	v_and_b32_e32 v6, 1, v7
	v_cndmask_b32_e64 v7, v7, 1, s2
	s_and_b32 vcc_lo, s2, vcc_lo
	s_delay_alu instid0(VALU_DEP_2) | instskip(SKIP_1) | instid1(VALU_DEP_2)
	v_cmp_eq_u32_e64 s2, 1, v6
	v_dual_cndmask_b32 v1, v1, v3 :: v_dual_cndmask_b32 v2, v2, v4
	v_cndmask_b32_e64 v5, v5, v7, s2
	s_delay_alu instid0(VALU_DEP_2) | instskip(NEXT) | instid1(VALU_DEP_3)
	v_cndmask_b32_e64 v1, v3, v1, s2
	v_cndmask_b32_e64 v2, v4, v2, s2
	s_delay_alu instid0(VALU_DEP_3)
	v_and_b32_e32 v6, 0xff, v5
.LBB827_38:
	s_or_b32 exec_lo, exec_lo, s4
	s_branch .LBB827_124
.LBB827_39:
                                        ; implicit-def: $vgpr3_vgpr4
                                        ; implicit-def: $vgpr5
	s_branch .LBB827_200
.LBB827_40:
                                        ; implicit-def: $vgpr1_vgpr2
                                        ; implicit-def: $vgpr6
	s_cbranch_execz .LBB827_85
; %bb.41:
	v_mov_b32_e32 v9, 0
	v_dual_mov_b32 v10, 0 :: v_dual_mov_b32 v21, 0
	s_delay_alu instid0(VALU_DEP_2) | instskip(SKIP_2) | instid1(VALU_DEP_3)
	v_mov_b32_e32 v1, v9
	v_mov_b32_e32 v17, 0
	s_sub_i32 s29, s14, s6
	v_mov_b32_e32 v2, v10
	s_mov_b32 s2, exec_lo
	v_cmpx_gt_u32_e64 s29, v0
	s_cbranch_execz .LBB827_43
; %bb.42:
	v_lshlrev_b32_e32 v1, 2, v0
	s_clause 0x1
	global_load_b32 v3, v1, s[8:9]
	global_load_b32 v4, v1, s[22:23]
	v_add_co_u32 v1, s3, s26, v0
	s_delay_alu instid0(VALU_DEP_1)
	v_add_co_ci_u32_e64 v2, null, s28, 0, s3
	s_waitcnt vmcnt(0)
	v_cmp_ne_u32_e32 vcc_lo, v3, v4
	v_cndmask_b32_e64 v17, 0, 1, vcc_lo
.LBB827_43:
	s_or_b32 exec_lo, exec_lo, s2
	v_or_b32_e32 v3, 0x100, v0
	s_delay_alu instid0(VALU_DEP_1) | instskip(NEXT) | instid1(VALU_DEP_1)
	v_cmp_gt_u32_e64 s7, s29, v3
	s_and_saveexec_b32 s2, s7
	s_cbranch_execz .LBB827_45
; %bb.44:
	v_lshlrev_b32_e32 v4, 2, v0
	v_add_co_u32 v9, s3, s26, v3
	s_delay_alu instid0(VALU_DEP_1)
	v_add_co_ci_u32_e64 v10, null, s28, 0, s3
	s_clause 0x1
	global_load_b32 v5, v4, s[8:9] offset:1024
	global_load_b32 v4, v4, s[22:23] offset:1024
	s_waitcnt vmcnt(0)
	v_cmp_ne_u32_e32 vcc_lo, v5, v4
	v_cndmask_b32_e64 v21, 0, 1, vcc_lo
.LBB827_45:
	s_or_b32 exec_lo, exec_lo, s2
	v_dual_mov_b32 v7, 0 :: v_dual_mov_b32 v20, 0
	v_mov_b32_e32 v8, 0
	v_or_b32_e32 v3, 0x200, v0
	v_mov_b32_e32 v24, 0
	s_delay_alu instid0(VALU_DEP_3) | instskip(NEXT) | instid1(VALU_DEP_3)
	v_dual_mov_b32 v16, v8 :: v_dual_mov_b32 v15, v7
	v_cmp_gt_u32_e64 s6, s29, v3
	s_delay_alu instid0(VALU_DEP_1)
	s_and_saveexec_b32 s2, s6
	s_cbranch_execz .LBB827_47
; %bb.46:
	v_lshlrev_b32_e32 v4, 2, v0
	v_add_co_u32 v15, s3, s26, v3
	s_delay_alu instid0(VALU_DEP_1)
	v_add_co_ci_u32_e64 v16, null, s28, 0, s3
	s_clause 0x1
	global_load_b32 v5, v4, s[8:9] offset:2048
	global_load_b32 v4, v4, s[22:23] offset:2048
	s_waitcnt vmcnt(0)
	v_cmp_ne_u32_e32 vcc_lo, v5, v4
	v_cndmask_b32_e64 v24, 0, 1, vcc_lo
.LBB827_47:
	s_or_b32 exec_lo, exec_lo, s2
	v_or_b32_e32 v3, 0x300, v0
	s_delay_alu instid0(VALU_DEP_1) | instskip(NEXT) | instid1(VALU_DEP_1)
	v_cmp_gt_u32_e64 s5, s29, v3
	s_and_saveexec_b32 s2, s5
	s_cbranch_execz .LBB827_49
; %bb.48:
	v_lshlrev_b32_e32 v4, 2, v0
	v_add_co_u32 v7, s3, s26, v3
	s_delay_alu instid0(VALU_DEP_1)
	v_add_co_ci_u32_e64 v8, null, s28, 0, s3
	s_clause 0x1
	global_load_b32 v5, v4, s[8:9] offset:3072
	global_load_b32 v4, v4, s[22:23] offset:3072
	s_waitcnt vmcnt(0)
	v_cmp_ne_u32_e32 vcc_lo, v5, v4
	v_cndmask_b32_e64 v20, 0, 1, vcc_lo
.LBB827_49:
	s_or_b32 exec_lo, exec_lo, s2
	v_mov_b32_e32 v5, 0
	v_dual_mov_b32 v6, 0 :: v_dual_mov_b32 v19, 0
	v_or_b32_e32 v3, 0x400, v0
	s_delay_alu instid0(VALU_DEP_2) | instskip(NEXT) | instid1(VALU_DEP_4)
	v_dual_mov_b32 v23, 0 :: v_dual_mov_b32 v14, v6
	v_mov_b32_e32 v13, v5
	s_delay_alu instid0(VALU_DEP_3) | instskip(NEXT) | instid1(VALU_DEP_1)
	v_cmp_gt_u32_e64 s4, s29, v3
	s_and_saveexec_b32 s2, s4
	s_cbranch_execz .LBB827_51
; %bb.50:
	v_lshlrev_b32_e32 v4, 2, v3
	v_add_co_u32 v13, s3, s26, v3
	s_delay_alu instid0(VALU_DEP_1)
	v_add_co_ci_u32_e64 v14, null, s28, 0, s3
	s_clause 0x1
	global_load_b32 v11, v4, s[8:9]
	global_load_b32 v4, v4, s[22:23]
	s_waitcnt vmcnt(0)
	v_cmp_ne_u32_e32 vcc_lo, v11, v4
	v_cndmask_b32_e64 v23, 0, 1, vcc_lo
.LBB827_51:
	s_or_b32 exec_lo, exec_lo, s2
	v_or_b32_e32 v3, 0x500, v0
	s_delay_alu instid0(VALU_DEP_1) | instskip(NEXT) | instid1(VALU_DEP_1)
	v_cmp_gt_u32_e64 s3, s29, v3
	s_and_saveexec_b32 s2, s3
	s_cbranch_execz .LBB827_53
; %bb.52:
	v_lshlrev_b32_e32 v4, 2, v3
	v_add_co_u32 v5, s30, s26, v3
	s_delay_alu instid0(VALU_DEP_1)
	v_add_co_ci_u32_e64 v6, null, s28, 0, s30
	s_clause 0x1
	global_load_b32 v11, v4, s[8:9]
	global_load_b32 v4, v4, s[22:23]
	s_waitcnt vmcnt(0)
	v_cmp_ne_u32_e32 vcc_lo, v11, v4
	v_cndmask_b32_e64 v19, 0, 1, vcc_lo
.LBB827_53:
	s_or_b32 exec_lo, exec_lo, s2
	v_dual_mov_b32 v3, 0 :: v_dual_mov_b32 v18, 0
	v_mov_b32_e32 v4, 0
	v_or_b32_e32 v25, 0x600, v0
	v_mov_b32_e32 v22, 0
	s_delay_alu instid0(VALU_DEP_3) | instskip(NEXT) | instid1(VALU_DEP_3)
	v_dual_mov_b32 v12, v4 :: v_dual_mov_b32 v11, v3
	v_cmp_gt_u32_e64 s2, s29, v25
	s_delay_alu instid0(VALU_DEP_1)
	s_and_saveexec_b32 s30, s2
	s_cbranch_execz .LBB827_55
; %bb.54:
	v_lshlrev_b32_e32 v11, 2, v25
	s_clause 0x1
	global_load_b32 v22, v11, s[8:9]
	global_load_b32 v26, v11, s[22:23]
	v_add_co_u32 v11, s31, s26, v25
	s_delay_alu instid0(VALU_DEP_1)
	v_add_co_ci_u32_e64 v12, null, s28, 0, s31
	s_waitcnt vmcnt(0)
	v_cmp_ne_u32_e32 vcc_lo, v22, v26
	v_cndmask_b32_e64 v22, 0, 1, vcc_lo
.LBB827_55:
	s_or_b32 exec_lo, exec_lo, s30
	v_or_b32_e32 v25, 0x700, v0
	s_delay_alu instid0(VALU_DEP_1)
	v_cmp_gt_u32_e32 vcc_lo, s29, v25
	s_and_saveexec_b32 s30, vcc_lo
	s_cbranch_execnz .LBB827_232
; %bb.56:
	s_or_b32 exec_lo, exec_lo, s30
	s_and_saveexec_b32 s9, s7
	s_cbranch_execnz .LBB827_233
.LBB827_57:
	s_or_b32 exec_lo, exec_lo, s9
	s_and_saveexec_b32 s8, s6
	s_cbranch_execnz .LBB827_234
.LBB827_58:
	s_or_b32 exec_lo, exec_lo, s8
	s_and_saveexec_b32 s7, s5
	s_cbranch_execnz .LBB827_235
.LBB827_59:
	s_or_b32 exec_lo, exec_lo, s7
	s_and_saveexec_b32 s6, s4
	s_cbranch_execnz .LBB827_236
.LBB827_60:
	s_or_b32 exec_lo, exec_lo, s6
	s_and_saveexec_b32 s5, s3
	s_cbranch_execnz .LBB827_237
.LBB827_61:
	s_or_b32 exec_lo, exec_lo, s5
	s_and_saveexec_b32 s4, s2
	s_cbranch_execnz .LBB827_238
.LBB827_62:
	s_or_b32 exec_lo, exec_lo, s4
	s_and_saveexec_b32 s3, vcc_lo
.LBB827_63:
	v_and_b32_e32 v5, 1, v18
	v_cmp_lt_i64_e32 vcc_lo, v[3:4], v[1:2]
	s_delay_alu instid0(VALU_DEP_2) | instskip(NEXT) | instid1(VALU_DEP_1)
	v_cmp_eq_u32_e64 s2, 1, v5
	s_and_b32 vcc_lo, s2, vcc_lo
	v_cndmask_b32_e64 v6, v17, 1, s2
	v_dual_cndmask_b32 v2, v2, v4 :: v_dual_and_b32 v5, 1, v17
	v_cndmask_b32_e32 v1, v1, v3, vcc_lo
	s_delay_alu instid0(VALU_DEP_2) | instskip(NEXT) | instid1(VALU_DEP_3)
	v_cmp_eq_u32_e32 vcc_lo, 1, v5
	v_cndmask_b32_e32 v2, v4, v2, vcc_lo
	v_cndmask_b32_e32 v17, v18, v6, vcc_lo
	s_delay_alu instid0(VALU_DEP_4)
	v_cndmask_b32_e32 v1, v3, v1, vcc_lo
.LBB827_64:
	s_or_b32 exec_lo, exec_lo, s3
	v_mbcnt_lo_u32_b32 v5, -1, 0
	v_and_b32_e32 v7, 0xe0, v0
	s_min_u32 s3, s29, 0x100
	v_and_b32_e32 v6, 0xffff, v17
	s_delay_alu instid0(VALU_DEP_3) | instskip(NEXT) | instid1(VALU_DEP_3)
	v_cmp_ne_u32_e32 vcc_lo, 31, v5
	v_sub_nc_u32_e64 v8, s3, v7 clamp
	v_add_nc_u32_e32 v7, 1, v5
	v_add_co_ci_u32_e32 v3, vcc_lo, 0, v5, vcc_lo
	s_delay_alu instid0(VALU_DEP_2) | instskip(NEXT) | instid1(VALU_DEP_2)
	v_cmp_lt_u32_e32 vcc_lo, v7, v8
	v_dual_mov_b32 v7, v6 :: v_dual_lshlrev_b32 v4, 2, v3
	ds_bpermute_b32 v9, v4, v6
	ds_bpermute_b32 v3, v4, v1
	;; [unrolled: 1-line block ×3, first 2 shown]
	s_and_saveexec_b32 s2, vcc_lo
	s_delay_alu instid0(SALU_CYCLE_1)
	s_xor_b32 s4, exec_lo, s2
	s_cbranch_execz .LBB827_66
; %bb.65:
	s_waitcnt lgkmcnt(2)
	v_and_b32_e32 v7, 1, v9
	s_waitcnt lgkmcnt(0)
	v_cmp_lt_i64_e32 vcc_lo, v[3:4], v[1:2]
	s_delay_alu instid0(VALU_DEP_2) | instskip(SKIP_1) | instid1(VALU_DEP_2)
	v_cmp_eq_u32_e64 s2, 1, v7
	v_and_b32_e32 v7, 1, v17
	v_cndmask_b32_e64 v6, v6, 1, s2
	s_and_b32 vcc_lo, s2, vcc_lo
	s_delay_alu instid0(VALU_DEP_2) | instskip(SKIP_1) | instid1(VALU_DEP_2)
	v_cmp_eq_u32_e64 s2, 1, v7
	v_dual_cndmask_b32 v2, v2, v4 :: v_dual_cndmask_b32 v1, v1, v3
	v_cndmask_b32_e64 v7, v9, v6, s2
	s_delay_alu instid0(VALU_DEP_2) | instskip(NEXT) | instid1(VALU_DEP_3)
	v_cndmask_b32_e64 v2, v4, v2, s2
	v_cndmask_b32_e64 v1, v3, v1, s2
	s_delay_alu instid0(VALU_DEP_3)
	v_and_b32_e32 v6, 0xff, v7
.LBB827_66:
	s_or_b32 exec_lo, exec_lo, s4
	v_cmp_gt_u32_e32 vcc_lo, 30, v5
	v_add_nc_u32_e32 v10, 2, v5
	s_mov_b32 s4, exec_lo
	s_waitcnt lgkmcnt(1)
	v_cndmask_b32_e64 v3, 0, 1, vcc_lo
	s_delay_alu instid0(VALU_DEP_1) | instskip(SKIP_1) | instid1(VALU_DEP_1)
	v_lshlrev_b32_e32 v3, 1, v3
	s_waitcnt lgkmcnt(0)
	v_add_lshl_u32 v4, v3, v5, 2
	ds_bpermute_b32 v9, v4, v6
	ds_bpermute_b32 v3, v4, v1
	ds_bpermute_b32 v4, v4, v2
	v_cmpx_lt_u32_e64 v10, v8
	s_cbranch_execz .LBB827_68
; %bb.67:
	s_waitcnt lgkmcnt(2)
	v_and_b32_e32 v6, 1, v9
	s_waitcnt lgkmcnt(0)
	v_cmp_lt_i64_e32 vcc_lo, v[3:4], v[1:2]
	s_delay_alu instid0(VALU_DEP_2) | instskip(SKIP_1) | instid1(VALU_DEP_2)
	v_cmp_eq_u32_e64 s2, 1, v6
	v_and_b32_e32 v6, 1, v7
	v_cndmask_b32_e64 v7, v7, 1, s2
	s_and_b32 vcc_lo, s2, vcc_lo
	s_delay_alu instid0(VALU_DEP_2) | instskip(SKIP_1) | instid1(VALU_DEP_2)
	v_cmp_eq_u32_e64 s2, 1, v6
	v_dual_cndmask_b32 v1, v1, v3 :: v_dual_cndmask_b32 v2, v2, v4
	v_cndmask_b32_e64 v7, v9, v7, s2
	s_delay_alu instid0(VALU_DEP_2) | instskip(NEXT) | instid1(VALU_DEP_3)
	v_cndmask_b32_e64 v1, v3, v1, s2
	v_cndmask_b32_e64 v2, v4, v2, s2
	s_delay_alu instid0(VALU_DEP_3)
	v_and_b32_e32 v6, 0xff, v7
.LBB827_68:
	s_or_b32 exec_lo, exec_lo, s4
	v_cmp_gt_u32_e32 vcc_lo, 28, v5
	v_add_nc_u32_e32 v10, 4, v5
	s_mov_b32 s4, exec_lo
	s_waitcnt lgkmcnt(1)
	v_cndmask_b32_e64 v3, 0, 1, vcc_lo
	s_delay_alu instid0(VALU_DEP_1) | instskip(SKIP_1) | instid1(VALU_DEP_1)
	v_lshlrev_b32_e32 v3, 2, v3
	s_waitcnt lgkmcnt(0)
	v_add_lshl_u32 v4, v3, v5, 2
	ds_bpermute_b32 v9, v4, v6
	ds_bpermute_b32 v3, v4, v1
	ds_bpermute_b32 v4, v4, v2
	v_cmpx_lt_u32_e64 v10, v8
	s_cbranch_execz .LBB827_70
; %bb.69:
	s_waitcnt lgkmcnt(2)
	v_and_b32_e32 v6, 1, v9
	s_waitcnt lgkmcnt(0)
	v_cmp_lt_i64_e32 vcc_lo, v[3:4], v[1:2]
	s_delay_alu instid0(VALU_DEP_2) | instskip(SKIP_1) | instid1(VALU_DEP_2)
	v_cmp_eq_u32_e64 s2, 1, v6
	v_and_b32_e32 v6, 1, v7
	v_cndmask_b32_e64 v7, v7, 1, s2
	s_and_b32 vcc_lo, s2, vcc_lo
	s_delay_alu instid0(VALU_DEP_2) | instskip(SKIP_1) | instid1(VALU_DEP_2)
	v_cmp_eq_u32_e64 s2, 1, v6
	v_dual_cndmask_b32 v1, v1, v3 :: v_dual_cndmask_b32 v2, v2, v4
	v_cndmask_b32_e64 v7, v9, v7, s2
	s_delay_alu instid0(VALU_DEP_2) | instskip(NEXT) | instid1(VALU_DEP_3)
	v_cndmask_b32_e64 v1, v3, v1, s2
	v_cndmask_b32_e64 v2, v4, v2, s2
	s_delay_alu instid0(VALU_DEP_3)
	v_and_b32_e32 v6, 0xff, v7
.LBB827_70:
	s_or_b32 exec_lo, exec_lo, s4
	v_cmp_gt_u32_e32 vcc_lo, 24, v5
	v_add_nc_u32_e32 v10, 8, v5
	s_mov_b32 s4, exec_lo
	s_waitcnt lgkmcnt(1)
	v_cndmask_b32_e64 v3, 0, 1, vcc_lo
	s_delay_alu instid0(VALU_DEP_1) | instskip(SKIP_1) | instid1(VALU_DEP_1)
	v_lshlrev_b32_e32 v3, 3, v3
	s_waitcnt lgkmcnt(0)
	v_add_lshl_u32 v4, v3, v5, 2
	ds_bpermute_b32 v9, v4, v6
	ds_bpermute_b32 v3, v4, v1
	ds_bpermute_b32 v4, v4, v2
	v_cmpx_lt_u32_e64 v10, v8
	s_cbranch_execz .LBB827_72
; %bb.71:
	s_waitcnt lgkmcnt(2)
	v_and_b32_e32 v6, 1, v9
	s_waitcnt lgkmcnt(0)
	v_cmp_lt_i64_e32 vcc_lo, v[3:4], v[1:2]
	s_delay_alu instid0(VALU_DEP_2) | instskip(SKIP_1) | instid1(VALU_DEP_2)
	v_cmp_eq_u32_e64 s2, 1, v6
	v_and_b32_e32 v6, 1, v7
	v_cndmask_b32_e64 v7, v7, 1, s2
	s_and_b32 vcc_lo, s2, vcc_lo
	s_delay_alu instid0(VALU_DEP_2) | instskip(SKIP_1) | instid1(VALU_DEP_2)
	v_cmp_eq_u32_e64 s2, 1, v6
	v_dual_cndmask_b32 v1, v1, v3 :: v_dual_cndmask_b32 v2, v2, v4
	v_cndmask_b32_e64 v7, v9, v7, s2
	s_delay_alu instid0(VALU_DEP_2) | instskip(NEXT) | instid1(VALU_DEP_3)
	v_cndmask_b32_e64 v1, v3, v1, s2
	v_cndmask_b32_e64 v2, v4, v2, s2
	s_delay_alu instid0(VALU_DEP_3)
	v_and_b32_e32 v6, 0xff, v7
.LBB827_72:
	s_or_b32 exec_lo, exec_lo, s4
	v_cmp_gt_u32_e32 vcc_lo, 16, v5
	v_add_nc_u32_e32 v10, 16, v5
	s_mov_b32 s4, exec_lo
	s_waitcnt lgkmcnt(1)
	v_cndmask_b32_e64 v3, 0, 1, vcc_lo
	s_delay_alu instid0(VALU_DEP_1) | instskip(SKIP_1) | instid1(VALU_DEP_1)
	v_lshlrev_b32_e32 v3, 4, v3
	s_waitcnt lgkmcnt(0)
	v_add_lshl_u32 v4, v3, v5, 2
	ds_bpermute_b32 v9, v4, v6
	ds_bpermute_b32 v3, v4, v1
	ds_bpermute_b32 v4, v4, v2
	v_cmpx_lt_u32_e64 v10, v8
	s_cbranch_execz .LBB827_74
; %bb.73:
	s_waitcnt lgkmcnt(2)
	v_and_b32_e32 v6, 1, v9
	s_waitcnt lgkmcnt(0)
	v_cmp_lt_i64_e32 vcc_lo, v[3:4], v[1:2]
	s_delay_alu instid0(VALU_DEP_2) | instskip(SKIP_1) | instid1(VALU_DEP_2)
	v_cmp_eq_u32_e64 s2, 1, v6
	v_and_b32_e32 v6, 1, v7
	v_cndmask_b32_e64 v7, v7, 1, s2
	s_and_b32 vcc_lo, s2, vcc_lo
	s_delay_alu instid0(VALU_DEP_2) | instskip(SKIP_1) | instid1(VALU_DEP_2)
	v_cmp_eq_u32_e64 s2, 1, v6
	v_dual_cndmask_b32 v1, v1, v3 :: v_dual_cndmask_b32 v2, v2, v4
	v_cndmask_b32_e64 v7, v9, v7, s2
	s_delay_alu instid0(VALU_DEP_2) | instskip(NEXT) | instid1(VALU_DEP_3)
	v_cndmask_b32_e64 v1, v3, v1, s2
	v_cndmask_b32_e64 v2, v4, v2, s2
	s_delay_alu instid0(VALU_DEP_3)
	v_and_b32_e32 v6, 0xff, v7
.LBB827_74:
	s_or_b32 exec_lo, exec_lo, s4
	s_delay_alu instid0(SALU_CYCLE_1)
	s_mov_b32 s2, exec_lo
	v_cmpx_eq_u32_e32 0, v5
	s_cbranch_execz .LBB827_76
; %bb.75:
	s_waitcnt lgkmcnt(1)
	v_lshrrev_b32_e32 v3, 1, v0
	s_delay_alu instid0(VALU_DEP_1)
	v_and_b32_e32 v3, 0x70, v3
	ds_store_b8 v3, v7 offset:512
	ds_store_b64 v3, v[1:2] offset:520
.LBB827_76:
	s_or_b32 exec_lo, exec_lo, s2
	s_delay_alu instid0(SALU_CYCLE_1)
	s_mov_b32 s4, exec_lo
	s_waitcnt lgkmcnt(0)
	s_barrier
	buffer_gl0_inv
	v_cmpx_gt_u32_e32 8, v0
	s_cbranch_execz .LBB827_84
; %bb.77:
	v_lshlrev_b32_e32 v1, 4, v5
	v_and_b32_e32 v8, 7, v5
	s_add_i32 s3, s3, 31
	s_mov_b32 s5, exec_lo
	s_lshr_b32 s3, s3, 5
	ds_load_u8 v7, v1 offset:512
	ds_load_b64 v[1:2], v1 offset:520
	v_cmp_ne_u32_e32 vcc_lo, 7, v8
	v_add_nc_u32_e32 v10, 1, v8
	v_add_co_ci_u32_e32 v3, vcc_lo, 0, v5, vcc_lo
	s_delay_alu instid0(VALU_DEP_1)
	v_lshlrev_b32_e32 v4, 2, v3
	s_waitcnt lgkmcnt(1)
	v_and_b32_e32 v6, 0xff, v7
	s_waitcnt lgkmcnt(0)
	ds_bpermute_b32 v3, v4, v1
	ds_bpermute_b32 v9, v4, v6
	;; [unrolled: 1-line block ×3, first 2 shown]
	v_cmpx_gt_u32_e64 s3, v10
	s_cbranch_execz .LBB827_79
; %bb.78:
	s_waitcnt lgkmcnt(1)
	v_and_b32_e32 v6, 1, v9
	s_waitcnt lgkmcnt(0)
	v_cmp_lt_i64_e32 vcc_lo, v[3:4], v[1:2]
	s_delay_alu instid0(VALU_DEP_2) | instskip(SKIP_1) | instid1(VALU_DEP_2)
	v_cmp_eq_u32_e64 s2, 1, v6
	v_and_b32_e32 v6, 1, v7
	v_cndmask_b32_e64 v7, v7, 1, s2
	s_and_b32 vcc_lo, s2, vcc_lo
	s_delay_alu instid0(VALU_DEP_2) | instskip(SKIP_1) | instid1(VALU_DEP_2)
	v_cmp_eq_u32_e64 s2, 1, v6
	v_dual_cndmask_b32 v1, v1, v3 :: v_dual_cndmask_b32 v2, v2, v4
	v_cndmask_b32_e64 v7, v9, v7, s2
	s_delay_alu instid0(VALU_DEP_2) | instskip(NEXT) | instid1(VALU_DEP_3)
	v_cndmask_b32_e64 v1, v3, v1, s2
	v_cndmask_b32_e64 v2, v4, v2, s2
	s_delay_alu instid0(VALU_DEP_3)
	v_and_b32_e32 v6, 0xff, v7
.LBB827_79:
	s_or_b32 exec_lo, exec_lo, s5
	v_cmp_gt_u32_e32 vcc_lo, 6, v8
	v_add_nc_u32_e32 v10, 2, v8
	s_mov_b32 s5, exec_lo
	s_waitcnt lgkmcnt(2)
	v_cndmask_b32_e64 v3, 0, 1, vcc_lo
	s_delay_alu instid0(VALU_DEP_1) | instskip(SKIP_1) | instid1(VALU_DEP_1)
	v_lshlrev_b32_e32 v3, 1, v3
	s_waitcnt lgkmcnt(0)
	v_add_lshl_u32 v4, v3, v5, 2
	ds_bpermute_b32 v9, v4, v6
	ds_bpermute_b32 v3, v4, v1
	;; [unrolled: 1-line block ×3, first 2 shown]
	v_cmpx_gt_u32_e64 s3, v10
	s_cbranch_execz .LBB827_81
; %bb.80:
	s_waitcnt lgkmcnt(2)
	v_and_b32_e32 v6, 1, v9
	s_waitcnt lgkmcnt(0)
	v_cmp_lt_i64_e32 vcc_lo, v[3:4], v[1:2]
	s_delay_alu instid0(VALU_DEP_2) | instskip(SKIP_1) | instid1(VALU_DEP_2)
	v_cmp_eq_u32_e64 s2, 1, v6
	v_and_b32_e32 v6, 1, v7
	v_cndmask_b32_e64 v7, v7, 1, s2
	s_and_b32 vcc_lo, s2, vcc_lo
	s_delay_alu instid0(VALU_DEP_2) | instskip(SKIP_1) | instid1(VALU_DEP_2)
	v_cmp_eq_u32_e64 s2, 1, v6
	v_dual_cndmask_b32 v1, v1, v3 :: v_dual_cndmask_b32 v2, v2, v4
	v_cndmask_b32_e64 v7, v9, v7, s2
	s_delay_alu instid0(VALU_DEP_2) | instskip(NEXT) | instid1(VALU_DEP_3)
	v_cndmask_b32_e64 v1, v3, v1, s2
	v_cndmask_b32_e64 v2, v4, v2, s2
	s_delay_alu instid0(VALU_DEP_3)
	v_and_b32_e32 v6, 0xff, v7
.LBB827_81:
	s_or_b32 exec_lo, exec_lo, s5
	v_cmp_gt_u32_e32 vcc_lo, 4, v8
	v_add_nc_u32_e32 v8, 4, v8
	s_waitcnt lgkmcnt(1)
	v_cndmask_b32_e64 v3, 0, 1, vcc_lo
	s_delay_alu instid0(VALU_DEP_2) | instskip(NEXT) | instid1(VALU_DEP_2)
	v_cmp_gt_u32_e32 vcc_lo, s3, v8
	v_lshlrev_b32_e32 v3, 2, v3
	s_waitcnt lgkmcnt(0)
	s_delay_alu instid0(VALU_DEP_1)
	v_add_lshl_u32 v4, v3, v5, 2
	ds_bpermute_b32 v5, v4, v6
	ds_bpermute_b32 v3, v4, v1
	;; [unrolled: 1-line block ×3, first 2 shown]
	s_and_saveexec_b32 s3, vcc_lo
	s_cbranch_execz .LBB827_83
; %bb.82:
	s_waitcnt lgkmcnt(2)
	v_and_b32_e32 v6, 1, v5
	s_waitcnt lgkmcnt(0)
	v_cmp_lt_i64_e32 vcc_lo, v[3:4], v[1:2]
	s_delay_alu instid0(VALU_DEP_2) | instskip(SKIP_1) | instid1(VALU_DEP_2)
	v_cmp_eq_u32_e64 s2, 1, v6
	v_and_b32_e32 v6, 1, v7
	v_cndmask_b32_e64 v7, v7, 1, s2
	s_and_b32 vcc_lo, s2, vcc_lo
	s_delay_alu instid0(VALU_DEP_2) | instskip(SKIP_1) | instid1(VALU_DEP_2)
	v_cmp_eq_u32_e64 s2, 1, v6
	v_dual_cndmask_b32 v1, v1, v3 :: v_dual_cndmask_b32 v2, v2, v4
	v_cndmask_b32_e64 v5, v5, v7, s2
	s_delay_alu instid0(VALU_DEP_2) | instskip(NEXT) | instid1(VALU_DEP_3)
	v_cndmask_b32_e64 v1, v3, v1, s2
	v_cndmask_b32_e64 v2, v4, v2, s2
	s_delay_alu instid0(VALU_DEP_3)
	v_and_b32_e32 v6, 0xff, v5
.LBB827_83:
	s_or_b32 exec_lo, exec_lo, s3
.LBB827_84:
	s_delay_alu instid0(SALU_CYCLE_1)
	s_or_b32 exec_lo, exec_lo, s4
.LBB827_85:
	s_mov_b32 s26, 0
                                        ; implicit-def: $vgpr3_vgpr4
                                        ; implicit-def: $vgpr5
	s_mov_b32 s2, exec_lo
	v_cmpx_eq_u32_e32 0, v0
	s_xor_b32 s4, exec_lo, s2
	s_cbranch_execz .LBB827_89
; %bb.86:
	s_waitcnt lgkmcnt(0)
	v_dual_mov_b32 v3, s20 :: v_dual_mov_b32 v4, s21
	v_mov_b32_e32 v5, s24
	s_cmp_eq_u64 s[14:15], 0
	s_cbranch_scc1 .LBB827_88
; %bb.87:
	v_and_b32_e32 v3, 1, v6
	v_cmp_gt_i64_e32 vcc_lo, s[20:21], v[1:2]
	s_bitcmp1_b32 s24, 0
	s_cselect_b32 s3, -1, 0
	s_delay_alu instid0(VALU_DEP_2) | instskip(NEXT) | instid1(VALU_DEP_1)
	v_cmp_eq_u32_e64 s2, 1, v3
	s_and_b32 vcc_lo, s2, vcc_lo
	v_cndmask_b32_e64 v3, s24, 1, s2
	v_cndmask_b32_e32 v7, s20, v1, vcc_lo
	v_cndmask_b32_e32 v4, s21, v2, vcc_lo
	s_delay_alu instid0(VALU_DEP_3) | instskip(NEXT) | instid1(VALU_DEP_3)
	v_cndmask_b32_e64 v5, v6, v3, s3
	v_cndmask_b32_e64 v3, v1, v7, s3
	s_delay_alu instid0(VALU_DEP_3)
	v_cndmask_b32_e64 v4, v2, v4, s3
.LBB827_88:
	s_mov_b32 s26, exec_lo
.LBB827_89:
	s_or_b32 exec_lo, exec_lo, s4
	s_delay_alu instid0(SALU_CYCLE_1)
	s_and_b32 vcc_lo, exec_lo, s27
	s_cbranch_vccnz .LBB827_22
.LBB827_90:
	s_branch .LBB827_200
.LBB827_91:
                                        ; implicit-def: $vgpr1_vgpr2
                                        ; implicit-def: $vgpr6
	s_cbranch_execz .LBB827_124
; %bb.92:
	s_waitcnt lgkmcnt(2)
	v_mov_b32_e32 v5, 0
	v_dual_mov_b32 v6, 0 :: v_dual_mov_b32 v11, 0
	s_delay_alu instid0(VALU_DEP_2) | instskip(SKIP_2) | instid1(VALU_DEP_3)
	v_mov_b32_e32 v1, v5
	v_mov_b32_e32 v9, 0
	s_sub_i32 s22, s14, s22
	v_mov_b32_e32 v2, v6
	s_mov_b32 s2, exec_lo
	v_cmpx_gt_u32_e64 s22, v0
	s_cbranch_execz .LBB827_94
; %bb.93:
	v_lshlrev_b32_e32 v1, 2, v0
	s_waitcnt lgkmcnt(1)
	global_load_b32 v3, v1, s[6:7]
	s_waitcnt lgkmcnt(0)
	global_load_b32 v4, v1, s[8:9]
	v_add_co_u32 v1, s3, s5, v0
	s_delay_alu instid0(VALU_DEP_1)
	v_add_co_ci_u32_e64 v2, null, s23, 0, s3
	s_waitcnt vmcnt(0)
	v_cmp_ne_u32_e32 vcc_lo, v3, v4
	v_cndmask_b32_e64 v9, 0, 1, vcc_lo
.LBB827_94:
	s_or_b32 exec_lo, exec_lo, s2
	s_waitcnt lgkmcnt(1)
	v_or_b32_e32 v3, 0x100, v0
	s_delay_alu instid0(VALU_DEP_1) | instskip(NEXT) | instid1(VALU_DEP_1)
	v_cmp_gt_u32_e64 s3, s22, v3
	s_and_saveexec_b32 s2, s3
	s_cbranch_execz .LBB827_96
; %bb.95:
	s_waitcnt lgkmcnt(0)
	v_lshlrev_b32_e32 v4, 2, v0
	v_add_co_u32 v5, s4, s5, v3
	s_delay_alu instid0(VALU_DEP_1)
	v_add_co_ci_u32_e64 v6, null, s23, 0, s4
	s_clause 0x1
	global_load_b32 v7, v4, s[6:7] offset:1024
	global_load_b32 v4, v4, s[8:9] offset:1024
	s_waitcnt vmcnt(0)
	v_cmp_ne_u32_e32 vcc_lo, v7, v4
	v_cndmask_b32_e64 v11, 0, 1, vcc_lo
.LBB827_96:
	s_or_b32 exec_lo, exec_lo, s2
	s_waitcnt lgkmcnt(0)
	v_dual_mov_b32 v3, 0 :: v_dual_mov_b32 v10, 0
	v_mov_b32_e32 v4, 0
	v_or_b32_e32 v13, 0x200, v0
	v_mov_b32_e32 v12, 0
	s_delay_alu instid0(VALU_DEP_3) | instskip(NEXT) | instid1(VALU_DEP_3)
	v_dual_mov_b32 v8, v4 :: v_dual_mov_b32 v7, v3
	v_cmp_gt_u32_e64 s2, s22, v13
	s_delay_alu instid0(VALU_DEP_1)
	s_and_saveexec_b32 s4, s2
	s_cbranch_execz .LBB827_98
; %bb.97:
	v_lshlrev_b32_e32 v7, 2, v0
	s_clause 0x1
	global_load_b32 v12, v7, s[6:7] offset:2048
	global_load_b32 v14, v7, s[8:9] offset:2048
	v_add_co_u32 v7, s27, s5, v13
	s_delay_alu instid0(VALU_DEP_1)
	v_add_co_ci_u32_e64 v8, null, s23, 0, s27
	s_waitcnt vmcnt(0)
	v_cmp_ne_u32_e32 vcc_lo, v12, v14
	v_cndmask_b32_e64 v12, 0, 1, vcc_lo
.LBB827_98:
	s_or_b32 exec_lo, exec_lo, s4
	v_or_b32_e32 v13, 0x300, v0
	s_delay_alu instid0(VALU_DEP_1)
	v_cmp_gt_u32_e32 vcc_lo, s22, v13
	s_and_saveexec_b32 s27, vcc_lo
	s_cbranch_execnz .LBB827_239
; %bb.99:
	s_or_b32 exec_lo, exec_lo, s27
	s_and_saveexec_b32 s5, s3
	s_cbranch_execnz .LBB827_240
.LBB827_100:
	s_or_b32 exec_lo, exec_lo, s5
	s_and_saveexec_b32 s4, s2
	s_cbranch_execnz .LBB827_241
.LBB827_101:
	s_or_b32 exec_lo, exec_lo, s4
	s_and_saveexec_b32 s3, vcc_lo
.LBB827_102:
	v_and_b32_e32 v5, 1, v10
	v_cmp_lt_i64_e32 vcc_lo, v[3:4], v[1:2]
	s_delay_alu instid0(VALU_DEP_2) | instskip(NEXT) | instid1(VALU_DEP_1)
	v_cmp_eq_u32_e64 s2, 1, v5
	s_and_b32 vcc_lo, s2, vcc_lo
	v_cndmask_b32_e64 v6, v9, 1, s2
	v_dual_cndmask_b32 v2, v2, v4 :: v_dual_and_b32 v5, 1, v9
	v_cndmask_b32_e32 v1, v1, v3, vcc_lo
	s_delay_alu instid0(VALU_DEP_2) | instskip(NEXT) | instid1(VALU_DEP_3)
	v_cmp_eq_u32_e32 vcc_lo, 1, v5
	v_cndmask_b32_e32 v2, v4, v2, vcc_lo
	v_cndmask_b32_e32 v9, v10, v6, vcc_lo
	s_delay_alu instid0(VALU_DEP_4)
	v_cndmask_b32_e32 v1, v3, v1, vcc_lo
.LBB827_103:
	s_or_b32 exec_lo, exec_lo, s3
	v_mbcnt_lo_u32_b32 v5, -1, 0
	v_and_b32_e32 v7, 0xe0, v0
	s_min_u32 s3, s22, 0x100
	v_and_b32_e32 v6, 0xffff, v9
	s_delay_alu instid0(VALU_DEP_3) | instskip(NEXT) | instid1(VALU_DEP_3)
	v_cmp_ne_u32_e32 vcc_lo, 31, v5
	v_sub_nc_u32_e64 v8, s3, v7 clamp
	v_add_nc_u32_e32 v7, 1, v5
	v_add_co_ci_u32_e32 v3, vcc_lo, 0, v5, vcc_lo
	s_delay_alu instid0(VALU_DEP_2) | instskip(NEXT) | instid1(VALU_DEP_2)
	v_cmp_lt_u32_e32 vcc_lo, v7, v8
	v_dual_mov_b32 v7, v6 :: v_dual_lshlrev_b32 v4, 2, v3
	ds_bpermute_b32 v10, v4, v6
	ds_bpermute_b32 v3, v4, v1
	;; [unrolled: 1-line block ×3, first 2 shown]
	s_and_saveexec_b32 s2, vcc_lo
	s_delay_alu instid0(SALU_CYCLE_1)
	s_xor_b32 s4, exec_lo, s2
	s_cbranch_execz .LBB827_105
; %bb.104:
	s_waitcnt lgkmcnt(2)
	v_and_b32_e32 v7, 1, v10
	s_waitcnt lgkmcnt(0)
	v_cmp_lt_i64_e32 vcc_lo, v[3:4], v[1:2]
	s_delay_alu instid0(VALU_DEP_2) | instskip(SKIP_1) | instid1(VALU_DEP_2)
	v_cmp_eq_u32_e64 s2, 1, v7
	v_and_b32_e32 v7, 1, v9
	v_cndmask_b32_e64 v6, v6, 1, s2
	s_and_b32 vcc_lo, s2, vcc_lo
	s_delay_alu instid0(VALU_DEP_2) | instskip(SKIP_1) | instid1(VALU_DEP_2)
	v_cmp_eq_u32_e64 s2, 1, v7
	v_dual_cndmask_b32 v2, v2, v4 :: v_dual_cndmask_b32 v1, v1, v3
	v_cndmask_b32_e64 v7, v10, v6, s2
	s_delay_alu instid0(VALU_DEP_2) | instskip(NEXT) | instid1(VALU_DEP_3)
	v_cndmask_b32_e64 v2, v4, v2, s2
	v_cndmask_b32_e64 v1, v3, v1, s2
	s_delay_alu instid0(VALU_DEP_3)
	v_and_b32_e32 v6, 0xff, v7
.LBB827_105:
	s_or_b32 exec_lo, exec_lo, s4
	v_cmp_gt_u32_e32 vcc_lo, 30, v5
	s_waitcnt lgkmcnt(2)
	v_add_nc_u32_e32 v10, 2, v5
	s_mov_b32 s4, exec_lo
	s_waitcnt lgkmcnt(1)
	v_cndmask_b32_e64 v3, 0, 1, vcc_lo
	s_delay_alu instid0(VALU_DEP_1) | instskip(SKIP_1) | instid1(VALU_DEP_1)
	v_lshlrev_b32_e32 v3, 1, v3
	s_waitcnt lgkmcnt(0)
	v_add_lshl_u32 v4, v3, v5, 2
	ds_bpermute_b32 v9, v4, v6
	ds_bpermute_b32 v3, v4, v1
	ds_bpermute_b32 v4, v4, v2
	v_cmpx_lt_u32_e64 v10, v8
	s_cbranch_execz .LBB827_107
; %bb.106:
	s_waitcnt lgkmcnt(2)
	v_and_b32_e32 v6, 1, v9
	s_waitcnt lgkmcnt(0)
	v_cmp_lt_i64_e32 vcc_lo, v[3:4], v[1:2]
	s_delay_alu instid0(VALU_DEP_2) | instskip(SKIP_1) | instid1(VALU_DEP_2)
	v_cmp_eq_u32_e64 s2, 1, v6
	v_and_b32_e32 v6, 1, v7
	v_cndmask_b32_e64 v7, v7, 1, s2
	s_and_b32 vcc_lo, s2, vcc_lo
	s_delay_alu instid0(VALU_DEP_2) | instskip(SKIP_1) | instid1(VALU_DEP_2)
	v_cmp_eq_u32_e64 s2, 1, v6
	v_dual_cndmask_b32 v1, v1, v3 :: v_dual_cndmask_b32 v2, v2, v4
	v_cndmask_b32_e64 v7, v9, v7, s2
	s_delay_alu instid0(VALU_DEP_2) | instskip(NEXT) | instid1(VALU_DEP_3)
	v_cndmask_b32_e64 v1, v3, v1, s2
	v_cndmask_b32_e64 v2, v4, v2, s2
	s_delay_alu instid0(VALU_DEP_3)
	v_and_b32_e32 v6, 0xff, v7
.LBB827_107:
	s_or_b32 exec_lo, exec_lo, s4
	v_cmp_gt_u32_e32 vcc_lo, 28, v5
	v_add_nc_u32_e32 v10, 4, v5
	s_mov_b32 s4, exec_lo
	s_waitcnt lgkmcnt(1)
	v_cndmask_b32_e64 v3, 0, 1, vcc_lo
	s_delay_alu instid0(VALU_DEP_1) | instskip(SKIP_1) | instid1(VALU_DEP_1)
	v_lshlrev_b32_e32 v3, 2, v3
	s_waitcnt lgkmcnt(0)
	v_add_lshl_u32 v4, v3, v5, 2
	ds_bpermute_b32 v9, v4, v6
	ds_bpermute_b32 v3, v4, v1
	ds_bpermute_b32 v4, v4, v2
	v_cmpx_lt_u32_e64 v10, v8
	s_cbranch_execz .LBB827_109
; %bb.108:
	s_waitcnt lgkmcnt(2)
	v_and_b32_e32 v6, 1, v9
	s_waitcnt lgkmcnt(0)
	v_cmp_lt_i64_e32 vcc_lo, v[3:4], v[1:2]
	s_delay_alu instid0(VALU_DEP_2) | instskip(SKIP_1) | instid1(VALU_DEP_2)
	v_cmp_eq_u32_e64 s2, 1, v6
	v_and_b32_e32 v6, 1, v7
	v_cndmask_b32_e64 v7, v7, 1, s2
	s_and_b32 vcc_lo, s2, vcc_lo
	s_delay_alu instid0(VALU_DEP_2) | instskip(SKIP_1) | instid1(VALU_DEP_2)
	v_cmp_eq_u32_e64 s2, 1, v6
	v_dual_cndmask_b32 v1, v1, v3 :: v_dual_cndmask_b32 v2, v2, v4
	v_cndmask_b32_e64 v7, v9, v7, s2
	s_delay_alu instid0(VALU_DEP_2) | instskip(NEXT) | instid1(VALU_DEP_3)
	v_cndmask_b32_e64 v1, v3, v1, s2
	v_cndmask_b32_e64 v2, v4, v2, s2
	s_delay_alu instid0(VALU_DEP_3)
	v_and_b32_e32 v6, 0xff, v7
.LBB827_109:
	s_or_b32 exec_lo, exec_lo, s4
	v_cmp_gt_u32_e32 vcc_lo, 24, v5
	;; [unrolled: 35-line block ×3, first 2 shown]
	v_add_nc_u32_e32 v10, 16, v5
	s_mov_b32 s4, exec_lo
	s_waitcnt lgkmcnt(1)
	v_cndmask_b32_e64 v3, 0, 1, vcc_lo
	s_delay_alu instid0(VALU_DEP_1) | instskip(SKIP_1) | instid1(VALU_DEP_1)
	v_lshlrev_b32_e32 v3, 4, v3
	s_waitcnt lgkmcnt(0)
	v_add_lshl_u32 v4, v3, v5, 2
	ds_bpermute_b32 v9, v4, v6
	ds_bpermute_b32 v3, v4, v1
	;; [unrolled: 1-line block ×3, first 2 shown]
	v_cmpx_lt_u32_e64 v10, v8
	s_cbranch_execz .LBB827_113
; %bb.112:
	s_waitcnt lgkmcnt(2)
	v_and_b32_e32 v6, 1, v9
	s_waitcnt lgkmcnt(0)
	v_cmp_lt_i64_e32 vcc_lo, v[3:4], v[1:2]
	s_delay_alu instid0(VALU_DEP_2) | instskip(SKIP_1) | instid1(VALU_DEP_2)
	v_cmp_eq_u32_e64 s2, 1, v6
	v_and_b32_e32 v6, 1, v7
	v_cndmask_b32_e64 v7, v7, 1, s2
	s_and_b32 vcc_lo, s2, vcc_lo
	s_delay_alu instid0(VALU_DEP_2) | instskip(SKIP_1) | instid1(VALU_DEP_2)
	v_cmp_eq_u32_e64 s2, 1, v6
	v_dual_cndmask_b32 v1, v1, v3 :: v_dual_cndmask_b32 v2, v2, v4
	v_cndmask_b32_e64 v7, v9, v7, s2
	s_delay_alu instid0(VALU_DEP_2) | instskip(NEXT) | instid1(VALU_DEP_3)
	v_cndmask_b32_e64 v1, v3, v1, s2
	v_cndmask_b32_e64 v2, v4, v2, s2
	s_delay_alu instid0(VALU_DEP_3)
	v_and_b32_e32 v6, 0xff, v7
.LBB827_113:
	s_or_b32 exec_lo, exec_lo, s4
	s_delay_alu instid0(SALU_CYCLE_1)
	s_mov_b32 s2, exec_lo
	v_cmpx_eq_u32_e32 0, v5
	s_cbranch_execz .LBB827_115
; %bb.114:
	s_waitcnt lgkmcnt(1)
	v_lshrrev_b32_e32 v3, 1, v0
	s_delay_alu instid0(VALU_DEP_1)
	v_and_b32_e32 v3, 0x70, v3
	ds_store_b8 v3, v7 offset:512
	ds_store_b64 v3, v[1:2] offset:520
.LBB827_115:
	s_or_b32 exec_lo, exec_lo, s2
	s_delay_alu instid0(SALU_CYCLE_1)
	s_mov_b32 s4, exec_lo
	s_waitcnt lgkmcnt(0)
	s_barrier
	buffer_gl0_inv
	v_cmpx_gt_u32_e32 8, v0
	s_cbranch_execz .LBB827_123
; %bb.116:
	v_lshlrev_b32_e32 v1, 4, v5
	v_and_b32_e32 v8, 7, v5
	s_add_i32 s3, s3, 31
	s_mov_b32 s5, exec_lo
	s_lshr_b32 s3, s3, 5
	ds_load_u8 v7, v1 offset:512
	ds_load_b64 v[1:2], v1 offset:520
	v_cmp_ne_u32_e32 vcc_lo, 7, v8
	v_add_nc_u32_e32 v10, 1, v8
	v_add_co_ci_u32_e32 v3, vcc_lo, 0, v5, vcc_lo
	s_delay_alu instid0(VALU_DEP_1)
	v_lshlrev_b32_e32 v4, 2, v3
	s_waitcnt lgkmcnt(1)
	v_and_b32_e32 v6, 0xff, v7
	s_waitcnt lgkmcnt(0)
	ds_bpermute_b32 v3, v4, v1
	ds_bpermute_b32 v9, v4, v6
	;; [unrolled: 1-line block ×3, first 2 shown]
	v_cmpx_gt_u32_e64 s3, v10
	s_cbranch_execz .LBB827_118
; %bb.117:
	s_waitcnt lgkmcnt(1)
	v_and_b32_e32 v6, 1, v9
	s_waitcnt lgkmcnt(0)
	v_cmp_lt_i64_e32 vcc_lo, v[3:4], v[1:2]
	s_delay_alu instid0(VALU_DEP_2) | instskip(SKIP_1) | instid1(VALU_DEP_2)
	v_cmp_eq_u32_e64 s2, 1, v6
	v_and_b32_e32 v6, 1, v7
	v_cndmask_b32_e64 v7, v7, 1, s2
	s_and_b32 vcc_lo, s2, vcc_lo
	s_delay_alu instid0(VALU_DEP_2) | instskip(SKIP_1) | instid1(VALU_DEP_2)
	v_cmp_eq_u32_e64 s2, 1, v6
	v_dual_cndmask_b32 v1, v1, v3 :: v_dual_cndmask_b32 v2, v2, v4
	v_cndmask_b32_e64 v7, v9, v7, s2
	s_delay_alu instid0(VALU_DEP_2) | instskip(NEXT) | instid1(VALU_DEP_3)
	v_cndmask_b32_e64 v1, v3, v1, s2
	v_cndmask_b32_e64 v2, v4, v2, s2
	s_delay_alu instid0(VALU_DEP_3)
	v_and_b32_e32 v6, 0xff, v7
.LBB827_118:
	s_or_b32 exec_lo, exec_lo, s5
	v_cmp_gt_u32_e32 vcc_lo, 6, v8
	v_add_nc_u32_e32 v10, 2, v8
	s_mov_b32 s5, exec_lo
	s_waitcnt lgkmcnt(2)
	v_cndmask_b32_e64 v3, 0, 1, vcc_lo
	s_delay_alu instid0(VALU_DEP_1) | instskip(SKIP_1) | instid1(VALU_DEP_1)
	v_lshlrev_b32_e32 v3, 1, v3
	s_waitcnt lgkmcnt(0)
	v_add_lshl_u32 v4, v3, v5, 2
	ds_bpermute_b32 v9, v4, v6
	ds_bpermute_b32 v3, v4, v1
	;; [unrolled: 1-line block ×3, first 2 shown]
	v_cmpx_gt_u32_e64 s3, v10
	s_cbranch_execz .LBB827_120
; %bb.119:
	s_waitcnt lgkmcnt(2)
	v_and_b32_e32 v6, 1, v9
	s_waitcnt lgkmcnt(0)
	v_cmp_lt_i64_e32 vcc_lo, v[3:4], v[1:2]
	s_delay_alu instid0(VALU_DEP_2) | instskip(SKIP_1) | instid1(VALU_DEP_2)
	v_cmp_eq_u32_e64 s2, 1, v6
	v_and_b32_e32 v6, 1, v7
	v_cndmask_b32_e64 v7, v7, 1, s2
	s_and_b32 vcc_lo, s2, vcc_lo
	s_delay_alu instid0(VALU_DEP_2) | instskip(SKIP_1) | instid1(VALU_DEP_2)
	v_cmp_eq_u32_e64 s2, 1, v6
	v_dual_cndmask_b32 v1, v1, v3 :: v_dual_cndmask_b32 v2, v2, v4
	v_cndmask_b32_e64 v7, v9, v7, s2
	s_delay_alu instid0(VALU_DEP_2) | instskip(NEXT) | instid1(VALU_DEP_3)
	v_cndmask_b32_e64 v1, v3, v1, s2
	v_cndmask_b32_e64 v2, v4, v2, s2
	s_delay_alu instid0(VALU_DEP_3)
	v_and_b32_e32 v6, 0xff, v7
.LBB827_120:
	s_or_b32 exec_lo, exec_lo, s5
	v_cmp_gt_u32_e32 vcc_lo, 4, v8
	v_add_nc_u32_e32 v8, 4, v8
	s_waitcnt lgkmcnt(1)
	v_cndmask_b32_e64 v3, 0, 1, vcc_lo
	s_delay_alu instid0(VALU_DEP_2) | instskip(NEXT) | instid1(VALU_DEP_2)
	v_cmp_gt_u32_e32 vcc_lo, s3, v8
	v_lshlrev_b32_e32 v3, 2, v3
	s_waitcnt lgkmcnt(0)
	s_delay_alu instid0(VALU_DEP_1)
	v_add_lshl_u32 v4, v3, v5, 2
	ds_bpermute_b32 v5, v4, v6
	ds_bpermute_b32 v3, v4, v1
	;; [unrolled: 1-line block ×3, first 2 shown]
	s_and_saveexec_b32 s3, vcc_lo
	s_cbranch_execz .LBB827_122
; %bb.121:
	s_waitcnt lgkmcnt(2)
	v_and_b32_e32 v6, 1, v5
	s_waitcnt lgkmcnt(0)
	v_cmp_lt_i64_e32 vcc_lo, v[3:4], v[1:2]
	s_delay_alu instid0(VALU_DEP_2) | instskip(SKIP_1) | instid1(VALU_DEP_2)
	v_cmp_eq_u32_e64 s2, 1, v6
	v_and_b32_e32 v6, 1, v7
	v_cndmask_b32_e64 v7, v7, 1, s2
	s_and_b32 vcc_lo, s2, vcc_lo
	s_delay_alu instid0(VALU_DEP_2) | instskip(SKIP_1) | instid1(VALU_DEP_2)
	v_cmp_eq_u32_e64 s2, 1, v6
	v_dual_cndmask_b32 v1, v1, v3 :: v_dual_cndmask_b32 v2, v2, v4
	v_cndmask_b32_e64 v5, v5, v7, s2
	s_delay_alu instid0(VALU_DEP_2) | instskip(NEXT) | instid1(VALU_DEP_3)
	v_cndmask_b32_e64 v1, v3, v1, s2
	v_cndmask_b32_e64 v2, v4, v2, s2
	s_delay_alu instid0(VALU_DEP_3)
	v_and_b32_e32 v6, 0xff, v5
.LBB827_122:
	s_or_b32 exec_lo, exec_lo, s3
.LBB827_123:
	s_delay_alu instid0(SALU_CYCLE_1)
	s_or_b32 exec_lo, exec_lo, s4
.LBB827_124:
                                        ; implicit-def: $vgpr3_vgpr4
                                        ; implicit-def: $vgpr5
	s_delay_alu instid0(SALU_CYCLE_1)
	s_mov_b32 s2, exec_lo
	v_cmpx_eq_u32_e32 0, v0
	s_xor_b32 s4, exec_lo, s2
	s_cbranch_execz .LBB827_128
; %bb.125:
	s_waitcnt lgkmcnt(0)
	v_dual_mov_b32 v3, s20 :: v_dual_mov_b32 v4, s21
	v_mov_b32_e32 v5, s24
	s_cmp_eq_u64 s[14:15], 0
	s_cbranch_scc1 .LBB827_127
; %bb.126:
	v_and_b32_e32 v3, 1, v6
	v_cmp_gt_i64_e32 vcc_lo, s[20:21], v[1:2]
	s_bitcmp1_b32 s24, 0
	s_cselect_b32 s3, -1, 0
	s_delay_alu instid0(VALU_DEP_2) | instskip(NEXT) | instid1(VALU_DEP_1)
	v_cmp_eq_u32_e64 s2, 1, v3
	s_and_b32 vcc_lo, s2, vcc_lo
	v_cndmask_b32_e64 v3, s24, 1, s2
	v_cndmask_b32_e32 v7, s20, v1, vcc_lo
	v_cndmask_b32_e32 v4, s21, v2, vcc_lo
	s_delay_alu instid0(VALU_DEP_3) | instskip(NEXT) | instid1(VALU_DEP_3)
	v_cndmask_b32_e64 v5, v6, v3, s3
	v_cndmask_b32_e64 v3, v1, v7, s3
	s_delay_alu instid0(VALU_DEP_3)
	v_cndmask_b32_e64 v4, v2, v4, s3
.LBB827_127:
	s_or_b32 s26, s26, exec_lo
.LBB827_128:
	s_or_b32 exec_lo, exec_lo, s4
	s_branch .LBB827_200
.LBB827_129:
	s_cmp_gt_i32 s25, 1
	s_cbranch_scc0 .LBB827_147
; %bb.130:
	s_cmp_eq_u32 s25, 2
	s_cbranch_scc0 .LBB827_148
; %bb.131:
	s_mov_b32 s11, 0
	s_lshl_b32 s8, s10, 9
	s_mov_b32 s9, s11
	s_lshr_b64 s[28:29], s[14:15], 9
	s_lshl_b64 s[2:3], s[8:9], 2
	s_delay_alu instid0(SALU_CYCLE_1)
	s_add_u32 s4, s16, s2
	s_addc_u32 s5, s17, s3
	s_add_u32 s6, s18, s2
	s_addc_u32 s7, s19, s3
	;; [unrolled: 2-line block ×3, first 2 shown]
	s_cmp_lg_u64 s[28:29], s[10:11]
	s_cbranch_scc0 .LBB827_149
; %bb.132:
	v_lshlrev_b32_e32 v1, 2, v0
	v_add_co_u32 v7, s2, s9, v0
	s_waitcnt lgkmcnt(2)
	v_add_co_ci_u32_e64 v5, null, s22, 0, s2
	global_load_b32 v2, v1, s[6:7] offset:1024
	s_waitcnt lgkmcnt(1)
	global_load_b32 v3, v1, s[6:7]
	s_waitcnt lgkmcnt(0)
	s_clause 0x1
	global_load_b32 v4, v1, s[4:5] offset:1024
	global_load_b32 v1, v1, s[4:5]
	v_add_co_u32 v8, vcc_lo, 0x100, v7
	v_add_co_ci_u32_e32 v6, vcc_lo, 0, v5, vcc_lo
	s_mov_b32 s23, exec_lo
	s_waitcnt vmcnt(1)
	v_cmp_ne_u32_e32 vcc_lo, v4, v2
	s_waitcnt vmcnt(0)
	v_cmp_ne_u32_e64 s2, v1, v3
	s_delay_alu instid0(VALU_DEP_1) | instskip(SKIP_3) | instid1(VALU_DEP_3)
	s_or_b32 s3, s2, vcc_lo
	v_cndmask_b32_e64 v2, v6, v5, s2
	v_cndmask_b32_e64 v5, 0, 1, s3
	;; [unrolled: 1-line block ×3, first 2 shown]
	v_mov_b32_dpp v4, v2 quad_perm:[1,0,3,2] row_mask:0xf bank_mask:0xf
	s_delay_alu instid0(VALU_DEP_3) | instskip(NEXT) | instid1(VALU_DEP_3)
	v_mov_b32_dpp v6, v5 quad_perm:[1,0,3,2] row_mask:0xf bank_mask:0xf
	v_mov_b32_dpp v3, v1 quad_perm:[1,0,3,2] row_mask:0xf bank_mask:0xf
	s_delay_alu instid0(VALU_DEP_2) | instskip(NEXT) | instid1(VALU_DEP_1)
	v_and_b32_e32 v7, 1, v6
	v_cmpx_eq_u32_e32 1, v7
; %bb.133:
	v_cndmask_b32_e64 v5, v6, 1, s3
	s_delay_alu instid0(VALU_DEP_4) | instskip(NEXT) | instid1(VALU_DEP_2)
	v_cmp_lt_i64_e32 vcc_lo, v[1:2], v[3:4]
	v_and_b32_e32 v6, 1, v5
	v_and_b32_e32 v5, 0xff, v5
	s_and_b32 vcc_lo, s3, vcc_lo
	s_and_not1_b32 s3, s3, exec_lo
	v_dual_cndmask_b32 v2, v4, v2 :: v_dual_cndmask_b32 v1, v3, v1
	v_cmp_eq_u32_e64 s2, 1, v6
	s_delay_alu instid0(VALU_DEP_1) | instskip(NEXT) | instid1(SALU_CYCLE_1)
	s_and_b32 s2, s2, exec_lo
	s_or_b32 s3, s3, s2
; %bb.134:
	s_or_b32 exec_lo, exec_lo, s23
	v_mov_b32_dpp v6, v5 quad_perm:[2,3,0,1] row_mask:0xf bank_mask:0xf
	v_mov_b32_dpp v3, v1 quad_perm:[2,3,0,1] row_mask:0xf bank_mask:0xf
	;; [unrolled: 1-line block ×3, first 2 shown]
	s_mov_b32 s23, exec_lo
	s_delay_alu instid0(VALU_DEP_3) | instskip(NEXT) | instid1(VALU_DEP_1)
	v_and_b32_e32 v7, 1, v6
	v_cmpx_eq_u32_e32 1, v7
; %bb.135:
	v_cndmask_b32_e64 v5, v6, 1, s3
	v_cmp_lt_i64_e32 vcc_lo, v[1:2], v[3:4]
	s_delay_alu instid0(VALU_DEP_2)
	v_and_b32_e32 v6, 1, v5
	v_and_b32_e32 v5, 0xff, v5
	s_and_b32 vcc_lo, s3, vcc_lo
	s_and_not1_b32 s3, s3, exec_lo
	v_dual_cndmask_b32 v2, v4, v2 :: v_dual_cndmask_b32 v1, v3, v1
	v_cmp_eq_u32_e64 s2, 1, v6
	s_delay_alu instid0(VALU_DEP_1) | instskip(NEXT) | instid1(SALU_CYCLE_1)
	s_and_b32 s2, s2, exec_lo
	s_or_b32 s3, s3, s2
; %bb.136:
	s_or_b32 exec_lo, exec_lo, s23
	v_mov_b32_dpp v6, v5 row_ror:4 row_mask:0xf bank_mask:0xf
	v_mov_b32_dpp v3, v1 row_ror:4 row_mask:0xf bank_mask:0xf
	;; [unrolled: 1-line block ×3, first 2 shown]
	s_mov_b32 s23, exec_lo
	s_delay_alu instid0(VALU_DEP_3) | instskip(NEXT) | instid1(VALU_DEP_1)
	v_and_b32_e32 v7, 1, v6
	v_cmpx_eq_u32_e32 1, v7
; %bb.137:
	v_cndmask_b32_e64 v5, v6, 1, s3
	v_cmp_lt_i64_e32 vcc_lo, v[1:2], v[3:4]
	s_delay_alu instid0(VALU_DEP_2)
	v_and_b32_e32 v6, 1, v5
	v_and_b32_e32 v5, 0xff, v5
	s_and_b32 vcc_lo, s3, vcc_lo
	s_and_not1_b32 s3, s3, exec_lo
	v_dual_cndmask_b32 v2, v4, v2 :: v_dual_cndmask_b32 v1, v3, v1
	v_cmp_eq_u32_e64 s2, 1, v6
	s_delay_alu instid0(VALU_DEP_1) | instskip(NEXT) | instid1(SALU_CYCLE_1)
	s_and_b32 s2, s2, exec_lo
	s_or_b32 s3, s3, s2
; %bb.138:
	s_or_b32 exec_lo, exec_lo, s23
	v_mov_b32_dpp v6, v5 row_ror:8 row_mask:0xf bank_mask:0xf
	v_mov_b32_dpp v3, v1 row_ror:8 row_mask:0xf bank_mask:0xf
	v_mov_b32_dpp v4, v2 row_ror:8 row_mask:0xf bank_mask:0xf
	s_mov_b32 s23, exec_lo
	s_delay_alu instid0(VALU_DEP_3) | instskip(NEXT) | instid1(VALU_DEP_1)
	v_and_b32_e32 v7, 1, v6
	v_cmpx_eq_u32_e32 1, v7
; %bb.139:
	v_cndmask_b32_e64 v5, v6, 1, s3
	v_cmp_lt_i64_e32 vcc_lo, v[1:2], v[3:4]
	s_delay_alu instid0(VALU_DEP_2)
	v_and_b32_e32 v6, 1, v5
	v_and_b32_e32 v5, 0xff, v5
	s_and_b32 vcc_lo, s3, vcc_lo
	s_and_not1_b32 s3, s3, exec_lo
	v_dual_cndmask_b32 v2, v4, v2 :: v_dual_cndmask_b32 v1, v3, v1
	v_cmp_eq_u32_e64 s2, 1, v6
	s_delay_alu instid0(VALU_DEP_1) | instskip(NEXT) | instid1(SALU_CYCLE_1)
	s_and_b32 s2, s2, exec_lo
	s_or_b32 s3, s3, s2
; %bb.140:
	s_or_b32 exec_lo, exec_lo, s23
	ds_swizzle_b32 v6, v5 offset:swizzle(BROADCAST,32,15)
	ds_swizzle_b32 v3, v1 offset:swizzle(BROADCAST,32,15)
	;; [unrolled: 1-line block ×3, first 2 shown]
	s_mov_b32 s2, exec_lo
	s_waitcnt lgkmcnt(2)
	v_and_b32_e32 v7, 1, v6
	s_delay_alu instid0(VALU_DEP_1)
	v_cmpx_eq_u32_e32 1, v7
	s_cbranch_execz .LBB827_142
; %bb.141:
	s_waitcnt lgkmcnt(0)
	v_cmp_lt_i64_e32 vcc_lo, v[1:2], v[3:4]
	v_and_b32_e32 v5, 0xff, v6
	s_delay_alu instid0(VALU_DEP_1)
	v_cndmask_b32_e64 v5, v5, 1, s3
	s_and_b32 vcc_lo, s3, vcc_lo
	v_dual_cndmask_b32 v1, v3, v1 :: v_dual_cndmask_b32 v2, v4, v2
.LBB827_142:
	s_or_b32 exec_lo, exec_lo, s2
	s_waitcnt lgkmcnt(1)
	v_mov_b32_e32 v3, 0
	s_mov_b32 s2, exec_lo
	ds_bpermute_b32 v6, v3, v5 offset:124
	ds_bpermute_b32 v1, v3, v1 offset:124
	;; [unrolled: 1-line block ×3, first 2 shown]
	v_mbcnt_lo_u32_b32 v3, -1, 0
	s_delay_alu instid0(VALU_DEP_1)
	v_cmpx_eq_u32_e32 0, v3
	s_cbranch_execz .LBB827_144
; %bb.143:
	s_waitcnt lgkmcnt(3)
	v_lshrrev_b32_e32 v4, 1, v0
	s_delay_alu instid0(VALU_DEP_1)
	v_and_b32_e32 v4, 0x70, v4
	s_waitcnt lgkmcnt(2)
	ds_store_b8 v4, v6 offset:128
	s_waitcnt lgkmcnt(1)
	ds_store_b64 v4, v[1:2] offset:136
.LBB827_144:
	s_or_b32 exec_lo, exec_lo, s2
	s_delay_alu instid0(SALU_CYCLE_1)
	s_mov_b32 s23, exec_lo
	s_waitcnt lgkmcnt(0)
	s_barrier
	buffer_gl0_inv
	v_cmpx_gt_u32_e32 32, v0
	s_cbranch_execz .LBB827_146
; %bb.145:
	v_and_b32_e32 v6, 7, v3
	s_delay_alu instid0(VALU_DEP_1)
	v_lshlrev_b32_e32 v1, 4, v6
	v_cmp_ne_u32_e32 vcc_lo, 7, v6
	ds_load_u8 v7, v1 offset:128
	ds_load_b64 v[1:2], v1 offset:136
	v_add_co_ci_u32_e32 v4, vcc_lo, 0, v3, vcc_lo
	v_cmp_gt_u32_e32 vcc_lo, 6, v6
	s_delay_alu instid0(VALU_DEP_2)
	v_lshlrev_b32_e32 v5, 2, v4
	v_cndmask_b32_e64 v10, 0, 1, vcc_lo
	s_waitcnt lgkmcnt(1)
	v_and_b32_e32 v4, 0xff, v7
	v_and_b32_e32 v11, 1, v7
	ds_bpermute_b32 v8, v5, v4
	s_waitcnt lgkmcnt(1)
	ds_bpermute_b32 v4, v5, v1
	ds_bpermute_b32 v5, v5, v2
	v_cmp_eq_u32_e64 s3, 1, v11
	s_waitcnt lgkmcnt(2)
	v_and_b32_e32 v9, 1, v8
	s_waitcnt lgkmcnt(0)
	v_cmp_lt_i64_e64 s2, v[4:5], v[1:2]
	s_delay_alu instid0(VALU_DEP_2) | instskip(SKIP_2) | instid1(VALU_DEP_4)
	v_cmp_eq_u32_e32 vcc_lo, 1, v9
	v_lshlrev_b32_e32 v9, 1, v10
	v_cndmask_b32_e64 v7, v7, 1, vcc_lo
	s_and_b32 vcc_lo, vcc_lo, s2
	v_dual_cndmask_b32 v1, v1, v4 :: v_dual_cndmask_b32 v2, v2, v5
	s_delay_alu instid0(VALU_DEP_2) | instskip(SKIP_2) | instid1(VALU_DEP_4)
	v_cndmask_b32_e64 v7, v8, v7, s3
	v_add_lshl_u32 v8, v9, v3, 2
	v_cmp_gt_u32_e32 vcc_lo, 4, v6
	v_cndmask_b32_e64 v1, v4, v1, s3
	v_cndmask_b32_e64 v2, v5, v2, s3
	v_and_b32_e32 v9, 0xff, v7
	v_and_b32_e32 v10, 1, v7
	v_cndmask_b32_e64 v6, 0, 1, vcc_lo
	ds_bpermute_b32 v4, v8, v1
	ds_bpermute_b32 v5, v8, v2
	;; [unrolled: 1-line block ×3, first 2 shown]
	v_cmp_eq_u32_e64 s3, 1, v10
	s_waitcnt lgkmcnt(1)
	v_cmp_lt_i64_e64 s2, v[4:5], v[1:2]
	s_waitcnt lgkmcnt(0)
	v_and_b32_e32 v8, 1, v9
	s_delay_alu instid0(VALU_DEP_1) | instskip(SKIP_1) | instid1(VALU_DEP_4)
	v_cmp_eq_u32_e32 vcc_lo, 1, v8
	v_cndmask_b32_e64 v7, v7, 1, vcc_lo
	s_and_b32 vcc_lo, vcc_lo, s2
	v_dual_cndmask_b32 v1, v1, v4 :: v_dual_cndmask_b32 v2, v2, v5
	s_delay_alu instid0(VALU_DEP_2) | instskip(NEXT) | instid1(VALU_DEP_2)
	v_cndmask_b32_e64 v7, v9, v7, s3
	v_cndmask_b32_e64 v1, v4, v1, s3
	v_lshlrev_b32_e32 v6, 2, v6
	s_delay_alu instid0(VALU_DEP_4) | instskip(NEXT) | instid1(VALU_DEP_2)
	v_cndmask_b32_e64 v2, v5, v2, s3
	v_add_lshl_u32 v6, v6, v3, 2
	v_and_b32_e32 v3, 0xff, v7
	ds_bpermute_b32 v4, v6, v2
	ds_bpermute_b32 v5, v6, v3
	;; [unrolled: 1-line block ×3, first 2 shown]
	s_waitcnt lgkmcnt(1)
	v_and_b32_e32 v6, 1, v5
	s_waitcnt lgkmcnt(0)
	v_cmp_lt_i64_e32 vcc_lo, v[3:4], v[1:2]
	s_delay_alu instid0(VALU_DEP_2) | instskip(SKIP_1) | instid1(VALU_DEP_2)
	v_cmp_eq_u32_e64 s2, 1, v6
	v_and_b32_e32 v6, 1, v7
	v_cndmask_b32_e64 v7, v7, 1, s2
	s_and_b32 vcc_lo, s2, vcc_lo
	s_delay_alu instid0(VALU_DEP_2) | instskip(SKIP_1) | instid1(VALU_DEP_2)
	v_cmp_eq_u32_e64 s2, 1, v6
	v_dual_cndmask_b32 v1, v1, v3 :: v_dual_cndmask_b32 v2, v2, v4
	v_cndmask_b32_e64 v5, v5, v7, s2
	s_delay_alu instid0(VALU_DEP_2) | instskip(NEXT) | instid1(VALU_DEP_3)
	v_cndmask_b32_e64 v1, v3, v1, s2
	v_cndmask_b32_e64 v2, v4, v2, s2
	s_delay_alu instid0(VALU_DEP_3)
	v_and_b32_e32 v6, 0xff, v5
.LBB827_146:
	s_or_b32 exec_lo, exec_lo, s23
	s_branch .LBB827_177
.LBB827_147:
                                        ; implicit-def: $vgpr3_vgpr4
                                        ; implicit-def: $vgpr5
	s_cbranch_execnz .LBB827_182
	s_branch .LBB827_200
.LBB827_148:
                                        ; implicit-def: $vgpr3_vgpr4
                                        ; implicit-def: $vgpr5
	s_branch .LBB827_200
.LBB827_149:
                                        ; implicit-def: $vgpr1_vgpr2
                                        ; implicit-def: $vgpr6
	s_cbranch_execz .LBB827_177
; %bb.150:
	s_waitcnt lgkmcnt(0)
	v_mov_b32_e32 v3, 0
	v_dual_mov_b32 v4, 0 :: v_dual_mov_b32 v5, 0
	s_delay_alu instid0(VALU_DEP_2) | instskip(SKIP_2) | instid1(VALU_DEP_3)
	v_mov_b32_e32 v1, v3
	v_mov_b32_e32 v7, 0
	s_sub_i32 s3, s14, s8
	v_mov_b32_e32 v2, v4
	s_mov_b32 s2, exec_lo
	v_cmpx_gt_u32_e64 s3, v0
	s_cbranch_execz .LBB827_152
; %bb.151:
	v_lshlrev_b32_e32 v1, 2, v0
	s_clause 0x1
	global_load_b32 v6, v1, s[4:5]
	global_load_b32 v7, v1, s[6:7]
	v_add_co_u32 v1, s8, s9, v0
	s_delay_alu instid0(VALU_DEP_1)
	v_add_co_ci_u32_e64 v2, null, s22, 0, s8
	s_waitcnt vmcnt(0)
	v_cmp_ne_u32_e32 vcc_lo, v6, v7
	v_cndmask_b32_e64 v7, 0, 1, vcc_lo
.LBB827_152:
	s_or_b32 exec_lo, exec_lo, s2
	v_or_b32_e32 v6, 0x100, v0
	s_delay_alu instid0(VALU_DEP_1)
	v_cmp_gt_u32_e32 vcc_lo, s3, v6
	s_and_saveexec_b32 s8, vcc_lo
	s_cbranch_execz .LBB827_154
; %bb.153:
	v_lshlrev_b32_e32 v3, 2, v0
	s_clause 0x1
	global_load_b32 v5, v3, s[4:5] offset:1024
	global_load_b32 v8, v3, s[6:7] offset:1024
	v_add_co_u32 v3, s2, s9, v6
	s_delay_alu instid0(VALU_DEP_1) | instskip(SKIP_2) | instid1(VALU_DEP_1)
	v_add_co_ci_u32_e64 v4, null, s22, 0, s2
	s_waitcnt vmcnt(0)
	v_cmp_ne_u32_e64 s2, v5, v8
	v_cndmask_b32_e64 v5, 0, 1, s2
.LBB827_154:
	s_or_b32 exec_lo, exec_lo, s8
	s_and_saveexec_b32 s4, vcc_lo
; %bb.155:
	s_delay_alu instid0(VALU_DEP_1) | instskip(SKIP_1) | instid1(VALU_DEP_2)
	v_and_b32_e32 v6, 1, v5
	v_cmp_lt_i64_e32 vcc_lo, v[3:4], v[1:2]
	v_cmp_eq_u32_e64 s2, 1, v6
	s_delay_alu instid0(VALU_DEP_1) | instskip(SKIP_4) | instid1(VALU_DEP_3)
	s_and_b32 vcc_lo, s2, vcc_lo
	v_cndmask_b32_e32 v1, v1, v3, vcc_lo
	v_and_b32_e32 v6, 1, v7
	v_cndmask_b32_e64 v7, v7, 1, s2
	v_cndmask_b32_e32 v2, v2, v4, vcc_lo
	v_cmp_eq_u32_e32 vcc_lo, 1, v6
	s_delay_alu instid0(VALU_DEP_2)
	v_dual_cndmask_b32 v7, v5, v7 :: v_dual_cndmask_b32 v2, v4, v2
	v_cndmask_b32_e32 v1, v3, v1, vcc_lo
; %bb.156:
	s_or_b32 exec_lo, exec_lo, s4
	v_mbcnt_lo_u32_b32 v5, -1, 0
	s_delay_alu instid0(VALU_DEP_3)
	v_and_b32_e32 v6, 0xffff, v7
	v_and_b32_e32 v8, 0xe0, v0
	s_min_u32 s3, s3, 0x100
	s_mov_b32 s4, exec_lo
	v_cmp_ne_u32_e32 vcc_lo, 31, v5
	v_add_nc_u32_e32 v10, 1, v5
	v_sub_nc_u32_e64 v8, s3, v8 clamp
	v_add_co_ci_u32_e32 v3, vcc_lo, 0, v5, vcc_lo
	s_delay_alu instid0(VALU_DEP_1)
	v_lshlrev_b32_e32 v4, 2, v3
	ds_bpermute_b32 v9, v4, v6
	ds_bpermute_b32 v3, v4, v1
	ds_bpermute_b32 v4, v4, v2
	v_cmpx_lt_u32_e64 v10, v8
	s_cbranch_execz .LBB827_158
; %bb.157:
	s_waitcnt lgkmcnt(2)
	v_and_b32_e32 v6, 1, v9
	s_waitcnt lgkmcnt(0)
	v_cmp_lt_i64_e32 vcc_lo, v[3:4], v[1:2]
	s_delay_alu instid0(VALU_DEP_2) | instskip(SKIP_1) | instid1(VALU_DEP_2)
	v_cmp_eq_u32_e64 s2, 1, v6
	v_and_b32_e32 v6, 1, v7
	v_cndmask_b32_e64 v7, v7, 1, s2
	s_and_b32 vcc_lo, s2, vcc_lo
	s_delay_alu instid0(VALU_DEP_2) | instskip(SKIP_1) | instid1(VALU_DEP_2)
	v_cmp_eq_u32_e64 s2, 1, v6
	v_dual_cndmask_b32 v1, v1, v3 :: v_dual_cndmask_b32 v2, v2, v4
	v_cndmask_b32_e64 v7, v9, v7, s2
	s_delay_alu instid0(VALU_DEP_2) | instskip(NEXT) | instid1(VALU_DEP_3)
	v_cndmask_b32_e64 v1, v3, v1, s2
	v_cndmask_b32_e64 v2, v4, v2, s2
	s_delay_alu instid0(VALU_DEP_3)
	v_and_b32_e32 v6, 0xff, v7
.LBB827_158:
	s_or_b32 exec_lo, exec_lo, s4
	v_cmp_gt_u32_e32 vcc_lo, 30, v5
	v_add_nc_u32_e32 v10, 2, v5
	s_mov_b32 s4, exec_lo
	s_waitcnt lgkmcnt(1)
	v_cndmask_b32_e64 v3, 0, 1, vcc_lo
	s_delay_alu instid0(VALU_DEP_1) | instskip(SKIP_1) | instid1(VALU_DEP_1)
	v_lshlrev_b32_e32 v3, 1, v3
	s_waitcnt lgkmcnt(0)
	v_add_lshl_u32 v4, v3, v5, 2
	ds_bpermute_b32 v9, v4, v6
	ds_bpermute_b32 v3, v4, v1
	ds_bpermute_b32 v4, v4, v2
	v_cmpx_lt_u32_e64 v10, v8
	s_cbranch_execz .LBB827_160
; %bb.159:
	s_waitcnt lgkmcnt(2)
	v_and_b32_e32 v6, 1, v9
	s_waitcnt lgkmcnt(0)
	v_cmp_lt_i64_e32 vcc_lo, v[3:4], v[1:2]
	s_delay_alu instid0(VALU_DEP_2) | instskip(SKIP_1) | instid1(VALU_DEP_2)
	v_cmp_eq_u32_e64 s2, 1, v6
	v_and_b32_e32 v6, 1, v7
	v_cndmask_b32_e64 v7, v7, 1, s2
	s_and_b32 vcc_lo, s2, vcc_lo
	s_delay_alu instid0(VALU_DEP_2) | instskip(SKIP_1) | instid1(VALU_DEP_2)
	v_cmp_eq_u32_e64 s2, 1, v6
	v_dual_cndmask_b32 v1, v1, v3 :: v_dual_cndmask_b32 v2, v2, v4
	v_cndmask_b32_e64 v7, v9, v7, s2
	s_delay_alu instid0(VALU_DEP_2) | instskip(NEXT) | instid1(VALU_DEP_3)
	v_cndmask_b32_e64 v1, v3, v1, s2
	v_cndmask_b32_e64 v2, v4, v2, s2
	s_delay_alu instid0(VALU_DEP_3)
	v_and_b32_e32 v6, 0xff, v7
.LBB827_160:
	s_or_b32 exec_lo, exec_lo, s4
	v_cmp_gt_u32_e32 vcc_lo, 28, v5
	v_add_nc_u32_e32 v10, 4, v5
	s_mov_b32 s4, exec_lo
	s_waitcnt lgkmcnt(1)
	v_cndmask_b32_e64 v3, 0, 1, vcc_lo
	s_delay_alu instid0(VALU_DEP_1) | instskip(SKIP_1) | instid1(VALU_DEP_1)
	v_lshlrev_b32_e32 v3, 2, v3
	s_waitcnt lgkmcnt(0)
	v_add_lshl_u32 v4, v3, v5, 2
	;; [unrolled: 35-line block ×4, first 2 shown]
	ds_bpermute_b32 v9, v4, v6
	ds_bpermute_b32 v3, v4, v1
	;; [unrolled: 1-line block ×3, first 2 shown]
	v_cmpx_lt_u32_e64 v10, v8
	s_cbranch_execz .LBB827_166
; %bb.165:
	s_waitcnt lgkmcnt(2)
	v_and_b32_e32 v6, 1, v9
	s_waitcnt lgkmcnt(0)
	v_cmp_lt_i64_e32 vcc_lo, v[3:4], v[1:2]
	s_delay_alu instid0(VALU_DEP_2) | instskip(SKIP_1) | instid1(VALU_DEP_2)
	v_cmp_eq_u32_e64 s2, 1, v6
	v_and_b32_e32 v6, 1, v7
	v_cndmask_b32_e64 v7, v7, 1, s2
	s_and_b32 vcc_lo, s2, vcc_lo
	s_delay_alu instid0(VALU_DEP_2) | instskip(SKIP_1) | instid1(VALU_DEP_2)
	v_cmp_eq_u32_e64 s2, 1, v6
	v_dual_cndmask_b32 v1, v1, v3 :: v_dual_cndmask_b32 v2, v2, v4
	v_cndmask_b32_e64 v7, v9, v7, s2
	s_delay_alu instid0(VALU_DEP_2) | instskip(NEXT) | instid1(VALU_DEP_3)
	v_cndmask_b32_e64 v1, v3, v1, s2
	v_cndmask_b32_e64 v2, v4, v2, s2
	s_delay_alu instid0(VALU_DEP_3)
	v_and_b32_e32 v6, 0xff, v7
.LBB827_166:
	s_or_b32 exec_lo, exec_lo, s4
	s_delay_alu instid0(SALU_CYCLE_1)
	s_mov_b32 s2, exec_lo
	v_cmpx_eq_u32_e32 0, v5
	s_cbranch_execz .LBB827_168
; %bb.167:
	s_waitcnt lgkmcnt(1)
	v_lshrrev_b32_e32 v3, 1, v0
	s_delay_alu instid0(VALU_DEP_1)
	v_and_b32_e32 v3, 0x70, v3
	ds_store_b8 v3, v7 offset:512
	ds_store_b64 v3, v[1:2] offset:520
.LBB827_168:
	s_or_b32 exec_lo, exec_lo, s2
	s_delay_alu instid0(SALU_CYCLE_1)
	s_mov_b32 s4, exec_lo
	s_waitcnt lgkmcnt(0)
	s_barrier
	buffer_gl0_inv
	v_cmpx_gt_u32_e32 8, v0
	s_cbranch_execz .LBB827_176
; %bb.169:
	v_lshlrev_b32_e32 v1, 4, v5
	v_and_b32_e32 v8, 7, v5
	s_add_i32 s3, s3, 31
	s_mov_b32 s5, exec_lo
	s_lshr_b32 s3, s3, 5
	ds_load_u8 v7, v1 offset:512
	ds_load_b64 v[1:2], v1 offset:520
	v_cmp_ne_u32_e32 vcc_lo, 7, v8
	v_add_nc_u32_e32 v10, 1, v8
	v_add_co_ci_u32_e32 v3, vcc_lo, 0, v5, vcc_lo
	s_delay_alu instid0(VALU_DEP_1)
	v_lshlrev_b32_e32 v4, 2, v3
	s_waitcnt lgkmcnt(1)
	v_and_b32_e32 v6, 0xff, v7
	s_waitcnt lgkmcnt(0)
	ds_bpermute_b32 v3, v4, v1
	ds_bpermute_b32 v9, v4, v6
	ds_bpermute_b32 v4, v4, v2
	v_cmpx_gt_u32_e64 s3, v10
	s_cbranch_execz .LBB827_171
; %bb.170:
	s_waitcnt lgkmcnt(1)
	v_and_b32_e32 v6, 1, v9
	s_waitcnt lgkmcnt(0)
	v_cmp_lt_i64_e32 vcc_lo, v[3:4], v[1:2]
	s_delay_alu instid0(VALU_DEP_2) | instskip(SKIP_1) | instid1(VALU_DEP_2)
	v_cmp_eq_u32_e64 s2, 1, v6
	v_and_b32_e32 v6, 1, v7
	v_cndmask_b32_e64 v7, v7, 1, s2
	s_and_b32 vcc_lo, s2, vcc_lo
	s_delay_alu instid0(VALU_DEP_2) | instskip(SKIP_1) | instid1(VALU_DEP_2)
	v_cmp_eq_u32_e64 s2, 1, v6
	v_dual_cndmask_b32 v1, v1, v3 :: v_dual_cndmask_b32 v2, v2, v4
	v_cndmask_b32_e64 v7, v9, v7, s2
	s_delay_alu instid0(VALU_DEP_2) | instskip(NEXT) | instid1(VALU_DEP_3)
	v_cndmask_b32_e64 v1, v3, v1, s2
	v_cndmask_b32_e64 v2, v4, v2, s2
	s_delay_alu instid0(VALU_DEP_3)
	v_and_b32_e32 v6, 0xff, v7
.LBB827_171:
	s_or_b32 exec_lo, exec_lo, s5
	v_cmp_gt_u32_e32 vcc_lo, 6, v8
	v_add_nc_u32_e32 v10, 2, v8
	s_mov_b32 s5, exec_lo
	s_waitcnt lgkmcnt(2)
	v_cndmask_b32_e64 v3, 0, 1, vcc_lo
	s_delay_alu instid0(VALU_DEP_1) | instskip(SKIP_1) | instid1(VALU_DEP_1)
	v_lshlrev_b32_e32 v3, 1, v3
	s_waitcnt lgkmcnt(0)
	v_add_lshl_u32 v4, v3, v5, 2
	ds_bpermute_b32 v9, v4, v6
	ds_bpermute_b32 v3, v4, v1
	ds_bpermute_b32 v4, v4, v2
	v_cmpx_gt_u32_e64 s3, v10
	s_cbranch_execz .LBB827_173
; %bb.172:
	s_waitcnt lgkmcnt(2)
	v_and_b32_e32 v6, 1, v9
	s_waitcnt lgkmcnt(0)
	v_cmp_lt_i64_e32 vcc_lo, v[3:4], v[1:2]
	s_delay_alu instid0(VALU_DEP_2) | instskip(SKIP_1) | instid1(VALU_DEP_2)
	v_cmp_eq_u32_e64 s2, 1, v6
	v_and_b32_e32 v6, 1, v7
	v_cndmask_b32_e64 v7, v7, 1, s2
	s_and_b32 vcc_lo, s2, vcc_lo
	s_delay_alu instid0(VALU_DEP_2) | instskip(SKIP_1) | instid1(VALU_DEP_2)
	v_cmp_eq_u32_e64 s2, 1, v6
	v_dual_cndmask_b32 v1, v1, v3 :: v_dual_cndmask_b32 v2, v2, v4
	v_cndmask_b32_e64 v7, v9, v7, s2
	s_delay_alu instid0(VALU_DEP_2) | instskip(NEXT) | instid1(VALU_DEP_3)
	v_cndmask_b32_e64 v1, v3, v1, s2
	v_cndmask_b32_e64 v2, v4, v2, s2
	s_delay_alu instid0(VALU_DEP_3)
	v_and_b32_e32 v6, 0xff, v7
.LBB827_173:
	s_or_b32 exec_lo, exec_lo, s5
	v_cmp_gt_u32_e32 vcc_lo, 4, v8
	v_add_nc_u32_e32 v8, 4, v8
	s_waitcnt lgkmcnt(1)
	v_cndmask_b32_e64 v3, 0, 1, vcc_lo
	s_delay_alu instid0(VALU_DEP_2) | instskip(NEXT) | instid1(VALU_DEP_2)
	v_cmp_gt_u32_e32 vcc_lo, s3, v8
	v_lshlrev_b32_e32 v3, 2, v3
	s_waitcnt lgkmcnt(0)
	s_delay_alu instid0(VALU_DEP_1)
	v_add_lshl_u32 v4, v3, v5, 2
	ds_bpermute_b32 v5, v4, v6
	ds_bpermute_b32 v3, v4, v1
	ds_bpermute_b32 v4, v4, v2
	s_and_saveexec_b32 s3, vcc_lo
	s_cbranch_execz .LBB827_175
; %bb.174:
	s_waitcnt lgkmcnt(2)
	v_and_b32_e32 v6, 1, v5
	s_waitcnt lgkmcnt(0)
	v_cmp_lt_i64_e32 vcc_lo, v[3:4], v[1:2]
	s_delay_alu instid0(VALU_DEP_2) | instskip(SKIP_1) | instid1(VALU_DEP_2)
	v_cmp_eq_u32_e64 s2, 1, v6
	v_and_b32_e32 v6, 1, v7
	v_cndmask_b32_e64 v7, v7, 1, s2
	s_and_b32 vcc_lo, s2, vcc_lo
	s_delay_alu instid0(VALU_DEP_2) | instskip(SKIP_1) | instid1(VALU_DEP_2)
	v_cmp_eq_u32_e64 s2, 1, v6
	v_dual_cndmask_b32 v1, v1, v3 :: v_dual_cndmask_b32 v2, v2, v4
	v_cndmask_b32_e64 v5, v5, v7, s2
	s_delay_alu instid0(VALU_DEP_2) | instskip(NEXT) | instid1(VALU_DEP_3)
	v_cndmask_b32_e64 v1, v3, v1, s2
	v_cndmask_b32_e64 v2, v4, v2, s2
	s_delay_alu instid0(VALU_DEP_3)
	v_and_b32_e32 v6, 0xff, v5
.LBB827_175:
	s_or_b32 exec_lo, exec_lo, s3
.LBB827_176:
	s_delay_alu instid0(SALU_CYCLE_1)
	s_or_b32 exec_lo, exec_lo, s4
.LBB827_177:
                                        ; implicit-def: $vgpr3_vgpr4
                                        ; implicit-def: $vgpr5
	s_delay_alu instid0(SALU_CYCLE_1)
	s_mov_b32 s2, exec_lo
	v_cmpx_eq_u32_e32 0, v0
	s_xor_b32 s4, exec_lo, s2
	s_cbranch_execz .LBB827_181
; %bb.178:
	s_waitcnt lgkmcnt(0)
	v_dual_mov_b32 v3, s20 :: v_dual_mov_b32 v4, s21
	v_mov_b32_e32 v5, s24
	s_cmp_eq_u64 s[14:15], 0
	s_cbranch_scc1 .LBB827_180
; %bb.179:
	v_and_b32_e32 v3, 1, v6
	v_cmp_gt_i64_e32 vcc_lo, s[20:21], v[1:2]
	s_bitcmp1_b32 s24, 0
	s_cselect_b32 s3, -1, 0
	s_delay_alu instid0(VALU_DEP_2) | instskip(NEXT) | instid1(VALU_DEP_1)
	v_cmp_eq_u32_e64 s2, 1, v3
	s_and_b32 vcc_lo, s2, vcc_lo
	v_cndmask_b32_e64 v3, s24, 1, s2
	v_cndmask_b32_e32 v7, s20, v1, vcc_lo
	v_cndmask_b32_e32 v4, s21, v2, vcc_lo
	s_delay_alu instid0(VALU_DEP_3) | instskip(NEXT) | instid1(VALU_DEP_3)
	v_cndmask_b32_e64 v5, v6, v3, s3
	v_cndmask_b32_e64 v3, v1, v7, s3
	s_delay_alu instid0(VALU_DEP_3)
	v_cndmask_b32_e64 v4, v2, v4, s3
.LBB827_180:
	s_or_b32 s26, s26, exec_lo
.LBB827_181:
	s_or_b32 exec_lo, exec_lo, s4
	s_branch .LBB827_200
.LBB827_182:
	s_cmp_eq_u32 s25, 1
	s_cbranch_scc0 .LBB827_199
; %bb.183:
	s_mov_b32 s5, 0
	s_lshr_b64 s[2:3], s[14:15], 8
	s_mov_b32 s11, s5
	s_lshl_b32 s4, s10, 8
	s_cmp_lg_u64 s[2:3], s[10:11]
	s_cbranch_scc0 .LBB827_203
; %bb.184:
	s_lshl_b64 s[2:3], s[4:5], 2
	v_lshlrev_b32_e32 v1, 2, v0
	s_add_u32 s6, s16, s2
	s_addc_u32 s7, s17, s3
	s_add_u32 s2, s18, s2
	s_addc_u32 s3, s19, s3
	s_clause 0x1
	global_load_b32 v2, v1, s[6:7]
	global_load_b32 v1, v1, s[2:3]
	s_add_u32 s2, s12, s4
	s_addc_u32 s3, s13, 0
	s_waitcnt vmcnt(0)
	v_cmp_ne_u32_e32 vcc_lo, v2, v1
	v_cndmask_b32_e64 v1, 0, 1, vcc_lo
	v_cndmask_b32_e64 v6, 0, 1, vcc_lo
	s_waitcnt lgkmcnt(2)
	s_delay_alu instid0(VALU_DEP_2) | instskip(SKIP_1) | instid1(VALU_DEP_1)
	v_mov_b32_dpp v5, v1 quad_perm:[1,0,3,2] row_mask:0xf bank_mask:0xf
	v_add_co_u32 v1, s2, s2, v0
	v_add_co_ci_u32_e64 v2, null, s3, 0, s2
	s_delay_alu instid0(VALU_DEP_3) | instskip(SKIP_1) | instid1(VALU_DEP_3)
	v_and_b32_e32 v7, 1, v5
	s_waitcnt lgkmcnt(1)
	v_mov_b32_dpp v3, v1 quad_perm:[1,0,3,2] row_mask:0xf bank_mask:0xf
	s_mov_b32 s3, exec_lo
	s_waitcnt lgkmcnt(0)
	v_mov_b32_dpp v4, v2 quad_perm:[1,0,3,2] row_mask:0xf bank_mask:0xf
	v_cmpx_eq_u32_e32 1, v7
; %bb.185:
	s_delay_alu instid0(VALU_DEP_2) | instskip(SKIP_1) | instid1(VALU_DEP_2)
	v_cmp_lt_i64_e64 s2, v[1:2], v[3:4]
	v_cndmask_b32_e64 v6, v5, 1, vcc_lo
	s_and_b32 vcc_lo, vcc_lo, s2
	v_dual_cndmask_b32 v2, v4, v2 :: v_dual_cndmask_b32 v1, v3, v1
; %bb.186:
	s_or_b32 exec_lo, exec_lo, s3
	s_delay_alu instid0(VALU_DEP_2) | instskip(SKIP_1) | instid1(VALU_DEP_3)
	v_and_b32_e32 v5, 0xff, v6
	v_and_b32_e32 v6, 1, v6
	v_mov_b32_dpp v3, v1 quad_perm:[2,3,0,1] row_mask:0xf bank_mask:0xf
	v_mov_b32_dpp v4, v2 quad_perm:[2,3,0,1] row_mask:0xf bank_mask:0xf
	s_mov_b32 s6, exec_lo
	v_mov_b32_dpp v7, v5 quad_perm:[2,3,0,1] row_mask:0xf bank_mask:0xf
	v_cmp_eq_u32_e64 s3, 1, v6
	s_delay_alu instid0(VALU_DEP_2) | instskip(NEXT) | instid1(VALU_DEP_1)
	v_and_b32_e32 v8, 1, v7
	v_cmpx_eq_u32_e32 1, v8
; %bb.187:
	s_delay_alu instid0(VALU_DEP_3) | instskip(SKIP_1) | instid1(VALU_DEP_2)
	v_cndmask_b32_e64 v5, v7, 1, s3
	v_cmp_lt_i64_e32 vcc_lo, v[1:2], v[3:4]
	v_and_b32_e32 v6, 1, v5
	v_and_b32_e32 v5, 0xff, v5
	s_and_b32 vcc_lo, s3, vcc_lo
	s_and_not1_b32 s3, s3, exec_lo
	v_dual_cndmask_b32 v2, v4, v2 :: v_dual_cndmask_b32 v1, v3, v1
	v_cmp_eq_u32_e64 s2, 1, v6
	s_delay_alu instid0(VALU_DEP_1) | instskip(NEXT) | instid1(SALU_CYCLE_1)
	s_and_b32 s2, s2, exec_lo
	s_or_b32 s3, s3, s2
; %bb.188:
	s_or_b32 exec_lo, exec_lo, s6
	v_mov_b32_dpp v6, v5 row_ror:4 row_mask:0xf bank_mask:0xf
	v_mov_b32_dpp v3, v1 row_ror:4 row_mask:0xf bank_mask:0xf
	;; [unrolled: 1-line block ×3, first 2 shown]
	s_mov_b32 s6, exec_lo
	s_delay_alu instid0(VALU_DEP_3) | instskip(NEXT) | instid1(VALU_DEP_1)
	v_and_b32_e32 v7, 1, v6
	v_cmpx_eq_u32_e32 1, v7
; %bb.189:
	v_cndmask_b32_e64 v5, v6, 1, s3
	v_cmp_lt_i64_e32 vcc_lo, v[1:2], v[3:4]
	s_delay_alu instid0(VALU_DEP_2)
	v_and_b32_e32 v6, 1, v5
	v_and_b32_e32 v5, 0xff, v5
	s_and_b32 vcc_lo, s3, vcc_lo
	s_and_not1_b32 s3, s3, exec_lo
	v_dual_cndmask_b32 v2, v4, v2 :: v_dual_cndmask_b32 v1, v3, v1
	v_cmp_eq_u32_e64 s2, 1, v6
	s_delay_alu instid0(VALU_DEP_1) | instskip(NEXT) | instid1(SALU_CYCLE_1)
	s_and_b32 s2, s2, exec_lo
	s_or_b32 s3, s3, s2
; %bb.190:
	s_or_b32 exec_lo, exec_lo, s6
	v_mov_b32_dpp v6, v5 row_ror:8 row_mask:0xf bank_mask:0xf
	v_mov_b32_dpp v3, v1 row_ror:8 row_mask:0xf bank_mask:0xf
	;; [unrolled: 1-line block ×3, first 2 shown]
	s_mov_b32 s6, exec_lo
	s_delay_alu instid0(VALU_DEP_3) | instskip(NEXT) | instid1(VALU_DEP_1)
	v_and_b32_e32 v7, 1, v6
	v_cmpx_eq_u32_e32 1, v7
; %bb.191:
	v_cndmask_b32_e64 v5, v6, 1, s3
	v_cmp_lt_i64_e32 vcc_lo, v[1:2], v[3:4]
	s_delay_alu instid0(VALU_DEP_2)
	v_and_b32_e32 v6, 1, v5
	v_and_b32_e32 v5, 0xff, v5
	s_and_b32 vcc_lo, s3, vcc_lo
	s_and_not1_b32 s3, s3, exec_lo
	v_dual_cndmask_b32 v2, v4, v2 :: v_dual_cndmask_b32 v1, v3, v1
	v_cmp_eq_u32_e64 s2, 1, v6
	s_delay_alu instid0(VALU_DEP_1) | instskip(NEXT) | instid1(SALU_CYCLE_1)
	s_and_b32 s2, s2, exec_lo
	s_or_b32 s3, s3, s2
; %bb.192:
	s_or_b32 exec_lo, exec_lo, s6
	ds_swizzle_b32 v6, v5 offset:swizzle(BROADCAST,32,15)
	ds_swizzle_b32 v3, v1 offset:swizzle(BROADCAST,32,15)
	;; [unrolled: 1-line block ×3, first 2 shown]
	s_mov_b32 s2, exec_lo
	s_waitcnt lgkmcnt(2)
	v_and_b32_e32 v7, 1, v6
	s_delay_alu instid0(VALU_DEP_1)
	v_cmpx_eq_u32_e32 1, v7
	s_cbranch_execz .LBB827_194
; %bb.193:
	s_waitcnt lgkmcnt(0)
	v_cmp_lt_i64_e32 vcc_lo, v[1:2], v[3:4]
	v_and_b32_e32 v5, 0xff, v6
	s_delay_alu instid0(VALU_DEP_1)
	v_cndmask_b32_e64 v5, v5, 1, s3
	s_and_b32 vcc_lo, s3, vcc_lo
	v_dual_cndmask_b32 v1, v3, v1 :: v_dual_cndmask_b32 v2, v4, v2
.LBB827_194:
	s_or_b32 exec_lo, exec_lo, s2
	s_waitcnt lgkmcnt(1)
	v_mov_b32_e32 v3, 0
	s_mov_b32 s2, exec_lo
	ds_bpermute_b32 v6, v3, v5 offset:124
	ds_bpermute_b32 v1, v3, v1 offset:124
	;; [unrolled: 1-line block ×3, first 2 shown]
	v_mbcnt_lo_u32_b32 v3, -1, 0
	s_delay_alu instid0(VALU_DEP_1)
	v_cmpx_eq_u32_e32 0, v3
	s_cbranch_execz .LBB827_196
; %bb.195:
	s_waitcnt lgkmcnt(3)
	v_lshrrev_b32_e32 v4, 1, v0
	s_delay_alu instid0(VALU_DEP_1)
	v_and_b32_e32 v4, 0x70, v4
	s_waitcnt lgkmcnt(2)
	ds_store_b8 v4, v6
	s_waitcnt lgkmcnt(1)
	ds_store_b64 v4, v[1:2] offset:8
.LBB827_196:
	s_or_b32 exec_lo, exec_lo, s2
	s_delay_alu instid0(SALU_CYCLE_1)
	s_mov_b32 s6, exec_lo
	s_waitcnt lgkmcnt(0)
	s_barrier
	buffer_gl0_inv
	v_cmpx_gt_u32_e32 32, v0
	s_cbranch_execz .LBB827_198
; %bb.197:
	v_and_b32_e32 v6, 7, v3
	s_delay_alu instid0(VALU_DEP_1)
	v_lshlrev_b32_e32 v1, 4, v6
	v_cmp_ne_u32_e32 vcc_lo, 7, v6
	ds_load_u8 v7, v1
	ds_load_b64 v[1:2], v1 offset:8
	v_add_co_ci_u32_e32 v4, vcc_lo, 0, v3, vcc_lo
	v_cmp_gt_u32_e32 vcc_lo, 6, v6
	s_delay_alu instid0(VALU_DEP_2)
	v_lshlrev_b32_e32 v5, 2, v4
	v_cndmask_b32_e64 v10, 0, 1, vcc_lo
	s_waitcnt lgkmcnt(1)
	v_and_b32_e32 v4, 0xff, v7
	v_and_b32_e32 v11, 1, v7
	ds_bpermute_b32 v8, v5, v4
	s_waitcnt lgkmcnt(1)
	ds_bpermute_b32 v4, v5, v1
	ds_bpermute_b32 v5, v5, v2
	v_cmp_eq_u32_e64 s3, 1, v11
	s_waitcnt lgkmcnt(2)
	v_and_b32_e32 v9, 1, v8
	s_waitcnt lgkmcnt(0)
	v_cmp_lt_i64_e64 s2, v[4:5], v[1:2]
	s_delay_alu instid0(VALU_DEP_2) | instskip(SKIP_2) | instid1(VALU_DEP_4)
	v_cmp_eq_u32_e32 vcc_lo, 1, v9
	v_lshlrev_b32_e32 v9, 1, v10
	v_cndmask_b32_e64 v7, v7, 1, vcc_lo
	s_and_b32 vcc_lo, vcc_lo, s2
	v_dual_cndmask_b32 v1, v1, v4 :: v_dual_cndmask_b32 v2, v2, v5
	s_delay_alu instid0(VALU_DEP_2) | instskip(SKIP_2) | instid1(VALU_DEP_4)
	v_cndmask_b32_e64 v7, v8, v7, s3
	v_add_lshl_u32 v8, v9, v3, 2
	v_cmp_gt_u32_e32 vcc_lo, 4, v6
	v_cndmask_b32_e64 v1, v4, v1, s3
	v_cndmask_b32_e64 v2, v5, v2, s3
	v_and_b32_e32 v9, 0xff, v7
	v_and_b32_e32 v10, 1, v7
	v_cndmask_b32_e64 v6, 0, 1, vcc_lo
	ds_bpermute_b32 v4, v8, v1
	ds_bpermute_b32 v5, v8, v2
	;; [unrolled: 1-line block ×3, first 2 shown]
	v_cmp_eq_u32_e64 s3, 1, v10
	s_waitcnt lgkmcnt(1)
	v_cmp_lt_i64_e64 s2, v[4:5], v[1:2]
	s_waitcnt lgkmcnt(0)
	v_and_b32_e32 v8, 1, v9
	s_delay_alu instid0(VALU_DEP_1) | instskip(SKIP_1) | instid1(VALU_DEP_4)
	v_cmp_eq_u32_e32 vcc_lo, 1, v8
	v_cndmask_b32_e64 v7, v7, 1, vcc_lo
	s_and_b32 vcc_lo, vcc_lo, s2
	v_dual_cndmask_b32 v1, v1, v4 :: v_dual_cndmask_b32 v2, v2, v5
	s_delay_alu instid0(VALU_DEP_2) | instskip(NEXT) | instid1(VALU_DEP_2)
	v_cndmask_b32_e64 v7, v9, v7, s3
	v_cndmask_b32_e64 v1, v4, v1, s3
	v_lshlrev_b32_e32 v6, 2, v6
	s_delay_alu instid0(VALU_DEP_4) | instskip(NEXT) | instid1(VALU_DEP_2)
	v_cndmask_b32_e64 v2, v5, v2, s3
	v_add_lshl_u32 v6, v6, v3, 2
	v_and_b32_e32 v3, 0xff, v7
	ds_bpermute_b32 v4, v6, v2
	ds_bpermute_b32 v5, v6, v3
	;; [unrolled: 1-line block ×3, first 2 shown]
	s_waitcnt lgkmcnt(1)
	v_and_b32_e32 v6, 1, v5
	s_waitcnt lgkmcnt(0)
	v_cmp_lt_i64_e32 vcc_lo, v[3:4], v[1:2]
	s_delay_alu instid0(VALU_DEP_2) | instskip(SKIP_1) | instid1(VALU_DEP_2)
	v_cmp_eq_u32_e64 s2, 1, v6
	v_and_b32_e32 v6, 1, v7
	v_cndmask_b32_e64 v7, v7, 1, s2
	s_and_b32 vcc_lo, s2, vcc_lo
	s_delay_alu instid0(VALU_DEP_2) | instskip(SKIP_1) | instid1(VALU_DEP_2)
	v_cmp_eq_u32_e64 s2, 1, v6
	v_dual_cndmask_b32 v1, v1, v3 :: v_dual_cndmask_b32 v2, v2, v4
	v_cndmask_b32_e64 v5, v5, v7, s2
	s_delay_alu instid0(VALU_DEP_2) | instskip(NEXT) | instid1(VALU_DEP_3)
	v_cndmask_b32_e64 v1, v3, v1, s2
	v_cndmask_b32_e64 v2, v4, v2, s2
	s_delay_alu instid0(VALU_DEP_3)
	v_and_b32_e32 v6, 0xff, v5
.LBB827_198:
	s_or_b32 exec_lo, exec_lo, s6
	s_branch .LBB827_227
.LBB827_199:
                                        ; implicit-def: $vgpr3_vgpr4
                                        ; implicit-def: $vgpr5
                                        ; implicit-def: $sgpr10_sgpr11
.LBB827_200:
	s_and_saveexec_b32 s2, s26
	s_cbranch_execz .LBB827_202
.LBB827_201:
	s_load_b64 s[0:1], s[0:1], 0x38
	s_lshl_b64 s[2:3], s[10:11], 4
	v_mov_b32_e32 v0, 0
	s_waitcnt lgkmcnt(0)
	s_add_u32 s0, s0, s2
	s_addc_u32 s1, s1, s3
	s_clause 0x1
	global_store_b8 v0, v5, s[0:1]
	global_store_b64 v0, v[3:4], s[0:1] offset:8
.LBB827_202:
	s_nop 0
	s_sendmsg sendmsg(MSG_DEALLOC_VGPRS)
	s_endpgm
.LBB827_203:
                                        ; implicit-def: $vgpr1_vgpr2
                                        ; implicit-def: $vgpr6
	s_cbranch_execz .LBB827_227
; %bb.204:
	v_mov_b32_e32 v1, 0
	v_dual_mov_b32 v2, 0 :: v_dual_mov_b32 v7, 0
	s_sub_i32 s2, s14, s4
	s_mov_b32 s3, exec_lo
	v_cmpx_gt_u32_e64 s2, v0
	s_cbranch_execz .LBB827_206
; %bb.205:
	s_lshl_b64 s[6:7], s[4:5], 2
	v_lshlrev_b32_e32 v1, 2, v0
	s_add_u32 s8, s18, s6
	s_addc_u32 s9, s19, s7
	s_add_u32 s6, s16, s6
	s_addc_u32 s7, s17, s7
	s_add_u32 s4, s12, s4
	s_waitcnt lgkmcnt(1)
	global_load_b32 v3, v1, s[6:7]
	s_waitcnt lgkmcnt(0)
	global_load_b32 v4, v1, s[8:9]
	s_addc_u32 s5, s13, 0
	v_add_co_u32 v1, s4, s4, v0
	s_delay_alu instid0(VALU_DEP_1)
	v_add_co_ci_u32_e64 v2, null, s5, 0, s4
	s_waitcnt vmcnt(0)
	v_cmp_ne_u32_e32 vcc_lo, v3, v4
	v_cndmask_b32_e64 v7, 0, 1, vcc_lo
.LBB827_206:
	s_or_b32 exec_lo, exec_lo, s3
	s_waitcnt lgkmcnt(2)
	v_mbcnt_lo_u32_b32 v5, -1, 0
	s_delay_alu instid0(VALU_DEP_2)
	v_and_b32_e32 v6, 0xffff, v7
	v_and_b32_e32 v8, 0xe0, v0
	s_min_u32 s3, s2, 0x100
	s_mov_b32 s4, exec_lo
	v_cmp_ne_u32_e32 vcc_lo, 31, v5
	v_add_nc_u32_e32 v10, 1, v5
	v_sub_nc_u32_e64 v8, s3, v8 clamp
	s_waitcnt lgkmcnt(1)
	v_add_co_ci_u32_e32 v3, vcc_lo, 0, v5, vcc_lo
	s_waitcnt lgkmcnt(0)
	s_delay_alu instid0(VALU_DEP_1)
	v_lshlrev_b32_e32 v4, 2, v3
	ds_bpermute_b32 v9, v4, v6
	ds_bpermute_b32 v3, v4, v1
	ds_bpermute_b32 v4, v4, v2
	v_cmpx_lt_u32_e64 v10, v8
	s_cbranch_execz .LBB827_208
; %bb.207:
	s_waitcnt lgkmcnt(2)
	v_and_b32_e32 v6, 1, v9
	s_waitcnt lgkmcnt(0)
	v_cmp_lt_i64_e32 vcc_lo, v[3:4], v[1:2]
	s_delay_alu instid0(VALU_DEP_2) | instskip(SKIP_1) | instid1(VALU_DEP_2)
	v_cmp_eq_u32_e64 s2, 1, v6
	v_and_b32_e32 v6, 1, v7
	v_cndmask_b32_e64 v7, v7, 1, s2
	s_and_b32 vcc_lo, s2, vcc_lo
	s_delay_alu instid0(VALU_DEP_2) | instskip(SKIP_1) | instid1(VALU_DEP_2)
	v_cmp_eq_u32_e64 s2, 1, v6
	v_dual_cndmask_b32 v1, v1, v3 :: v_dual_cndmask_b32 v2, v2, v4
	v_cndmask_b32_e64 v7, v9, v7, s2
	s_delay_alu instid0(VALU_DEP_2) | instskip(NEXT) | instid1(VALU_DEP_3)
	v_cndmask_b32_e64 v1, v3, v1, s2
	v_cndmask_b32_e64 v2, v4, v2, s2
	s_delay_alu instid0(VALU_DEP_3)
	v_and_b32_e32 v6, 0xff, v7
.LBB827_208:
	s_or_b32 exec_lo, exec_lo, s4
	v_cmp_gt_u32_e32 vcc_lo, 30, v5
	v_add_nc_u32_e32 v10, 2, v5
	s_mov_b32 s4, exec_lo
	s_waitcnt lgkmcnt(1)
	v_cndmask_b32_e64 v3, 0, 1, vcc_lo
	s_delay_alu instid0(VALU_DEP_1) | instskip(SKIP_1) | instid1(VALU_DEP_1)
	v_lshlrev_b32_e32 v3, 1, v3
	s_waitcnt lgkmcnt(0)
	v_add_lshl_u32 v4, v3, v5, 2
	ds_bpermute_b32 v9, v4, v6
	ds_bpermute_b32 v3, v4, v1
	ds_bpermute_b32 v4, v4, v2
	v_cmpx_lt_u32_e64 v10, v8
	s_cbranch_execz .LBB827_210
; %bb.209:
	s_waitcnt lgkmcnt(2)
	v_and_b32_e32 v6, 1, v9
	s_waitcnt lgkmcnt(0)
	v_cmp_lt_i64_e32 vcc_lo, v[3:4], v[1:2]
	s_delay_alu instid0(VALU_DEP_2) | instskip(SKIP_1) | instid1(VALU_DEP_2)
	v_cmp_eq_u32_e64 s2, 1, v6
	v_and_b32_e32 v6, 1, v7
	v_cndmask_b32_e64 v7, v7, 1, s2
	s_and_b32 vcc_lo, s2, vcc_lo
	s_delay_alu instid0(VALU_DEP_2) | instskip(SKIP_1) | instid1(VALU_DEP_2)
	v_cmp_eq_u32_e64 s2, 1, v6
	v_dual_cndmask_b32 v1, v1, v3 :: v_dual_cndmask_b32 v2, v2, v4
	v_cndmask_b32_e64 v7, v9, v7, s2
	s_delay_alu instid0(VALU_DEP_2) | instskip(NEXT) | instid1(VALU_DEP_3)
	v_cndmask_b32_e64 v1, v3, v1, s2
	v_cndmask_b32_e64 v2, v4, v2, s2
	s_delay_alu instid0(VALU_DEP_3)
	v_and_b32_e32 v6, 0xff, v7
.LBB827_210:
	s_or_b32 exec_lo, exec_lo, s4
	v_cmp_gt_u32_e32 vcc_lo, 28, v5
	v_add_nc_u32_e32 v10, 4, v5
	s_mov_b32 s4, exec_lo
	s_waitcnt lgkmcnt(1)
	v_cndmask_b32_e64 v3, 0, 1, vcc_lo
	s_delay_alu instid0(VALU_DEP_1) | instskip(SKIP_1) | instid1(VALU_DEP_1)
	v_lshlrev_b32_e32 v3, 2, v3
	s_waitcnt lgkmcnt(0)
	v_add_lshl_u32 v4, v3, v5, 2
	;; [unrolled: 35-line block ×4, first 2 shown]
	ds_bpermute_b32 v9, v4, v6
	ds_bpermute_b32 v3, v4, v1
	;; [unrolled: 1-line block ×3, first 2 shown]
	v_cmpx_lt_u32_e64 v10, v8
	s_cbranch_execz .LBB827_216
; %bb.215:
	s_waitcnt lgkmcnt(2)
	v_and_b32_e32 v6, 1, v9
	s_waitcnt lgkmcnt(0)
	v_cmp_lt_i64_e32 vcc_lo, v[3:4], v[1:2]
	s_delay_alu instid0(VALU_DEP_2) | instskip(SKIP_1) | instid1(VALU_DEP_2)
	v_cmp_eq_u32_e64 s2, 1, v6
	v_and_b32_e32 v6, 1, v7
	v_cndmask_b32_e64 v7, v7, 1, s2
	s_and_b32 vcc_lo, s2, vcc_lo
	s_delay_alu instid0(VALU_DEP_2) | instskip(SKIP_1) | instid1(VALU_DEP_2)
	v_cmp_eq_u32_e64 s2, 1, v6
	v_dual_cndmask_b32 v1, v1, v3 :: v_dual_cndmask_b32 v2, v2, v4
	v_cndmask_b32_e64 v7, v9, v7, s2
	s_delay_alu instid0(VALU_DEP_2) | instskip(NEXT) | instid1(VALU_DEP_3)
	v_cndmask_b32_e64 v1, v3, v1, s2
	v_cndmask_b32_e64 v2, v4, v2, s2
	s_delay_alu instid0(VALU_DEP_3)
	v_and_b32_e32 v6, 0xff, v7
.LBB827_216:
	s_or_b32 exec_lo, exec_lo, s4
	s_delay_alu instid0(SALU_CYCLE_1)
	s_mov_b32 s2, exec_lo
	v_cmpx_eq_u32_e32 0, v5
	s_cbranch_execz .LBB827_218
; %bb.217:
	s_waitcnt lgkmcnt(1)
	v_lshrrev_b32_e32 v3, 1, v0
	s_delay_alu instid0(VALU_DEP_1)
	v_and_b32_e32 v3, 0x70, v3
	ds_store_b8 v3, v7 offset:512
	ds_store_b64 v3, v[1:2] offset:520
.LBB827_218:
	s_or_b32 exec_lo, exec_lo, s2
	s_delay_alu instid0(SALU_CYCLE_1)
	s_mov_b32 s4, exec_lo
	s_waitcnt lgkmcnt(0)
	s_barrier
	buffer_gl0_inv
	v_cmpx_gt_u32_e32 8, v0
	s_cbranch_execz .LBB827_226
; %bb.219:
	v_lshlrev_b32_e32 v1, 4, v5
	v_and_b32_e32 v8, 7, v5
	s_add_i32 s3, s3, 31
	s_mov_b32 s5, exec_lo
	s_lshr_b32 s3, s3, 5
	ds_load_u8 v7, v1 offset:512
	ds_load_b64 v[1:2], v1 offset:520
	v_cmp_ne_u32_e32 vcc_lo, 7, v8
	v_add_nc_u32_e32 v10, 1, v8
	v_add_co_ci_u32_e32 v3, vcc_lo, 0, v5, vcc_lo
	s_delay_alu instid0(VALU_DEP_1)
	v_lshlrev_b32_e32 v4, 2, v3
	s_waitcnt lgkmcnt(1)
	v_and_b32_e32 v6, 0xff, v7
	s_waitcnt lgkmcnt(0)
	ds_bpermute_b32 v3, v4, v1
	ds_bpermute_b32 v9, v4, v6
	ds_bpermute_b32 v4, v4, v2
	v_cmpx_gt_u32_e64 s3, v10
	s_cbranch_execz .LBB827_221
; %bb.220:
	s_waitcnt lgkmcnt(1)
	v_and_b32_e32 v6, 1, v9
	s_waitcnt lgkmcnt(0)
	v_cmp_lt_i64_e32 vcc_lo, v[3:4], v[1:2]
	s_delay_alu instid0(VALU_DEP_2) | instskip(SKIP_1) | instid1(VALU_DEP_2)
	v_cmp_eq_u32_e64 s2, 1, v6
	v_and_b32_e32 v6, 1, v7
	v_cndmask_b32_e64 v7, v7, 1, s2
	s_and_b32 vcc_lo, s2, vcc_lo
	s_delay_alu instid0(VALU_DEP_2) | instskip(SKIP_1) | instid1(VALU_DEP_2)
	v_cmp_eq_u32_e64 s2, 1, v6
	v_dual_cndmask_b32 v1, v1, v3 :: v_dual_cndmask_b32 v2, v2, v4
	v_cndmask_b32_e64 v7, v9, v7, s2
	s_delay_alu instid0(VALU_DEP_2) | instskip(NEXT) | instid1(VALU_DEP_3)
	v_cndmask_b32_e64 v1, v3, v1, s2
	v_cndmask_b32_e64 v2, v4, v2, s2
	s_delay_alu instid0(VALU_DEP_3)
	v_and_b32_e32 v6, 0xff, v7
.LBB827_221:
	s_or_b32 exec_lo, exec_lo, s5
	v_cmp_gt_u32_e32 vcc_lo, 6, v8
	v_add_nc_u32_e32 v10, 2, v8
	s_mov_b32 s5, exec_lo
	s_waitcnt lgkmcnt(2)
	v_cndmask_b32_e64 v3, 0, 1, vcc_lo
	s_delay_alu instid0(VALU_DEP_1) | instskip(SKIP_1) | instid1(VALU_DEP_1)
	v_lshlrev_b32_e32 v3, 1, v3
	s_waitcnt lgkmcnt(0)
	v_add_lshl_u32 v4, v3, v5, 2
	ds_bpermute_b32 v9, v4, v6
	ds_bpermute_b32 v3, v4, v1
	;; [unrolled: 1-line block ×3, first 2 shown]
	v_cmpx_gt_u32_e64 s3, v10
	s_cbranch_execz .LBB827_223
; %bb.222:
	s_waitcnt lgkmcnt(2)
	v_and_b32_e32 v6, 1, v9
	s_waitcnt lgkmcnt(0)
	v_cmp_lt_i64_e32 vcc_lo, v[3:4], v[1:2]
	s_delay_alu instid0(VALU_DEP_2) | instskip(SKIP_1) | instid1(VALU_DEP_2)
	v_cmp_eq_u32_e64 s2, 1, v6
	v_and_b32_e32 v6, 1, v7
	v_cndmask_b32_e64 v7, v7, 1, s2
	s_and_b32 vcc_lo, s2, vcc_lo
	s_delay_alu instid0(VALU_DEP_2) | instskip(SKIP_1) | instid1(VALU_DEP_2)
	v_cmp_eq_u32_e64 s2, 1, v6
	v_dual_cndmask_b32 v1, v1, v3 :: v_dual_cndmask_b32 v2, v2, v4
	v_cndmask_b32_e64 v7, v9, v7, s2
	s_delay_alu instid0(VALU_DEP_2) | instskip(NEXT) | instid1(VALU_DEP_3)
	v_cndmask_b32_e64 v1, v3, v1, s2
	v_cndmask_b32_e64 v2, v4, v2, s2
	s_delay_alu instid0(VALU_DEP_3)
	v_and_b32_e32 v6, 0xff, v7
.LBB827_223:
	s_or_b32 exec_lo, exec_lo, s5
	v_cmp_gt_u32_e32 vcc_lo, 4, v8
	v_add_nc_u32_e32 v8, 4, v8
	s_waitcnt lgkmcnt(1)
	v_cndmask_b32_e64 v3, 0, 1, vcc_lo
	s_delay_alu instid0(VALU_DEP_2) | instskip(NEXT) | instid1(VALU_DEP_2)
	v_cmp_gt_u32_e32 vcc_lo, s3, v8
	v_lshlrev_b32_e32 v3, 2, v3
	s_waitcnt lgkmcnt(0)
	s_delay_alu instid0(VALU_DEP_1)
	v_add_lshl_u32 v4, v3, v5, 2
	ds_bpermute_b32 v5, v4, v6
	ds_bpermute_b32 v3, v4, v1
	ds_bpermute_b32 v4, v4, v2
	s_and_saveexec_b32 s3, vcc_lo
	s_cbranch_execz .LBB827_225
; %bb.224:
	s_waitcnt lgkmcnt(2)
	v_and_b32_e32 v6, 1, v5
	s_waitcnt lgkmcnt(0)
	v_cmp_lt_i64_e32 vcc_lo, v[3:4], v[1:2]
	s_delay_alu instid0(VALU_DEP_2) | instskip(SKIP_1) | instid1(VALU_DEP_2)
	v_cmp_eq_u32_e64 s2, 1, v6
	v_and_b32_e32 v6, 1, v7
	v_cndmask_b32_e64 v7, v7, 1, s2
	s_and_b32 vcc_lo, s2, vcc_lo
	s_delay_alu instid0(VALU_DEP_2) | instskip(SKIP_1) | instid1(VALU_DEP_2)
	v_cmp_eq_u32_e64 s2, 1, v6
	v_dual_cndmask_b32 v1, v1, v3 :: v_dual_cndmask_b32 v2, v2, v4
	v_cndmask_b32_e64 v5, v5, v7, s2
	s_delay_alu instid0(VALU_DEP_2) | instskip(NEXT) | instid1(VALU_DEP_3)
	v_cndmask_b32_e64 v1, v3, v1, s2
	v_cndmask_b32_e64 v2, v4, v2, s2
	s_delay_alu instid0(VALU_DEP_3)
	v_and_b32_e32 v6, 0xff, v5
.LBB827_225:
	s_or_b32 exec_lo, exec_lo, s3
.LBB827_226:
	s_delay_alu instid0(SALU_CYCLE_1)
	s_or_b32 exec_lo, exec_lo, s4
.LBB827_227:
	s_delay_alu instid0(SALU_CYCLE_1)
	s_mov_b32 s4, exec_lo
                                        ; implicit-def: $vgpr3_vgpr4
                                        ; implicit-def: $vgpr5
	v_cmpx_eq_u32_e32 0, v0
	s_cbranch_execz .LBB827_231
; %bb.228:
	s_waitcnt lgkmcnt(0)
	v_dual_mov_b32 v3, s20 :: v_dual_mov_b32 v4, s21
	v_mov_b32_e32 v5, s24
	s_cmp_eq_u64 s[14:15], 0
	s_cbranch_scc1 .LBB827_230
; %bb.229:
	v_and_b32_e32 v0, 1, v6
	v_cmp_gt_i64_e32 vcc_lo, s[20:21], v[1:2]
	s_bitcmp1_b32 s24, 0
	s_cselect_b32 s3, -1, 0
	s_delay_alu instid0(VALU_DEP_2) | instskip(NEXT) | instid1(VALU_DEP_1)
	v_cmp_eq_u32_e64 s2, 1, v0
	s_and_b32 vcc_lo, s2, vcc_lo
	v_cndmask_b32_e64 v0, s24, 1, s2
	v_cndmask_b32_e32 v3, s20, v1, vcc_lo
	v_cndmask_b32_e32 v4, s21, v2, vcc_lo
	s_delay_alu instid0(VALU_DEP_3) | instskip(NEXT) | instid1(VALU_DEP_3)
	v_cndmask_b32_e64 v5, v6, v0, s3
	v_cndmask_b32_e64 v3, v1, v3, s3
	s_delay_alu instid0(VALU_DEP_3)
	v_cndmask_b32_e64 v4, v2, v4, s3
.LBB827_230:
	s_or_b32 s26, s26, exec_lo
.LBB827_231:
	s_or_b32 exec_lo, exec_lo, s4
	s_and_saveexec_b32 s2, s26
	s_cbranch_execnz .LBB827_201
	s_branch .LBB827_202
.LBB827_232:
	v_lshlrev_b32_e32 v3, 2, v25
	s_clause 0x1
	global_load_b32 v18, v3, s[8:9]
	global_load_b32 v26, v3, s[22:23]
	v_add_co_u32 v3, s8, s26, v25
	s_delay_alu instid0(VALU_DEP_1) | instskip(SKIP_2) | instid1(VALU_DEP_1)
	v_add_co_ci_u32_e64 v4, null, s28, 0, s8
	s_waitcnt vmcnt(0)
	v_cmp_ne_u32_e64 s8, v18, v26
	v_cndmask_b32_e64 v18, 0, 1, s8
	s_or_b32 exec_lo, exec_lo, s30
	s_and_saveexec_b32 s9, s7
	s_cbranch_execz .LBB827_57
.LBB827_233:
	v_and_b32_e32 v25, 1, v21
	v_cmp_lt_i64_e64 s7, v[9:10], v[1:2]
	s_delay_alu instid0(VALU_DEP_2) | instskip(SKIP_1) | instid1(VALU_DEP_2)
	v_cmp_eq_u32_e64 s8, 1, v25
	v_and_b32_e32 v25, 1, v17
	s_and_b32 s7, s8, s7
	v_cndmask_b32_e64 v17, v17, 1, s8
	v_cndmask_b32_e64 v1, v1, v9, s7
	;; [unrolled: 1-line block ×3, first 2 shown]
	v_cmp_eq_u32_e64 s7, 1, v25
	s_delay_alu instid0(VALU_DEP_1) | instskip(NEXT) | instid1(VALU_DEP_3)
	v_cndmask_b32_e64 v17, v21, v17, s7
	v_cndmask_b32_e64 v2, v10, v2, s7
	;; [unrolled: 1-line block ×3, first 2 shown]
	s_or_b32 exec_lo, exec_lo, s9
	s_and_saveexec_b32 s8, s6
	s_cbranch_execz .LBB827_58
.LBB827_234:
	v_and_b32_e32 v9, 1, v24
	v_cmp_lt_i64_e64 s6, v[15:16], v[1:2]
	s_delay_alu instid0(VALU_DEP_2) | instskip(SKIP_1) | instid1(VALU_DEP_2)
	v_cmp_eq_u32_e64 s7, 1, v9
	v_and_b32_e32 v9, 1, v17
	s_and_b32 s6, s7, s6
	v_cndmask_b32_e64 v10, v17, 1, s7
	v_cndmask_b32_e64 v1, v1, v15, s6
	;; [unrolled: 1-line block ×3, first 2 shown]
	v_cmp_eq_u32_e64 s6, 1, v9
	s_delay_alu instid0(VALU_DEP_1) | instskip(NEXT) | instid1(VALU_DEP_3)
	v_cndmask_b32_e64 v17, v24, v10, s6
	v_cndmask_b32_e64 v2, v16, v2, s6
	;; [unrolled: 1-line block ×3, first 2 shown]
	s_or_b32 exec_lo, exec_lo, s8
	s_and_saveexec_b32 s7, s5
	s_cbranch_execz .LBB827_59
.LBB827_235:
	v_and_b32_e32 v9, 1, v20
	v_cmp_lt_i64_e64 s5, v[7:8], v[1:2]
	s_delay_alu instid0(VALU_DEP_2) | instskip(SKIP_1) | instid1(VALU_DEP_2)
	v_cmp_eq_u32_e64 s6, 1, v9
	v_and_b32_e32 v9, 1, v17
	s_and_b32 s5, s6, s5
	v_cndmask_b32_e64 v10, v17, 1, s6
	v_cndmask_b32_e64 v1, v1, v7, s5
	;; [unrolled: 1-line block ×3, first 2 shown]
	v_cmp_eq_u32_e64 s5, 1, v9
	s_delay_alu instid0(VALU_DEP_1) | instskip(NEXT) | instid1(VALU_DEP_3)
	v_cndmask_b32_e64 v17, v20, v10, s5
	v_cndmask_b32_e64 v2, v8, v2, s5
	;; [unrolled: 1-line block ×3, first 2 shown]
	s_or_b32 exec_lo, exec_lo, s7
	s_and_saveexec_b32 s6, s4
	s_cbranch_execz .LBB827_60
.LBB827_236:
	v_and_b32_e32 v7, 1, v23
	v_cmp_lt_i64_e64 s4, v[13:14], v[1:2]
	s_delay_alu instid0(VALU_DEP_2) | instskip(SKIP_1) | instid1(VALU_DEP_2)
	v_cmp_eq_u32_e64 s5, 1, v7
	v_and_b32_e32 v7, 1, v17
	s_and_b32 s4, s5, s4
	v_cndmask_b32_e64 v8, v17, 1, s5
	v_cndmask_b32_e64 v1, v1, v13, s4
	v_cndmask_b32_e64 v2, v2, v14, s4
	v_cmp_eq_u32_e64 s4, 1, v7
	s_delay_alu instid0(VALU_DEP_1) | instskip(NEXT) | instid1(VALU_DEP_3)
	v_cndmask_b32_e64 v17, v23, v8, s4
	v_cndmask_b32_e64 v2, v14, v2, s4
	;; [unrolled: 1-line block ×3, first 2 shown]
	s_or_b32 exec_lo, exec_lo, s6
	s_and_saveexec_b32 s5, s3
	s_cbranch_execz .LBB827_61
.LBB827_237:
	v_and_b32_e32 v7, 1, v19
	v_cmp_lt_i64_e64 s3, v[5:6], v[1:2]
	s_delay_alu instid0(VALU_DEP_2) | instskip(SKIP_1) | instid1(VALU_DEP_2)
	v_cmp_eq_u32_e64 s4, 1, v7
	v_and_b32_e32 v7, 1, v17
	s_and_b32 s3, s4, s3
	v_cndmask_b32_e64 v8, v17, 1, s4
	v_cndmask_b32_e64 v1, v1, v5, s3
	v_cndmask_b32_e64 v2, v2, v6, s3
	v_cmp_eq_u32_e64 s3, 1, v7
	s_delay_alu instid0(VALU_DEP_1) | instskip(NEXT) | instid1(VALU_DEP_3)
	v_cndmask_b32_e64 v17, v19, v8, s3
	v_cndmask_b32_e64 v2, v6, v2, s3
	;; [unrolled: 1-line block ×3, first 2 shown]
	s_or_b32 exec_lo, exec_lo, s5
	s_and_saveexec_b32 s4, s2
	s_cbranch_execz .LBB827_62
.LBB827_238:
	v_and_b32_e32 v5, 1, v22
	v_cmp_lt_i64_e64 s2, v[11:12], v[1:2]
	s_delay_alu instid0(VALU_DEP_2) | instskip(SKIP_1) | instid1(VALU_DEP_2)
	v_cmp_eq_u32_e64 s3, 1, v5
	v_and_b32_e32 v5, 1, v17
	s_and_b32 s2, s3, s2
	v_cndmask_b32_e64 v6, v17, 1, s3
	v_cndmask_b32_e64 v1, v1, v11, s2
	;; [unrolled: 1-line block ×3, first 2 shown]
	v_cmp_eq_u32_e64 s2, 1, v5
	s_delay_alu instid0(VALU_DEP_1) | instskip(NEXT) | instid1(VALU_DEP_3)
	v_cndmask_b32_e64 v17, v22, v6, s2
	v_cndmask_b32_e64 v2, v12, v2, s2
	;; [unrolled: 1-line block ×3, first 2 shown]
	s_or_b32 exec_lo, exec_lo, s4
	s_and_saveexec_b32 s3, vcc_lo
	s_cbranch_execnz .LBB827_63
	s_branch .LBB827_64
.LBB827_239:
	v_lshlrev_b32_e32 v3, 2, v0
	s_clause 0x1
	global_load_b32 v10, v3, s[6:7] offset:3072
	global_load_b32 v14, v3, s[8:9] offset:3072
	v_add_co_u32 v3, s4, s5, v13
	s_delay_alu instid0(VALU_DEP_1) | instskip(SKIP_2) | instid1(VALU_DEP_1)
	v_add_co_ci_u32_e64 v4, null, s23, 0, s4
	s_waitcnt vmcnt(0)
	v_cmp_ne_u32_e64 s4, v10, v14
	v_cndmask_b32_e64 v10, 0, 1, s4
	s_or_b32 exec_lo, exec_lo, s27
	s_and_saveexec_b32 s5, s3
	s_cbranch_execz .LBB827_100
.LBB827_240:
	v_and_b32_e32 v13, 1, v11
	v_cmp_lt_i64_e64 s3, v[5:6], v[1:2]
	s_delay_alu instid0(VALU_DEP_2) | instskip(SKIP_1) | instid1(VALU_DEP_2)
	v_cmp_eq_u32_e64 s4, 1, v13
	v_and_b32_e32 v13, 1, v9
	s_and_b32 s3, s4, s3
	v_cndmask_b32_e64 v9, v9, 1, s4
	v_cndmask_b32_e64 v1, v1, v5, s3
	;; [unrolled: 1-line block ×3, first 2 shown]
	v_cmp_eq_u32_e64 s3, 1, v13
	s_delay_alu instid0(VALU_DEP_1) | instskip(NEXT) | instid1(VALU_DEP_3)
	v_cndmask_b32_e64 v9, v11, v9, s3
	v_cndmask_b32_e64 v2, v6, v2, s3
	v_cndmask_b32_e64 v1, v5, v1, s3
	s_or_b32 exec_lo, exec_lo, s5
	s_and_saveexec_b32 s4, s2
	s_cbranch_execz .LBB827_101
.LBB827_241:
	v_and_b32_e32 v5, 1, v12
	v_cmp_lt_i64_e64 s2, v[7:8], v[1:2]
	s_delay_alu instid0(VALU_DEP_2) | instskip(SKIP_1) | instid1(VALU_DEP_2)
	v_cmp_eq_u32_e64 s3, 1, v5
	v_and_b32_e32 v5, 1, v9
	s_and_b32 s2, s3, s2
	v_cndmask_b32_e64 v6, v9, 1, s3
	v_cndmask_b32_e64 v1, v1, v7, s2
	;; [unrolled: 1-line block ×3, first 2 shown]
	v_cmp_eq_u32_e64 s2, 1, v5
	s_delay_alu instid0(VALU_DEP_1) | instskip(NEXT) | instid1(VALU_DEP_3)
	v_cndmask_b32_e64 v9, v12, v6, s2
	v_cndmask_b32_e64 v2, v8, v2, s2
	;; [unrolled: 1-line block ×3, first 2 shown]
	s_or_b32 exec_lo, exec_lo, s4
	s_and_saveexec_b32 s3, vcc_lo
	s_cbranch_execnz .LBB827_102
	s_branch .LBB827_103
	.section	.rodata,"a",@progbits
	.p2align	6, 0x0
	.amdhsa_kernel _ZN7rocprim17ROCPRIM_400000_NS6detail17trampoline_kernelINS0_14default_configENS1_22reduce_config_selectorIN6thrust23THRUST_200600_302600_NS5tupleIblNS6_9null_typeES8_S8_S8_S8_S8_S8_S8_EEEEZNS1_11reduce_implILb1ES3_NS6_12zip_iteratorINS7_INS6_11hip_rocprim26transform_input_iterator_tIbNSD_35transform_pair_of_input_iterators_tIbNS6_6detail15normal_iteratorINS6_10device_ptrIKjEEEESL_NS6_8equal_toIjEEEENSG_9not_fun_tINSD_8identityEEEEENSD_19counting_iterator_tIlEES8_S8_S8_S8_S8_S8_S8_S8_EEEEPS9_S9_NSD_9__find_if7functorIS9_EEEE10hipError_tPvRmT1_T2_T3_mT4_P12ihipStream_tbEUlT_E1_NS1_11comp_targetILNS1_3genE9ELNS1_11target_archE1100ELNS1_3gpuE3ELNS1_3repE0EEENS1_30default_config_static_selectorELNS0_4arch9wavefront6targetE0EEEvS14_
		.amdhsa_group_segment_fixed_size 640
		.amdhsa_private_segment_fixed_size 0
		.amdhsa_kernarg_size 88
		.amdhsa_user_sgpr_count 15
		.amdhsa_user_sgpr_dispatch_ptr 0
		.amdhsa_user_sgpr_queue_ptr 0
		.amdhsa_user_sgpr_kernarg_segment_ptr 1
		.amdhsa_user_sgpr_dispatch_id 0
		.amdhsa_user_sgpr_private_segment_size 0
		.amdhsa_wavefront_size32 1
		.amdhsa_uses_dynamic_stack 0
		.amdhsa_enable_private_segment 0
		.amdhsa_system_sgpr_workgroup_id_x 1
		.amdhsa_system_sgpr_workgroup_id_y 0
		.amdhsa_system_sgpr_workgroup_id_z 0
		.amdhsa_system_sgpr_workgroup_info 0
		.amdhsa_system_vgpr_workitem_id 0
		.amdhsa_next_free_vgpr 27
		.amdhsa_next_free_sgpr 32
		.amdhsa_reserve_vcc 1
		.amdhsa_float_round_mode_32 0
		.amdhsa_float_round_mode_16_64 0
		.amdhsa_float_denorm_mode_32 3
		.amdhsa_float_denorm_mode_16_64 3
		.amdhsa_dx10_clamp 1
		.amdhsa_ieee_mode 1
		.amdhsa_fp16_overflow 0
		.amdhsa_workgroup_processor_mode 1
		.amdhsa_memory_ordered 1
		.amdhsa_forward_progress 0
		.amdhsa_shared_vgpr_count 0
		.amdhsa_exception_fp_ieee_invalid_op 0
		.amdhsa_exception_fp_denorm_src 0
		.amdhsa_exception_fp_ieee_div_zero 0
		.amdhsa_exception_fp_ieee_overflow 0
		.amdhsa_exception_fp_ieee_underflow 0
		.amdhsa_exception_fp_ieee_inexact 0
		.amdhsa_exception_int_div_zero 0
	.end_amdhsa_kernel
	.section	.text._ZN7rocprim17ROCPRIM_400000_NS6detail17trampoline_kernelINS0_14default_configENS1_22reduce_config_selectorIN6thrust23THRUST_200600_302600_NS5tupleIblNS6_9null_typeES8_S8_S8_S8_S8_S8_S8_EEEEZNS1_11reduce_implILb1ES3_NS6_12zip_iteratorINS7_INS6_11hip_rocprim26transform_input_iterator_tIbNSD_35transform_pair_of_input_iterators_tIbNS6_6detail15normal_iteratorINS6_10device_ptrIKjEEEESL_NS6_8equal_toIjEEEENSG_9not_fun_tINSD_8identityEEEEENSD_19counting_iterator_tIlEES8_S8_S8_S8_S8_S8_S8_S8_EEEEPS9_S9_NSD_9__find_if7functorIS9_EEEE10hipError_tPvRmT1_T2_T3_mT4_P12ihipStream_tbEUlT_E1_NS1_11comp_targetILNS1_3genE9ELNS1_11target_archE1100ELNS1_3gpuE3ELNS1_3repE0EEENS1_30default_config_static_selectorELNS0_4arch9wavefront6targetE0EEEvS14_,"axG",@progbits,_ZN7rocprim17ROCPRIM_400000_NS6detail17trampoline_kernelINS0_14default_configENS1_22reduce_config_selectorIN6thrust23THRUST_200600_302600_NS5tupleIblNS6_9null_typeES8_S8_S8_S8_S8_S8_S8_EEEEZNS1_11reduce_implILb1ES3_NS6_12zip_iteratorINS7_INS6_11hip_rocprim26transform_input_iterator_tIbNSD_35transform_pair_of_input_iterators_tIbNS6_6detail15normal_iteratorINS6_10device_ptrIKjEEEESL_NS6_8equal_toIjEEEENSG_9not_fun_tINSD_8identityEEEEENSD_19counting_iterator_tIlEES8_S8_S8_S8_S8_S8_S8_S8_EEEEPS9_S9_NSD_9__find_if7functorIS9_EEEE10hipError_tPvRmT1_T2_T3_mT4_P12ihipStream_tbEUlT_E1_NS1_11comp_targetILNS1_3genE9ELNS1_11target_archE1100ELNS1_3gpuE3ELNS1_3repE0EEENS1_30default_config_static_selectorELNS0_4arch9wavefront6targetE0EEEvS14_,comdat
.Lfunc_end827:
	.size	_ZN7rocprim17ROCPRIM_400000_NS6detail17trampoline_kernelINS0_14default_configENS1_22reduce_config_selectorIN6thrust23THRUST_200600_302600_NS5tupleIblNS6_9null_typeES8_S8_S8_S8_S8_S8_S8_EEEEZNS1_11reduce_implILb1ES3_NS6_12zip_iteratorINS7_INS6_11hip_rocprim26transform_input_iterator_tIbNSD_35transform_pair_of_input_iterators_tIbNS6_6detail15normal_iteratorINS6_10device_ptrIKjEEEESL_NS6_8equal_toIjEEEENSG_9not_fun_tINSD_8identityEEEEENSD_19counting_iterator_tIlEES8_S8_S8_S8_S8_S8_S8_S8_EEEEPS9_S9_NSD_9__find_if7functorIS9_EEEE10hipError_tPvRmT1_T2_T3_mT4_P12ihipStream_tbEUlT_E1_NS1_11comp_targetILNS1_3genE9ELNS1_11target_archE1100ELNS1_3gpuE3ELNS1_3repE0EEENS1_30default_config_static_selectorELNS0_4arch9wavefront6targetE0EEEvS14_, .Lfunc_end827-_ZN7rocprim17ROCPRIM_400000_NS6detail17trampoline_kernelINS0_14default_configENS1_22reduce_config_selectorIN6thrust23THRUST_200600_302600_NS5tupleIblNS6_9null_typeES8_S8_S8_S8_S8_S8_S8_EEEEZNS1_11reduce_implILb1ES3_NS6_12zip_iteratorINS7_INS6_11hip_rocprim26transform_input_iterator_tIbNSD_35transform_pair_of_input_iterators_tIbNS6_6detail15normal_iteratorINS6_10device_ptrIKjEEEESL_NS6_8equal_toIjEEEENSG_9not_fun_tINSD_8identityEEEEENSD_19counting_iterator_tIlEES8_S8_S8_S8_S8_S8_S8_S8_EEEEPS9_S9_NSD_9__find_if7functorIS9_EEEE10hipError_tPvRmT1_T2_T3_mT4_P12ihipStream_tbEUlT_E1_NS1_11comp_targetILNS1_3genE9ELNS1_11target_archE1100ELNS1_3gpuE3ELNS1_3repE0EEENS1_30default_config_static_selectorELNS0_4arch9wavefront6targetE0EEEvS14_
                                        ; -- End function
	.section	.AMDGPU.csdata,"",@progbits
; Kernel info:
; codeLenInByte = 15968
; NumSgprs: 34
; NumVgprs: 27
; ScratchSize: 0
; MemoryBound: 0
; FloatMode: 240
; IeeeMode: 1
; LDSByteSize: 640 bytes/workgroup (compile time only)
; SGPRBlocks: 4
; VGPRBlocks: 3
; NumSGPRsForWavesPerEU: 34
; NumVGPRsForWavesPerEU: 27
; Occupancy: 16
; WaveLimiterHint : 0
; COMPUTE_PGM_RSRC2:SCRATCH_EN: 0
; COMPUTE_PGM_RSRC2:USER_SGPR: 15
; COMPUTE_PGM_RSRC2:TRAP_HANDLER: 0
; COMPUTE_PGM_RSRC2:TGID_X_EN: 1
; COMPUTE_PGM_RSRC2:TGID_Y_EN: 0
; COMPUTE_PGM_RSRC2:TGID_Z_EN: 0
; COMPUTE_PGM_RSRC2:TIDIG_COMP_CNT: 0
	.section	.text._ZN7rocprim17ROCPRIM_400000_NS6detail17trampoline_kernelINS0_14default_configENS1_22reduce_config_selectorIN6thrust23THRUST_200600_302600_NS5tupleIblNS6_9null_typeES8_S8_S8_S8_S8_S8_S8_EEEEZNS1_11reduce_implILb1ES3_NS6_12zip_iteratorINS7_INS6_11hip_rocprim26transform_input_iterator_tIbNSD_35transform_pair_of_input_iterators_tIbNS6_6detail15normal_iteratorINS6_10device_ptrIKjEEEESL_NS6_8equal_toIjEEEENSG_9not_fun_tINSD_8identityEEEEENSD_19counting_iterator_tIlEES8_S8_S8_S8_S8_S8_S8_S8_EEEEPS9_S9_NSD_9__find_if7functorIS9_EEEE10hipError_tPvRmT1_T2_T3_mT4_P12ihipStream_tbEUlT_E1_NS1_11comp_targetILNS1_3genE8ELNS1_11target_archE1030ELNS1_3gpuE2ELNS1_3repE0EEENS1_30default_config_static_selectorELNS0_4arch9wavefront6targetE0EEEvS14_,"axG",@progbits,_ZN7rocprim17ROCPRIM_400000_NS6detail17trampoline_kernelINS0_14default_configENS1_22reduce_config_selectorIN6thrust23THRUST_200600_302600_NS5tupleIblNS6_9null_typeES8_S8_S8_S8_S8_S8_S8_EEEEZNS1_11reduce_implILb1ES3_NS6_12zip_iteratorINS7_INS6_11hip_rocprim26transform_input_iterator_tIbNSD_35transform_pair_of_input_iterators_tIbNS6_6detail15normal_iteratorINS6_10device_ptrIKjEEEESL_NS6_8equal_toIjEEEENSG_9not_fun_tINSD_8identityEEEEENSD_19counting_iterator_tIlEES8_S8_S8_S8_S8_S8_S8_S8_EEEEPS9_S9_NSD_9__find_if7functorIS9_EEEE10hipError_tPvRmT1_T2_T3_mT4_P12ihipStream_tbEUlT_E1_NS1_11comp_targetILNS1_3genE8ELNS1_11target_archE1030ELNS1_3gpuE2ELNS1_3repE0EEENS1_30default_config_static_selectorELNS0_4arch9wavefront6targetE0EEEvS14_,comdat
	.protected	_ZN7rocprim17ROCPRIM_400000_NS6detail17trampoline_kernelINS0_14default_configENS1_22reduce_config_selectorIN6thrust23THRUST_200600_302600_NS5tupleIblNS6_9null_typeES8_S8_S8_S8_S8_S8_S8_EEEEZNS1_11reduce_implILb1ES3_NS6_12zip_iteratorINS7_INS6_11hip_rocprim26transform_input_iterator_tIbNSD_35transform_pair_of_input_iterators_tIbNS6_6detail15normal_iteratorINS6_10device_ptrIKjEEEESL_NS6_8equal_toIjEEEENSG_9not_fun_tINSD_8identityEEEEENSD_19counting_iterator_tIlEES8_S8_S8_S8_S8_S8_S8_S8_EEEEPS9_S9_NSD_9__find_if7functorIS9_EEEE10hipError_tPvRmT1_T2_T3_mT4_P12ihipStream_tbEUlT_E1_NS1_11comp_targetILNS1_3genE8ELNS1_11target_archE1030ELNS1_3gpuE2ELNS1_3repE0EEENS1_30default_config_static_selectorELNS0_4arch9wavefront6targetE0EEEvS14_ ; -- Begin function _ZN7rocprim17ROCPRIM_400000_NS6detail17trampoline_kernelINS0_14default_configENS1_22reduce_config_selectorIN6thrust23THRUST_200600_302600_NS5tupleIblNS6_9null_typeES8_S8_S8_S8_S8_S8_S8_EEEEZNS1_11reduce_implILb1ES3_NS6_12zip_iteratorINS7_INS6_11hip_rocprim26transform_input_iterator_tIbNSD_35transform_pair_of_input_iterators_tIbNS6_6detail15normal_iteratorINS6_10device_ptrIKjEEEESL_NS6_8equal_toIjEEEENSG_9not_fun_tINSD_8identityEEEEENSD_19counting_iterator_tIlEES8_S8_S8_S8_S8_S8_S8_S8_EEEEPS9_S9_NSD_9__find_if7functorIS9_EEEE10hipError_tPvRmT1_T2_T3_mT4_P12ihipStream_tbEUlT_E1_NS1_11comp_targetILNS1_3genE8ELNS1_11target_archE1030ELNS1_3gpuE2ELNS1_3repE0EEENS1_30default_config_static_selectorELNS0_4arch9wavefront6targetE0EEEvS14_
	.globl	_ZN7rocprim17ROCPRIM_400000_NS6detail17trampoline_kernelINS0_14default_configENS1_22reduce_config_selectorIN6thrust23THRUST_200600_302600_NS5tupleIblNS6_9null_typeES8_S8_S8_S8_S8_S8_S8_EEEEZNS1_11reduce_implILb1ES3_NS6_12zip_iteratorINS7_INS6_11hip_rocprim26transform_input_iterator_tIbNSD_35transform_pair_of_input_iterators_tIbNS6_6detail15normal_iteratorINS6_10device_ptrIKjEEEESL_NS6_8equal_toIjEEEENSG_9not_fun_tINSD_8identityEEEEENSD_19counting_iterator_tIlEES8_S8_S8_S8_S8_S8_S8_S8_EEEEPS9_S9_NSD_9__find_if7functorIS9_EEEE10hipError_tPvRmT1_T2_T3_mT4_P12ihipStream_tbEUlT_E1_NS1_11comp_targetILNS1_3genE8ELNS1_11target_archE1030ELNS1_3gpuE2ELNS1_3repE0EEENS1_30default_config_static_selectorELNS0_4arch9wavefront6targetE0EEEvS14_
	.p2align	8
	.type	_ZN7rocprim17ROCPRIM_400000_NS6detail17trampoline_kernelINS0_14default_configENS1_22reduce_config_selectorIN6thrust23THRUST_200600_302600_NS5tupleIblNS6_9null_typeES8_S8_S8_S8_S8_S8_S8_EEEEZNS1_11reduce_implILb1ES3_NS6_12zip_iteratorINS7_INS6_11hip_rocprim26transform_input_iterator_tIbNSD_35transform_pair_of_input_iterators_tIbNS6_6detail15normal_iteratorINS6_10device_ptrIKjEEEESL_NS6_8equal_toIjEEEENSG_9not_fun_tINSD_8identityEEEEENSD_19counting_iterator_tIlEES8_S8_S8_S8_S8_S8_S8_S8_EEEEPS9_S9_NSD_9__find_if7functorIS9_EEEE10hipError_tPvRmT1_T2_T3_mT4_P12ihipStream_tbEUlT_E1_NS1_11comp_targetILNS1_3genE8ELNS1_11target_archE1030ELNS1_3gpuE2ELNS1_3repE0EEENS1_30default_config_static_selectorELNS0_4arch9wavefront6targetE0EEEvS14_,@function
_ZN7rocprim17ROCPRIM_400000_NS6detail17trampoline_kernelINS0_14default_configENS1_22reduce_config_selectorIN6thrust23THRUST_200600_302600_NS5tupleIblNS6_9null_typeES8_S8_S8_S8_S8_S8_S8_EEEEZNS1_11reduce_implILb1ES3_NS6_12zip_iteratorINS7_INS6_11hip_rocprim26transform_input_iterator_tIbNSD_35transform_pair_of_input_iterators_tIbNS6_6detail15normal_iteratorINS6_10device_ptrIKjEEEESL_NS6_8equal_toIjEEEENSG_9not_fun_tINSD_8identityEEEEENSD_19counting_iterator_tIlEES8_S8_S8_S8_S8_S8_S8_S8_EEEEPS9_S9_NSD_9__find_if7functorIS9_EEEE10hipError_tPvRmT1_T2_T3_mT4_P12ihipStream_tbEUlT_E1_NS1_11comp_targetILNS1_3genE8ELNS1_11target_archE1030ELNS1_3gpuE2ELNS1_3repE0EEENS1_30default_config_static_selectorELNS0_4arch9wavefront6targetE0EEEvS14_: ; @_ZN7rocprim17ROCPRIM_400000_NS6detail17trampoline_kernelINS0_14default_configENS1_22reduce_config_selectorIN6thrust23THRUST_200600_302600_NS5tupleIblNS6_9null_typeES8_S8_S8_S8_S8_S8_S8_EEEEZNS1_11reduce_implILb1ES3_NS6_12zip_iteratorINS7_INS6_11hip_rocprim26transform_input_iterator_tIbNSD_35transform_pair_of_input_iterators_tIbNS6_6detail15normal_iteratorINS6_10device_ptrIKjEEEESL_NS6_8equal_toIjEEEENSG_9not_fun_tINSD_8identityEEEEENSD_19counting_iterator_tIlEES8_S8_S8_S8_S8_S8_S8_S8_EEEEPS9_S9_NSD_9__find_if7functorIS9_EEEE10hipError_tPvRmT1_T2_T3_mT4_P12ihipStream_tbEUlT_E1_NS1_11comp_targetILNS1_3genE8ELNS1_11target_archE1030ELNS1_3gpuE2ELNS1_3repE0EEENS1_30default_config_static_selectorELNS0_4arch9wavefront6targetE0EEEvS14_
; %bb.0:
	.section	.rodata,"a",@progbits
	.p2align	6, 0x0
	.amdhsa_kernel _ZN7rocprim17ROCPRIM_400000_NS6detail17trampoline_kernelINS0_14default_configENS1_22reduce_config_selectorIN6thrust23THRUST_200600_302600_NS5tupleIblNS6_9null_typeES8_S8_S8_S8_S8_S8_S8_EEEEZNS1_11reduce_implILb1ES3_NS6_12zip_iteratorINS7_INS6_11hip_rocprim26transform_input_iterator_tIbNSD_35transform_pair_of_input_iterators_tIbNS6_6detail15normal_iteratorINS6_10device_ptrIKjEEEESL_NS6_8equal_toIjEEEENSG_9not_fun_tINSD_8identityEEEEENSD_19counting_iterator_tIlEES8_S8_S8_S8_S8_S8_S8_S8_EEEEPS9_S9_NSD_9__find_if7functorIS9_EEEE10hipError_tPvRmT1_T2_T3_mT4_P12ihipStream_tbEUlT_E1_NS1_11comp_targetILNS1_3genE8ELNS1_11target_archE1030ELNS1_3gpuE2ELNS1_3repE0EEENS1_30default_config_static_selectorELNS0_4arch9wavefront6targetE0EEEvS14_
		.amdhsa_group_segment_fixed_size 0
		.amdhsa_private_segment_fixed_size 0
		.amdhsa_kernarg_size 88
		.amdhsa_user_sgpr_count 15
		.amdhsa_user_sgpr_dispatch_ptr 0
		.amdhsa_user_sgpr_queue_ptr 0
		.amdhsa_user_sgpr_kernarg_segment_ptr 1
		.amdhsa_user_sgpr_dispatch_id 0
		.amdhsa_user_sgpr_private_segment_size 0
		.amdhsa_wavefront_size32 1
		.amdhsa_uses_dynamic_stack 0
		.amdhsa_enable_private_segment 0
		.amdhsa_system_sgpr_workgroup_id_x 1
		.amdhsa_system_sgpr_workgroup_id_y 0
		.amdhsa_system_sgpr_workgroup_id_z 0
		.amdhsa_system_sgpr_workgroup_info 0
		.amdhsa_system_vgpr_workitem_id 0
		.amdhsa_next_free_vgpr 1
		.amdhsa_next_free_sgpr 1
		.amdhsa_reserve_vcc 0
		.amdhsa_float_round_mode_32 0
		.amdhsa_float_round_mode_16_64 0
		.amdhsa_float_denorm_mode_32 3
		.amdhsa_float_denorm_mode_16_64 3
		.amdhsa_dx10_clamp 1
		.amdhsa_ieee_mode 1
		.amdhsa_fp16_overflow 0
		.amdhsa_workgroup_processor_mode 1
		.amdhsa_memory_ordered 1
		.amdhsa_forward_progress 0
		.amdhsa_shared_vgpr_count 0
		.amdhsa_exception_fp_ieee_invalid_op 0
		.amdhsa_exception_fp_denorm_src 0
		.amdhsa_exception_fp_ieee_div_zero 0
		.amdhsa_exception_fp_ieee_overflow 0
		.amdhsa_exception_fp_ieee_underflow 0
		.amdhsa_exception_fp_ieee_inexact 0
		.amdhsa_exception_int_div_zero 0
	.end_amdhsa_kernel
	.section	.text._ZN7rocprim17ROCPRIM_400000_NS6detail17trampoline_kernelINS0_14default_configENS1_22reduce_config_selectorIN6thrust23THRUST_200600_302600_NS5tupleIblNS6_9null_typeES8_S8_S8_S8_S8_S8_S8_EEEEZNS1_11reduce_implILb1ES3_NS6_12zip_iteratorINS7_INS6_11hip_rocprim26transform_input_iterator_tIbNSD_35transform_pair_of_input_iterators_tIbNS6_6detail15normal_iteratorINS6_10device_ptrIKjEEEESL_NS6_8equal_toIjEEEENSG_9not_fun_tINSD_8identityEEEEENSD_19counting_iterator_tIlEES8_S8_S8_S8_S8_S8_S8_S8_EEEEPS9_S9_NSD_9__find_if7functorIS9_EEEE10hipError_tPvRmT1_T2_T3_mT4_P12ihipStream_tbEUlT_E1_NS1_11comp_targetILNS1_3genE8ELNS1_11target_archE1030ELNS1_3gpuE2ELNS1_3repE0EEENS1_30default_config_static_selectorELNS0_4arch9wavefront6targetE0EEEvS14_,"axG",@progbits,_ZN7rocprim17ROCPRIM_400000_NS6detail17trampoline_kernelINS0_14default_configENS1_22reduce_config_selectorIN6thrust23THRUST_200600_302600_NS5tupleIblNS6_9null_typeES8_S8_S8_S8_S8_S8_S8_EEEEZNS1_11reduce_implILb1ES3_NS6_12zip_iteratorINS7_INS6_11hip_rocprim26transform_input_iterator_tIbNSD_35transform_pair_of_input_iterators_tIbNS6_6detail15normal_iteratorINS6_10device_ptrIKjEEEESL_NS6_8equal_toIjEEEENSG_9not_fun_tINSD_8identityEEEEENSD_19counting_iterator_tIlEES8_S8_S8_S8_S8_S8_S8_S8_EEEEPS9_S9_NSD_9__find_if7functorIS9_EEEE10hipError_tPvRmT1_T2_T3_mT4_P12ihipStream_tbEUlT_E1_NS1_11comp_targetILNS1_3genE8ELNS1_11target_archE1030ELNS1_3gpuE2ELNS1_3repE0EEENS1_30default_config_static_selectorELNS0_4arch9wavefront6targetE0EEEvS14_,comdat
.Lfunc_end828:
	.size	_ZN7rocprim17ROCPRIM_400000_NS6detail17trampoline_kernelINS0_14default_configENS1_22reduce_config_selectorIN6thrust23THRUST_200600_302600_NS5tupleIblNS6_9null_typeES8_S8_S8_S8_S8_S8_S8_EEEEZNS1_11reduce_implILb1ES3_NS6_12zip_iteratorINS7_INS6_11hip_rocprim26transform_input_iterator_tIbNSD_35transform_pair_of_input_iterators_tIbNS6_6detail15normal_iteratorINS6_10device_ptrIKjEEEESL_NS6_8equal_toIjEEEENSG_9not_fun_tINSD_8identityEEEEENSD_19counting_iterator_tIlEES8_S8_S8_S8_S8_S8_S8_S8_EEEEPS9_S9_NSD_9__find_if7functorIS9_EEEE10hipError_tPvRmT1_T2_T3_mT4_P12ihipStream_tbEUlT_E1_NS1_11comp_targetILNS1_3genE8ELNS1_11target_archE1030ELNS1_3gpuE2ELNS1_3repE0EEENS1_30default_config_static_selectorELNS0_4arch9wavefront6targetE0EEEvS14_, .Lfunc_end828-_ZN7rocprim17ROCPRIM_400000_NS6detail17trampoline_kernelINS0_14default_configENS1_22reduce_config_selectorIN6thrust23THRUST_200600_302600_NS5tupleIblNS6_9null_typeES8_S8_S8_S8_S8_S8_S8_EEEEZNS1_11reduce_implILb1ES3_NS6_12zip_iteratorINS7_INS6_11hip_rocprim26transform_input_iterator_tIbNSD_35transform_pair_of_input_iterators_tIbNS6_6detail15normal_iteratorINS6_10device_ptrIKjEEEESL_NS6_8equal_toIjEEEENSG_9not_fun_tINSD_8identityEEEEENSD_19counting_iterator_tIlEES8_S8_S8_S8_S8_S8_S8_S8_EEEEPS9_S9_NSD_9__find_if7functorIS9_EEEE10hipError_tPvRmT1_T2_T3_mT4_P12ihipStream_tbEUlT_E1_NS1_11comp_targetILNS1_3genE8ELNS1_11target_archE1030ELNS1_3gpuE2ELNS1_3repE0EEENS1_30default_config_static_selectorELNS0_4arch9wavefront6targetE0EEEvS14_
                                        ; -- End function
	.section	.AMDGPU.csdata,"",@progbits
; Kernel info:
; codeLenInByte = 0
; NumSgprs: 0
; NumVgprs: 0
; ScratchSize: 0
; MemoryBound: 0
; FloatMode: 240
; IeeeMode: 1
; LDSByteSize: 0 bytes/workgroup (compile time only)
; SGPRBlocks: 0
; VGPRBlocks: 0
; NumSGPRsForWavesPerEU: 1
; NumVGPRsForWavesPerEU: 1
; Occupancy: 16
; WaveLimiterHint : 0
; COMPUTE_PGM_RSRC2:SCRATCH_EN: 0
; COMPUTE_PGM_RSRC2:USER_SGPR: 15
; COMPUTE_PGM_RSRC2:TRAP_HANDLER: 0
; COMPUTE_PGM_RSRC2:TGID_X_EN: 1
; COMPUTE_PGM_RSRC2:TGID_Y_EN: 0
; COMPUTE_PGM_RSRC2:TGID_Z_EN: 0
; COMPUTE_PGM_RSRC2:TIDIG_COMP_CNT: 0
	.section	.text._ZN6thrust23THRUST_200600_302600_NS11hip_rocprim14__parallel_for6kernelILj256ENS1_11__transform17unary_transform_fINS0_12zip_iteratorINS0_5tupleINS0_6detail15normal_iteratorINS0_10device_ptrItEEEESC_NS0_9null_typeESD_SD_SD_SD_SD_SD_SD_EEEESF_NS4_14no_stencil_tagENS0_8identityINS7_IttSD_SD_SD_SD_SD_SD_SD_SD_EEEENS4_21always_true_predicateEEElLj1EEEvT0_T1_SN_,"axG",@progbits,_ZN6thrust23THRUST_200600_302600_NS11hip_rocprim14__parallel_for6kernelILj256ENS1_11__transform17unary_transform_fINS0_12zip_iteratorINS0_5tupleINS0_6detail15normal_iteratorINS0_10device_ptrItEEEESC_NS0_9null_typeESD_SD_SD_SD_SD_SD_SD_EEEESF_NS4_14no_stencil_tagENS0_8identityINS7_IttSD_SD_SD_SD_SD_SD_SD_SD_EEEENS4_21always_true_predicateEEElLj1EEEvT0_T1_SN_,comdat
	.protected	_ZN6thrust23THRUST_200600_302600_NS11hip_rocprim14__parallel_for6kernelILj256ENS1_11__transform17unary_transform_fINS0_12zip_iteratorINS0_5tupleINS0_6detail15normal_iteratorINS0_10device_ptrItEEEESC_NS0_9null_typeESD_SD_SD_SD_SD_SD_SD_EEEESF_NS4_14no_stencil_tagENS0_8identityINS7_IttSD_SD_SD_SD_SD_SD_SD_SD_EEEENS4_21always_true_predicateEEElLj1EEEvT0_T1_SN_ ; -- Begin function _ZN6thrust23THRUST_200600_302600_NS11hip_rocprim14__parallel_for6kernelILj256ENS1_11__transform17unary_transform_fINS0_12zip_iteratorINS0_5tupleINS0_6detail15normal_iteratorINS0_10device_ptrItEEEESC_NS0_9null_typeESD_SD_SD_SD_SD_SD_SD_EEEESF_NS4_14no_stencil_tagENS0_8identityINS7_IttSD_SD_SD_SD_SD_SD_SD_SD_EEEENS4_21always_true_predicateEEElLj1EEEvT0_T1_SN_
	.globl	_ZN6thrust23THRUST_200600_302600_NS11hip_rocprim14__parallel_for6kernelILj256ENS1_11__transform17unary_transform_fINS0_12zip_iteratorINS0_5tupleINS0_6detail15normal_iteratorINS0_10device_ptrItEEEESC_NS0_9null_typeESD_SD_SD_SD_SD_SD_SD_EEEESF_NS4_14no_stencil_tagENS0_8identityINS7_IttSD_SD_SD_SD_SD_SD_SD_SD_EEEENS4_21always_true_predicateEEElLj1EEEvT0_T1_SN_
	.p2align	8
	.type	_ZN6thrust23THRUST_200600_302600_NS11hip_rocprim14__parallel_for6kernelILj256ENS1_11__transform17unary_transform_fINS0_12zip_iteratorINS0_5tupleINS0_6detail15normal_iteratorINS0_10device_ptrItEEEESC_NS0_9null_typeESD_SD_SD_SD_SD_SD_SD_EEEESF_NS4_14no_stencil_tagENS0_8identityINS7_IttSD_SD_SD_SD_SD_SD_SD_SD_EEEENS4_21always_true_predicateEEElLj1EEEvT0_T1_SN_,@function
_ZN6thrust23THRUST_200600_302600_NS11hip_rocprim14__parallel_for6kernelILj256ENS1_11__transform17unary_transform_fINS0_12zip_iteratorINS0_5tupleINS0_6detail15normal_iteratorINS0_10device_ptrItEEEESC_NS0_9null_typeESD_SD_SD_SD_SD_SD_SD_EEEESF_NS4_14no_stencil_tagENS0_8identityINS7_IttSD_SD_SD_SD_SD_SD_SD_SD_EEEENS4_21always_true_predicateEEElLj1EEEvT0_T1_SN_: ; @_ZN6thrust23THRUST_200600_302600_NS11hip_rocprim14__parallel_for6kernelILj256ENS1_11__transform17unary_transform_fINS0_12zip_iteratorINS0_5tupleINS0_6detail15normal_iteratorINS0_10device_ptrItEEEESC_NS0_9null_typeESD_SD_SD_SD_SD_SD_SD_EEEESF_NS4_14no_stencil_tagENS0_8identityINS7_IttSD_SD_SD_SD_SD_SD_SD_SD_EEEENS4_21always_true_predicateEEElLj1EEEvT0_T1_SN_
; %bb.0:
	s_clause 0x1
	s_load_b128 s[16:19], s[0:1], 0x28
	s_load_b256 s[0:7], s[0:1], 0x0
	s_lshl_b32 s8, s15, 8
	s_waitcnt lgkmcnt(0)
	s_add_u32 s8, s8, s18
	s_addc_u32 s9, 0, s19
	s_sub_u32 s10, s16, s8
	s_subb_u32 s11, s17, s9
	s_delay_alu instid0(SALU_CYCLE_1) | instskip(NEXT) | instid1(VALU_DEP_1)
	v_cmp_gt_i64_e64 s11, 0x100, s[10:11]
	s_and_b32 s11, s11, exec_lo
	s_cselect_b32 s11, s10, 0x100
	s_mov_b32 s10, -1
	s_cmpk_lg_i32 s11, 0x100
	s_cbranch_scc1 .LBB829_3
; %bb.1:
	s_and_not1_b32 vcc_lo, exec_lo, s10
	s_cbranch_vccz .LBB829_6
.LBB829_2:
	s_nop 0
	s_sendmsg sendmsg(MSG_DEALLOC_VGPRS)
	s_endpgm
.LBB829_3:
	s_mov_b32 s10, exec_lo
	v_cmpx_gt_u32_e64 s11, v0
	s_cbranch_execz .LBB829_5
; %bb.4:
	v_add_co_u32 v1, s11, s8, v0
	s_delay_alu instid0(VALU_DEP_1) | instskip(NEXT) | instid1(VALU_DEP_1)
	v_add_co_ci_u32_e64 v2, null, s9, 0, s11
	v_lshlrev_b64 v[1:2], 1, v[1:2]
	s_delay_alu instid0(VALU_DEP_1) | instskip(NEXT) | instid1(VALU_DEP_2)
	v_add_co_u32 v3, vcc_lo, s0, v1
	v_add_co_ci_u32_e32 v4, vcc_lo, s1, v2, vcc_lo
	v_add_co_u32 v5, vcc_lo, s2, v1
	v_add_co_ci_u32_e32 v6, vcc_lo, s3, v2, vcc_lo
	global_load_u16 v7, v[3:4], off
	global_load_u16 v5, v[5:6], off
	v_add_co_u32 v3, vcc_lo, s4, v1
	v_add_co_ci_u32_e32 v4, vcc_lo, s5, v2, vcc_lo
	v_add_co_u32 v1, vcc_lo, s6, v1
	v_add_co_ci_u32_e32 v2, vcc_lo, s7, v2, vcc_lo
	s_waitcnt vmcnt(1)
	global_store_b16 v[3:4], v7, off
	s_waitcnt vmcnt(0)
	global_store_b16 v[1:2], v5, off
.LBB829_5:
	s_or_b32 exec_lo, exec_lo, s10
	s_cbranch_execnz .LBB829_2
.LBB829_6:
	v_add_co_u32 v0, s8, s8, v0
	s_delay_alu instid0(VALU_DEP_1) | instskip(NEXT) | instid1(VALU_DEP_1)
	v_add_co_ci_u32_e64 v1, null, s9, 0, s8
	v_lshlrev_b64 v[0:1], 1, v[0:1]
	s_delay_alu instid0(VALU_DEP_1) | instskip(NEXT) | instid1(VALU_DEP_2)
	v_add_co_u32 v2, vcc_lo, s0, v0
	v_add_co_ci_u32_e32 v3, vcc_lo, s1, v1, vcc_lo
	v_add_co_u32 v4, vcc_lo, s2, v0
	v_add_co_ci_u32_e32 v5, vcc_lo, s3, v1, vcc_lo
	global_load_u16 v6, v[2:3], off
	global_load_u16 v4, v[4:5], off
	v_add_co_u32 v2, vcc_lo, s4, v0
	v_add_co_ci_u32_e32 v3, vcc_lo, s5, v1, vcc_lo
	v_add_co_u32 v0, vcc_lo, s6, v0
	v_add_co_ci_u32_e32 v1, vcc_lo, s7, v1, vcc_lo
	s_waitcnt vmcnt(1)
	global_store_b16 v[2:3], v6, off
	s_waitcnt vmcnt(0)
	global_store_b16 v[0:1], v4, off
	s_nop 0
	s_sendmsg sendmsg(MSG_DEALLOC_VGPRS)
	s_endpgm
	.section	.rodata,"a",@progbits
	.p2align	6, 0x0
	.amdhsa_kernel _ZN6thrust23THRUST_200600_302600_NS11hip_rocprim14__parallel_for6kernelILj256ENS1_11__transform17unary_transform_fINS0_12zip_iteratorINS0_5tupleINS0_6detail15normal_iteratorINS0_10device_ptrItEEEESC_NS0_9null_typeESD_SD_SD_SD_SD_SD_SD_EEEESF_NS4_14no_stencil_tagENS0_8identityINS7_IttSD_SD_SD_SD_SD_SD_SD_SD_EEEENS4_21always_true_predicateEEElLj1EEEvT0_T1_SN_
		.amdhsa_group_segment_fixed_size 0
		.amdhsa_private_segment_fixed_size 0
		.amdhsa_kernarg_size 56
		.amdhsa_user_sgpr_count 15
		.amdhsa_user_sgpr_dispatch_ptr 0
		.amdhsa_user_sgpr_queue_ptr 0
		.amdhsa_user_sgpr_kernarg_segment_ptr 1
		.amdhsa_user_sgpr_dispatch_id 0
		.amdhsa_user_sgpr_private_segment_size 0
		.amdhsa_wavefront_size32 1
		.amdhsa_uses_dynamic_stack 0
		.amdhsa_enable_private_segment 0
		.amdhsa_system_sgpr_workgroup_id_x 1
		.amdhsa_system_sgpr_workgroup_id_y 0
		.amdhsa_system_sgpr_workgroup_id_z 0
		.amdhsa_system_sgpr_workgroup_info 0
		.amdhsa_system_vgpr_workitem_id 0
		.amdhsa_next_free_vgpr 8
		.amdhsa_next_free_sgpr 20
		.amdhsa_reserve_vcc 1
		.amdhsa_float_round_mode_32 0
		.amdhsa_float_round_mode_16_64 0
		.amdhsa_float_denorm_mode_32 3
		.amdhsa_float_denorm_mode_16_64 3
		.amdhsa_dx10_clamp 1
		.amdhsa_ieee_mode 1
		.amdhsa_fp16_overflow 0
		.amdhsa_workgroup_processor_mode 1
		.amdhsa_memory_ordered 1
		.amdhsa_forward_progress 0
		.amdhsa_shared_vgpr_count 0
		.amdhsa_exception_fp_ieee_invalid_op 0
		.amdhsa_exception_fp_denorm_src 0
		.amdhsa_exception_fp_ieee_div_zero 0
		.amdhsa_exception_fp_ieee_overflow 0
		.amdhsa_exception_fp_ieee_underflow 0
		.amdhsa_exception_fp_ieee_inexact 0
		.amdhsa_exception_int_div_zero 0
	.end_amdhsa_kernel
	.section	.text._ZN6thrust23THRUST_200600_302600_NS11hip_rocprim14__parallel_for6kernelILj256ENS1_11__transform17unary_transform_fINS0_12zip_iteratorINS0_5tupleINS0_6detail15normal_iteratorINS0_10device_ptrItEEEESC_NS0_9null_typeESD_SD_SD_SD_SD_SD_SD_EEEESF_NS4_14no_stencil_tagENS0_8identityINS7_IttSD_SD_SD_SD_SD_SD_SD_SD_EEEENS4_21always_true_predicateEEElLj1EEEvT0_T1_SN_,"axG",@progbits,_ZN6thrust23THRUST_200600_302600_NS11hip_rocprim14__parallel_for6kernelILj256ENS1_11__transform17unary_transform_fINS0_12zip_iteratorINS0_5tupleINS0_6detail15normal_iteratorINS0_10device_ptrItEEEESC_NS0_9null_typeESD_SD_SD_SD_SD_SD_SD_EEEESF_NS4_14no_stencil_tagENS0_8identityINS7_IttSD_SD_SD_SD_SD_SD_SD_SD_EEEENS4_21always_true_predicateEEElLj1EEEvT0_T1_SN_,comdat
.Lfunc_end829:
	.size	_ZN6thrust23THRUST_200600_302600_NS11hip_rocprim14__parallel_for6kernelILj256ENS1_11__transform17unary_transform_fINS0_12zip_iteratorINS0_5tupleINS0_6detail15normal_iteratorINS0_10device_ptrItEEEESC_NS0_9null_typeESD_SD_SD_SD_SD_SD_SD_EEEESF_NS4_14no_stencil_tagENS0_8identityINS7_IttSD_SD_SD_SD_SD_SD_SD_SD_EEEENS4_21always_true_predicateEEElLj1EEEvT0_T1_SN_, .Lfunc_end829-_ZN6thrust23THRUST_200600_302600_NS11hip_rocprim14__parallel_for6kernelILj256ENS1_11__transform17unary_transform_fINS0_12zip_iteratorINS0_5tupleINS0_6detail15normal_iteratorINS0_10device_ptrItEEEESC_NS0_9null_typeESD_SD_SD_SD_SD_SD_SD_EEEESF_NS4_14no_stencil_tagENS0_8identityINS7_IttSD_SD_SD_SD_SD_SD_SD_SD_EEEENS4_21always_true_predicateEEElLj1EEEvT0_T1_SN_
                                        ; -- End function
	.section	.AMDGPU.csdata,"",@progbits
; Kernel info:
; codeLenInByte = 380
; NumSgprs: 22
; NumVgprs: 8
; ScratchSize: 0
; MemoryBound: 0
; FloatMode: 240
; IeeeMode: 1
; LDSByteSize: 0 bytes/workgroup (compile time only)
; SGPRBlocks: 2
; VGPRBlocks: 0
; NumSGPRsForWavesPerEU: 22
; NumVGPRsForWavesPerEU: 8
; Occupancy: 16
; WaveLimiterHint : 0
; COMPUTE_PGM_RSRC2:SCRATCH_EN: 0
; COMPUTE_PGM_RSRC2:USER_SGPR: 15
; COMPUTE_PGM_RSRC2:TRAP_HANDLER: 0
; COMPUTE_PGM_RSRC2:TGID_X_EN: 1
; COMPUTE_PGM_RSRC2:TGID_Y_EN: 0
; COMPUTE_PGM_RSRC2:TGID_Z_EN: 0
; COMPUTE_PGM_RSRC2:TIDIG_COMP_CNT: 0
	.section	.text._ZN7rocprim17ROCPRIM_400000_NS6detail17trampoline_kernelINS0_14default_configENS1_22reduce_config_selectorIN6thrust23THRUST_200600_302600_NS5tupleIblNS6_9null_typeES8_S8_S8_S8_S8_S8_S8_EEEEZNS1_11reduce_implILb1ES3_NS6_12zip_iteratorINS7_INS6_11hip_rocprim26transform_input_iterator_tIbNSD_35transform_pair_of_input_iterators_tIbNS6_6detail15normal_iteratorINS6_10device_ptrIKtEEEESL_NS6_8equal_toItEEEENSG_9not_fun_tINSD_8identityEEEEENSD_19counting_iterator_tIlEES8_S8_S8_S8_S8_S8_S8_S8_EEEEPS9_S9_NSD_9__find_if7functorIS9_EEEE10hipError_tPvRmT1_T2_T3_mT4_P12ihipStream_tbEUlT_E0_NS1_11comp_targetILNS1_3genE0ELNS1_11target_archE4294967295ELNS1_3gpuE0ELNS1_3repE0EEENS1_30default_config_static_selectorELNS0_4arch9wavefront6targetE0EEEvS14_,"axG",@progbits,_ZN7rocprim17ROCPRIM_400000_NS6detail17trampoline_kernelINS0_14default_configENS1_22reduce_config_selectorIN6thrust23THRUST_200600_302600_NS5tupleIblNS6_9null_typeES8_S8_S8_S8_S8_S8_S8_EEEEZNS1_11reduce_implILb1ES3_NS6_12zip_iteratorINS7_INS6_11hip_rocprim26transform_input_iterator_tIbNSD_35transform_pair_of_input_iterators_tIbNS6_6detail15normal_iteratorINS6_10device_ptrIKtEEEESL_NS6_8equal_toItEEEENSG_9not_fun_tINSD_8identityEEEEENSD_19counting_iterator_tIlEES8_S8_S8_S8_S8_S8_S8_S8_EEEEPS9_S9_NSD_9__find_if7functorIS9_EEEE10hipError_tPvRmT1_T2_T3_mT4_P12ihipStream_tbEUlT_E0_NS1_11comp_targetILNS1_3genE0ELNS1_11target_archE4294967295ELNS1_3gpuE0ELNS1_3repE0EEENS1_30default_config_static_selectorELNS0_4arch9wavefront6targetE0EEEvS14_,comdat
	.protected	_ZN7rocprim17ROCPRIM_400000_NS6detail17trampoline_kernelINS0_14default_configENS1_22reduce_config_selectorIN6thrust23THRUST_200600_302600_NS5tupleIblNS6_9null_typeES8_S8_S8_S8_S8_S8_S8_EEEEZNS1_11reduce_implILb1ES3_NS6_12zip_iteratorINS7_INS6_11hip_rocprim26transform_input_iterator_tIbNSD_35transform_pair_of_input_iterators_tIbNS6_6detail15normal_iteratorINS6_10device_ptrIKtEEEESL_NS6_8equal_toItEEEENSG_9not_fun_tINSD_8identityEEEEENSD_19counting_iterator_tIlEES8_S8_S8_S8_S8_S8_S8_S8_EEEEPS9_S9_NSD_9__find_if7functorIS9_EEEE10hipError_tPvRmT1_T2_T3_mT4_P12ihipStream_tbEUlT_E0_NS1_11comp_targetILNS1_3genE0ELNS1_11target_archE4294967295ELNS1_3gpuE0ELNS1_3repE0EEENS1_30default_config_static_selectorELNS0_4arch9wavefront6targetE0EEEvS14_ ; -- Begin function _ZN7rocprim17ROCPRIM_400000_NS6detail17trampoline_kernelINS0_14default_configENS1_22reduce_config_selectorIN6thrust23THRUST_200600_302600_NS5tupleIblNS6_9null_typeES8_S8_S8_S8_S8_S8_S8_EEEEZNS1_11reduce_implILb1ES3_NS6_12zip_iteratorINS7_INS6_11hip_rocprim26transform_input_iterator_tIbNSD_35transform_pair_of_input_iterators_tIbNS6_6detail15normal_iteratorINS6_10device_ptrIKtEEEESL_NS6_8equal_toItEEEENSG_9not_fun_tINSD_8identityEEEEENSD_19counting_iterator_tIlEES8_S8_S8_S8_S8_S8_S8_S8_EEEEPS9_S9_NSD_9__find_if7functorIS9_EEEE10hipError_tPvRmT1_T2_T3_mT4_P12ihipStream_tbEUlT_E0_NS1_11comp_targetILNS1_3genE0ELNS1_11target_archE4294967295ELNS1_3gpuE0ELNS1_3repE0EEENS1_30default_config_static_selectorELNS0_4arch9wavefront6targetE0EEEvS14_
	.globl	_ZN7rocprim17ROCPRIM_400000_NS6detail17trampoline_kernelINS0_14default_configENS1_22reduce_config_selectorIN6thrust23THRUST_200600_302600_NS5tupleIblNS6_9null_typeES8_S8_S8_S8_S8_S8_S8_EEEEZNS1_11reduce_implILb1ES3_NS6_12zip_iteratorINS7_INS6_11hip_rocprim26transform_input_iterator_tIbNSD_35transform_pair_of_input_iterators_tIbNS6_6detail15normal_iteratorINS6_10device_ptrIKtEEEESL_NS6_8equal_toItEEEENSG_9not_fun_tINSD_8identityEEEEENSD_19counting_iterator_tIlEES8_S8_S8_S8_S8_S8_S8_S8_EEEEPS9_S9_NSD_9__find_if7functorIS9_EEEE10hipError_tPvRmT1_T2_T3_mT4_P12ihipStream_tbEUlT_E0_NS1_11comp_targetILNS1_3genE0ELNS1_11target_archE4294967295ELNS1_3gpuE0ELNS1_3repE0EEENS1_30default_config_static_selectorELNS0_4arch9wavefront6targetE0EEEvS14_
	.p2align	8
	.type	_ZN7rocprim17ROCPRIM_400000_NS6detail17trampoline_kernelINS0_14default_configENS1_22reduce_config_selectorIN6thrust23THRUST_200600_302600_NS5tupleIblNS6_9null_typeES8_S8_S8_S8_S8_S8_S8_EEEEZNS1_11reduce_implILb1ES3_NS6_12zip_iteratorINS7_INS6_11hip_rocprim26transform_input_iterator_tIbNSD_35transform_pair_of_input_iterators_tIbNS6_6detail15normal_iteratorINS6_10device_ptrIKtEEEESL_NS6_8equal_toItEEEENSG_9not_fun_tINSD_8identityEEEEENSD_19counting_iterator_tIlEES8_S8_S8_S8_S8_S8_S8_S8_EEEEPS9_S9_NSD_9__find_if7functorIS9_EEEE10hipError_tPvRmT1_T2_T3_mT4_P12ihipStream_tbEUlT_E0_NS1_11comp_targetILNS1_3genE0ELNS1_11target_archE4294967295ELNS1_3gpuE0ELNS1_3repE0EEENS1_30default_config_static_selectorELNS0_4arch9wavefront6targetE0EEEvS14_,@function
_ZN7rocprim17ROCPRIM_400000_NS6detail17trampoline_kernelINS0_14default_configENS1_22reduce_config_selectorIN6thrust23THRUST_200600_302600_NS5tupleIblNS6_9null_typeES8_S8_S8_S8_S8_S8_S8_EEEEZNS1_11reduce_implILb1ES3_NS6_12zip_iteratorINS7_INS6_11hip_rocprim26transform_input_iterator_tIbNSD_35transform_pair_of_input_iterators_tIbNS6_6detail15normal_iteratorINS6_10device_ptrIKtEEEESL_NS6_8equal_toItEEEENSG_9not_fun_tINSD_8identityEEEEENSD_19counting_iterator_tIlEES8_S8_S8_S8_S8_S8_S8_S8_EEEEPS9_S9_NSD_9__find_if7functorIS9_EEEE10hipError_tPvRmT1_T2_T3_mT4_P12ihipStream_tbEUlT_E0_NS1_11comp_targetILNS1_3genE0ELNS1_11target_archE4294967295ELNS1_3gpuE0ELNS1_3repE0EEENS1_30default_config_static_selectorELNS0_4arch9wavefront6targetE0EEEvS14_: ; @_ZN7rocprim17ROCPRIM_400000_NS6detail17trampoline_kernelINS0_14default_configENS1_22reduce_config_selectorIN6thrust23THRUST_200600_302600_NS5tupleIblNS6_9null_typeES8_S8_S8_S8_S8_S8_S8_EEEEZNS1_11reduce_implILb1ES3_NS6_12zip_iteratorINS7_INS6_11hip_rocprim26transform_input_iterator_tIbNSD_35transform_pair_of_input_iterators_tIbNS6_6detail15normal_iteratorINS6_10device_ptrIKtEEEESL_NS6_8equal_toItEEEENSG_9not_fun_tINSD_8identityEEEEENSD_19counting_iterator_tIlEES8_S8_S8_S8_S8_S8_S8_S8_EEEEPS9_S9_NSD_9__find_if7functorIS9_EEEE10hipError_tPvRmT1_T2_T3_mT4_P12ihipStream_tbEUlT_E0_NS1_11comp_targetILNS1_3genE0ELNS1_11target_archE4294967295ELNS1_3gpuE0ELNS1_3repE0EEENS1_30default_config_static_selectorELNS0_4arch9wavefront6targetE0EEEvS14_
; %bb.0:
	.section	.rodata,"a",@progbits
	.p2align	6, 0x0
	.amdhsa_kernel _ZN7rocprim17ROCPRIM_400000_NS6detail17trampoline_kernelINS0_14default_configENS1_22reduce_config_selectorIN6thrust23THRUST_200600_302600_NS5tupleIblNS6_9null_typeES8_S8_S8_S8_S8_S8_S8_EEEEZNS1_11reduce_implILb1ES3_NS6_12zip_iteratorINS7_INS6_11hip_rocprim26transform_input_iterator_tIbNSD_35transform_pair_of_input_iterators_tIbNS6_6detail15normal_iteratorINS6_10device_ptrIKtEEEESL_NS6_8equal_toItEEEENSG_9not_fun_tINSD_8identityEEEEENSD_19counting_iterator_tIlEES8_S8_S8_S8_S8_S8_S8_S8_EEEEPS9_S9_NSD_9__find_if7functorIS9_EEEE10hipError_tPvRmT1_T2_T3_mT4_P12ihipStream_tbEUlT_E0_NS1_11comp_targetILNS1_3genE0ELNS1_11target_archE4294967295ELNS1_3gpuE0ELNS1_3repE0EEENS1_30default_config_static_selectorELNS0_4arch9wavefront6targetE0EEEvS14_
		.amdhsa_group_segment_fixed_size 0
		.amdhsa_private_segment_fixed_size 0
		.amdhsa_kernarg_size 104
		.amdhsa_user_sgpr_count 15
		.amdhsa_user_sgpr_dispatch_ptr 0
		.amdhsa_user_sgpr_queue_ptr 0
		.amdhsa_user_sgpr_kernarg_segment_ptr 1
		.amdhsa_user_sgpr_dispatch_id 0
		.amdhsa_user_sgpr_private_segment_size 0
		.amdhsa_wavefront_size32 1
		.amdhsa_uses_dynamic_stack 0
		.amdhsa_enable_private_segment 0
		.amdhsa_system_sgpr_workgroup_id_x 1
		.amdhsa_system_sgpr_workgroup_id_y 0
		.amdhsa_system_sgpr_workgroup_id_z 0
		.amdhsa_system_sgpr_workgroup_info 0
		.amdhsa_system_vgpr_workitem_id 0
		.amdhsa_next_free_vgpr 1
		.amdhsa_next_free_sgpr 1
		.amdhsa_reserve_vcc 0
		.amdhsa_float_round_mode_32 0
		.amdhsa_float_round_mode_16_64 0
		.amdhsa_float_denorm_mode_32 3
		.amdhsa_float_denorm_mode_16_64 3
		.amdhsa_dx10_clamp 1
		.amdhsa_ieee_mode 1
		.amdhsa_fp16_overflow 0
		.amdhsa_workgroup_processor_mode 1
		.amdhsa_memory_ordered 1
		.amdhsa_forward_progress 0
		.amdhsa_shared_vgpr_count 0
		.amdhsa_exception_fp_ieee_invalid_op 0
		.amdhsa_exception_fp_denorm_src 0
		.amdhsa_exception_fp_ieee_div_zero 0
		.amdhsa_exception_fp_ieee_overflow 0
		.amdhsa_exception_fp_ieee_underflow 0
		.amdhsa_exception_fp_ieee_inexact 0
		.amdhsa_exception_int_div_zero 0
	.end_amdhsa_kernel
	.section	.text._ZN7rocprim17ROCPRIM_400000_NS6detail17trampoline_kernelINS0_14default_configENS1_22reduce_config_selectorIN6thrust23THRUST_200600_302600_NS5tupleIblNS6_9null_typeES8_S8_S8_S8_S8_S8_S8_EEEEZNS1_11reduce_implILb1ES3_NS6_12zip_iteratorINS7_INS6_11hip_rocprim26transform_input_iterator_tIbNSD_35transform_pair_of_input_iterators_tIbNS6_6detail15normal_iteratorINS6_10device_ptrIKtEEEESL_NS6_8equal_toItEEEENSG_9not_fun_tINSD_8identityEEEEENSD_19counting_iterator_tIlEES8_S8_S8_S8_S8_S8_S8_S8_EEEEPS9_S9_NSD_9__find_if7functorIS9_EEEE10hipError_tPvRmT1_T2_T3_mT4_P12ihipStream_tbEUlT_E0_NS1_11comp_targetILNS1_3genE0ELNS1_11target_archE4294967295ELNS1_3gpuE0ELNS1_3repE0EEENS1_30default_config_static_selectorELNS0_4arch9wavefront6targetE0EEEvS14_,"axG",@progbits,_ZN7rocprim17ROCPRIM_400000_NS6detail17trampoline_kernelINS0_14default_configENS1_22reduce_config_selectorIN6thrust23THRUST_200600_302600_NS5tupleIblNS6_9null_typeES8_S8_S8_S8_S8_S8_S8_EEEEZNS1_11reduce_implILb1ES3_NS6_12zip_iteratorINS7_INS6_11hip_rocprim26transform_input_iterator_tIbNSD_35transform_pair_of_input_iterators_tIbNS6_6detail15normal_iteratorINS6_10device_ptrIKtEEEESL_NS6_8equal_toItEEEENSG_9not_fun_tINSD_8identityEEEEENSD_19counting_iterator_tIlEES8_S8_S8_S8_S8_S8_S8_S8_EEEEPS9_S9_NSD_9__find_if7functorIS9_EEEE10hipError_tPvRmT1_T2_T3_mT4_P12ihipStream_tbEUlT_E0_NS1_11comp_targetILNS1_3genE0ELNS1_11target_archE4294967295ELNS1_3gpuE0ELNS1_3repE0EEENS1_30default_config_static_selectorELNS0_4arch9wavefront6targetE0EEEvS14_,comdat
.Lfunc_end830:
	.size	_ZN7rocprim17ROCPRIM_400000_NS6detail17trampoline_kernelINS0_14default_configENS1_22reduce_config_selectorIN6thrust23THRUST_200600_302600_NS5tupleIblNS6_9null_typeES8_S8_S8_S8_S8_S8_S8_EEEEZNS1_11reduce_implILb1ES3_NS6_12zip_iteratorINS7_INS6_11hip_rocprim26transform_input_iterator_tIbNSD_35transform_pair_of_input_iterators_tIbNS6_6detail15normal_iteratorINS6_10device_ptrIKtEEEESL_NS6_8equal_toItEEEENSG_9not_fun_tINSD_8identityEEEEENSD_19counting_iterator_tIlEES8_S8_S8_S8_S8_S8_S8_S8_EEEEPS9_S9_NSD_9__find_if7functorIS9_EEEE10hipError_tPvRmT1_T2_T3_mT4_P12ihipStream_tbEUlT_E0_NS1_11comp_targetILNS1_3genE0ELNS1_11target_archE4294967295ELNS1_3gpuE0ELNS1_3repE0EEENS1_30default_config_static_selectorELNS0_4arch9wavefront6targetE0EEEvS14_, .Lfunc_end830-_ZN7rocprim17ROCPRIM_400000_NS6detail17trampoline_kernelINS0_14default_configENS1_22reduce_config_selectorIN6thrust23THRUST_200600_302600_NS5tupleIblNS6_9null_typeES8_S8_S8_S8_S8_S8_S8_EEEEZNS1_11reduce_implILb1ES3_NS6_12zip_iteratorINS7_INS6_11hip_rocprim26transform_input_iterator_tIbNSD_35transform_pair_of_input_iterators_tIbNS6_6detail15normal_iteratorINS6_10device_ptrIKtEEEESL_NS6_8equal_toItEEEENSG_9not_fun_tINSD_8identityEEEEENSD_19counting_iterator_tIlEES8_S8_S8_S8_S8_S8_S8_S8_EEEEPS9_S9_NSD_9__find_if7functorIS9_EEEE10hipError_tPvRmT1_T2_T3_mT4_P12ihipStream_tbEUlT_E0_NS1_11comp_targetILNS1_3genE0ELNS1_11target_archE4294967295ELNS1_3gpuE0ELNS1_3repE0EEENS1_30default_config_static_selectorELNS0_4arch9wavefront6targetE0EEEvS14_
                                        ; -- End function
	.section	.AMDGPU.csdata,"",@progbits
; Kernel info:
; codeLenInByte = 0
; NumSgprs: 0
; NumVgprs: 0
; ScratchSize: 0
; MemoryBound: 0
; FloatMode: 240
; IeeeMode: 1
; LDSByteSize: 0 bytes/workgroup (compile time only)
; SGPRBlocks: 0
; VGPRBlocks: 0
; NumSGPRsForWavesPerEU: 1
; NumVGPRsForWavesPerEU: 1
; Occupancy: 16
; WaveLimiterHint : 0
; COMPUTE_PGM_RSRC2:SCRATCH_EN: 0
; COMPUTE_PGM_RSRC2:USER_SGPR: 15
; COMPUTE_PGM_RSRC2:TRAP_HANDLER: 0
; COMPUTE_PGM_RSRC2:TGID_X_EN: 1
; COMPUTE_PGM_RSRC2:TGID_Y_EN: 0
; COMPUTE_PGM_RSRC2:TGID_Z_EN: 0
; COMPUTE_PGM_RSRC2:TIDIG_COMP_CNT: 0
	.section	.text._ZN7rocprim17ROCPRIM_400000_NS6detail17trampoline_kernelINS0_14default_configENS1_22reduce_config_selectorIN6thrust23THRUST_200600_302600_NS5tupleIblNS6_9null_typeES8_S8_S8_S8_S8_S8_S8_EEEEZNS1_11reduce_implILb1ES3_NS6_12zip_iteratorINS7_INS6_11hip_rocprim26transform_input_iterator_tIbNSD_35transform_pair_of_input_iterators_tIbNS6_6detail15normal_iteratorINS6_10device_ptrIKtEEEESL_NS6_8equal_toItEEEENSG_9not_fun_tINSD_8identityEEEEENSD_19counting_iterator_tIlEES8_S8_S8_S8_S8_S8_S8_S8_EEEEPS9_S9_NSD_9__find_if7functorIS9_EEEE10hipError_tPvRmT1_T2_T3_mT4_P12ihipStream_tbEUlT_E0_NS1_11comp_targetILNS1_3genE5ELNS1_11target_archE942ELNS1_3gpuE9ELNS1_3repE0EEENS1_30default_config_static_selectorELNS0_4arch9wavefront6targetE0EEEvS14_,"axG",@progbits,_ZN7rocprim17ROCPRIM_400000_NS6detail17trampoline_kernelINS0_14default_configENS1_22reduce_config_selectorIN6thrust23THRUST_200600_302600_NS5tupleIblNS6_9null_typeES8_S8_S8_S8_S8_S8_S8_EEEEZNS1_11reduce_implILb1ES3_NS6_12zip_iteratorINS7_INS6_11hip_rocprim26transform_input_iterator_tIbNSD_35transform_pair_of_input_iterators_tIbNS6_6detail15normal_iteratorINS6_10device_ptrIKtEEEESL_NS6_8equal_toItEEEENSG_9not_fun_tINSD_8identityEEEEENSD_19counting_iterator_tIlEES8_S8_S8_S8_S8_S8_S8_S8_EEEEPS9_S9_NSD_9__find_if7functorIS9_EEEE10hipError_tPvRmT1_T2_T3_mT4_P12ihipStream_tbEUlT_E0_NS1_11comp_targetILNS1_3genE5ELNS1_11target_archE942ELNS1_3gpuE9ELNS1_3repE0EEENS1_30default_config_static_selectorELNS0_4arch9wavefront6targetE0EEEvS14_,comdat
	.protected	_ZN7rocprim17ROCPRIM_400000_NS6detail17trampoline_kernelINS0_14default_configENS1_22reduce_config_selectorIN6thrust23THRUST_200600_302600_NS5tupleIblNS6_9null_typeES8_S8_S8_S8_S8_S8_S8_EEEEZNS1_11reduce_implILb1ES3_NS6_12zip_iteratorINS7_INS6_11hip_rocprim26transform_input_iterator_tIbNSD_35transform_pair_of_input_iterators_tIbNS6_6detail15normal_iteratorINS6_10device_ptrIKtEEEESL_NS6_8equal_toItEEEENSG_9not_fun_tINSD_8identityEEEEENSD_19counting_iterator_tIlEES8_S8_S8_S8_S8_S8_S8_S8_EEEEPS9_S9_NSD_9__find_if7functorIS9_EEEE10hipError_tPvRmT1_T2_T3_mT4_P12ihipStream_tbEUlT_E0_NS1_11comp_targetILNS1_3genE5ELNS1_11target_archE942ELNS1_3gpuE9ELNS1_3repE0EEENS1_30default_config_static_selectorELNS0_4arch9wavefront6targetE0EEEvS14_ ; -- Begin function _ZN7rocprim17ROCPRIM_400000_NS6detail17trampoline_kernelINS0_14default_configENS1_22reduce_config_selectorIN6thrust23THRUST_200600_302600_NS5tupleIblNS6_9null_typeES8_S8_S8_S8_S8_S8_S8_EEEEZNS1_11reduce_implILb1ES3_NS6_12zip_iteratorINS7_INS6_11hip_rocprim26transform_input_iterator_tIbNSD_35transform_pair_of_input_iterators_tIbNS6_6detail15normal_iteratorINS6_10device_ptrIKtEEEESL_NS6_8equal_toItEEEENSG_9not_fun_tINSD_8identityEEEEENSD_19counting_iterator_tIlEES8_S8_S8_S8_S8_S8_S8_S8_EEEEPS9_S9_NSD_9__find_if7functorIS9_EEEE10hipError_tPvRmT1_T2_T3_mT4_P12ihipStream_tbEUlT_E0_NS1_11comp_targetILNS1_3genE5ELNS1_11target_archE942ELNS1_3gpuE9ELNS1_3repE0EEENS1_30default_config_static_selectorELNS0_4arch9wavefront6targetE0EEEvS14_
	.globl	_ZN7rocprim17ROCPRIM_400000_NS6detail17trampoline_kernelINS0_14default_configENS1_22reduce_config_selectorIN6thrust23THRUST_200600_302600_NS5tupleIblNS6_9null_typeES8_S8_S8_S8_S8_S8_S8_EEEEZNS1_11reduce_implILb1ES3_NS6_12zip_iteratorINS7_INS6_11hip_rocprim26transform_input_iterator_tIbNSD_35transform_pair_of_input_iterators_tIbNS6_6detail15normal_iteratorINS6_10device_ptrIKtEEEESL_NS6_8equal_toItEEEENSG_9not_fun_tINSD_8identityEEEEENSD_19counting_iterator_tIlEES8_S8_S8_S8_S8_S8_S8_S8_EEEEPS9_S9_NSD_9__find_if7functorIS9_EEEE10hipError_tPvRmT1_T2_T3_mT4_P12ihipStream_tbEUlT_E0_NS1_11comp_targetILNS1_3genE5ELNS1_11target_archE942ELNS1_3gpuE9ELNS1_3repE0EEENS1_30default_config_static_selectorELNS0_4arch9wavefront6targetE0EEEvS14_
	.p2align	8
	.type	_ZN7rocprim17ROCPRIM_400000_NS6detail17trampoline_kernelINS0_14default_configENS1_22reduce_config_selectorIN6thrust23THRUST_200600_302600_NS5tupleIblNS6_9null_typeES8_S8_S8_S8_S8_S8_S8_EEEEZNS1_11reduce_implILb1ES3_NS6_12zip_iteratorINS7_INS6_11hip_rocprim26transform_input_iterator_tIbNSD_35transform_pair_of_input_iterators_tIbNS6_6detail15normal_iteratorINS6_10device_ptrIKtEEEESL_NS6_8equal_toItEEEENSG_9not_fun_tINSD_8identityEEEEENSD_19counting_iterator_tIlEES8_S8_S8_S8_S8_S8_S8_S8_EEEEPS9_S9_NSD_9__find_if7functorIS9_EEEE10hipError_tPvRmT1_T2_T3_mT4_P12ihipStream_tbEUlT_E0_NS1_11comp_targetILNS1_3genE5ELNS1_11target_archE942ELNS1_3gpuE9ELNS1_3repE0EEENS1_30default_config_static_selectorELNS0_4arch9wavefront6targetE0EEEvS14_,@function
_ZN7rocprim17ROCPRIM_400000_NS6detail17trampoline_kernelINS0_14default_configENS1_22reduce_config_selectorIN6thrust23THRUST_200600_302600_NS5tupleIblNS6_9null_typeES8_S8_S8_S8_S8_S8_S8_EEEEZNS1_11reduce_implILb1ES3_NS6_12zip_iteratorINS7_INS6_11hip_rocprim26transform_input_iterator_tIbNSD_35transform_pair_of_input_iterators_tIbNS6_6detail15normal_iteratorINS6_10device_ptrIKtEEEESL_NS6_8equal_toItEEEENSG_9not_fun_tINSD_8identityEEEEENSD_19counting_iterator_tIlEES8_S8_S8_S8_S8_S8_S8_S8_EEEEPS9_S9_NSD_9__find_if7functorIS9_EEEE10hipError_tPvRmT1_T2_T3_mT4_P12ihipStream_tbEUlT_E0_NS1_11comp_targetILNS1_3genE5ELNS1_11target_archE942ELNS1_3gpuE9ELNS1_3repE0EEENS1_30default_config_static_selectorELNS0_4arch9wavefront6targetE0EEEvS14_: ; @_ZN7rocprim17ROCPRIM_400000_NS6detail17trampoline_kernelINS0_14default_configENS1_22reduce_config_selectorIN6thrust23THRUST_200600_302600_NS5tupleIblNS6_9null_typeES8_S8_S8_S8_S8_S8_S8_EEEEZNS1_11reduce_implILb1ES3_NS6_12zip_iteratorINS7_INS6_11hip_rocprim26transform_input_iterator_tIbNSD_35transform_pair_of_input_iterators_tIbNS6_6detail15normal_iteratorINS6_10device_ptrIKtEEEESL_NS6_8equal_toItEEEENSG_9not_fun_tINSD_8identityEEEEENSD_19counting_iterator_tIlEES8_S8_S8_S8_S8_S8_S8_S8_EEEEPS9_S9_NSD_9__find_if7functorIS9_EEEE10hipError_tPvRmT1_T2_T3_mT4_P12ihipStream_tbEUlT_E0_NS1_11comp_targetILNS1_3genE5ELNS1_11target_archE942ELNS1_3gpuE9ELNS1_3repE0EEENS1_30default_config_static_selectorELNS0_4arch9wavefront6targetE0EEEvS14_
; %bb.0:
	.section	.rodata,"a",@progbits
	.p2align	6, 0x0
	.amdhsa_kernel _ZN7rocprim17ROCPRIM_400000_NS6detail17trampoline_kernelINS0_14default_configENS1_22reduce_config_selectorIN6thrust23THRUST_200600_302600_NS5tupleIblNS6_9null_typeES8_S8_S8_S8_S8_S8_S8_EEEEZNS1_11reduce_implILb1ES3_NS6_12zip_iteratorINS7_INS6_11hip_rocprim26transform_input_iterator_tIbNSD_35transform_pair_of_input_iterators_tIbNS6_6detail15normal_iteratorINS6_10device_ptrIKtEEEESL_NS6_8equal_toItEEEENSG_9not_fun_tINSD_8identityEEEEENSD_19counting_iterator_tIlEES8_S8_S8_S8_S8_S8_S8_S8_EEEEPS9_S9_NSD_9__find_if7functorIS9_EEEE10hipError_tPvRmT1_T2_T3_mT4_P12ihipStream_tbEUlT_E0_NS1_11comp_targetILNS1_3genE5ELNS1_11target_archE942ELNS1_3gpuE9ELNS1_3repE0EEENS1_30default_config_static_selectorELNS0_4arch9wavefront6targetE0EEEvS14_
		.amdhsa_group_segment_fixed_size 0
		.amdhsa_private_segment_fixed_size 0
		.amdhsa_kernarg_size 104
		.amdhsa_user_sgpr_count 15
		.amdhsa_user_sgpr_dispatch_ptr 0
		.amdhsa_user_sgpr_queue_ptr 0
		.amdhsa_user_sgpr_kernarg_segment_ptr 1
		.amdhsa_user_sgpr_dispatch_id 0
		.amdhsa_user_sgpr_private_segment_size 0
		.amdhsa_wavefront_size32 1
		.amdhsa_uses_dynamic_stack 0
		.amdhsa_enable_private_segment 0
		.amdhsa_system_sgpr_workgroup_id_x 1
		.amdhsa_system_sgpr_workgroup_id_y 0
		.amdhsa_system_sgpr_workgroup_id_z 0
		.amdhsa_system_sgpr_workgroup_info 0
		.amdhsa_system_vgpr_workitem_id 0
		.amdhsa_next_free_vgpr 1
		.amdhsa_next_free_sgpr 1
		.amdhsa_reserve_vcc 0
		.amdhsa_float_round_mode_32 0
		.amdhsa_float_round_mode_16_64 0
		.amdhsa_float_denorm_mode_32 3
		.amdhsa_float_denorm_mode_16_64 3
		.amdhsa_dx10_clamp 1
		.amdhsa_ieee_mode 1
		.amdhsa_fp16_overflow 0
		.amdhsa_workgroup_processor_mode 1
		.amdhsa_memory_ordered 1
		.amdhsa_forward_progress 0
		.amdhsa_shared_vgpr_count 0
		.amdhsa_exception_fp_ieee_invalid_op 0
		.amdhsa_exception_fp_denorm_src 0
		.amdhsa_exception_fp_ieee_div_zero 0
		.amdhsa_exception_fp_ieee_overflow 0
		.amdhsa_exception_fp_ieee_underflow 0
		.amdhsa_exception_fp_ieee_inexact 0
		.amdhsa_exception_int_div_zero 0
	.end_amdhsa_kernel
	.section	.text._ZN7rocprim17ROCPRIM_400000_NS6detail17trampoline_kernelINS0_14default_configENS1_22reduce_config_selectorIN6thrust23THRUST_200600_302600_NS5tupleIblNS6_9null_typeES8_S8_S8_S8_S8_S8_S8_EEEEZNS1_11reduce_implILb1ES3_NS6_12zip_iteratorINS7_INS6_11hip_rocprim26transform_input_iterator_tIbNSD_35transform_pair_of_input_iterators_tIbNS6_6detail15normal_iteratorINS6_10device_ptrIKtEEEESL_NS6_8equal_toItEEEENSG_9not_fun_tINSD_8identityEEEEENSD_19counting_iterator_tIlEES8_S8_S8_S8_S8_S8_S8_S8_EEEEPS9_S9_NSD_9__find_if7functorIS9_EEEE10hipError_tPvRmT1_T2_T3_mT4_P12ihipStream_tbEUlT_E0_NS1_11comp_targetILNS1_3genE5ELNS1_11target_archE942ELNS1_3gpuE9ELNS1_3repE0EEENS1_30default_config_static_selectorELNS0_4arch9wavefront6targetE0EEEvS14_,"axG",@progbits,_ZN7rocprim17ROCPRIM_400000_NS6detail17trampoline_kernelINS0_14default_configENS1_22reduce_config_selectorIN6thrust23THRUST_200600_302600_NS5tupleIblNS6_9null_typeES8_S8_S8_S8_S8_S8_S8_EEEEZNS1_11reduce_implILb1ES3_NS6_12zip_iteratorINS7_INS6_11hip_rocprim26transform_input_iterator_tIbNSD_35transform_pair_of_input_iterators_tIbNS6_6detail15normal_iteratorINS6_10device_ptrIKtEEEESL_NS6_8equal_toItEEEENSG_9not_fun_tINSD_8identityEEEEENSD_19counting_iterator_tIlEES8_S8_S8_S8_S8_S8_S8_S8_EEEEPS9_S9_NSD_9__find_if7functorIS9_EEEE10hipError_tPvRmT1_T2_T3_mT4_P12ihipStream_tbEUlT_E0_NS1_11comp_targetILNS1_3genE5ELNS1_11target_archE942ELNS1_3gpuE9ELNS1_3repE0EEENS1_30default_config_static_selectorELNS0_4arch9wavefront6targetE0EEEvS14_,comdat
.Lfunc_end831:
	.size	_ZN7rocprim17ROCPRIM_400000_NS6detail17trampoline_kernelINS0_14default_configENS1_22reduce_config_selectorIN6thrust23THRUST_200600_302600_NS5tupleIblNS6_9null_typeES8_S8_S8_S8_S8_S8_S8_EEEEZNS1_11reduce_implILb1ES3_NS6_12zip_iteratorINS7_INS6_11hip_rocprim26transform_input_iterator_tIbNSD_35transform_pair_of_input_iterators_tIbNS6_6detail15normal_iteratorINS6_10device_ptrIKtEEEESL_NS6_8equal_toItEEEENSG_9not_fun_tINSD_8identityEEEEENSD_19counting_iterator_tIlEES8_S8_S8_S8_S8_S8_S8_S8_EEEEPS9_S9_NSD_9__find_if7functorIS9_EEEE10hipError_tPvRmT1_T2_T3_mT4_P12ihipStream_tbEUlT_E0_NS1_11comp_targetILNS1_3genE5ELNS1_11target_archE942ELNS1_3gpuE9ELNS1_3repE0EEENS1_30default_config_static_selectorELNS0_4arch9wavefront6targetE0EEEvS14_, .Lfunc_end831-_ZN7rocprim17ROCPRIM_400000_NS6detail17trampoline_kernelINS0_14default_configENS1_22reduce_config_selectorIN6thrust23THRUST_200600_302600_NS5tupleIblNS6_9null_typeES8_S8_S8_S8_S8_S8_S8_EEEEZNS1_11reduce_implILb1ES3_NS6_12zip_iteratorINS7_INS6_11hip_rocprim26transform_input_iterator_tIbNSD_35transform_pair_of_input_iterators_tIbNS6_6detail15normal_iteratorINS6_10device_ptrIKtEEEESL_NS6_8equal_toItEEEENSG_9not_fun_tINSD_8identityEEEEENSD_19counting_iterator_tIlEES8_S8_S8_S8_S8_S8_S8_S8_EEEEPS9_S9_NSD_9__find_if7functorIS9_EEEE10hipError_tPvRmT1_T2_T3_mT4_P12ihipStream_tbEUlT_E0_NS1_11comp_targetILNS1_3genE5ELNS1_11target_archE942ELNS1_3gpuE9ELNS1_3repE0EEENS1_30default_config_static_selectorELNS0_4arch9wavefront6targetE0EEEvS14_
                                        ; -- End function
	.section	.AMDGPU.csdata,"",@progbits
; Kernel info:
; codeLenInByte = 0
; NumSgprs: 0
; NumVgprs: 0
; ScratchSize: 0
; MemoryBound: 0
; FloatMode: 240
; IeeeMode: 1
; LDSByteSize: 0 bytes/workgroup (compile time only)
; SGPRBlocks: 0
; VGPRBlocks: 0
; NumSGPRsForWavesPerEU: 1
; NumVGPRsForWavesPerEU: 1
; Occupancy: 16
; WaveLimiterHint : 0
; COMPUTE_PGM_RSRC2:SCRATCH_EN: 0
; COMPUTE_PGM_RSRC2:USER_SGPR: 15
; COMPUTE_PGM_RSRC2:TRAP_HANDLER: 0
; COMPUTE_PGM_RSRC2:TGID_X_EN: 1
; COMPUTE_PGM_RSRC2:TGID_Y_EN: 0
; COMPUTE_PGM_RSRC2:TGID_Z_EN: 0
; COMPUTE_PGM_RSRC2:TIDIG_COMP_CNT: 0
	.section	.text._ZN7rocprim17ROCPRIM_400000_NS6detail17trampoline_kernelINS0_14default_configENS1_22reduce_config_selectorIN6thrust23THRUST_200600_302600_NS5tupleIblNS6_9null_typeES8_S8_S8_S8_S8_S8_S8_EEEEZNS1_11reduce_implILb1ES3_NS6_12zip_iteratorINS7_INS6_11hip_rocprim26transform_input_iterator_tIbNSD_35transform_pair_of_input_iterators_tIbNS6_6detail15normal_iteratorINS6_10device_ptrIKtEEEESL_NS6_8equal_toItEEEENSG_9not_fun_tINSD_8identityEEEEENSD_19counting_iterator_tIlEES8_S8_S8_S8_S8_S8_S8_S8_EEEEPS9_S9_NSD_9__find_if7functorIS9_EEEE10hipError_tPvRmT1_T2_T3_mT4_P12ihipStream_tbEUlT_E0_NS1_11comp_targetILNS1_3genE4ELNS1_11target_archE910ELNS1_3gpuE8ELNS1_3repE0EEENS1_30default_config_static_selectorELNS0_4arch9wavefront6targetE0EEEvS14_,"axG",@progbits,_ZN7rocprim17ROCPRIM_400000_NS6detail17trampoline_kernelINS0_14default_configENS1_22reduce_config_selectorIN6thrust23THRUST_200600_302600_NS5tupleIblNS6_9null_typeES8_S8_S8_S8_S8_S8_S8_EEEEZNS1_11reduce_implILb1ES3_NS6_12zip_iteratorINS7_INS6_11hip_rocprim26transform_input_iterator_tIbNSD_35transform_pair_of_input_iterators_tIbNS6_6detail15normal_iteratorINS6_10device_ptrIKtEEEESL_NS6_8equal_toItEEEENSG_9not_fun_tINSD_8identityEEEEENSD_19counting_iterator_tIlEES8_S8_S8_S8_S8_S8_S8_S8_EEEEPS9_S9_NSD_9__find_if7functorIS9_EEEE10hipError_tPvRmT1_T2_T3_mT4_P12ihipStream_tbEUlT_E0_NS1_11comp_targetILNS1_3genE4ELNS1_11target_archE910ELNS1_3gpuE8ELNS1_3repE0EEENS1_30default_config_static_selectorELNS0_4arch9wavefront6targetE0EEEvS14_,comdat
	.protected	_ZN7rocprim17ROCPRIM_400000_NS6detail17trampoline_kernelINS0_14default_configENS1_22reduce_config_selectorIN6thrust23THRUST_200600_302600_NS5tupleIblNS6_9null_typeES8_S8_S8_S8_S8_S8_S8_EEEEZNS1_11reduce_implILb1ES3_NS6_12zip_iteratorINS7_INS6_11hip_rocprim26transform_input_iterator_tIbNSD_35transform_pair_of_input_iterators_tIbNS6_6detail15normal_iteratorINS6_10device_ptrIKtEEEESL_NS6_8equal_toItEEEENSG_9not_fun_tINSD_8identityEEEEENSD_19counting_iterator_tIlEES8_S8_S8_S8_S8_S8_S8_S8_EEEEPS9_S9_NSD_9__find_if7functorIS9_EEEE10hipError_tPvRmT1_T2_T3_mT4_P12ihipStream_tbEUlT_E0_NS1_11comp_targetILNS1_3genE4ELNS1_11target_archE910ELNS1_3gpuE8ELNS1_3repE0EEENS1_30default_config_static_selectorELNS0_4arch9wavefront6targetE0EEEvS14_ ; -- Begin function _ZN7rocprim17ROCPRIM_400000_NS6detail17trampoline_kernelINS0_14default_configENS1_22reduce_config_selectorIN6thrust23THRUST_200600_302600_NS5tupleIblNS6_9null_typeES8_S8_S8_S8_S8_S8_S8_EEEEZNS1_11reduce_implILb1ES3_NS6_12zip_iteratorINS7_INS6_11hip_rocprim26transform_input_iterator_tIbNSD_35transform_pair_of_input_iterators_tIbNS6_6detail15normal_iteratorINS6_10device_ptrIKtEEEESL_NS6_8equal_toItEEEENSG_9not_fun_tINSD_8identityEEEEENSD_19counting_iterator_tIlEES8_S8_S8_S8_S8_S8_S8_S8_EEEEPS9_S9_NSD_9__find_if7functorIS9_EEEE10hipError_tPvRmT1_T2_T3_mT4_P12ihipStream_tbEUlT_E0_NS1_11comp_targetILNS1_3genE4ELNS1_11target_archE910ELNS1_3gpuE8ELNS1_3repE0EEENS1_30default_config_static_selectorELNS0_4arch9wavefront6targetE0EEEvS14_
	.globl	_ZN7rocprim17ROCPRIM_400000_NS6detail17trampoline_kernelINS0_14default_configENS1_22reduce_config_selectorIN6thrust23THRUST_200600_302600_NS5tupleIblNS6_9null_typeES8_S8_S8_S8_S8_S8_S8_EEEEZNS1_11reduce_implILb1ES3_NS6_12zip_iteratorINS7_INS6_11hip_rocprim26transform_input_iterator_tIbNSD_35transform_pair_of_input_iterators_tIbNS6_6detail15normal_iteratorINS6_10device_ptrIKtEEEESL_NS6_8equal_toItEEEENSG_9not_fun_tINSD_8identityEEEEENSD_19counting_iterator_tIlEES8_S8_S8_S8_S8_S8_S8_S8_EEEEPS9_S9_NSD_9__find_if7functorIS9_EEEE10hipError_tPvRmT1_T2_T3_mT4_P12ihipStream_tbEUlT_E0_NS1_11comp_targetILNS1_3genE4ELNS1_11target_archE910ELNS1_3gpuE8ELNS1_3repE0EEENS1_30default_config_static_selectorELNS0_4arch9wavefront6targetE0EEEvS14_
	.p2align	8
	.type	_ZN7rocprim17ROCPRIM_400000_NS6detail17trampoline_kernelINS0_14default_configENS1_22reduce_config_selectorIN6thrust23THRUST_200600_302600_NS5tupleIblNS6_9null_typeES8_S8_S8_S8_S8_S8_S8_EEEEZNS1_11reduce_implILb1ES3_NS6_12zip_iteratorINS7_INS6_11hip_rocprim26transform_input_iterator_tIbNSD_35transform_pair_of_input_iterators_tIbNS6_6detail15normal_iteratorINS6_10device_ptrIKtEEEESL_NS6_8equal_toItEEEENSG_9not_fun_tINSD_8identityEEEEENSD_19counting_iterator_tIlEES8_S8_S8_S8_S8_S8_S8_S8_EEEEPS9_S9_NSD_9__find_if7functorIS9_EEEE10hipError_tPvRmT1_T2_T3_mT4_P12ihipStream_tbEUlT_E0_NS1_11comp_targetILNS1_3genE4ELNS1_11target_archE910ELNS1_3gpuE8ELNS1_3repE0EEENS1_30default_config_static_selectorELNS0_4arch9wavefront6targetE0EEEvS14_,@function
_ZN7rocprim17ROCPRIM_400000_NS6detail17trampoline_kernelINS0_14default_configENS1_22reduce_config_selectorIN6thrust23THRUST_200600_302600_NS5tupleIblNS6_9null_typeES8_S8_S8_S8_S8_S8_S8_EEEEZNS1_11reduce_implILb1ES3_NS6_12zip_iteratorINS7_INS6_11hip_rocprim26transform_input_iterator_tIbNSD_35transform_pair_of_input_iterators_tIbNS6_6detail15normal_iteratorINS6_10device_ptrIKtEEEESL_NS6_8equal_toItEEEENSG_9not_fun_tINSD_8identityEEEEENSD_19counting_iterator_tIlEES8_S8_S8_S8_S8_S8_S8_S8_EEEEPS9_S9_NSD_9__find_if7functorIS9_EEEE10hipError_tPvRmT1_T2_T3_mT4_P12ihipStream_tbEUlT_E0_NS1_11comp_targetILNS1_3genE4ELNS1_11target_archE910ELNS1_3gpuE8ELNS1_3repE0EEENS1_30default_config_static_selectorELNS0_4arch9wavefront6targetE0EEEvS14_: ; @_ZN7rocprim17ROCPRIM_400000_NS6detail17trampoline_kernelINS0_14default_configENS1_22reduce_config_selectorIN6thrust23THRUST_200600_302600_NS5tupleIblNS6_9null_typeES8_S8_S8_S8_S8_S8_S8_EEEEZNS1_11reduce_implILb1ES3_NS6_12zip_iteratorINS7_INS6_11hip_rocprim26transform_input_iterator_tIbNSD_35transform_pair_of_input_iterators_tIbNS6_6detail15normal_iteratorINS6_10device_ptrIKtEEEESL_NS6_8equal_toItEEEENSG_9not_fun_tINSD_8identityEEEEENSD_19counting_iterator_tIlEES8_S8_S8_S8_S8_S8_S8_S8_EEEEPS9_S9_NSD_9__find_if7functorIS9_EEEE10hipError_tPvRmT1_T2_T3_mT4_P12ihipStream_tbEUlT_E0_NS1_11comp_targetILNS1_3genE4ELNS1_11target_archE910ELNS1_3gpuE8ELNS1_3repE0EEENS1_30default_config_static_selectorELNS0_4arch9wavefront6targetE0EEEvS14_
; %bb.0:
	.section	.rodata,"a",@progbits
	.p2align	6, 0x0
	.amdhsa_kernel _ZN7rocprim17ROCPRIM_400000_NS6detail17trampoline_kernelINS0_14default_configENS1_22reduce_config_selectorIN6thrust23THRUST_200600_302600_NS5tupleIblNS6_9null_typeES8_S8_S8_S8_S8_S8_S8_EEEEZNS1_11reduce_implILb1ES3_NS6_12zip_iteratorINS7_INS6_11hip_rocprim26transform_input_iterator_tIbNSD_35transform_pair_of_input_iterators_tIbNS6_6detail15normal_iteratorINS6_10device_ptrIKtEEEESL_NS6_8equal_toItEEEENSG_9not_fun_tINSD_8identityEEEEENSD_19counting_iterator_tIlEES8_S8_S8_S8_S8_S8_S8_S8_EEEEPS9_S9_NSD_9__find_if7functorIS9_EEEE10hipError_tPvRmT1_T2_T3_mT4_P12ihipStream_tbEUlT_E0_NS1_11comp_targetILNS1_3genE4ELNS1_11target_archE910ELNS1_3gpuE8ELNS1_3repE0EEENS1_30default_config_static_selectorELNS0_4arch9wavefront6targetE0EEEvS14_
		.amdhsa_group_segment_fixed_size 0
		.amdhsa_private_segment_fixed_size 0
		.amdhsa_kernarg_size 104
		.amdhsa_user_sgpr_count 15
		.amdhsa_user_sgpr_dispatch_ptr 0
		.amdhsa_user_sgpr_queue_ptr 0
		.amdhsa_user_sgpr_kernarg_segment_ptr 1
		.amdhsa_user_sgpr_dispatch_id 0
		.amdhsa_user_sgpr_private_segment_size 0
		.amdhsa_wavefront_size32 1
		.amdhsa_uses_dynamic_stack 0
		.amdhsa_enable_private_segment 0
		.amdhsa_system_sgpr_workgroup_id_x 1
		.amdhsa_system_sgpr_workgroup_id_y 0
		.amdhsa_system_sgpr_workgroup_id_z 0
		.amdhsa_system_sgpr_workgroup_info 0
		.amdhsa_system_vgpr_workitem_id 0
		.amdhsa_next_free_vgpr 1
		.amdhsa_next_free_sgpr 1
		.amdhsa_reserve_vcc 0
		.amdhsa_float_round_mode_32 0
		.amdhsa_float_round_mode_16_64 0
		.amdhsa_float_denorm_mode_32 3
		.amdhsa_float_denorm_mode_16_64 3
		.amdhsa_dx10_clamp 1
		.amdhsa_ieee_mode 1
		.amdhsa_fp16_overflow 0
		.amdhsa_workgroup_processor_mode 1
		.amdhsa_memory_ordered 1
		.amdhsa_forward_progress 0
		.amdhsa_shared_vgpr_count 0
		.amdhsa_exception_fp_ieee_invalid_op 0
		.amdhsa_exception_fp_denorm_src 0
		.amdhsa_exception_fp_ieee_div_zero 0
		.amdhsa_exception_fp_ieee_overflow 0
		.amdhsa_exception_fp_ieee_underflow 0
		.amdhsa_exception_fp_ieee_inexact 0
		.amdhsa_exception_int_div_zero 0
	.end_amdhsa_kernel
	.section	.text._ZN7rocprim17ROCPRIM_400000_NS6detail17trampoline_kernelINS0_14default_configENS1_22reduce_config_selectorIN6thrust23THRUST_200600_302600_NS5tupleIblNS6_9null_typeES8_S8_S8_S8_S8_S8_S8_EEEEZNS1_11reduce_implILb1ES3_NS6_12zip_iteratorINS7_INS6_11hip_rocprim26transform_input_iterator_tIbNSD_35transform_pair_of_input_iterators_tIbNS6_6detail15normal_iteratorINS6_10device_ptrIKtEEEESL_NS6_8equal_toItEEEENSG_9not_fun_tINSD_8identityEEEEENSD_19counting_iterator_tIlEES8_S8_S8_S8_S8_S8_S8_S8_EEEEPS9_S9_NSD_9__find_if7functorIS9_EEEE10hipError_tPvRmT1_T2_T3_mT4_P12ihipStream_tbEUlT_E0_NS1_11comp_targetILNS1_3genE4ELNS1_11target_archE910ELNS1_3gpuE8ELNS1_3repE0EEENS1_30default_config_static_selectorELNS0_4arch9wavefront6targetE0EEEvS14_,"axG",@progbits,_ZN7rocprim17ROCPRIM_400000_NS6detail17trampoline_kernelINS0_14default_configENS1_22reduce_config_selectorIN6thrust23THRUST_200600_302600_NS5tupleIblNS6_9null_typeES8_S8_S8_S8_S8_S8_S8_EEEEZNS1_11reduce_implILb1ES3_NS6_12zip_iteratorINS7_INS6_11hip_rocprim26transform_input_iterator_tIbNSD_35transform_pair_of_input_iterators_tIbNS6_6detail15normal_iteratorINS6_10device_ptrIKtEEEESL_NS6_8equal_toItEEEENSG_9not_fun_tINSD_8identityEEEEENSD_19counting_iterator_tIlEES8_S8_S8_S8_S8_S8_S8_S8_EEEEPS9_S9_NSD_9__find_if7functorIS9_EEEE10hipError_tPvRmT1_T2_T3_mT4_P12ihipStream_tbEUlT_E0_NS1_11comp_targetILNS1_3genE4ELNS1_11target_archE910ELNS1_3gpuE8ELNS1_3repE0EEENS1_30default_config_static_selectorELNS0_4arch9wavefront6targetE0EEEvS14_,comdat
.Lfunc_end832:
	.size	_ZN7rocprim17ROCPRIM_400000_NS6detail17trampoline_kernelINS0_14default_configENS1_22reduce_config_selectorIN6thrust23THRUST_200600_302600_NS5tupleIblNS6_9null_typeES8_S8_S8_S8_S8_S8_S8_EEEEZNS1_11reduce_implILb1ES3_NS6_12zip_iteratorINS7_INS6_11hip_rocprim26transform_input_iterator_tIbNSD_35transform_pair_of_input_iterators_tIbNS6_6detail15normal_iteratorINS6_10device_ptrIKtEEEESL_NS6_8equal_toItEEEENSG_9not_fun_tINSD_8identityEEEEENSD_19counting_iterator_tIlEES8_S8_S8_S8_S8_S8_S8_S8_EEEEPS9_S9_NSD_9__find_if7functorIS9_EEEE10hipError_tPvRmT1_T2_T3_mT4_P12ihipStream_tbEUlT_E0_NS1_11comp_targetILNS1_3genE4ELNS1_11target_archE910ELNS1_3gpuE8ELNS1_3repE0EEENS1_30default_config_static_selectorELNS0_4arch9wavefront6targetE0EEEvS14_, .Lfunc_end832-_ZN7rocprim17ROCPRIM_400000_NS6detail17trampoline_kernelINS0_14default_configENS1_22reduce_config_selectorIN6thrust23THRUST_200600_302600_NS5tupleIblNS6_9null_typeES8_S8_S8_S8_S8_S8_S8_EEEEZNS1_11reduce_implILb1ES3_NS6_12zip_iteratorINS7_INS6_11hip_rocprim26transform_input_iterator_tIbNSD_35transform_pair_of_input_iterators_tIbNS6_6detail15normal_iteratorINS6_10device_ptrIKtEEEESL_NS6_8equal_toItEEEENSG_9not_fun_tINSD_8identityEEEEENSD_19counting_iterator_tIlEES8_S8_S8_S8_S8_S8_S8_S8_EEEEPS9_S9_NSD_9__find_if7functorIS9_EEEE10hipError_tPvRmT1_T2_T3_mT4_P12ihipStream_tbEUlT_E0_NS1_11comp_targetILNS1_3genE4ELNS1_11target_archE910ELNS1_3gpuE8ELNS1_3repE0EEENS1_30default_config_static_selectorELNS0_4arch9wavefront6targetE0EEEvS14_
                                        ; -- End function
	.section	.AMDGPU.csdata,"",@progbits
; Kernel info:
; codeLenInByte = 0
; NumSgprs: 0
; NumVgprs: 0
; ScratchSize: 0
; MemoryBound: 0
; FloatMode: 240
; IeeeMode: 1
; LDSByteSize: 0 bytes/workgroup (compile time only)
; SGPRBlocks: 0
; VGPRBlocks: 0
; NumSGPRsForWavesPerEU: 1
; NumVGPRsForWavesPerEU: 1
; Occupancy: 16
; WaveLimiterHint : 0
; COMPUTE_PGM_RSRC2:SCRATCH_EN: 0
; COMPUTE_PGM_RSRC2:USER_SGPR: 15
; COMPUTE_PGM_RSRC2:TRAP_HANDLER: 0
; COMPUTE_PGM_RSRC2:TGID_X_EN: 1
; COMPUTE_PGM_RSRC2:TGID_Y_EN: 0
; COMPUTE_PGM_RSRC2:TGID_Z_EN: 0
; COMPUTE_PGM_RSRC2:TIDIG_COMP_CNT: 0
	.section	.text._ZN7rocprim17ROCPRIM_400000_NS6detail17trampoline_kernelINS0_14default_configENS1_22reduce_config_selectorIN6thrust23THRUST_200600_302600_NS5tupleIblNS6_9null_typeES8_S8_S8_S8_S8_S8_S8_EEEEZNS1_11reduce_implILb1ES3_NS6_12zip_iteratorINS7_INS6_11hip_rocprim26transform_input_iterator_tIbNSD_35transform_pair_of_input_iterators_tIbNS6_6detail15normal_iteratorINS6_10device_ptrIKtEEEESL_NS6_8equal_toItEEEENSG_9not_fun_tINSD_8identityEEEEENSD_19counting_iterator_tIlEES8_S8_S8_S8_S8_S8_S8_S8_EEEEPS9_S9_NSD_9__find_if7functorIS9_EEEE10hipError_tPvRmT1_T2_T3_mT4_P12ihipStream_tbEUlT_E0_NS1_11comp_targetILNS1_3genE3ELNS1_11target_archE908ELNS1_3gpuE7ELNS1_3repE0EEENS1_30default_config_static_selectorELNS0_4arch9wavefront6targetE0EEEvS14_,"axG",@progbits,_ZN7rocprim17ROCPRIM_400000_NS6detail17trampoline_kernelINS0_14default_configENS1_22reduce_config_selectorIN6thrust23THRUST_200600_302600_NS5tupleIblNS6_9null_typeES8_S8_S8_S8_S8_S8_S8_EEEEZNS1_11reduce_implILb1ES3_NS6_12zip_iteratorINS7_INS6_11hip_rocprim26transform_input_iterator_tIbNSD_35transform_pair_of_input_iterators_tIbNS6_6detail15normal_iteratorINS6_10device_ptrIKtEEEESL_NS6_8equal_toItEEEENSG_9not_fun_tINSD_8identityEEEEENSD_19counting_iterator_tIlEES8_S8_S8_S8_S8_S8_S8_S8_EEEEPS9_S9_NSD_9__find_if7functorIS9_EEEE10hipError_tPvRmT1_T2_T3_mT4_P12ihipStream_tbEUlT_E0_NS1_11comp_targetILNS1_3genE3ELNS1_11target_archE908ELNS1_3gpuE7ELNS1_3repE0EEENS1_30default_config_static_selectorELNS0_4arch9wavefront6targetE0EEEvS14_,comdat
	.protected	_ZN7rocprim17ROCPRIM_400000_NS6detail17trampoline_kernelINS0_14default_configENS1_22reduce_config_selectorIN6thrust23THRUST_200600_302600_NS5tupleIblNS6_9null_typeES8_S8_S8_S8_S8_S8_S8_EEEEZNS1_11reduce_implILb1ES3_NS6_12zip_iteratorINS7_INS6_11hip_rocprim26transform_input_iterator_tIbNSD_35transform_pair_of_input_iterators_tIbNS6_6detail15normal_iteratorINS6_10device_ptrIKtEEEESL_NS6_8equal_toItEEEENSG_9not_fun_tINSD_8identityEEEEENSD_19counting_iterator_tIlEES8_S8_S8_S8_S8_S8_S8_S8_EEEEPS9_S9_NSD_9__find_if7functorIS9_EEEE10hipError_tPvRmT1_T2_T3_mT4_P12ihipStream_tbEUlT_E0_NS1_11comp_targetILNS1_3genE3ELNS1_11target_archE908ELNS1_3gpuE7ELNS1_3repE0EEENS1_30default_config_static_selectorELNS0_4arch9wavefront6targetE0EEEvS14_ ; -- Begin function _ZN7rocprim17ROCPRIM_400000_NS6detail17trampoline_kernelINS0_14default_configENS1_22reduce_config_selectorIN6thrust23THRUST_200600_302600_NS5tupleIblNS6_9null_typeES8_S8_S8_S8_S8_S8_S8_EEEEZNS1_11reduce_implILb1ES3_NS6_12zip_iteratorINS7_INS6_11hip_rocprim26transform_input_iterator_tIbNSD_35transform_pair_of_input_iterators_tIbNS6_6detail15normal_iteratorINS6_10device_ptrIKtEEEESL_NS6_8equal_toItEEEENSG_9not_fun_tINSD_8identityEEEEENSD_19counting_iterator_tIlEES8_S8_S8_S8_S8_S8_S8_S8_EEEEPS9_S9_NSD_9__find_if7functorIS9_EEEE10hipError_tPvRmT1_T2_T3_mT4_P12ihipStream_tbEUlT_E0_NS1_11comp_targetILNS1_3genE3ELNS1_11target_archE908ELNS1_3gpuE7ELNS1_3repE0EEENS1_30default_config_static_selectorELNS0_4arch9wavefront6targetE0EEEvS14_
	.globl	_ZN7rocprim17ROCPRIM_400000_NS6detail17trampoline_kernelINS0_14default_configENS1_22reduce_config_selectorIN6thrust23THRUST_200600_302600_NS5tupleIblNS6_9null_typeES8_S8_S8_S8_S8_S8_S8_EEEEZNS1_11reduce_implILb1ES3_NS6_12zip_iteratorINS7_INS6_11hip_rocprim26transform_input_iterator_tIbNSD_35transform_pair_of_input_iterators_tIbNS6_6detail15normal_iteratorINS6_10device_ptrIKtEEEESL_NS6_8equal_toItEEEENSG_9not_fun_tINSD_8identityEEEEENSD_19counting_iterator_tIlEES8_S8_S8_S8_S8_S8_S8_S8_EEEEPS9_S9_NSD_9__find_if7functorIS9_EEEE10hipError_tPvRmT1_T2_T3_mT4_P12ihipStream_tbEUlT_E0_NS1_11comp_targetILNS1_3genE3ELNS1_11target_archE908ELNS1_3gpuE7ELNS1_3repE0EEENS1_30default_config_static_selectorELNS0_4arch9wavefront6targetE0EEEvS14_
	.p2align	8
	.type	_ZN7rocprim17ROCPRIM_400000_NS6detail17trampoline_kernelINS0_14default_configENS1_22reduce_config_selectorIN6thrust23THRUST_200600_302600_NS5tupleIblNS6_9null_typeES8_S8_S8_S8_S8_S8_S8_EEEEZNS1_11reduce_implILb1ES3_NS6_12zip_iteratorINS7_INS6_11hip_rocprim26transform_input_iterator_tIbNSD_35transform_pair_of_input_iterators_tIbNS6_6detail15normal_iteratorINS6_10device_ptrIKtEEEESL_NS6_8equal_toItEEEENSG_9not_fun_tINSD_8identityEEEEENSD_19counting_iterator_tIlEES8_S8_S8_S8_S8_S8_S8_S8_EEEEPS9_S9_NSD_9__find_if7functorIS9_EEEE10hipError_tPvRmT1_T2_T3_mT4_P12ihipStream_tbEUlT_E0_NS1_11comp_targetILNS1_3genE3ELNS1_11target_archE908ELNS1_3gpuE7ELNS1_3repE0EEENS1_30default_config_static_selectorELNS0_4arch9wavefront6targetE0EEEvS14_,@function
_ZN7rocprim17ROCPRIM_400000_NS6detail17trampoline_kernelINS0_14default_configENS1_22reduce_config_selectorIN6thrust23THRUST_200600_302600_NS5tupleIblNS6_9null_typeES8_S8_S8_S8_S8_S8_S8_EEEEZNS1_11reduce_implILb1ES3_NS6_12zip_iteratorINS7_INS6_11hip_rocprim26transform_input_iterator_tIbNSD_35transform_pair_of_input_iterators_tIbNS6_6detail15normal_iteratorINS6_10device_ptrIKtEEEESL_NS6_8equal_toItEEEENSG_9not_fun_tINSD_8identityEEEEENSD_19counting_iterator_tIlEES8_S8_S8_S8_S8_S8_S8_S8_EEEEPS9_S9_NSD_9__find_if7functorIS9_EEEE10hipError_tPvRmT1_T2_T3_mT4_P12ihipStream_tbEUlT_E0_NS1_11comp_targetILNS1_3genE3ELNS1_11target_archE908ELNS1_3gpuE7ELNS1_3repE0EEENS1_30default_config_static_selectorELNS0_4arch9wavefront6targetE0EEEvS14_: ; @_ZN7rocprim17ROCPRIM_400000_NS6detail17trampoline_kernelINS0_14default_configENS1_22reduce_config_selectorIN6thrust23THRUST_200600_302600_NS5tupleIblNS6_9null_typeES8_S8_S8_S8_S8_S8_S8_EEEEZNS1_11reduce_implILb1ES3_NS6_12zip_iteratorINS7_INS6_11hip_rocprim26transform_input_iterator_tIbNSD_35transform_pair_of_input_iterators_tIbNS6_6detail15normal_iteratorINS6_10device_ptrIKtEEEESL_NS6_8equal_toItEEEENSG_9not_fun_tINSD_8identityEEEEENSD_19counting_iterator_tIlEES8_S8_S8_S8_S8_S8_S8_S8_EEEEPS9_S9_NSD_9__find_if7functorIS9_EEEE10hipError_tPvRmT1_T2_T3_mT4_P12ihipStream_tbEUlT_E0_NS1_11comp_targetILNS1_3genE3ELNS1_11target_archE908ELNS1_3gpuE7ELNS1_3repE0EEENS1_30default_config_static_selectorELNS0_4arch9wavefront6targetE0EEEvS14_
; %bb.0:
	.section	.rodata,"a",@progbits
	.p2align	6, 0x0
	.amdhsa_kernel _ZN7rocprim17ROCPRIM_400000_NS6detail17trampoline_kernelINS0_14default_configENS1_22reduce_config_selectorIN6thrust23THRUST_200600_302600_NS5tupleIblNS6_9null_typeES8_S8_S8_S8_S8_S8_S8_EEEEZNS1_11reduce_implILb1ES3_NS6_12zip_iteratorINS7_INS6_11hip_rocprim26transform_input_iterator_tIbNSD_35transform_pair_of_input_iterators_tIbNS6_6detail15normal_iteratorINS6_10device_ptrIKtEEEESL_NS6_8equal_toItEEEENSG_9not_fun_tINSD_8identityEEEEENSD_19counting_iterator_tIlEES8_S8_S8_S8_S8_S8_S8_S8_EEEEPS9_S9_NSD_9__find_if7functorIS9_EEEE10hipError_tPvRmT1_T2_T3_mT4_P12ihipStream_tbEUlT_E0_NS1_11comp_targetILNS1_3genE3ELNS1_11target_archE908ELNS1_3gpuE7ELNS1_3repE0EEENS1_30default_config_static_selectorELNS0_4arch9wavefront6targetE0EEEvS14_
		.amdhsa_group_segment_fixed_size 0
		.amdhsa_private_segment_fixed_size 0
		.amdhsa_kernarg_size 104
		.amdhsa_user_sgpr_count 15
		.amdhsa_user_sgpr_dispatch_ptr 0
		.amdhsa_user_sgpr_queue_ptr 0
		.amdhsa_user_sgpr_kernarg_segment_ptr 1
		.amdhsa_user_sgpr_dispatch_id 0
		.amdhsa_user_sgpr_private_segment_size 0
		.amdhsa_wavefront_size32 1
		.amdhsa_uses_dynamic_stack 0
		.amdhsa_enable_private_segment 0
		.amdhsa_system_sgpr_workgroup_id_x 1
		.amdhsa_system_sgpr_workgroup_id_y 0
		.amdhsa_system_sgpr_workgroup_id_z 0
		.amdhsa_system_sgpr_workgroup_info 0
		.amdhsa_system_vgpr_workitem_id 0
		.amdhsa_next_free_vgpr 1
		.amdhsa_next_free_sgpr 1
		.amdhsa_reserve_vcc 0
		.amdhsa_float_round_mode_32 0
		.amdhsa_float_round_mode_16_64 0
		.amdhsa_float_denorm_mode_32 3
		.amdhsa_float_denorm_mode_16_64 3
		.amdhsa_dx10_clamp 1
		.amdhsa_ieee_mode 1
		.amdhsa_fp16_overflow 0
		.amdhsa_workgroup_processor_mode 1
		.amdhsa_memory_ordered 1
		.amdhsa_forward_progress 0
		.amdhsa_shared_vgpr_count 0
		.amdhsa_exception_fp_ieee_invalid_op 0
		.amdhsa_exception_fp_denorm_src 0
		.amdhsa_exception_fp_ieee_div_zero 0
		.amdhsa_exception_fp_ieee_overflow 0
		.amdhsa_exception_fp_ieee_underflow 0
		.amdhsa_exception_fp_ieee_inexact 0
		.amdhsa_exception_int_div_zero 0
	.end_amdhsa_kernel
	.section	.text._ZN7rocprim17ROCPRIM_400000_NS6detail17trampoline_kernelINS0_14default_configENS1_22reduce_config_selectorIN6thrust23THRUST_200600_302600_NS5tupleIblNS6_9null_typeES8_S8_S8_S8_S8_S8_S8_EEEEZNS1_11reduce_implILb1ES3_NS6_12zip_iteratorINS7_INS6_11hip_rocprim26transform_input_iterator_tIbNSD_35transform_pair_of_input_iterators_tIbNS6_6detail15normal_iteratorINS6_10device_ptrIKtEEEESL_NS6_8equal_toItEEEENSG_9not_fun_tINSD_8identityEEEEENSD_19counting_iterator_tIlEES8_S8_S8_S8_S8_S8_S8_S8_EEEEPS9_S9_NSD_9__find_if7functorIS9_EEEE10hipError_tPvRmT1_T2_T3_mT4_P12ihipStream_tbEUlT_E0_NS1_11comp_targetILNS1_3genE3ELNS1_11target_archE908ELNS1_3gpuE7ELNS1_3repE0EEENS1_30default_config_static_selectorELNS0_4arch9wavefront6targetE0EEEvS14_,"axG",@progbits,_ZN7rocprim17ROCPRIM_400000_NS6detail17trampoline_kernelINS0_14default_configENS1_22reduce_config_selectorIN6thrust23THRUST_200600_302600_NS5tupleIblNS6_9null_typeES8_S8_S8_S8_S8_S8_S8_EEEEZNS1_11reduce_implILb1ES3_NS6_12zip_iteratorINS7_INS6_11hip_rocprim26transform_input_iterator_tIbNSD_35transform_pair_of_input_iterators_tIbNS6_6detail15normal_iteratorINS6_10device_ptrIKtEEEESL_NS6_8equal_toItEEEENSG_9not_fun_tINSD_8identityEEEEENSD_19counting_iterator_tIlEES8_S8_S8_S8_S8_S8_S8_S8_EEEEPS9_S9_NSD_9__find_if7functorIS9_EEEE10hipError_tPvRmT1_T2_T3_mT4_P12ihipStream_tbEUlT_E0_NS1_11comp_targetILNS1_3genE3ELNS1_11target_archE908ELNS1_3gpuE7ELNS1_3repE0EEENS1_30default_config_static_selectorELNS0_4arch9wavefront6targetE0EEEvS14_,comdat
.Lfunc_end833:
	.size	_ZN7rocprim17ROCPRIM_400000_NS6detail17trampoline_kernelINS0_14default_configENS1_22reduce_config_selectorIN6thrust23THRUST_200600_302600_NS5tupleIblNS6_9null_typeES8_S8_S8_S8_S8_S8_S8_EEEEZNS1_11reduce_implILb1ES3_NS6_12zip_iteratorINS7_INS6_11hip_rocprim26transform_input_iterator_tIbNSD_35transform_pair_of_input_iterators_tIbNS6_6detail15normal_iteratorINS6_10device_ptrIKtEEEESL_NS6_8equal_toItEEEENSG_9not_fun_tINSD_8identityEEEEENSD_19counting_iterator_tIlEES8_S8_S8_S8_S8_S8_S8_S8_EEEEPS9_S9_NSD_9__find_if7functorIS9_EEEE10hipError_tPvRmT1_T2_T3_mT4_P12ihipStream_tbEUlT_E0_NS1_11comp_targetILNS1_3genE3ELNS1_11target_archE908ELNS1_3gpuE7ELNS1_3repE0EEENS1_30default_config_static_selectorELNS0_4arch9wavefront6targetE0EEEvS14_, .Lfunc_end833-_ZN7rocprim17ROCPRIM_400000_NS6detail17trampoline_kernelINS0_14default_configENS1_22reduce_config_selectorIN6thrust23THRUST_200600_302600_NS5tupleIblNS6_9null_typeES8_S8_S8_S8_S8_S8_S8_EEEEZNS1_11reduce_implILb1ES3_NS6_12zip_iteratorINS7_INS6_11hip_rocprim26transform_input_iterator_tIbNSD_35transform_pair_of_input_iterators_tIbNS6_6detail15normal_iteratorINS6_10device_ptrIKtEEEESL_NS6_8equal_toItEEEENSG_9not_fun_tINSD_8identityEEEEENSD_19counting_iterator_tIlEES8_S8_S8_S8_S8_S8_S8_S8_EEEEPS9_S9_NSD_9__find_if7functorIS9_EEEE10hipError_tPvRmT1_T2_T3_mT4_P12ihipStream_tbEUlT_E0_NS1_11comp_targetILNS1_3genE3ELNS1_11target_archE908ELNS1_3gpuE7ELNS1_3repE0EEENS1_30default_config_static_selectorELNS0_4arch9wavefront6targetE0EEEvS14_
                                        ; -- End function
	.section	.AMDGPU.csdata,"",@progbits
; Kernel info:
; codeLenInByte = 0
; NumSgprs: 0
; NumVgprs: 0
; ScratchSize: 0
; MemoryBound: 0
; FloatMode: 240
; IeeeMode: 1
; LDSByteSize: 0 bytes/workgroup (compile time only)
; SGPRBlocks: 0
; VGPRBlocks: 0
; NumSGPRsForWavesPerEU: 1
; NumVGPRsForWavesPerEU: 1
; Occupancy: 16
; WaveLimiterHint : 0
; COMPUTE_PGM_RSRC2:SCRATCH_EN: 0
; COMPUTE_PGM_RSRC2:USER_SGPR: 15
; COMPUTE_PGM_RSRC2:TRAP_HANDLER: 0
; COMPUTE_PGM_RSRC2:TGID_X_EN: 1
; COMPUTE_PGM_RSRC2:TGID_Y_EN: 0
; COMPUTE_PGM_RSRC2:TGID_Z_EN: 0
; COMPUTE_PGM_RSRC2:TIDIG_COMP_CNT: 0
	.section	.text._ZN7rocprim17ROCPRIM_400000_NS6detail17trampoline_kernelINS0_14default_configENS1_22reduce_config_selectorIN6thrust23THRUST_200600_302600_NS5tupleIblNS6_9null_typeES8_S8_S8_S8_S8_S8_S8_EEEEZNS1_11reduce_implILb1ES3_NS6_12zip_iteratorINS7_INS6_11hip_rocprim26transform_input_iterator_tIbNSD_35transform_pair_of_input_iterators_tIbNS6_6detail15normal_iteratorINS6_10device_ptrIKtEEEESL_NS6_8equal_toItEEEENSG_9not_fun_tINSD_8identityEEEEENSD_19counting_iterator_tIlEES8_S8_S8_S8_S8_S8_S8_S8_EEEEPS9_S9_NSD_9__find_if7functorIS9_EEEE10hipError_tPvRmT1_T2_T3_mT4_P12ihipStream_tbEUlT_E0_NS1_11comp_targetILNS1_3genE2ELNS1_11target_archE906ELNS1_3gpuE6ELNS1_3repE0EEENS1_30default_config_static_selectorELNS0_4arch9wavefront6targetE0EEEvS14_,"axG",@progbits,_ZN7rocprim17ROCPRIM_400000_NS6detail17trampoline_kernelINS0_14default_configENS1_22reduce_config_selectorIN6thrust23THRUST_200600_302600_NS5tupleIblNS6_9null_typeES8_S8_S8_S8_S8_S8_S8_EEEEZNS1_11reduce_implILb1ES3_NS6_12zip_iteratorINS7_INS6_11hip_rocprim26transform_input_iterator_tIbNSD_35transform_pair_of_input_iterators_tIbNS6_6detail15normal_iteratorINS6_10device_ptrIKtEEEESL_NS6_8equal_toItEEEENSG_9not_fun_tINSD_8identityEEEEENSD_19counting_iterator_tIlEES8_S8_S8_S8_S8_S8_S8_S8_EEEEPS9_S9_NSD_9__find_if7functorIS9_EEEE10hipError_tPvRmT1_T2_T3_mT4_P12ihipStream_tbEUlT_E0_NS1_11comp_targetILNS1_3genE2ELNS1_11target_archE906ELNS1_3gpuE6ELNS1_3repE0EEENS1_30default_config_static_selectorELNS0_4arch9wavefront6targetE0EEEvS14_,comdat
	.protected	_ZN7rocprim17ROCPRIM_400000_NS6detail17trampoline_kernelINS0_14default_configENS1_22reduce_config_selectorIN6thrust23THRUST_200600_302600_NS5tupleIblNS6_9null_typeES8_S8_S8_S8_S8_S8_S8_EEEEZNS1_11reduce_implILb1ES3_NS6_12zip_iteratorINS7_INS6_11hip_rocprim26transform_input_iterator_tIbNSD_35transform_pair_of_input_iterators_tIbNS6_6detail15normal_iteratorINS6_10device_ptrIKtEEEESL_NS6_8equal_toItEEEENSG_9not_fun_tINSD_8identityEEEEENSD_19counting_iterator_tIlEES8_S8_S8_S8_S8_S8_S8_S8_EEEEPS9_S9_NSD_9__find_if7functorIS9_EEEE10hipError_tPvRmT1_T2_T3_mT4_P12ihipStream_tbEUlT_E0_NS1_11comp_targetILNS1_3genE2ELNS1_11target_archE906ELNS1_3gpuE6ELNS1_3repE0EEENS1_30default_config_static_selectorELNS0_4arch9wavefront6targetE0EEEvS14_ ; -- Begin function _ZN7rocprim17ROCPRIM_400000_NS6detail17trampoline_kernelINS0_14default_configENS1_22reduce_config_selectorIN6thrust23THRUST_200600_302600_NS5tupleIblNS6_9null_typeES8_S8_S8_S8_S8_S8_S8_EEEEZNS1_11reduce_implILb1ES3_NS6_12zip_iteratorINS7_INS6_11hip_rocprim26transform_input_iterator_tIbNSD_35transform_pair_of_input_iterators_tIbNS6_6detail15normal_iteratorINS6_10device_ptrIKtEEEESL_NS6_8equal_toItEEEENSG_9not_fun_tINSD_8identityEEEEENSD_19counting_iterator_tIlEES8_S8_S8_S8_S8_S8_S8_S8_EEEEPS9_S9_NSD_9__find_if7functorIS9_EEEE10hipError_tPvRmT1_T2_T3_mT4_P12ihipStream_tbEUlT_E0_NS1_11comp_targetILNS1_3genE2ELNS1_11target_archE906ELNS1_3gpuE6ELNS1_3repE0EEENS1_30default_config_static_selectorELNS0_4arch9wavefront6targetE0EEEvS14_
	.globl	_ZN7rocprim17ROCPRIM_400000_NS6detail17trampoline_kernelINS0_14default_configENS1_22reduce_config_selectorIN6thrust23THRUST_200600_302600_NS5tupleIblNS6_9null_typeES8_S8_S8_S8_S8_S8_S8_EEEEZNS1_11reduce_implILb1ES3_NS6_12zip_iteratorINS7_INS6_11hip_rocprim26transform_input_iterator_tIbNSD_35transform_pair_of_input_iterators_tIbNS6_6detail15normal_iteratorINS6_10device_ptrIKtEEEESL_NS6_8equal_toItEEEENSG_9not_fun_tINSD_8identityEEEEENSD_19counting_iterator_tIlEES8_S8_S8_S8_S8_S8_S8_S8_EEEEPS9_S9_NSD_9__find_if7functorIS9_EEEE10hipError_tPvRmT1_T2_T3_mT4_P12ihipStream_tbEUlT_E0_NS1_11comp_targetILNS1_3genE2ELNS1_11target_archE906ELNS1_3gpuE6ELNS1_3repE0EEENS1_30default_config_static_selectorELNS0_4arch9wavefront6targetE0EEEvS14_
	.p2align	8
	.type	_ZN7rocprim17ROCPRIM_400000_NS6detail17trampoline_kernelINS0_14default_configENS1_22reduce_config_selectorIN6thrust23THRUST_200600_302600_NS5tupleIblNS6_9null_typeES8_S8_S8_S8_S8_S8_S8_EEEEZNS1_11reduce_implILb1ES3_NS6_12zip_iteratorINS7_INS6_11hip_rocprim26transform_input_iterator_tIbNSD_35transform_pair_of_input_iterators_tIbNS6_6detail15normal_iteratorINS6_10device_ptrIKtEEEESL_NS6_8equal_toItEEEENSG_9not_fun_tINSD_8identityEEEEENSD_19counting_iterator_tIlEES8_S8_S8_S8_S8_S8_S8_S8_EEEEPS9_S9_NSD_9__find_if7functorIS9_EEEE10hipError_tPvRmT1_T2_T3_mT4_P12ihipStream_tbEUlT_E0_NS1_11comp_targetILNS1_3genE2ELNS1_11target_archE906ELNS1_3gpuE6ELNS1_3repE0EEENS1_30default_config_static_selectorELNS0_4arch9wavefront6targetE0EEEvS14_,@function
_ZN7rocprim17ROCPRIM_400000_NS6detail17trampoline_kernelINS0_14default_configENS1_22reduce_config_selectorIN6thrust23THRUST_200600_302600_NS5tupleIblNS6_9null_typeES8_S8_S8_S8_S8_S8_S8_EEEEZNS1_11reduce_implILb1ES3_NS6_12zip_iteratorINS7_INS6_11hip_rocprim26transform_input_iterator_tIbNSD_35transform_pair_of_input_iterators_tIbNS6_6detail15normal_iteratorINS6_10device_ptrIKtEEEESL_NS6_8equal_toItEEEENSG_9not_fun_tINSD_8identityEEEEENSD_19counting_iterator_tIlEES8_S8_S8_S8_S8_S8_S8_S8_EEEEPS9_S9_NSD_9__find_if7functorIS9_EEEE10hipError_tPvRmT1_T2_T3_mT4_P12ihipStream_tbEUlT_E0_NS1_11comp_targetILNS1_3genE2ELNS1_11target_archE906ELNS1_3gpuE6ELNS1_3repE0EEENS1_30default_config_static_selectorELNS0_4arch9wavefront6targetE0EEEvS14_: ; @_ZN7rocprim17ROCPRIM_400000_NS6detail17trampoline_kernelINS0_14default_configENS1_22reduce_config_selectorIN6thrust23THRUST_200600_302600_NS5tupleIblNS6_9null_typeES8_S8_S8_S8_S8_S8_S8_EEEEZNS1_11reduce_implILb1ES3_NS6_12zip_iteratorINS7_INS6_11hip_rocprim26transform_input_iterator_tIbNSD_35transform_pair_of_input_iterators_tIbNS6_6detail15normal_iteratorINS6_10device_ptrIKtEEEESL_NS6_8equal_toItEEEENSG_9not_fun_tINSD_8identityEEEEENSD_19counting_iterator_tIlEES8_S8_S8_S8_S8_S8_S8_S8_EEEEPS9_S9_NSD_9__find_if7functorIS9_EEEE10hipError_tPvRmT1_T2_T3_mT4_P12ihipStream_tbEUlT_E0_NS1_11comp_targetILNS1_3genE2ELNS1_11target_archE906ELNS1_3gpuE6ELNS1_3repE0EEENS1_30default_config_static_selectorELNS0_4arch9wavefront6targetE0EEEvS14_
; %bb.0:
	.section	.rodata,"a",@progbits
	.p2align	6, 0x0
	.amdhsa_kernel _ZN7rocprim17ROCPRIM_400000_NS6detail17trampoline_kernelINS0_14default_configENS1_22reduce_config_selectorIN6thrust23THRUST_200600_302600_NS5tupleIblNS6_9null_typeES8_S8_S8_S8_S8_S8_S8_EEEEZNS1_11reduce_implILb1ES3_NS6_12zip_iteratorINS7_INS6_11hip_rocprim26transform_input_iterator_tIbNSD_35transform_pair_of_input_iterators_tIbNS6_6detail15normal_iteratorINS6_10device_ptrIKtEEEESL_NS6_8equal_toItEEEENSG_9not_fun_tINSD_8identityEEEEENSD_19counting_iterator_tIlEES8_S8_S8_S8_S8_S8_S8_S8_EEEEPS9_S9_NSD_9__find_if7functorIS9_EEEE10hipError_tPvRmT1_T2_T3_mT4_P12ihipStream_tbEUlT_E0_NS1_11comp_targetILNS1_3genE2ELNS1_11target_archE906ELNS1_3gpuE6ELNS1_3repE0EEENS1_30default_config_static_selectorELNS0_4arch9wavefront6targetE0EEEvS14_
		.amdhsa_group_segment_fixed_size 0
		.amdhsa_private_segment_fixed_size 0
		.amdhsa_kernarg_size 104
		.amdhsa_user_sgpr_count 15
		.amdhsa_user_sgpr_dispatch_ptr 0
		.amdhsa_user_sgpr_queue_ptr 0
		.amdhsa_user_sgpr_kernarg_segment_ptr 1
		.amdhsa_user_sgpr_dispatch_id 0
		.amdhsa_user_sgpr_private_segment_size 0
		.amdhsa_wavefront_size32 1
		.amdhsa_uses_dynamic_stack 0
		.amdhsa_enable_private_segment 0
		.amdhsa_system_sgpr_workgroup_id_x 1
		.amdhsa_system_sgpr_workgroup_id_y 0
		.amdhsa_system_sgpr_workgroup_id_z 0
		.amdhsa_system_sgpr_workgroup_info 0
		.amdhsa_system_vgpr_workitem_id 0
		.amdhsa_next_free_vgpr 1
		.amdhsa_next_free_sgpr 1
		.amdhsa_reserve_vcc 0
		.amdhsa_float_round_mode_32 0
		.amdhsa_float_round_mode_16_64 0
		.amdhsa_float_denorm_mode_32 3
		.amdhsa_float_denorm_mode_16_64 3
		.amdhsa_dx10_clamp 1
		.amdhsa_ieee_mode 1
		.amdhsa_fp16_overflow 0
		.amdhsa_workgroup_processor_mode 1
		.amdhsa_memory_ordered 1
		.amdhsa_forward_progress 0
		.amdhsa_shared_vgpr_count 0
		.amdhsa_exception_fp_ieee_invalid_op 0
		.amdhsa_exception_fp_denorm_src 0
		.amdhsa_exception_fp_ieee_div_zero 0
		.amdhsa_exception_fp_ieee_overflow 0
		.amdhsa_exception_fp_ieee_underflow 0
		.amdhsa_exception_fp_ieee_inexact 0
		.amdhsa_exception_int_div_zero 0
	.end_amdhsa_kernel
	.section	.text._ZN7rocprim17ROCPRIM_400000_NS6detail17trampoline_kernelINS0_14default_configENS1_22reduce_config_selectorIN6thrust23THRUST_200600_302600_NS5tupleIblNS6_9null_typeES8_S8_S8_S8_S8_S8_S8_EEEEZNS1_11reduce_implILb1ES3_NS6_12zip_iteratorINS7_INS6_11hip_rocprim26transform_input_iterator_tIbNSD_35transform_pair_of_input_iterators_tIbNS6_6detail15normal_iteratorINS6_10device_ptrIKtEEEESL_NS6_8equal_toItEEEENSG_9not_fun_tINSD_8identityEEEEENSD_19counting_iterator_tIlEES8_S8_S8_S8_S8_S8_S8_S8_EEEEPS9_S9_NSD_9__find_if7functorIS9_EEEE10hipError_tPvRmT1_T2_T3_mT4_P12ihipStream_tbEUlT_E0_NS1_11comp_targetILNS1_3genE2ELNS1_11target_archE906ELNS1_3gpuE6ELNS1_3repE0EEENS1_30default_config_static_selectorELNS0_4arch9wavefront6targetE0EEEvS14_,"axG",@progbits,_ZN7rocprim17ROCPRIM_400000_NS6detail17trampoline_kernelINS0_14default_configENS1_22reduce_config_selectorIN6thrust23THRUST_200600_302600_NS5tupleIblNS6_9null_typeES8_S8_S8_S8_S8_S8_S8_EEEEZNS1_11reduce_implILb1ES3_NS6_12zip_iteratorINS7_INS6_11hip_rocprim26transform_input_iterator_tIbNSD_35transform_pair_of_input_iterators_tIbNS6_6detail15normal_iteratorINS6_10device_ptrIKtEEEESL_NS6_8equal_toItEEEENSG_9not_fun_tINSD_8identityEEEEENSD_19counting_iterator_tIlEES8_S8_S8_S8_S8_S8_S8_S8_EEEEPS9_S9_NSD_9__find_if7functorIS9_EEEE10hipError_tPvRmT1_T2_T3_mT4_P12ihipStream_tbEUlT_E0_NS1_11comp_targetILNS1_3genE2ELNS1_11target_archE906ELNS1_3gpuE6ELNS1_3repE0EEENS1_30default_config_static_selectorELNS0_4arch9wavefront6targetE0EEEvS14_,comdat
.Lfunc_end834:
	.size	_ZN7rocprim17ROCPRIM_400000_NS6detail17trampoline_kernelINS0_14default_configENS1_22reduce_config_selectorIN6thrust23THRUST_200600_302600_NS5tupleIblNS6_9null_typeES8_S8_S8_S8_S8_S8_S8_EEEEZNS1_11reduce_implILb1ES3_NS6_12zip_iteratorINS7_INS6_11hip_rocprim26transform_input_iterator_tIbNSD_35transform_pair_of_input_iterators_tIbNS6_6detail15normal_iteratorINS6_10device_ptrIKtEEEESL_NS6_8equal_toItEEEENSG_9not_fun_tINSD_8identityEEEEENSD_19counting_iterator_tIlEES8_S8_S8_S8_S8_S8_S8_S8_EEEEPS9_S9_NSD_9__find_if7functorIS9_EEEE10hipError_tPvRmT1_T2_T3_mT4_P12ihipStream_tbEUlT_E0_NS1_11comp_targetILNS1_3genE2ELNS1_11target_archE906ELNS1_3gpuE6ELNS1_3repE0EEENS1_30default_config_static_selectorELNS0_4arch9wavefront6targetE0EEEvS14_, .Lfunc_end834-_ZN7rocprim17ROCPRIM_400000_NS6detail17trampoline_kernelINS0_14default_configENS1_22reduce_config_selectorIN6thrust23THRUST_200600_302600_NS5tupleIblNS6_9null_typeES8_S8_S8_S8_S8_S8_S8_EEEEZNS1_11reduce_implILb1ES3_NS6_12zip_iteratorINS7_INS6_11hip_rocprim26transform_input_iterator_tIbNSD_35transform_pair_of_input_iterators_tIbNS6_6detail15normal_iteratorINS6_10device_ptrIKtEEEESL_NS6_8equal_toItEEEENSG_9not_fun_tINSD_8identityEEEEENSD_19counting_iterator_tIlEES8_S8_S8_S8_S8_S8_S8_S8_EEEEPS9_S9_NSD_9__find_if7functorIS9_EEEE10hipError_tPvRmT1_T2_T3_mT4_P12ihipStream_tbEUlT_E0_NS1_11comp_targetILNS1_3genE2ELNS1_11target_archE906ELNS1_3gpuE6ELNS1_3repE0EEENS1_30default_config_static_selectorELNS0_4arch9wavefront6targetE0EEEvS14_
                                        ; -- End function
	.section	.AMDGPU.csdata,"",@progbits
; Kernel info:
; codeLenInByte = 0
; NumSgprs: 0
; NumVgprs: 0
; ScratchSize: 0
; MemoryBound: 0
; FloatMode: 240
; IeeeMode: 1
; LDSByteSize: 0 bytes/workgroup (compile time only)
; SGPRBlocks: 0
; VGPRBlocks: 0
; NumSGPRsForWavesPerEU: 1
; NumVGPRsForWavesPerEU: 1
; Occupancy: 16
; WaveLimiterHint : 0
; COMPUTE_PGM_RSRC2:SCRATCH_EN: 0
; COMPUTE_PGM_RSRC2:USER_SGPR: 15
; COMPUTE_PGM_RSRC2:TRAP_HANDLER: 0
; COMPUTE_PGM_RSRC2:TGID_X_EN: 1
; COMPUTE_PGM_RSRC2:TGID_Y_EN: 0
; COMPUTE_PGM_RSRC2:TGID_Z_EN: 0
; COMPUTE_PGM_RSRC2:TIDIG_COMP_CNT: 0
	.section	.text._ZN7rocprim17ROCPRIM_400000_NS6detail17trampoline_kernelINS0_14default_configENS1_22reduce_config_selectorIN6thrust23THRUST_200600_302600_NS5tupleIblNS6_9null_typeES8_S8_S8_S8_S8_S8_S8_EEEEZNS1_11reduce_implILb1ES3_NS6_12zip_iteratorINS7_INS6_11hip_rocprim26transform_input_iterator_tIbNSD_35transform_pair_of_input_iterators_tIbNS6_6detail15normal_iteratorINS6_10device_ptrIKtEEEESL_NS6_8equal_toItEEEENSG_9not_fun_tINSD_8identityEEEEENSD_19counting_iterator_tIlEES8_S8_S8_S8_S8_S8_S8_S8_EEEEPS9_S9_NSD_9__find_if7functorIS9_EEEE10hipError_tPvRmT1_T2_T3_mT4_P12ihipStream_tbEUlT_E0_NS1_11comp_targetILNS1_3genE10ELNS1_11target_archE1201ELNS1_3gpuE5ELNS1_3repE0EEENS1_30default_config_static_selectorELNS0_4arch9wavefront6targetE0EEEvS14_,"axG",@progbits,_ZN7rocprim17ROCPRIM_400000_NS6detail17trampoline_kernelINS0_14default_configENS1_22reduce_config_selectorIN6thrust23THRUST_200600_302600_NS5tupleIblNS6_9null_typeES8_S8_S8_S8_S8_S8_S8_EEEEZNS1_11reduce_implILb1ES3_NS6_12zip_iteratorINS7_INS6_11hip_rocprim26transform_input_iterator_tIbNSD_35transform_pair_of_input_iterators_tIbNS6_6detail15normal_iteratorINS6_10device_ptrIKtEEEESL_NS6_8equal_toItEEEENSG_9not_fun_tINSD_8identityEEEEENSD_19counting_iterator_tIlEES8_S8_S8_S8_S8_S8_S8_S8_EEEEPS9_S9_NSD_9__find_if7functorIS9_EEEE10hipError_tPvRmT1_T2_T3_mT4_P12ihipStream_tbEUlT_E0_NS1_11comp_targetILNS1_3genE10ELNS1_11target_archE1201ELNS1_3gpuE5ELNS1_3repE0EEENS1_30default_config_static_selectorELNS0_4arch9wavefront6targetE0EEEvS14_,comdat
	.protected	_ZN7rocprim17ROCPRIM_400000_NS6detail17trampoline_kernelINS0_14default_configENS1_22reduce_config_selectorIN6thrust23THRUST_200600_302600_NS5tupleIblNS6_9null_typeES8_S8_S8_S8_S8_S8_S8_EEEEZNS1_11reduce_implILb1ES3_NS6_12zip_iteratorINS7_INS6_11hip_rocprim26transform_input_iterator_tIbNSD_35transform_pair_of_input_iterators_tIbNS6_6detail15normal_iteratorINS6_10device_ptrIKtEEEESL_NS6_8equal_toItEEEENSG_9not_fun_tINSD_8identityEEEEENSD_19counting_iterator_tIlEES8_S8_S8_S8_S8_S8_S8_S8_EEEEPS9_S9_NSD_9__find_if7functorIS9_EEEE10hipError_tPvRmT1_T2_T3_mT4_P12ihipStream_tbEUlT_E0_NS1_11comp_targetILNS1_3genE10ELNS1_11target_archE1201ELNS1_3gpuE5ELNS1_3repE0EEENS1_30default_config_static_selectorELNS0_4arch9wavefront6targetE0EEEvS14_ ; -- Begin function _ZN7rocprim17ROCPRIM_400000_NS6detail17trampoline_kernelINS0_14default_configENS1_22reduce_config_selectorIN6thrust23THRUST_200600_302600_NS5tupleIblNS6_9null_typeES8_S8_S8_S8_S8_S8_S8_EEEEZNS1_11reduce_implILb1ES3_NS6_12zip_iteratorINS7_INS6_11hip_rocprim26transform_input_iterator_tIbNSD_35transform_pair_of_input_iterators_tIbNS6_6detail15normal_iteratorINS6_10device_ptrIKtEEEESL_NS6_8equal_toItEEEENSG_9not_fun_tINSD_8identityEEEEENSD_19counting_iterator_tIlEES8_S8_S8_S8_S8_S8_S8_S8_EEEEPS9_S9_NSD_9__find_if7functorIS9_EEEE10hipError_tPvRmT1_T2_T3_mT4_P12ihipStream_tbEUlT_E0_NS1_11comp_targetILNS1_3genE10ELNS1_11target_archE1201ELNS1_3gpuE5ELNS1_3repE0EEENS1_30default_config_static_selectorELNS0_4arch9wavefront6targetE0EEEvS14_
	.globl	_ZN7rocprim17ROCPRIM_400000_NS6detail17trampoline_kernelINS0_14default_configENS1_22reduce_config_selectorIN6thrust23THRUST_200600_302600_NS5tupleIblNS6_9null_typeES8_S8_S8_S8_S8_S8_S8_EEEEZNS1_11reduce_implILb1ES3_NS6_12zip_iteratorINS7_INS6_11hip_rocprim26transform_input_iterator_tIbNSD_35transform_pair_of_input_iterators_tIbNS6_6detail15normal_iteratorINS6_10device_ptrIKtEEEESL_NS6_8equal_toItEEEENSG_9not_fun_tINSD_8identityEEEEENSD_19counting_iterator_tIlEES8_S8_S8_S8_S8_S8_S8_S8_EEEEPS9_S9_NSD_9__find_if7functorIS9_EEEE10hipError_tPvRmT1_T2_T3_mT4_P12ihipStream_tbEUlT_E0_NS1_11comp_targetILNS1_3genE10ELNS1_11target_archE1201ELNS1_3gpuE5ELNS1_3repE0EEENS1_30default_config_static_selectorELNS0_4arch9wavefront6targetE0EEEvS14_
	.p2align	8
	.type	_ZN7rocprim17ROCPRIM_400000_NS6detail17trampoline_kernelINS0_14default_configENS1_22reduce_config_selectorIN6thrust23THRUST_200600_302600_NS5tupleIblNS6_9null_typeES8_S8_S8_S8_S8_S8_S8_EEEEZNS1_11reduce_implILb1ES3_NS6_12zip_iteratorINS7_INS6_11hip_rocprim26transform_input_iterator_tIbNSD_35transform_pair_of_input_iterators_tIbNS6_6detail15normal_iteratorINS6_10device_ptrIKtEEEESL_NS6_8equal_toItEEEENSG_9not_fun_tINSD_8identityEEEEENSD_19counting_iterator_tIlEES8_S8_S8_S8_S8_S8_S8_S8_EEEEPS9_S9_NSD_9__find_if7functorIS9_EEEE10hipError_tPvRmT1_T2_T3_mT4_P12ihipStream_tbEUlT_E0_NS1_11comp_targetILNS1_3genE10ELNS1_11target_archE1201ELNS1_3gpuE5ELNS1_3repE0EEENS1_30default_config_static_selectorELNS0_4arch9wavefront6targetE0EEEvS14_,@function
_ZN7rocprim17ROCPRIM_400000_NS6detail17trampoline_kernelINS0_14default_configENS1_22reduce_config_selectorIN6thrust23THRUST_200600_302600_NS5tupleIblNS6_9null_typeES8_S8_S8_S8_S8_S8_S8_EEEEZNS1_11reduce_implILb1ES3_NS6_12zip_iteratorINS7_INS6_11hip_rocprim26transform_input_iterator_tIbNSD_35transform_pair_of_input_iterators_tIbNS6_6detail15normal_iteratorINS6_10device_ptrIKtEEEESL_NS6_8equal_toItEEEENSG_9not_fun_tINSD_8identityEEEEENSD_19counting_iterator_tIlEES8_S8_S8_S8_S8_S8_S8_S8_EEEEPS9_S9_NSD_9__find_if7functorIS9_EEEE10hipError_tPvRmT1_T2_T3_mT4_P12ihipStream_tbEUlT_E0_NS1_11comp_targetILNS1_3genE10ELNS1_11target_archE1201ELNS1_3gpuE5ELNS1_3repE0EEENS1_30default_config_static_selectorELNS0_4arch9wavefront6targetE0EEEvS14_: ; @_ZN7rocprim17ROCPRIM_400000_NS6detail17trampoline_kernelINS0_14default_configENS1_22reduce_config_selectorIN6thrust23THRUST_200600_302600_NS5tupleIblNS6_9null_typeES8_S8_S8_S8_S8_S8_S8_EEEEZNS1_11reduce_implILb1ES3_NS6_12zip_iteratorINS7_INS6_11hip_rocprim26transform_input_iterator_tIbNSD_35transform_pair_of_input_iterators_tIbNS6_6detail15normal_iteratorINS6_10device_ptrIKtEEEESL_NS6_8equal_toItEEEENSG_9not_fun_tINSD_8identityEEEEENSD_19counting_iterator_tIlEES8_S8_S8_S8_S8_S8_S8_S8_EEEEPS9_S9_NSD_9__find_if7functorIS9_EEEE10hipError_tPvRmT1_T2_T3_mT4_P12ihipStream_tbEUlT_E0_NS1_11comp_targetILNS1_3genE10ELNS1_11target_archE1201ELNS1_3gpuE5ELNS1_3repE0EEENS1_30default_config_static_selectorELNS0_4arch9wavefront6targetE0EEEvS14_
; %bb.0:
	.section	.rodata,"a",@progbits
	.p2align	6, 0x0
	.amdhsa_kernel _ZN7rocprim17ROCPRIM_400000_NS6detail17trampoline_kernelINS0_14default_configENS1_22reduce_config_selectorIN6thrust23THRUST_200600_302600_NS5tupleIblNS6_9null_typeES8_S8_S8_S8_S8_S8_S8_EEEEZNS1_11reduce_implILb1ES3_NS6_12zip_iteratorINS7_INS6_11hip_rocprim26transform_input_iterator_tIbNSD_35transform_pair_of_input_iterators_tIbNS6_6detail15normal_iteratorINS6_10device_ptrIKtEEEESL_NS6_8equal_toItEEEENSG_9not_fun_tINSD_8identityEEEEENSD_19counting_iterator_tIlEES8_S8_S8_S8_S8_S8_S8_S8_EEEEPS9_S9_NSD_9__find_if7functorIS9_EEEE10hipError_tPvRmT1_T2_T3_mT4_P12ihipStream_tbEUlT_E0_NS1_11comp_targetILNS1_3genE10ELNS1_11target_archE1201ELNS1_3gpuE5ELNS1_3repE0EEENS1_30default_config_static_selectorELNS0_4arch9wavefront6targetE0EEEvS14_
		.amdhsa_group_segment_fixed_size 0
		.amdhsa_private_segment_fixed_size 0
		.amdhsa_kernarg_size 104
		.amdhsa_user_sgpr_count 15
		.amdhsa_user_sgpr_dispatch_ptr 0
		.amdhsa_user_sgpr_queue_ptr 0
		.amdhsa_user_sgpr_kernarg_segment_ptr 1
		.amdhsa_user_sgpr_dispatch_id 0
		.amdhsa_user_sgpr_private_segment_size 0
		.amdhsa_wavefront_size32 1
		.amdhsa_uses_dynamic_stack 0
		.amdhsa_enable_private_segment 0
		.amdhsa_system_sgpr_workgroup_id_x 1
		.amdhsa_system_sgpr_workgroup_id_y 0
		.amdhsa_system_sgpr_workgroup_id_z 0
		.amdhsa_system_sgpr_workgroup_info 0
		.amdhsa_system_vgpr_workitem_id 0
		.amdhsa_next_free_vgpr 1
		.amdhsa_next_free_sgpr 1
		.amdhsa_reserve_vcc 0
		.amdhsa_float_round_mode_32 0
		.amdhsa_float_round_mode_16_64 0
		.amdhsa_float_denorm_mode_32 3
		.amdhsa_float_denorm_mode_16_64 3
		.amdhsa_dx10_clamp 1
		.amdhsa_ieee_mode 1
		.amdhsa_fp16_overflow 0
		.amdhsa_workgroup_processor_mode 1
		.amdhsa_memory_ordered 1
		.amdhsa_forward_progress 0
		.amdhsa_shared_vgpr_count 0
		.amdhsa_exception_fp_ieee_invalid_op 0
		.amdhsa_exception_fp_denorm_src 0
		.amdhsa_exception_fp_ieee_div_zero 0
		.amdhsa_exception_fp_ieee_overflow 0
		.amdhsa_exception_fp_ieee_underflow 0
		.amdhsa_exception_fp_ieee_inexact 0
		.amdhsa_exception_int_div_zero 0
	.end_amdhsa_kernel
	.section	.text._ZN7rocprim17ROCPRIM_400000_NS6detail17trampoline_kernelINS0_14default_configENS1_22reduce_config_selectorIN6thrust23THRUST_200600_302600_NS5tupleIblNS6_9null_typeES8_S8_S8_S8_S8_S8_S8_EEEEZNS1_11reduce_implILb1ES3_NS6_12zip_iteratorINS7_INS6_11hip_rocprim26transform_input_iterator_tIbNSD_35transform_pair_of_input_iterators_tIbNS6_6detail15normal_iteratorINS6_10device_ptrIKtEEEESL_NS6_8equal_toItEEEENSG_9not_fun_tINSD_8identityEEEEENSD_19counting_iterator_tIlEES8_S8_S8_S8_S8_S8_S8_S8_EEEEPS9_S9_NSD_9__find_if7functorIS9_EEEE10hipError_tPvRmT1_T2_T3_mT4_P12ihipStream_tbEUlT_E0_NS1_11comp_targetILNS1_3genE10ELNS1_11target_archE1201ELNS1_3gpuE5ELNS1_3repE0EEENS1_30default_config_static_selectorELNS0_4arch9wavefront6targetE0EEEvS14_,"axG",@progbits,_ZN7rocprim17ROCPRIM_400000_NS6detail17trampoline_kernelINS0_14default_configENS1_22reduce_config_selectorIN6thrust23THRUST_200600_302600_NS5tupleIblNS6_9null_typeES8_S8_S8_S8_S8_S8_S8_EEEEZNS1_11reduce_implILb1ES3_NS6_12zip_iteratorINS7_INS6_11hip_rocprim26transform_input_iterator_tIbNSD_35transform_pair_of_input_iterators_tIbNS6_6detail15normal_iteratorINS6_10device_ptrIKtEEEESL_NS6_8equal_toItEEEENSG_9not_fun_tINSD_8identityEEEEENSD_19counting_iterator_tIlEES8_S8_S8_S8_S8_S8_S8_S8_EEEEPS9_S9_NSD_9__find_if7functorIS9_EEEE10hipError_tPvRmT1_T2_T3_mT4_P12ihipStream_tbEUlT_E0_NS1_11comp_targetILNS1_3genE10ELNS1_11target_archE1201ELNS1_3gpuE5ELNS1_3repE0EEENS1_30default_config_static_selectorELNS0_4arch9wavefront6targetE0EEEvS14_,comdat
.Lfunc_end835:
	.size	_ZN7rocprim17ROCPRIM_400000_NS6detail17trampoline_kernelINS0_14default_configENS1_22reduce_config_selectorIN6thrust23THRUST_200600_302600_NS5tupleIblNS6_9null_typeES8_S8_S8_S8_S8_S8_S8_EEEEZNS1_11reduce_implILb1ES3_NS6_12zip_iteratorINS7_INS6_11hip_rocprim26transform_input_iterator_tIbNSD_35transform_pair_of_input_iterators_tIbNS6_6detail15normal_iteratorINS6_10device_ptrIKtEEEESL_NS6_8equal_toItEEEENSG_9not_fun_tINSD_8identityEEEEENSD_19counting_iterator_tIlEES8_S8_S8_S8_S8_S8_S8_S8_EEEEPS9_S9_NSD_9__find_if7functorIS9_EEEE10hipError_tPvRmT1_T2_T3_mT4_P12ihipStream_tbEUlT_E0_NS1_11comp_targetILNS1_3genE10ELNS1_11target_archE1201ELNS1_3gpuE5ELNS1_3repE0EEENS1_30default_config_static_selectorELNS0_4arch9wavefront6targetE0EEEvS14_, .Lfunc_end835-_ZN7rocprim17ROCPRIM_400000_NS6detail17trampoline_kernelINS0_14default_configENS1_22reduce_config_selectorIN6thrust23THRUST_200600_302600_NS5tupleIblNS6_9null_typeES8_S8_S8_S8_S8_S8_S8_EEEEZNS1_11reduce_implILb1ES3_NS6_12zip_iteratorINS7_INS6_11hip_rocprim26transform_input_iterator_tIbNSD_35transform_pair_of_input_iterators_tIbNS6_6detail15normal_iteratorINS6_10device_ptrIKtEEEESL_NS6_8equal_toItEEEENSG_9not_fun_tINSD_8identityEEEEENSD_19counting_iterator_tIlEES8_S8_S8_S8_S8_S8_S8_S8_EEEEPS9_S9_NSD_9__find_if7functorIS9_EEEE10hipError_tPvRmT1_T2_T3_mT4_P12ihipStream_tbEUlT_E0_NS1_11comp_targetILNS1_3genE10ELNS1_11target_archE1201ELNS1_3gpuE5ELNS1_3repE0EEENS1_30default_config_static_selectorELNS0_4arch9wavefront6targetE0EEEvS14_
                                        ; -- End function
	.section	.AMDGPU.csdata,"",@progbits
; Kernel info:
; codeLenInByte = 0
; NumSgprs: 0
; NumVgprs: 0
; ScratchSize: 0
; MemoryBound: 0
; FloatMode: 240
; IeeeMode: 1
; LDSByteSize: 0 bytes/workgroup (compile time only)
; SGPRBlocks: 0
; VGPRBlocks: 0
; NumSGPRsForWavesPerEU: 1
; NumVGPRsForWavesPerEU: 1
; Occupancy: 16
; WaveLimiterHint : 0
; COMPUTE_PGM_RSRC2:SCRATCH_EN: 0
; COMPUTE_PGM_RSRC2:USER_SGPR: 15
; COMPUTE_PGM_RSRC2:TRAP_HANDLER: 0
; COMPUTE_PGM_RSRC2:TGID_X_EN: 1
; COMPUTE_PGM_RSRC2:TGID_Y_EN: 0
; COMPUTE_PGM_RSRC2:TGID_Z_EN: 0
; COMPUTE_PGM_RSRC2:TIDIG_COMP_CNT: 0
	.section	.text._ZN7rocprim17ROCPRIM_400000_NS6detail17trampoline_kernelINS0_14default_configENS1_22reduce_config_selectorIN6thrust23THRUST_200600_302600_NS5tupleIblNS6_9null_typeES8_S8_S8_S8_S8_S8_S8_EEEEZNS1_11reduce_implILb1ES3_NS6_12zip_iteratorINS7_INS6_11hip_rocprim26transform_input_iterator_tIbNSD_35transform_pair_of_input_iterators_tIbNS6_6detail15normal_iteratorINS6_10device_ptrIKtEEEESL_NS6_8equal_toItEEEENSG_9not_fun_tINSD_8identityEEEEENSD_19counting_iterator_tIlEES8_S8_S8_S8_S8_S8_S8_S8_EEEEPS9_S9_NSD_9__find_if7functorIS9_EEEE10hipError_tPvRmT1_T2_T3_mT4_P12ihipStream_tbEUlT_E0_NS1_11comp_targetILNS1_3genE10ELNS1_11target_archE1200ELNS1_3gpuE4ELNS1_3repE0EEENS1_30default_config_static_selectorELNS0_4arch9wavefront6targetE0EEEvS14_,"axG",@progbits,_ZN7rocprim17ROCPRIM_400000_NS6detail17trampoline_kernelINS0_14default_configENS1_22reduce_config_selectorIN6thrust23THRUST_200600_302600_NS5tupleIblNS6_9null_typeES8_S8_S8_S8_S8_S8_S8_EEEEZNS1_11reduce_implILb1ES3_NS6_12zip_iteratorINS7_INS6_11hip_rocprim26transform_input_iterator_tIbNSD_35transform_pair_of_input_iterators_tIbNS6_6detail15normal_iteratorINS6_10device_ptrIKtEEEESL_NS6_8equal_toItEEEENSG_9not_fun_tINSD_8identityEEEEENSD_19counting_iterator_tIlEES8_S8_S8_S8_S8_S8_S8_S8_EEEEPS9_S9_NSD_9__find_if7functorIS9_EEEE10hipError_tPvRmT1_T2_T3_mT4_P12ihipStream_tbEUlT_E0_NS1_11comp_targetILNS1_3genE10ELNS1_11target_archE1200ELNS1_3gpuE4ELNS1_3repE0EEENS1_30default_config_static_selectorELNS0_4arch9wavefront6targetE0EEEvS14_,comdat
	.protected	_ZN7rocprim17ROCPRIM_400000_NS6detail17trampoline_kernelINS0_14default_configENS1_22reduce_config_selectorIN6thrust23THRUST_200600_302600_NS5tupleIblNS6_9null_typeES8_S8_S8_S8_S8_S8_S8_EEEEZNS1_11reduce_implILb1ES3_NS6_12zip_iteratorINS7_INS6_11hip_rocprim26transform_input_iterator_tIbNSD_35transform_pair_of_input_iterators_tIbNS6_6detail15normal_iteratorINS6_10device_ptrIKtEEEESL_NS6_8equal_toItEEEENSG_9not_fun_tINSD_8identityEEEEENSD_19counting_iterator_tIlEES8_S8_S8_S8_S8_S8_S8_S8_EEEEPS9_S9_NSD_9__find_if7functorIS9_EEEE10hipError_tPvRmT1_T2_T3_mT4_P12ihipStream_tbEUlT_E0_NS1_11comp_targetILNS1_3genE10ELNS1_11target_archE1200ELNS1_3gpuE4ELNS1_3repE0EEENS1_30default_config_static_selectorELNS0_4arch9wavefront6targetE0EEEvS14_ ; -- Begin function _ZN7rocprim17ROCPRIM_400000_NS6detail17trampoline_kernelINS0_14default_configENS1_22reduce_config_selectorIN6thrust23THRUST_200600_302600_NS5tupleIblNS6_9null_typeES8_S8_S8_S8_S8_S8_S8_EEEEZNS1_11reduce_implILb1ES3_NS6_12zip_iteratorINS7_INS6_11hip_rocprim26transform_input_iterator_tIbNSD_35transform_pair_of_input_iterators_tIbNS6_6detail15normal_iteratorINS6_10device_ptrIKtEEEESL_NS6_8equal_toItEEEENSG_9not_fun_tINSD_8identityEEEEENSD_19counting_iterator_tIlEES8_S8_S8_S8_S8_S8_S8_S8_EEEEPS9_S9_NSD_9__find_if7functorIS9_EEEE10hipError_tPvRmT1_T2_T3_mT4_P12ihipStream_tbEUlT_E0_NS1_11comp_targetILNS1_3genE10ELNS1_11target_archE1200ELNS1_3gpuE4ELNS1_3repE0EEENS1_30default_config_static_selectorELNS0_4arch9wavefront6targetE0EEEvS14_
	.globl	_ZN7rocprim17ROCPRIM_400000_NS6detail17trampoline_kernelINS0_14default_configENS1_22reduce_config_selectorIN6thrust23THRUST_200600_302600_NS5tupleIblNS6_9null_typeES8_S8_S8_S8_S8_S8_S8_EEEEZNS1_11reduce_implILb1ES3_NS6_12zip_iteratorINS7_INS6_11hip_rocprim26transform_input_iterator_tIbNSD_35transform_pair_of_input_iterators_tIbNS6_6detail15normal_iteratorINS6_10device_ptrIKtEEEESL_NS6_8equal_toItEEEENSG_9not_fun_tINSD_8identityEEEEENSD_19counting_iterator_tIlEES8_S8_S8_S8_S8_S8_S8_S8_EEEEPS9_S9_NSD_9__find_if7functorIS9_EEEE10hipError_tPvRmT1_T2_T3_mT4_P12ihipStream_tbEUlT_E0_NS1_11comp_targetILNS1_3genE10ELNS1_11target_archE1200ELNS1_3gpuE4ELNS1_3repE0EEENS1_30default_config_static_selectorELNS0_4arch9wavefront6targetE0EEEvS14_
	.p2align	8
	.type	_ZN7rocprim17ROCPRIM_400000_NS6detail17trampoline_kernelINS0_14default_configENS1_22reduce_config_selectorIN6thrust23THRUST_200600_302600_NS5tupleIblNS6_9null_typeES8_S8_S8_S8_S8_S8_S8_EEEEZNS1_11reduce_implILb1ES3_NS6_12zip_iteratorINS7_INS6_11hip_rocprim26transform_input_iterator_tIbNSD_35transform_pair_of_input_iterators_tIbNS6_6detail15normal_iteratorINS6_10device_ptrIKtEEEESL_NS6_8equal_toItEEEENSG_9not_fun_tINSD_8identityEEEEENSD_19counting_iterator_tIlEES8_S8_S8_S8_S8_S8_S8_S8_EEEEPS9_S9_NSD_9__find_if7functorIS9_EEEE10hipError_tPvRmT1_T2_T3_mT4_P12ihipStream_tbEUlT_E0_NS1_11comp_targetILNS1_3genE10ELNS1_11target_archE1200ELNS1_3gpuE4ELNS1_3repE0EEENS1_30default_config_static_selectorELNS0_4arch9wavefront6targetE0EEEvS14_,@function
_ZN7rocprim17ROCPRIM_400000_NS6detail17trampoline_kernelINS0_14default_configENS1_22reduce_config_selectorIN6thrust23THRUST_200600_302600_NS5tupleIblNS6_9null_typeES8_S8_S8_S8_S8_S8_S8_EEEEZNS1_11reduce_implILb1ES3_NS6_12zip_iteratorINS7_INS6_11hip_rocprim26transform_input_iterator_tIbNSD_35transform_pair_of_input_iterators_tIbNS6_6detail15normal_iteratorINS6_10device_ptrIKtEEEESL_NS6_8equal_toItEEEENSG_9not_fun_tINSD_8identityEEEEENSD_19counting_iterator_tIlEES8_S8_S8_S8_S8_S8_S8_S8_EEEEPS9_S9_NSD_9__find_if7functorIS9_EEEE10hipError_tPvRmT1_T2_T3_mT4_P12ihipStream_tbEUlT_E0_NS1_11comp_targetILNS1_3genE10ELNS1_11target_archE1200ELNS1_3gpuE4ELNS1_3repE0EEENS1_30default_config_static_selectorELNS0_4arch9wavefront6targetE0EEEvS14_: ; @_ZN7rocprim17ROCPRIM_400000_NS6detail17trampoline_kernelINS0_14default_configENS1_22reduce_config_selectorIN6thrust23THRUST_200600_302600_NS5tupleIblNS6_9null_typeES8_S8_S8_S8_S8_S8_S8_EEEEZNS1_11reduce_implILb1ES3_NS6_12zip_iteratorINS7_INS6_11hip_rocprim26transform_input_iterator_tIbNSD_35transform_pair_of_input_iterators_tIbNS6_6detail15normal_iteratorINS6_10device_ptrIKtEEEESL_NS6_8equal_toItEEEENSG_9not_fun_tINSD_8identityEEEEENSD_19counting_iterator_tIlEES8_S8_S8_S8_S8_S8_S8_S8_EEEEPS9_S9_NSD_9__find_if7functorIS9_EEEE10hipError_tPvRmT1_T2_T3_mT4_P12ihipStream_tbEUlT_E0_NS1_11comp_targetILNS1_3genE10ELNS1_11target_archE1200ELNS1_3gpuE4ELNS1_3repE0EEENS1_30default_config_static_selectorELNS0_4arch9wavefront6targetE0EEEvS14_
; %bb.0:
	.section	.rodata,"a",@progbits
	.p2align	6, 0x0
	.amdhsa_kernel _ZN7rocprim17ROCPRIM_400000_NS6detail17trampoline_kernelINS0_14default_configENS1_22reduce_config_selectorIN6thrust23THRUST_200600_302600_NS5tupleIblNS6_9null_typeES8_S8_S8_S8_S8_S8_S8_EEEEZNS1_11reduce_implILb1ES3_NS6_12zip_iteratorINS7_INS6_11hip_rocprim26transform_input_iterator_tIbNSD_35transform_pair_of_input_iterators_tIbNS6_6detail15normal_iteratorINS6_10device_ptrIKtEEEESL_NS6_8equal_toItEEEENSG_9not_fun_tINSD_8identityEEEEENSD_19counting_iterator_tIlEES8_S8_S8_S8_S8_S8_S8_S8_EEEEPS9_S9_NSD_9__find_if7functorIS9_EEEE10hipError_tPvRmT1_T2_T3_mT4_P12ihipStream_tbEUlT_E0_NS1_11comp_targetILNS1_3genE10ELNS1_11target_archE1200ELNS1_3gpuE4ELNS1_3repE0EEENS1_30default_config_static_selectorELNS0_4arch9wavefront6targetE0EEEvS14_
		.amdhsa_group_segment_fixed_size 0
		.amdhsa_private_segment_fixed_size 0
		.amdhsa_kernarg_size 104
		.amdhsa_user_sgpr_count 15
		.amdhsa_user_sgpr_dispatch_ptr 0
		.amdhsa_user_sgpr_queue_ptr 0
		.amdhsa_user_sgpr_kernarg_segment_ptr 1
		.amdhsa_user_sgpr_dispatch_id 0
		.amdhsa_user_sgpr_private_segment_size 0
		.amdhsa_wavefront_size32 1
		.amdhsa_uses_dynamic_stack 0
		.amdhsa_enable_private_segment 0
		.amdhsa_system_sgpr_workgroup_id_x 1
		.amdhsa_system_sgpr_workgroup_id_y 0
		.amdhsa_system_sgpr_workgroup_id_z 0
		.amdhsa_system_sgpr_workgroup_info 0
		.amdhsa_system_vgpr_workitem_id 0
		.amdhsa_next_free_vgpr 1
		.amdhsa_next_free_sgpr 1
		.amdhsa_reserve_vcc 0
		.amdhsa_float_round_mode_32 0
		.amdhsa_float_round_mode_16_64 0
		.amdhsa_float_denorm_mode_32 3
		.amdhsa_float_denorm_mode_16_64 3
		.amdhsa_dx10_clamp 1
		.amdhsa_ieee_mode 1
		.amdhsa_fp16_overflow 0
		.amdhsa_workgroup_processor_mode 1
		.amdhsa_memory_ordered 1
		.amdhsa_forward_progress 0
		.amdhsa_shared_vgpr_count 0
		.amdhsa_exception_fp_ieee_invalid_op 0
		.amdhsa_exception_fp_denorm_src 0
		.amdhsa_exception_fp_ieee_div_zero 0
		.amdhsa_exception_fp_ieee_overflow 0
		.amdhsa_exception_fp_ieee_underflow 0
		.amdhsa_exception_fp_ieee_inexact 0
		.amdhsa_exception_int_div_zero 0
	.end_amdhsa_kernel
	.section	.text._ZN7rocprim17ROCPRIM_400000_NS6detail17trampoline_kernelINS0_14default_configENS1_22reduce_config_selectorIN6thrust23THRUST_200600_302600_NS5tupleIblNS6_9null_typeES8_S8_S8_S8_S8_S8_S8_EEEEZNS1_11reduce_implILb1ES3_NS6_12zip_iteratorINS7_INS6_11hip_rocprim26transform_input_iterator_tIbNSD_35transform_pair_of_input_iterators_tIbNS6_6detail15normal_iteratorINS6_10device_ptrIKtEEEESL_NS6_8equal_toItEEEENSG_9not_fun_tINSD_8identityEEEEENSD_19counting_iterator_tIlEES8_S8_S8_S8_S8_S8_S8_S8_EEEEPS9_S9_NSD_9__find_if7functorIS9_EEEE10hipError_tPvRmT1_T2_T3_mT4_P12ihipStream_tbEUlT_E0_NS1_11comp_targetILNS1_3genE10ELNS1_11target_archE1200ELNS1_3gpuE4ELNS1_3repE0EEENS1_30default_config_static_selectorELNS0_4arch9wavefront6targetE0EEEvS14_,"axG",@progbits,_ZN7rocprim17ROCPRIM_400000_NS6detail17trampoline_kernelINS0_14default_configENS1_22reduce_config_selectorIN6thrust23THRUST_200600_302600_NS5tupleIblNS6_9null_typeES8_S8_S8_S8_S8_S8_S8_EEEEZNS1_11reduce_implILb1ES3_NS6_12zip_iteratorINS7_INS6_11hip_rocprim26transform_input_iterator_tIbNSD_35transform_pair_of_input_iterators_tIbNS6_6detail15normal_iteratorINS6_10device_ptrIKtEEEESL_NS6_8equal_toItEEEENSG_9not_fun_tINSD_8identityEEEEENSD_19counting_iterator_tIlEES8_S8_S8_S8_S8_S8_S8_S8_EEEEPS9_S9_NSD_9__find_if7functorIS9_EEEE10hipError_tPvRmT1_T2_T3_mT4_P12ihipStream_tbEUlT_E0_NS1_11comp_targetILNS1_3genE10ELNS1_11target_archE1200ELNS1_3gpuE4ELNS1_3repE0EEENS1_30default_config_static_selectorELNS0_4arch9wavefront6targetE0EEEvS14_,comdat
.Lfunc_end836:
	.size	_ZN7rocprim17ROCPRIM_400000_NS6detail17trampoline_kernelINS0_14default_configENS1_22reduce_config_selectorIN6thrust23THRUST_200600_302600_NS5tupleIblNS6_9null_typeES8_S8_S8_S8_S8_S8_S8_EEEEZNS1_11reduce_implILb1ES3_NS6_12zip_iteratorINS7_INS6_11hip_rocprim26transform_input_iterator_tIbNSD_35transform_pair_of_input_iterators_tIbNS6_6detail15normal_iteratorINS6_10device_ptrIKtEEEESL_NS6_8equal_toItEEEENSG_9not_fun_tINSD_8identityEEEEENSD_19counting_iterator_tIlEES8_S8_S8_S8_S8_S8_S8_S8_EEEEPS9_S9_NSD_9__find_if7functorIS9_EEEE10hipError_tPvRmT1_T2_T3_mT4_P12ihipStream_tbEUlT_E0_NS1_11comp_targetILNS1_3genE10ELNS1_11target_archE1200ELNS1_3gpuE4ELNS1_3repE0EEENS1_30default_config_static_selectorELNS0_4arch9wavefront6targetE0EEEvS14_, .Lfunc_end836-_ZN7rocprim17ROCPRIM_400000_NS6detail17trampoline_kernelINS0_14default_configENS1_22reduce_config_selectorIN6thrust23THRUST_200600_302600_NS5tupleIblNS6_9null_typeES8_S8_S8_S8_S8_S8_S8_EEEEZNS1_11reduce_implILb1ES3_NS6_12zip_iteratorINS7_INS6_11hip_rocprim26transform_input_iterator_tIbNSD_35transform_pair_of_input_iterators_tIbNS6_6detail15normal_iteratorINS6_10device_ptrIKtEEEESL_NS6_8equal_toItEEEENSG_9not_fun_tINSD_8identityEEEEENSD_19counting_iterator_tIlEES8_S8_S8_S8_S8_S8_S8_S8_EEEEPS9_S9_NSD_9__find_if7functorIS9_EEEE10hipError_tPvRmT1_T2_T3_mT4_P12ihipStream_tbEUlT_E0_NS1_11comp_targetILNS1_3genE10ELNS1_11target_archE1200ELNS1_3gpuE4ELNS1_3repE0EEENS1_30default_config_static_selectorELNS0_4arch9wavefront6targetE0EEEvS14_
                                        ; -- End function
	.section	.AMDGPU.csdata,"",@progbits
; Kernel info:
; codeLenInByte = 0
; NumSgprs: 0
; NumVgprs: 0
; ScratchSize: 0
; MemoryBound: 0
; FloatMode: 240
; IeeeMode: 1
; LDSByteSize: 0 bytes/workgroup (compile time only)
; SGPRBlocks: 0
; VGPRBlocks: 0
; NumSGPRsForWavesPerEU: 1
; NumVGPRsForWavesPerEU: 1
; Occupancy: 16
; WaveLimiterHint : 0
; COMPUTE_PGM_RSRC2:SCRATCH_EN: 0
; COMPUTE_PGM_RSRC2:USER_SGPR: 15
; COMPUTE_PGM_RSRC2:TRAP_HANDLER: 0
; COMPUTE_PGM_RSRC2:TGID_X_EN: 1
; COMPUTE_PGM_RSRC2:TGID_Y_EN: 0
; COMPUTE_PGM_RSRC2:TGID_Z_EN: 0
; COMPUTE_PGM_RSRC2:TIDIG_COMP_CNT: 0
	.section	.text._ZN7rocprim17ROCPRIM_400000_NS6detail17trampoline_kernelINS0_14default_configENS1_22reduce_config_selectorIN6thrust23THRUST_200600_302600_NS5tupleIblNS6_9null_typeES8_S8_S8_S8_S8_S8_S8_EEEEZNS1_11reduce_implILb1ES3_NS6_12zip_iteratorINS7_INS6_11hip_rocprim26transform_input_iterator_tIbNSD_35transform_pair_of_input_iterators_tIbNS6_6detail15normal_iteratorINS6_10device_ptrIKtEEEESL_NS6_8equal_toItEEEENSG_9not_fun_tINSD_8identityEEEEENSD_19counting_iterator_tIlEES8_S8_S8_S8_S8_S8_S8_S8_EEEEPS9_S9_NSD_9__find_if7functorIS9_EEEE10hipError_tPvRmT1_T2_T3_mT4_P12ihipStream_tbEUlT_E0_NS1_11comp_targetILNS1_3genE9ELNS1_11target_archE1100ELNS1_3gpuE3ELNS1_3repE0EEENS1_30default_config_static_selectorELNS0_4arch9wavefront6targetE0EEEvS14_,"axG",@progbits,_ZN7rocprim17ROCPRIM_400000_NS6detail17trampoline_kernelINS0_14default_configENS1_22reduce_config_selectorIN6thrust23THRUST_200600_302600_NS5tupleIblNS6_9null_typeES8_S8_S8_S8_S8_S8_S8_EEEEZNS1_11reduce_implILb1ES3_NS6_12zip_iteratorINS7_INS6_11hip_rocprim26transform_input_iterator_tIbNSD_35transform_pair_of_input_iterators_tIbNS6_6detail15normal_iteratorINS6_10device_ptrIKtEEEESL_NS6_8equal_toItEEEENSG_9not_fun_tINSD_8identityEEEEENSD_19counting_iterator_tIlEES8_S8_S8_S8_S8_S8_S8_S8_EEEEPS9_S9_NSD_9__find_if7functorIS9_EEEE10hipError_tPvRmT1_T2_T3_mT4_P12ihipStream_tbEUlT_E0_NS1_11comp_targetILNS1_3genE9ELNS1_11target_archE1100ELNS1_3gpuE3ELNS1_3repE0EEENS1_30default_config_static_selectorELNS0_4arch9wavefront6targetE0EEEvS14_,comdat
	.protected	_ZN7rocprim17ROCPRIM_400000_NS6detail17trampoline_kernelINS0_14default_configENS1_22reduce_config_selectorIN6thrust23THRUST_200600_302600_NS5tupleIblNS6_9null_typeES8_S8_S8_S8_S8_S8_S8_EEEEZNS1_11reduce_implILb1ES3_NS6_12zip_iteratorINS7_INS6_11hip_rocprim26transform_input_iterator_tIbNSD_35transform_pair_of_input_iterators_tIbNS6_6detail15normal_iteratorINS6_10device_ptrIKtEEEESL_NS6_8equal_toItEEEENSG_9not_fun_tINSD_8identityEEEEENSD_19counting_iterator_tIlEES8_S8_S8_S8_S8_S8_S8_S8_EEEEPS9_S9_NSD_9__find_if7functorIS9_EEEE10hipError_tPvRmT1_T2_T3_mT4_P12ihipStream_tbEUlT_E0_NS1_11comp_targetILNS1_3genE9ELNS1_11target_archE1100ELNS1_3gpuE3ELNS1_3repE0EEENS1_30default_config_static_selectorELNS0_4arch9wavefront6targetE0EEEvS14_ ; -- Begin function _ZN7rocprim17ROCPRIM_400000_NS6detail17trampoline_kernelINS0_14default_configENS1_22reduce_config_selectorIN6thrust23THRUST_200600_302600_NS5tupleIblNS6_9null_typeES8_S8_S8_S8_S8_S8_S8_EEEEZNS1_11reduce_implILb1ES3_NS6_12zip_iteratorINS7_INS6_11hip_rocprim26transform_input_iterator_tIbNSD_35transform_pair_of_input_iterators_tIbNS6_6detail15normal_iteratorINS6_10device_ptrIKtEEEESL_NS6_8equal_toItEEEENSG_9not_fun_tINSD_8identityEEEEENSD_19counting_iterator_tIlEES8_S8_S8_S8_S8_S8_S8_S8_EEEEPS9_S9_NSD_9__find_if7functorIS9_EEEE10hipError_tPvRmT1_T2_T3_mT4_P12ihipStream_tbEUlT_E0_NS1_11comp_targetILNS1_3genE9ELNS1_11target_archE1100ELNS1_3gpuE3ELNS1_3repE0EEENS1_30default_config_static_selectorELNS0_4arch9wavefront6targetE0EEEvS14_
	.globl	_ZN7rocprim17ROCPRIM_400000_NS6detail17trampoline_kernelINS0_14default_configENS1_22reduce_config_selectorIN6thrust23THRUST_200600_302600_NS5tupleIblNS6_9null_typeES8_S8_S8_S8_S8_S8_S8_EEEEZNS1_11reduce_implILb1ES3_NS6_12zip_iteratorINS7_INS6_11hip_rocprim26transform_input_iterator_tIbNSD_35transform_pair_of_input_iterators_tIbNS6_6detail15normal_iteratorINS6_10device_ptrIKtEEEESL_NS6_8equal_toItEEEENSG_9not_fun_tINSD_8identityEEEEENSD_19counting_iterator_tIlEES8_S8_S8_S8_S8_S8_S8_S8_EEEEPS9_S9_NSD_9__find_if7functorIS9_EEEE10hipError_tPvRmT1_T2_T3_mT4_P12ihipStream_tbEUlT_E0_NS1_11comp_targetILNS1_3genE9ELNS1_11target_archE1100ELNS1_3gpuE3ELNS1_3repE0EEENS1_30default_config_static_selectorELNS0_4arch9wavefront6targetE0EEEvS14_
	.p2align	8
	.type	_ZN7rocprim17ROCPRIM_400000_NS6detail17trampoline_kernelINS0_14default_configENS1_22reduce_config_selectorIN6thrust23THRUST_200600_302600_NS5tupleIblNS6_9null_typeES8_S8_S8_S8_S8_S8_S8_EEEEZNS1_11reduce_implILb1ES3_NS6_12zip_iteratorINS7_INS6_11hip_rocprim26transform_input_iterator_tIbNSD_35transform_pair_of_input_iterators_tIbNS6_6detail15normal_iteratorINS6_10device_ptrIKtEEEESL_NS6_8equal_toItEEEENSG_9not_fun_tINSD_8identityEEEEENSD_19counting_iterator_tIlEES8_S8_S8_S8_S8_S8_S8_S8_EEEEPS9_S9_NSD_9__find_if7functorIS9_EEEE10hipError_tPvRmT1_T2_T3_mT4_P12ihipStream_tbEUlT_E0_NS1_11comp_targetILNS1_3genE9ELNS1_11target_archE1100ELNS1_3gpuE3ELNS1_3repE0EEENS1_30default_config_static_selectorELNS0_4arch9wavefront6targetE0EEEvS14_,@function
_ZN7rocprim17ROCPRIM_400000_NS6detail17trampoline_kernelINS0_14default_configENS1_22reduce_config_selectorIN6thrust23THRUST_200600_302600_NS5tupleIblNS6_9null_typeES8_S8_S8_S8_S8_S8_S8_EEEEZNS1_11reduce_implILb1ES3_NS6_12zip_iteratorINS7_INS6_11hip_rocprim26transform_input_iterator_tIbNSD_35transform_pair_of_input_iterators_tIbNS6_6detail15normal_iteratorINS6_10device_ptrIKtEEEESL_NS6_8equal_toItEEEENSG_9not_fun_tINSD_8identityEEEEENSD_19counting_iterator_tIlEES8_S8_S8_S8_S8_S8_S8_S8_EEEEPS9_S9_NSD_9__find_if7functorIS9_EEEE10hipError_tPvRmT1_T2_T3_mT4_P12ihipStream_tbEUlT_E0_NS1_11comp_targetILNS1_3genE9ELNS1_11target_archE1100ELNS1_3gpuE3ELNS1_3repE0EEENS1_30default_config_static_selectorELNS0_4arch9wavefront6targetE0EEEvS14_: ; @_ZN7rocprim17ROCPRIM_400000_NS6detail17trampoline_kernelINS0_14default_configENS1_22reduce_config_selectorIN6thrust23THRUST_200600_302600_NS5tupleIblNS6_9null_typeES8_S8_S8_S8_S8_S8_S8_EEEEZNS1_11reduce_implILb1ES3_NS6_12zip_iteratorINS7_INS6_11hip_rocprim26transform_input_iterator_tIbNSD_35transform_pair_of_input_iterators_tIbNS6_6detail15normal_iteratorINS6_10device_ptrIKtEEEESL_NS6_8equal_toItEEEENSG_9not_fun_tINSD_8identityEEEEENSD_19counting_iterator_tIlEES8_S8_S8_S8_S8_S8_S8_S8_EEEEPS9_S9_NSD_9__find_if7functorIS9_EEEE10hipError_tPvRmT1_T2_T3_mT4_P12ihipStream_tbEUlT_E0_NS1_11comp_targetILNS1_3genE9ELNS1_11target_archE1100ELNS1_3gpuE3ELNS1_3repE0EEENS1_30default_config_static_selectorELNS0_4arch9wavefront6targetE0EEEvS14_
; %bb.0:
	s_clause 0x1
	s_load_b256 s[4:11], s[0:1], 0x20
	s_load_b128 s[24:27], s[0:1], 0x0
	s_mov_b32 s16, s15
	s_load_b128 s[12:15], s[0:1], 0x40
	s_mov_b32 s23, 0
	v_lshlrev_b32_e32 v9, 1, v0
	s_mov_b32 s17, s23
	s_waitcnt lgkmcnt(0)
	s_lshl_b64 s[2:3], s[6:7], 1
	s_delay_alu instid0(SALU_CYCLE_1)
	s_add_u32 s18, s24, s2
	s_addc_u32 s19, s25, s3
	s_add_u32 s20, s26, s2
	s_addc_u32 s21, s27, s3
	s_lshl_b32 s22, s16, 10
	s_lshr_b64 s[24:25], s[8:9], 10
	s_lshl_b64 s[2:3], s[22:23], 1
	s_delay_alu instid0(SALU_CYCLE_1)
	s_add_u32 s18, s18, s2
	s_addc_u32 s19, s19, s3
	s_add_u32 s20, s20, s2
	s_addc_u32 s21, s21, s3
	;; [unrolled: 2-line block ×4, first 2 shown]
	s_cmp_lg_u64 s[24:25], s[16:17]
	s_cbranch_scc0 .LBB837_16
; %bb.1:
	s_clause 0x7
	global_load_u16 v1, v9, s[20:21] offset:512
	global_load_u16 v2, v9, s[18:19] offset:512
	global_load_u16 v3, v9, s[18:19]
	global_load_u16 v4, v9, s[20:21]
	global_load_u16 v5, v9, s[18:19] offset:1024
	global_load_u16 v6, v9, s[20:21] offset:1024
	;; [unrolled: 1-line block ×4, first 2 shown]
	v_mov_b32_e32 v10, 0x100
	s_waitcnt vmcnt(6)
	v_cmp_ne_u16_e32 vcc_lo, v2, v1
	s_waitcnt vmcnt(4)
	v_cmp_ne_u16_e64 s2, v3, v4
	s_waitcnt vmcnt(2)
	v_cmp_ne_u16_e64 s3, v5, v6
	v_cndmask_b32_e32 v1, 0x200, v10, vcc_lo
	s_waitcnt vmcnt(0)
	v_cmp_ne_u16_e64 s4, v8, v7
	s_delay_alu instid0(VALU_DEP_2) | instskip(SKIP_1) | instid1(SALU_CYCLE_1)
	v_cndmask_b32_e64 v1, v1, 0, s2
	s_or_b32 s2, s2, vcc_lo
	s_or_b32 vcc_lo, s2, s3
	v_add_co_u32 v2, s2, s5, v0
	s_delay_alu instid0(VALU_DEP_2) | instskip(SKIP_3) | instid1(VALU_DEP_3)
	v_cndmask_b32_e32 v1, 0x300, v1, vcc_lo
	s_or_b32 s3, vcc_lo, s4
	v_add_co_ci_u32_e64 v3, null, s23, 0, s2
	v_cndmask_b32_e64 v5, 0, 1, s3
	v_add_co_u32 v1, vcc_lo, v2, v1
	s_delay_alu instid0(VALU_DEP_3) | instskip(NEXT) | instid1(VALU_DEP_3)
	v_add_co_ci_u32_e32 v2, vcc_lo, 0, v3, vcc_lo
	v_mov_b32_dpp v6, v5 quad_perm:[1,0,3,2] row_mask:0xf bank_mask:0xf
	s_delay_alu instid0(VALU_DEP_3) | instskip(SKIP_1) | instid1(VALU_DEP_3)
	v_mov_b32_dpp v3, v1 quad_perm:[1,0,3,2] row_mask:0xf bank_mask:0xf
	s_mov_b32 s4, exec_lo
	v_mov_b32_dpp v4, v2 quad_perm:[1,0,3,2] row_mask:0xf bank_mask:0xf
	s_delay_alu instid0(VALU_DEP_3) | instskip(NEXT) | instid1(VALU_DEP_1)
	v_and_b32_e32 v7, 1, v6
	v_cmpx_eq_u32_e32 1, v7
; %bb.2:
	v_cndmask_b32_e64 v5, v6, 1, s3
	s_delay_alu instid0(VALU_DEP_4) | instskip(NEXT) | instid1(VALU_DEP_2)
	v_cmp_lt_i64_e32 vcc_lo, v[1:2], v[3:4]
	v_and_b32_e32 v6, 1, v5
	v_and_b32_e32 v5, 0xff, v5
	s_and_b32 vcc_lo, s3, vcc_lo
	s_and_not1_b32 s3, s3, exec_lo
	v_dual_cndmask_b32 v2, v4, v2 :: v_dual_cndmask_b32 v1, v3, v1
	v_cmp_eq_u32_e64 s2, 1, v6
	s_delay_alu instid0(VALU_DEP_1) | instskip(NEXT) | instid1(SALU_CYCLE_1)
	s_and_b32 s2, s2, exec_lo
	s_or_b32 s3, s3, s2
; %bb.3:
	s_or_b32 exec_lo, exec_lo, s4
	v_mov_b32_dpp v6, v5 quad_perm:[2,3,0,1] row_mask:0xf bank_mask:0xf
	v_mov_b32_dpp v3, v1 quad_perm:[2,3,0,1] row_mask:0xf bank_mask:0xf
	;; [unrolled: 1-line block ×3, first 2 shown]
	s_mov_b32 s4, exec_lo
	s_delay_alu instid0(VALU_DEP_3) | instskip(NEXT) | instid1(VALU_DEP_1)
	v_and_b32_e32 v7, 1, v6
	v_cmpx_eq_u32_e32 1, v7
; %bb.4:
	v_cndmask_b32_e64 v5, v6, 1, s3
	v_cmp_lt_i64_e32 vcc_lo, v[1:2], v[3:4]
	s_delay_alu instid0(VALU_DEP_2)
	v_and_b32_e32 v6, 1, v5
	v_and_b32_e32 v5, 0xff, v5
	s_and_b32 vcc_lo, s3, vcc_lo
	s_and_not1_b32 s3, s3, exec_lo
	v_dual_cndmask_b32 v2, v4, v2 :: v_dual_cndmask_b32 v1, v3, v1
	v_cmp_eq_u32_e64 s2, 1, v6
	s_delay_alu instid0(VALU_DEP_1) | instskip(NEXT) | instid1(SALU_CYCLE_1)
	s_and_b32 s2, s2, exec_lo
	s_or_b32 s3, s3, s2
; %bb.5:
	s_or_b32 exec_lo, exec_lo, s4
	v_mov_b32_dpp v6, v5 row_ror:4 row_mask:0xf bank_mask:0xf
	v_mov_b32_dpp v3, v1 row_ror:4 row_mask:0xf bank_mask:0xf
	v_mov_b32_dpp v4, v2 row_ror:4 row_mask:0xf bank_mask:0xf
	s_mov_b32 s4, exec_lo
	s_delay_alu instid0(VALU_DEP_3) | instskip(NEXT) | instid1(VALU_DEP_1)
	v_and_b32_e32 v7, 1, v6
	v_cmpx_eq_u32_e32 1, v7
; %bb.6:
	v_cndmask_b32_e64 v5, v6, 1, s3
	v_cmp_lt_i64_e32 vcc_lo, v[1:2], v[3:4]
	s_delay_alu instid0(VALU_DEP_2)
	v_and_b32_e32 v6, 1, v5
	v_and_b32_e32 v5, 0xff, v5
	s_and_b32 vcc_lo, s3, vcc_lo
	s_and_not1_b32 s3, s3, exec_lo
	v_dual_cndmask_b32 v2, v4, v2 :: v_dual_cndmask_b32 v1, v3, v1
	v_cmp_eq_u32_e64 s2, 1, v6
	s_delay_alu instid0(VALU_DEP_1) | instskip(NEXT) | instid1(SALU_CYCLE_1)
	s_and_b32 s2, s2, exec_lo
	s_or_b32 s3, s3, s2
; %bb.7:
	s_or_b32 exec_lo, exec_lo, s4
	v_mov_b32_dpp v6, v5 row_ror:8 row_mask:0xf bank_mask:0xf
	v_mov_b32_dpp v3, v1 row_ror:8 row_mask:0xf bank_mask:0xf
	;; [unrolled: 1-line block ×3, first 2 shown]
	s_mov_b32 s4, exec_lo
	s_delay_alu instid0(VALU_DEP_3) | instskip(NEXT) | instid1(VALU_DEP_1)
	v_and_b32_e32 v7, 1, v6
	v_cmpx_eq_u32_e32 1, v7
; %bb.8:
	v_cndmask_b32_e64 v5, v6, 1, s3
	v_cmp_lt_i64_e32 vcc_lo, v[1:2], v[3:4]
	s_delay_alu instid0(VALU_DEP_2)
	v_and_b32_e32 v6, 1, v5
	v_and_b32_e32 v5, 0xff, v5
	s_and_b32 vcc_lo, s3, vcc_lo
	s_and_not1_b32 s3, s3, exec_lo
	v_dual_cndmask_b32 v2, v4, v2 :: v_dual_cndmask_b32 v1, v3, v1
	v_cmp_eq_u32_e64 s2, 1, v6
	s_delay_alu instid0(VALU_DEP_1) | instskip(NEXT) | instid1(SALU_CYCLE_1)
	s_and_b32 s2, s2, exec_lo
	s_or_b32 s3, s3, s2
; %bb.9:
	s_or_b32 exec_lo, exec_lo, s4
	ds_swizzle_b32 v6, v5 offset:swizzle(BROADCAST,32,15)
	ds_swizzle_b32 v3, v1 offset:swizzle(BROADCAST,32,15)
	;; [unrolled: 1-line block ×3, first 2 shown]
	s_mov_b32 s2, exec_lo
	s_waitcnt lgkmcnt(2)
	v_and_b32_e32 v7, 1, v6
	s_delay_alu instid0(VALU_DEP_1)
	v_cmpx_eq_u32_e32 1, v7
	s_cbranch_execz .LBB837_11
; %bb.10:
	s_waitcnt lgkmcnt(0)
	v_cmp_lt_i64_e32 vcc_lo, v[1:2], v[3:4]
	v_and_b32_e32 v5, 0xff, v6
	s_delay_alu instid0(VALU_DEP_1)
	v_cndmask_b32_e64 v5, v5, 1, s3
	s_and_b32 vcc_lo, s3, vcc_lo
	v_dual_cndmask_b32 v1, v3, v1 :: v_dual_cndmask_b32 v2, v4, v2
.LBB837_11:
	s_or_b32 exec_lo, exec_lo, s2
	s_waitcnt lgkmcnt(1)
	v_mov_b32_e32 v3, 0
	s_mov_b32 s2, exec_lo
	ds_bpermute_b32 v6, v3, v5 offset:124
	ds_bpermute_b32 v1, v3, v1 offset:124
	;; [unrolled: 1-line block ×3, first 2 shown]
	v_mbcnt_lo_u32_b32 v3, -1, 0
	s_delay_alu instid0(VALU_DEP_1)
	v_cmpx_eq_u32_e32 0, v3
	s_cbranch_execz .LBB837_13
; %bb.12:
	s_waitcnt lgkmcnt(3)
	v_lshrrev_b32_e32 v4, 1, v0
	s_delay_alu instid0(VALU_DEP_1)
	v_and_b32_e32 v4, 0x70, v4
	s_waitcnt lgkmcnt(2)
	ds_store_b8 v4, v6
	s_waitcnt lgkmcnt(1)
	ds_store_b64 v4, v[1:2] offset:8
.LBB837_13:
	s_or_b32 exec_lo, exec_lo, s2
	s_delay_alu instid0(SALU_CYCLE_1)
	s_mov_b32 s4, exec_lo
	s_waitcnt lgkmcnt(0)
	s_barrier
	buffer_gl0_inv
	v_cmpx_gt_u32_e32 32, v0
	s_cbranch_execz .LBB837_15
; %bb.14:
	v_and_b32_e32 v6, 7, v3
	s_delay_alu instid0(VALU_DEP_1)
	v_lshlrev_b32_e32 v1, 4, v6
	v_cmp_ne_u32_e32 vcc_lo, 7, v6
	ds_load_u8 v7, v1
	ds_load_b64 v[1:2], v1 offset:8
	v_add_co_ci_u32_e32 v4, vcc_lo, 0, v3, vcc_lo
	v_cmp_gt_u32_e32 vcc_lo, 6, v6
	s_delay_alu instid0(VALU_DEP_2)
	v_lshlrev_b32_e32 v5, 2, v4
	v_cndmask_b32_e64 v11, 0, 1, vcc_lo
	s_waitcnt lgkmcnt(1)
	v_and_b32_e32 v4, 0xff, v7
	v_and_b32_e32 v12, 1, v7
	ds_bpermute_b32 v8, v5, v4
	s_waitcnt lgkmcnt(1)
	ds_bpermute_b32 v4, v5, v1
	ds_bpermute_b32 v5, v5, v2
	v_cmp_eq_u32_e64 s3, 1, v12
	s_waitcnt lgkmcnt(2)
	v_and_b32_e32 v10, 1, v8
	s_waitcnt lgkmcnt(0)
	v_cmp_lt_i64_e64 s2, v[4:5], v[1:2]
	s_delay_alu instid0(VALU_DEP_2) | instskip(SKIP_2) | instid1(VALU_DEP_4)
	v_cmp_eq_u32_e32 vcc_lo, 1, v10
	v_lshlrev_b32_e32 v10, 1, v11
	v_cndmask_b32_e64 v7, v7, 1, vcc_lo
	s_and_b32 vcc_lo, vcc_lo, s2
	v_dual_cndmask_b32 v1, v1, v4 :: v_dual_cndmask_b32 v2, v2, v5
	s_delay_alu instid0(VALU_DEP_2) | instskip(SKIP_2) | instid1(VALU_DEP_4)
	v_cndmask_b32_e64 v7, v8, v7, s3
	v_add_lshl_u32 v8, v10, v3, 2
	v_cmp_gt_u32_e32 vcc_lo, 4, v6
	v_cndmask_b32_e64 v1, v4, v1, s3
	v_cndmask_b32_e64 v2, v5, v2, s3
	v_and_b32_e32 v10, 0xff, v7
	v_cndmask_b32_e64 v6, 0, 1, vcc_lo
	ds_bpermute_b32 v4, v8, v1
	ds_bpermute_b32 v5, v8, v2
	;; [unrolled: 1-line block ×3, first 2 shown]
	v_and_b32_e32 v11, 1, v7
	v_lshlrev_b32_e32 v6, 2, v6
	s_delay_alu instid0(VALU_DEP_1) | instskip(SKIP_4) | instid1(VALU_DEP_1)
	v_add_lshl_u32 v6, v6, v3, 2
	s_waitcnt lgkmcnt(1)
	v_cmp_lt_i64_e64 s2, v[4:5], v[1:2]
	s_waitcnt lgkmcnt(0)
	v_and_b32_e32 v8, 1, v10
	v_cmp_eq_u32_e32 vcc_lo, 1, v8
	v_cndmask_b32_e64 v7, v7, 1, vcc_lo
	s_delay_alu instid0(VALU_DEP_4) | instskip(SKIP_3) | instid1(VALU_DEP_2)
	s_and_b32 vcc_lo, vcc_lo, s2
	v_cndmask_b32_e32 v2, v2, v5, vcc_lo
	v_cmp_eq_u32_e64 s3, 1, v11
	v_cndmask_b32_e32 v1, v1, v4, vcc_lo
	v_cndmask_b32_e64 v7, v10, v7, s3
	s_delay_alu instid0(VALU_DEP_4) | instskip(NEXT) | instid1(VALU_DEP_3)
	v_cndmask_b32_e64 v2, v5, v2, s3
	v_cndmask_b32_e64 v1, v4, v1, s3
	ds_bpermute_b32 v4, v6, v2
	v_and_b32_e32 v3, 0xff, v7
	ds_bpermute_b32 v5, v6, v3
	ds_bpermute_b32 v3, v6, v1
	s_waitcnt lgkmcnt(1)
	v_and_b32_e32 v6, 1, v5
	s_waitcnt lgkmcnt(0)
	v_cmp_lt_i64_e32 vcc_lo, v[3:4], v[1:2]
	s_delay_alu instid0(VALU_DEP_2) | instskip(SKIP_1) | instid1(VALU_DEP_2)
	v_cmp_eq_u32_e64 s2, 1, v6
	v_and_b32_e32 v6, 1, v7
	v_cndmask_b32_e64 v7, v7, 1, s2
	s_and_b32 vcc_lo, s2, vcc_lo
	s_delay_alu instid0(VALU_DEP_2) | instskip(SKIP_1) | instid1(VALU_DEP_2)
	v_cmp_eq_u32_e64 s2, 1, v6
	v_dual_cndmask_b32 v2, v2, v4 :: v_dual_cndmask_b32 v1, v1, v3
	v_cndmask_b32_e64 v5, v5, v7, s2
	s_delay_alu instid0(VALU_DEP_2) | instskip(NEXT) | instid1(VALU_DEP_3)
	v_cndmask_b32_e64 v2, v4, v2, s2
	v_cndmask_b32_e64 v1, v3, v1, s2
	s_delay_alu instid0(VALU_DEP_3)
	v_and_b32_e32 v6, 0xff, v5
.LBB837_15:
	s_or_b32 exec_lo, exec_lo, s4
	s_load_b64 s[6:7], s[0:1], 0x58
	s_branch .LBB837_49
.LBB837_16:
                                        ; implicit-def: $vgpr1_vgpr2
                                        ; implicit-def: $vgpr6
	s_load_b64 s[6:7], s[0:1], 0x58
	s_cbranch_execz .LBB837_49
; %bb.17:
	v_dual_mov_b32 v5, 0 :: v_dual_mov_b32 v12, 0
	v_mov_b32_e32 v6, 0
	s_delay_alu instid0(VALU_DEP_2) | instskip(SKIP_2) | instid1(VALU_DEP_2)
	v_dual_mov_b32 v1, v5 :: v_dual_mov_b32 v10, 0
	s_sub_i32 s22, s8, s22
	s_mov_b32 s2, exec_lo
	v_mov_b32_e32 v2, v6
	v_cmpx_gt_u32_e64 s22, v0
	s_cbranch_execz .LBB837_19
; %bb.18:
	s_clause 0x1
	global_load_u16 v3, v9, s[18:19]
	global_load_u16 v4, v9, s[20:21]
	v_add_co_u32 v1, s3, s5, v0
	s_delay_alu instid0(VALU_DEP_1)
	v_add_co_ci_u32_e64 v2, null, s23, 0, s3
	s_waitcnt vmcnt(0)
	v_cmp_ne_u16_e32 vcc_lo, v3, v4
	v_cndmask_b32_e64 v10, 0, 1, vcc_lo
.LBB837_19:
	s_or_b32 exec_lo, exec_lo, s2
	v_or_b32_e32 v3, 0x100, v0
	s_delay_alu instid0(VALU_DEP_1) | instskip(NEXT) | instid1(VALU_DEP_1)
	v_cmp_gt_u32_e64 s3, s22, v3
	s_and_saveexec_b32 s2, s3
	s_cbranch_execz .LBB837_21
; %bb.20:
	s_clause 0x1
	global_load_u16 v4, v9, s[18:19] offset:512
	global_load_u16 v7, v9, s[20:21] offset:512
	v_add_co_u32 v5, s4, s5, v3
	s_delay_alu instid0(VALU_DEP_1)
	v_add_co_ci_u32_e64 v6, null, s23, 0, s4
	s_waitcnt vmcnt(0)
	v_cmp_ne_u16_e32 vcc_lo, v4, v7
	v_cndmask_b32_e64 v12, 0, 1, vcc_lo
.LBB837_21:
	s_or_b32 exec_lo, exec_lo, s2
	v_mov_b32_e32 v3, 0
	v_dual_mov_b32 v4, 0 :: v_dual_mov_b32 v11, 0
	v_or_b32_e32 v14, 0x200, v0
	s_delay_alu instid0(VALU_DEP_2) | instskip(NEXT) | instid1(VALU_DEP_4)
	v_dual_mov_b32 v13, 0 :: v_dual_mov_b32 v8, v4
	v_mov_b32_e32 v7, v3
	s_delay_alu instid0(VALU_DEP_3) | instskip(NEXT) | instid1(VALU_DEP_1)
	v_cmp_gt_u32_e64 s2, s22, v14
	s_and_saveexec_b32 s4, s2
	s_cbranch_execz .LBB837_23
; %bb.22:
	s_clause 0x1
	global_load_u16 v13, v9, s[18:19] offset:1024
	global_load_u16 v15, v9, s[20:21] offset:1024
	v_add_co_u32 v7, s24, s5, v14
	s_delay_alu instid0(VALU_DEP_1)
	v_add_co_ci_u32_e64 v8, null, s23, 0, s24
	s_waitcnt vmcnt(0)
	v_cmp_ne_u16_e32 vcc_lo, v13, v15
	v_cndmask_b32_e64 v13, 0, 1, vcc_lo
.LBB837_23:
	s_or_b32 exec_lo, exec_lo, s4
	v_or_b32_e32 v14, 0x300, v0
	s_delay_alu instid0(VALU_DEP_1)
	v_cmp_gt_u32_e32 vcc_lo, s22, v14
	s_and_saveexec_b32 s24, vcc_lo
	s_cbranch_execnz .LBB837_52
; %bb.24:
	s_or_b32 exec_lo, exec_lo, s24
	s_and_saveexec_b32 s5, s3
	s_cbranch_execnz .LBB837_53
.LBB837_25:
	s_or_b32 exec_lo, exec_lo, s5
	s_and_saveexec_b32 s4, s2
	s_cbranch_execnz .LBB837_54
.LBB837_26:
	s_or_b32 exec_lo, exec_lo, s4
	s_and_saveexec_b32 s3, vcc_lo
.LBB837_27:
	v_and_b32_e32 v5, 1, v11
	v_cmp_lt_i64_e32 vcc_lo, v[3:4], v[1:2]
	s_delay_alu instid0(VALU_DEP_2) | instskip(SKIP_1) | instid1(VALU_DEP_2)
	v_cmp_eq_u32_e64 s2, 1, v5
	v_and_b32_e32 v5, 1, v10
	s_and_b32 vcc_lo, s2, vcc_lo
	v_cndmask_b32_e64 v6, v10, 1, s2
	v_dual_cndmask_b32 v2, v2, v4 :: v_dual_cndmask_b32 v1, v1, v3
	s_delay_alu instid0(VALU_DEP_3) | instskip(NEXT) | instid1(VALU_DEP_3)
	v_cmp_eq_u32_e32 vcc_lo, 1, v5
	v_cndmask_b32_e32 v10, v11, v6, vcc_lo
	s_delay_alu instid0(VALU_DEP_3)
	v_dual_cndmask_b32 v2, v4, v2 :: v_dual_cndmask_b32 v1, v3, v1
.LBB837_28:
	s_or_b32 exec_lo, exec_lo, s3
	v_mbcnt_lo_u32_b32 v5, -1, 0
	v_and_b32_e32 v7, 0xe0, v0
	s_min_u32 s3, s22, 0x100
	v_and_b32_e32 v6, 0xffff, v10
	s_delay_alu instid0(VALU_DEP_3) | instskip(NEXT) | instid1(VALU_DEP_3)
	v_cmp_ne_u32_e32 vcc_lo, 31, v5
	v_sub_nc_u32_e64 v8, s3, v7 clamp
	v_add_nc_u32_e32 v7, 1, v5
	v_add_co_ci_u32_e32 v3, vcc_lo, 0, v5, vcc_lo
	s_delay_alu instid0(VALU_DEP_2) | instskip(NEXT) | instid1(VALU_DEP_2)
	v_cmp_lt_u32_e32 vcc_lo, v7, v8
	v_dual_mov_b32 v7, v6 :: v_dual_lshlrev_b32 v4, 2, v3
	ds_bpermute_b32 v9, v4, v6
	ds_bpermute_b32 v3, v4, v1
	;; [unrolled: 1-line block ×3, first 2 shown]
	s_and_saveexec_b32 s2, vcc_lo
	s_delay_alu instid0(SALU_CYCLE_1)
	s_xor_b32 s4, exec_lo, s2
	s_cbranch_execz .LBB837_30
; %bb.29:
	s_waitcnt lgkmcnt(0)
	v_and_b32_e32 v7, 1, v9
	v_cmp_lt_i64_e32 vcc_lo, v[3:4], v[1:2]
	s_delay_alu instid0(VALU_DEP_2) | instskip(SKIP_1) | instid1(VALU_DEP_2)
	v_cmp_eq_u32_e64 s2, 1, v7
	v_and_b32_e32 v7, 1, v10
	v_cndmask_b32_e64 v6, v6, 1, s2
	s_and_b32 vcc_lo, s2, vcc_lo
	s_delay_alu instid0(VALU_DEP_2) | instskip(SKIP_1) | instid1(VALU_DEP_2)
	v_cmp_eq_u32_e64 s2, 1, v7
	v_dual_cndmask_b32 v2, v2, v4 :: v_dual_cndmask_b32 v1, v1, v3
	v_cndmask_b32_e64 v7, v9, v6, s2
	s_delay_alu instid0(VALU_DEP_2) | instskip(NEXT) | instid1(VALU_DEP_3)
	v_cndmask_b32_e64 v2, v4, v2, s2
	v_cndmask_b32_e64 v1, v3, v1, s2
	s_delay_alu instid0(VALU_DEP_3)
	v_and_b32_e32 v6, 0xff, v7
.LBB837_30:
	s_or_b32 exec_lo, exec_lo, s4
	v_cmp_gt_u32_e32 vcc_lo, 30, v5
	v_add_nc_u32_e32 v10, 2, v5
	s_mov_b32 s4, exec_lo
	s_waitcnt lgkmcnt(0)
	v_cndmask_b32_e64 v3, 0, 1, vcc_lo
	s_delay_alu instid0(VALU_DEP_1) | instskip(NEXT) | instid1(VALU_DEP_1)
	v_lshlrev_b32_e32 v3, 1, v3
	v_add_lshl_u32 v4, v3, v5, 2
	ds_bpermute_b32 v9, v4, v6
	ds_bpermute_b32 v3, v4, v1
	ds_bpermute_b32 v4, v4, v2
	v_cmpx_lt_u32_e64 v10, v8
	s_cbranch_execz .LBB837_32
; %bb.31:
	s_waitcnt lgkmcnt(2)
	v_and_b32_e32 v6, 1, v9
	s_waitcnt lgkmcnt(0)
	v_cmp_lt_i64_e32 vcc_lo, v[3:4], v[1:2]
	s_delay_alu instid0(VALU_DEP_2) | instskip(SKIP_1) | instid1(VALU_DEP_2)
	v_cmp_eq_u32_e64 s2, 1, v6
	v_and_b32_e32 v6, 1, v7
	v_cndmask_b32_e64 v7, v7, 1, s2
	s_and_b32 vcc_lo, s2, vcc_lo
	s_delay_alu instid0(VALU_DEP_2) | instskip(SKIP_1) | instid1(VALU_DEP_2)
	v_cmp_eq_u32_e64 s2, 1, v6
	v_dual_cndmask_b32 v1, v1, v3 :: v_dual_cndmask_b32 v2, v2, v4
	v_cndmask_b32_e64 v7, v9, v7, s2
	s_delay_alu instid0(VALU_DEP_2) | instskip(NEXT) | instid1(VALU_DEP_3)
	v_cndmask_b32_e64 v1, v3, v1, s2
	v_cndmask_b32_e64 v2, v4, v2, s2
	s_delay_alu instid0(VALU_DEP_3)
	v_and_b32_e32 v6, 0xff, v7
.LBB837_32:
	s_or_b32 exec_lo, exec_lo, s4
	v_cmp_gt_u32_e32 vcc_lo, 28, v5
	v_add_nc_u32_e32 v10, 4, v5
	s_mov_b32 s4, exec_lo
	s_waitcnt lgkmcnt(1)
	v_cndmask_b32_e64 v3, 0, 1, vcc_lo
	s_delay_alu instid0(VALU_DEP_1) | instskip(SKIP_1) | instid1(VALU_DEP_1)
	v_lshlrev_b32_e32 v3, 2, v3
	s_waitcnt lgkmcnt(0)
	v_add_lshl_u32 v4, v3, v5, 2
	ds_bpermute_b32 v9, v4, v6
	ds_bpermute_b32 v3, v4, v1
	ds_bpermute_b32 v4, v4, v2
	v_cmpx_lt_u32_e64 v10, v8
	s_cbranch_execz .LBB837_34
; %bb.33:
	s_waitcnt lgkmcnt(2)
	v_and_b32_e32 v6, 1, v9
	s_waitcnt lgkmcnt(0)
	v_cmp_lt_i64_e32 vcc_lo, v[3:4], v[1:2]
	s_delay_alu instid0(VALU_DEP_2) | instskip(SKIP_1) | instid1(VALU_DEP_2)
	v_cmp_eq_u32_e64 s2, 1, v6
	v_and_b32_e32 v6, 1, v7
	v_cndmask_b32_e64 v7, v7, 1, s2
	s_and_b32 vcc_lo, s2, vcc_lo
	s_delay_alu instid0(VALU_DEP_2) | instskip(SKIP_1) | instid1(VALU_DEP_2)
	v_cmp_eq_u32_e64 s2, 1, v6
	v_dual_cndmask_b32 v1, v1, v3 :: v_dual_cndmask_b32 v2, v2, v4
	v_cndmask_b32_e64 v7, v9, v7, s2
	s_delay_alu instid0(VALU_DEP_2) | instskip(NEXT) | instid1(VALU_DEP_3)
	v_cndmask_b32_e64 v1, v3, v1, s2
	v_cndmask_b32_e64 v2, v4, v2, s2
	s_delay_alu instid0(VALU_DEP_3)
	v_and_b32_e32 v6, 0xff, v7
.LBB837_34:
	s_or_b32 exec_lo, exec_lo, s4
	v_cmp_gt_u32_e32 vcc_lo, 24, v5
	v_add_nc_u32_e32 v10, 8, v5
	s_mov_b32 s4, exec_lo
	s_waitcnt lgkmcnt(1)
	v_cndmask_b32_e64 v3, 0, 1, vcc_lo
	s_delay_alu instid0(VALU_DEP_1) | instskip(SKIP_1) | instid1(VALU_DEP_1)
	v_lshlrev_b32_e32 v3, 3, v3
	s_waitcnt lgkmcnt(0)
	;; [unrolled: 35-line block ×3, first 2 shown]
	v_add_lshl_u32 v4, v3, v5, 2
	ds_bpermute_b32 v9, v4, v6
	ds_bpermute_b32 v3, v4, v1
	;; [unrolled: 1-line block ×3, first 2 shown]
	v_cmpx_lt_u32_e64 v10, v8
	s_cbranch_execz .LBB837_38
; %bb.37:
	s_waitcnt lgkmcnt(2)
	v_and_b32_e32 v6, 1, v9
	s_waitcnt lgkmcnt(0)
	v_cmp_lt_i64_e32 vcc_lo, v[3:4], v[1:2]
	s_delay_alu instid0(VALU_DEP_2) | instskip(SKIP_1) | instid1(VALU_DEP_2)
	v_cmp_eq_u32_e64 s2, 1, v6
	v_and_b32_e32 v6, 1, v7
	v_cndmask_b32_e64 v7, v7, 1, s2
	s_and_b32 vcc_lo, s2, vcc_lo
	s_delay_alu instid0(VALU_DEP_2) | instskip(SKIP_1) | instid1(VALU_DEP_2)
	v_cmp_eq_u32_e64 s2, 1, v6
	v_dual_cndmask_b32 v1, v1, v3 :: v_dual_cndmask_b32 v2, v2, v4
	v_cndmask_b32_e64 v7, v9, v7, s2
	s_delay_alu instid0(VALU_DEP_2) | instskip(NEXT) | instid1(VALU_DEP_3)
	v_cndmask_b32_e64 v1, v3, v1, s2
	v_cndmask_b32_e64 v2, v4, v2, s2
	s_delay_alu instid0(VALU_DEP_3)
	v_and_b32_e32 v6, 0xff, v7
.LBB837_38:
	s_or_b32 exec_lo, exec_lo, s4
	s_delay_alu instid0(SALU_CYCLE_1)
	s_mov_b32 s2, exec_lo
	v_cmpx_eq_u32_e32 0, v5
	s_cbranch_execz .LBB837_40
; %bb.39:
	s_waitcnt lgkmcnt(1)
	v_lshrrev_b32_e32 v3, 1, v0
	s_delay_alu instid0(VALU_DEP_1)
	v_and_b32_e32 v3, 0x70, v3
	ds_store_b8 v3, v7 offset:128
	ds_store_b64 v3, v[1:2] offset:136
.LBB837_40:
	s_or_b32 exec_lo, exec_lo, s2
	s_delay_alu instid0(SALU_CYCLE_1)
	s_mov_b32 s4, exec_lo
	s_waitcnt lgkmcnt(0)
	s_barrier
	buffer_gl0_inv
	v_cmpx_gt_u32_e32 8, v0
	s_cbranch_execz .LBB837_48
; %bb.41:
	v_lshlrev_b32_e32 v1, 4, v5
	v_and_b32_e32 v8, 7, v5
	s_add_i32 s3, s3, 31
	s_mov_b32 s5, exec_lo
	s_lshr_b32 s3, s3, 5
	ds_load_u8 v7, v1 offset:128
	ds_load_b64 v[1:2], v1 offset:136
	v_cmp_ne_u32_e32 vcc_lo, 7, v8
	v_add_nc_u32_e32 v10, 1, v8
	v_add_co_ci_u32_e32 v3, vcc_lo, 0, v5, vcc_lo
	s_delay_alu instid0(VALU_DEP_1)
	v_lshlrev_b32_e32 v4, 2, v3
	s_waitcnt lgkmcnt(1)
	v_and_b32_e32 v6, 0xff, v7
	s_waitcnt lgkmcnt(0)
	ds_bpermute_b32 v3, v4, v1
	ds_bpermute_b32 v9, v4, v6
	;; [unrolled: 1-line block ×3, first 2 shown]
	v_cmpx_gt_u32_e64 s3, v10
	s_cbranch_execz .LBB837_43
; %bb.42:
	s_waitcnt lgkmcnt(1)
	v_and_b32_e32 v6, 1, v9
	s_waitcnt lgkmcnt(0)
	v_cmp_lt_i64_e32 vcc_lo, v[3:4], v[1:2]
	s_delay_alu instid0(VALU_DEP_2) | instskip(SKIP_1) | instid1(VALU_DEP_2)
	v_cmp_eq_u32_e64 s2, 1, v6
	v_and_b32_e32 v6, 1, v7
	v_cndmask_b32_e64 v7, v7, 1, s2
	s_and_b32 vcc_lo, s2, vcc_lo
	s_delay_alu instid0(VALU_DEP_2) | instskip(SKIP_1) | instid1(VALU_DEP_2)
	v_cmp_eq_u32_e64 s2, 1, v6
	v_dual_cndmask_b32 v1, v1, v3 :: v_dual_cndmask_b32 v2, v2, v4
	v_cndmask_b32_e64 v7, v9, v7, s2
	s_delay_alu instid0(VALU_DEP_2) | instskip(NEXT) | instid1(VALU_DEP_3)
	v_cndmask_b32_e64 v1, v3, v1, s2
	v_cndmask_b32_e64 v2, v4, v2, s2
	s_delay_alu instid0(VALU_DEP_3)
	v_and_b32_e32 v6, 0xff, v7
.LBB837_43:
	s_or_b32 exec_lo, exec_lo, s5
	v_cmp_gt_u32_e32 vcc_lo, 6, v8
	v_add_nc_u32_e32 v10, 2, v8
	s_mov_b32 s5, exec_lo
	s_waitcnt lgkmcnt(2)
	v_cndmask_b32_e64 v3, 0, 1, vcc_lo
	s_delay_alu instid0(VALU_DEP_1) | instskip(SKIP_1) | instid1(VALU_DEP_1)
	v_lshlrev_b32_e32 v3, 1, v3
	s_waitcnt lgkmcnt(0)
	v_add_lshl_u32 v4, v3, v5, 2
	ds_bpermute_b32 v9, v4, v6
	ds_bpermute_b32 v3, v4, v1
	;; [unrolled: 1-line block ×3, first 2 shown]
	v_cmpx_gt_u32_e64 s3, v10
	s_cbranch_execz .LBB837_45
; %bb.44:
	s_waitcnt lgkmcnt(2)
	v_and_b32_e32 v6, 1, v9
	s_waitcnt lgkmcnt(0)
	v_cmp_lt_i64_e32 vcc_lo, v[3:4], v[1:2]
	s_delay_alu instid0(VALU_DEP_2) | instskip(SKIP_1) | instid1(VALU_DEP_2)
	v_cmp_eq_u32_e64 s2, 1, v6
	v_and_b32_e32 v6, 1, v7
	v_cndmask_b32_e64 v7, v7, 1, s2
	s_and_b32 vcc_lo, s2, vcc_lo
	s_delay_alu instid0(VALU_DEP_2) | instskip(SKIP_1) | instid1(VALU_DEP_2)
	v_cmp_eq_u32_e64 s2, 1, v6
	v_dual_cndmask_b32 v1, v1, v3 :: v_dual_cndmask_b32 v2, v2, v4
	v_cndmask_b32_e64 v7, v9, v7, s2
	s_delay_alu instid0(VALU_DEP_2) | instskip(NEXT) | instid1(VALU_DEP_3)
	v_cndmask_b32_e64 v1, v3, v1, s2
	v_cndmask_b32_e64 v2, v4, v2, s2
	s_delay_alu instid0(VALU_DEP_3)
	v_and_b32_e32 v6, 0xff, v7
.LBB837_45:
	s_or_b32 exec_lo, exec_lo, s5
	v_cmp_gt_u32_e32 vcc_lo, 4, v8
	v_add_nc_u32_e32 v8, 4, v8
	s_waitcnt lgkmcnt(1)
	v_cndmask_b32_e64 v3, 0, 1, vcc_lo
	s_delay_alu instid0(VALU_DEP_2) | instskip(NEXT) | instid1(VALU_DEP_2)
	v_cmp_gt_u32_e32 vcc_lo, s3, v8
	v_lshlrev_b32_e32 v3, 2, v3
	s_waitcnt lgkmcnt(0)
	s_delay_alu instid0(VALU_DEP_1)
	v_add_lshl_u32 v4, v3, v5, 2
	ds_bpermute_b32 v5, v4, v6
	ds_bpermute_b32 v3, v4, v1
	;; [unrolled: 1-line block ×3, first 2 shown]
	s_and_saveexec_b32 s3, vcc_lo
	s_cbranch_execz .LBB837_47
; %bb.46:
	s_waitcnt lgkmcnt(2)
	v_and_b32_e32 v6, 1, v5
	s_waitcnt lgkmcnt(0)
	v_cmp_lt_i64_e32 vcc_lo, v[3:4], v[1:2]
	s_delay_alu instid0(VALU_DEP_2) | instskip(SKIP_1) | instid1(VALU_DEP_2)
	v_cmp_eq_u32_e64 s2, 1, v6
	v_and_b32_e32 v6, 1, v7
	v_cndmask_b32_e64 v7, v7, 1, s2
	s_and_b32 vcc_lo, s2, vcc_lo
	s_delay_alu instid0(VALU_DEP_2) | instskip(SKIP_1) | instid1(VALU_DEP_2)
	v_cmp_eq_u32_e64 s2, 1, v6
	v_dual_cndmask_b32 v1, v1, v3 :: v_dual_cndmask_b32 v2, v2, v4
	v_cndmask_b32_e64 v5, v5, v7, s2
	s_delay_alu instid0(VALU_DEP_2) | instskip(NEXT) | instid1(VALU_DEP_3)
	v_cndmask_b32_e64 v1, v3, v1, s2
	v_cndmask_b32_e64 v2, v4, v2, s2
	s_delay_alu instid0(VALU_DEP_3)
	v_and_b32_e32 v6, 0xff, v5
.LBB837_47:
	s_or_b32 exec_lo, exec_lo, s3
.LBB837_48:
	s_delay_alu instid0(SALU_CYCLE_1)
	s_or_b32 exec_lo, exec_lo, s4
.LBB837_49:
	s_load_b32 s0, s[0:1], 0x50
	s_mov_b32 s1, exec_lo
	v_cmpx_eq_u32_e32 0, v0
	s_cbranch_execz .LBB837_51
; %bb.50:
	s_mul_i32 s1, s14, s13
	s_mul_hi_u32 s2, s14, s12
	s_mul_i32 s3, s15, s12
	s_add_i32 s1, s2, s1
	s_mul_i32 s2, s14, s12
	s_add_i32 s3, s1, s3
	v_mov_b32_e32 v0, 0
	s_lshl_b64 s[2:3], s[2:3], 4
	s_delay_alu instid0(SALU_CYCLE_1)
	s_add_u32 s1, s10, s2
	s_addc_u32 s4, s11, s3
	s_cmp_eq_u64 s[8:9], 0
	s_cselect_b32 s5, -1, 0
	s_lshl_b64 s[2:3], s[16:17], 4
	s_waitcnt lgkmcnt(0)
	v_cndmask_b32_e64 v3, v6, s0, s5
	v_cndmask_b32_e64 v2, v2, s7, s5
	v_cndmask_b32_e64 v1, v1, s6, s5
	s_add_u32 s0, s1, s2
	s_addc_u32 s1, s4, s3
	s_clause 0x1
	global_store_b8 v0, v3, s[0:1]
	global_store_b64 v0, v[1:2], s[0:1] offset:8
.LBB837_51:
	s_nop 0
	s_sendmsg sendmsg(MSG_DEALLOC_VGPRS)
	s_endpgm
.LBB837_52:
	s_clause 0x1
	global_load_u16 v11, v9, s[18:19] offset:1536
	global_load_u16 v9, v9, s[20:21] offset:1536
	v_add_co_u32 v3, s4, s5, v14
	s_delay_alu instid0(VALU_DEP_1) | instskip(SKIP_2) | instid1(VALU_DEP_1)
	v_add_co_ci_u32_e64 v4, null, s23, 0, s4
	s_waitcnt vmcnt(0)
	v_cmp_ne_u16_e64 s4, v11, v9
	v_cndmask_b32_e64 v11, 0, 1, s4
	s_or_b32 exec_lo, exec_lo, s24
	s_and_saveexec_b32 s5, s3
	s_cbranch_execz .LBB837_25
.LBB837_53:
	v_and_b32_e32 v9, 1, v12
	v_cmp_lt_i64_e64 s3, v[5:6], v[1:2]
	s_delay_alu instid0(VALU_DEP_2) | instskip(SKIP_1) | instid1(VALU_DEP_2)
	v_cmp_eq_u32_e64 s4, 1, v9
	v_and_b32_e32 v9, 1, v10
	s_and_b32 s3, s4, s3
	v_cndmask_b32_e64 v10, v10, 1, s4
	v_cndmask_b32_e64 v1, v1, v5, s3
	;; [unrolled: 1-line block ×3, first 2 shown]
	v_cmp_eq_u32_e64 s3, 1, v9
	s_delay_alu instid0(VALU_DEP_1) | instskip(NEXT) | instid1(VALU_DEP_3)
	v_cndmask_b32_e64 v10, v12, v10, s3
	v_cndmask_b32_e64 v2, v6, v2, s3
	;; [unrolled: 1-line block ×3, first 2 shown]
	s_or_b32 exec_lo, exec_lo, s5
	s_and_saveexec_b32 s4, s2
	s_cbranch_execz .LBB837_26
.LBB837_54:
	v_and_b32_e32 v5, 1, v13
	v_cmp_lt_i64_e64 s2, v[7:8], v[1:2]
	s_delay_alu instid0(VALU_DEP_2) | instskip(SKIP_1) | instid1(VALU_DEP_2)
	v_cmp_eq_u32_e64 s3, 1, v5
	v_and_b32_e32 v5, 1, v10
	s_and_b32 s2, s3, s2
	v_cndmask_b32_e64 v6, v10, 1, s3
	v_cndmask_b32_e64 v1, v1, v7, s2
	;; [unrolled: 1-line block ×3, first 2 shown]
	v_cmp_eq_u32_e64 s2, 1, v5
	s_delay_alu instid0(VALU_DEP_1) | instskip(NEXT) | instid1(VALU_DEP_3)
	v_cndmask_b32_e64 v10, v13, v6, s2
	v_cndmask_b32_e64 v2, v8, v2, s2
	;; [unrolled: 1-line block ×3, first 2 shown]
	s_or_b32 exec_lo, exec_lo, s4
	s_and_saveexec_b32 s3, vcc_lo
	s_cbranch_execnz .LBB837_27
	s_branch .LBB837_28
	.section	.rodata,"a",@progbits
	.p2align	6, 0x0
	.amdhsa_kernel _ZN7rocprim17ROCPRIM_400000_NS6detail17trampoline_kernelINS0_14default_configENS1_22reduce_config_selectorIN6thrust23THRUST_200600_302600_NS5tupleIblNS6_9null_typeES8_S8_S8_S8_S8_S8_S8_EEEEZNS1_11reduce_implILb1ES3_NS6_12zip_iteratorINS7_INS6_11hip_rocprim26transform_input_iterator_tIbNSD_35transform_pair_of_input_iterators_tIbNS6_6detail15normal_iteratorINS6_10device_ptrIKtEEEESL_NS6_8equal_toItEEEENSG_9not_fun_tINSD_8identityEEEEENSD_19counting_iterator_tIlEES8_S8_S8_S8_S8_S8_S8_S8_EEEEPS9_S9_NSD_9__find_if7functorIS9_EEEE10hipError_tPvRmT1_T2_T3_mT4_P12ihipStream_tbEUlT_E0_NS1_11comp_targetILNS1_3genE9ELNS1_11target_archE1100ELNS1_3gpuE3ELNS1_3repE0EEENS1_30default_config_static_selectorELNS0_4arch9wavefront6targetE0EEEvS14_
		.amdhsa_group_segment_fixed_size 256
		.amdhsa_private_segment_fixed_size 0
		.amdhsa_kernarg_size 104
		.amdhsa_user_sgpr_count 15
		.amdhsa_user_sgpr_dispatch_ptr 0
		.amdhsa_user_sgpr_queue_ptr 0
		.amdhsa_user_sgpr_kernarg_segment_ptr 1
		.amdhsa_user_sgpr_dispatch_id 0
		.amdhsa_user_sgpr_private_segment_size 0
		.amdhsa_wavefront_size32 1
		.amdhsa_uses_dynamic_stack 0
		.amdhsa_enable_private_segment 0
		.amdhsa_system_sgpr_workgroup_id_x 1
		.amdhsa_system_sgpr_workgroup_id_y 0
		.amdhsa_system_sgpr_workgroup_id_z 0
		.amdhsa_system_sgpr_workgroup_info 0
		.amdhsa_system_vgpr_workitem_id 0
		.amdhsa_next_free_vgpr 16
		.amdhsa_next_free_sgpr 28
		.amdhsa_reserve_vcc 1
		.amdhsa_float_round_mode_32 0
		.amdhsa_float_round_mode_16_64 0
		.amdhsa_float_denorm_mode_32 3
		.amdhsa_float_denorm_mode_16_64 3
		.amdhsa_dx10_clamp 1
		.amdhsa_ieee_mode 1
		.amdhsa_fp16_overflow 0
		.amdhsa_workgroup_processor_mode 1
		.amdhsa_memory_ordered 1
		.amdhsa_forward_progress 0
		.amdhsa_shared_vgpr_count 0
		.amdhsa_exception_fp_ieee_invalid_op 0
		.amdhsa_exception_fp_denorm_src 0
		.amdhsa_exception_fp_ieee_div_zero 0
		.amdhsa_exception_fp_ieee_overflow 0
		.amdhsa_exception_fp_ieee_underflow 0
		.amdhsa_exception_fp_ieee_inexact 0
		.amdhsa_exception_int_div_zero 0
	.end_amdhsa_kernel
	.section	.text._ZN7rocprim17ROCPRIM_400000_NS6detail17trampoline_kernelINS0_14default_configENS1_22reduce_config_selectorIN6thrust23THRUST_200600_302600_NS5tupleIblNS6_9null_typeES8_S8_S8_S8_S8_S8_S8_EEEEZNS1_11reduce_implILb1ES3_NS6_12zip_iteratorINS7_INS6_11hip_rocprim26transform_input_iterator_tIbNSD_35transform_pair_of_input_iterators_tIbNS6_6detail15normal_iteratorINS6_10device_ptrIKtEEEESL_NS6_8equal_toItEEEENSG_9not_fun_tINSD_8identityEEEEENSD_19counting_iterator_tIlEES8_S8_S8_S8_S8_S8_S8_S8_EEEEPS9_S9_NSD_9__find_if7functorIS9_EEEE10hipError_tPvRmT1_T2_T3_mT4_P12ihipStream_tbEUlT_E0_NS1_11comp_targetILNS1_3genE9ELNS1_11target_archE1100ELNS1_3gpuE3ELNS1_3repE0EEENS1_30default_config_static_selectorELNS0_4arch9wavefront6targetE0EEEvS14_,"axG",@progbits,_ZN7rocprim17ROCPRIM_400000_NS6detail17trampoline_kernelINS0_14default_configENS1_22reduce_config_selectorIN6thrust23THRUST_200600_302600_NS5tupleIblNS6_9null_typeES8_S8_S8_S8_S8_S8_S8_EEEEZNS1_11reduce_implILb1ES3_NS6_12zip_iteratorINS7_INS6_11hip_rocprim26transform_input_iterator_tIbNSD_35transform_pair_of_input_iterators_tIbNS6_6detail15normal_iteratorINS6_10device_ptrIKtEEEESL_NS6_8equal_toItEEEENSG_9not_fun_tINSD_8identityEEEEENSD_19counting_iterator_tIlEES8_S8_S8_S8_S8_S8_S8_S8_EEEEPS9_S9_NSD_9__find_if7functorIS9_EEEE10hipError_tPvRmT1_T2_T3_mT4_P12ihipStream_tbEUlT_E0_NS1_11comp_targetILNS1_3genE9ELNS1_11target_archE1100ELNS1_3gpuE3ELNS1_3repE0EEENS1_30default_config_static_selectorELNS0_4arch9wavefront6targetE0EEEvS14_,comdat
.Lfunc_end837:
	.size	_ZN7rocprim17ROCPRIM_400000_NS6detail17trampoline_kernelINS0_14default_configENS1_22reduce_config_selectorIN6thrust23THRUST_200600_302600_NS5tupleIblNS6_9null_typeES8_S8_S8_S8_S8_S8_S8_EEEEZNS1_11reduce_implILb1ES3_NS6_12zip_iteratorINS7_INS6_11hip_rocprim26transform_input_iterator_tIbNSD_35transform_pair_of_input_iterators_tIbNS6_6detail15normal_iteratorINS6_10device_ptrIKtEEEESL_NS6_8equal_toItEEEENSG_9not_fun_tINSD_8identityEEEEENSD_19counting_iterator_tIlEES8_S8_S8_S8_S8_S8_S8_S8_EEEEPS9_S9_NSD_9__find_if7functorIS9_EEEE10hipError_tPvRmT1_T2_T3_mT4_P12ihipStream_tbEUlT_E0_NS1_11comp_targetILNS1_3genE9ELNS1_11target_archE1100ELNS1_3gpuE3ELNS1_3repE0EEENS1_30default_config_static_selectorELNS0_4arch9wavefront6targetE0EEEvS14_, .Lfunc_end837-_ZN7rocprim17ROCPRIM_400000_NS6detail17trampoline_kernelINS0_14default_configENS1_22reduce_config_selectorIN6thrust23THRUST_200600_302600_NS5tupleIblNS6_9null_typeES8_S8_S8_S8_S8_S8_S8_EEEEZNS1_11reduce_implILb1ES3_NS6_12zip_iteratorINS7_INS6_11hip_rocprim26transform_input_iterator_tIbNSD_35transform_pair_of_input_iterators_tIbNS6_6detail15normal_iteratorINS6_10device_ptrIKtEEEESL_NS6_8equal_toItEEEENSG_9not_fun_tINSD_8identityEEEEENSD_19counting_iterator_tIlEES8_S8_S8_S8_S8_S8_S8_S8_EEEEPS9_S9_NSD_9__find_if7functorIS9_EEEE10hipError_tPvRmT1_T2_T3_mT4_P12ihipStream_tbEUlT_E0_NS1_11comp_targetILNS1_3genE9ELNS1_11target_archE1100ELNS1_3gpuE3ELNS1_3repE0EEENS1_30default_config_static_selectorELNS0_4arch9wavefront6targetE0EEEvS14_
                                        ; -- End function
	.section	.AMDGPU.csdata,"",@progbits
; Kernel info:
; codeLenInByte = 4024
; NumSgprs: 30
; NumVgprs: 16
; ScratchSize: 0
; MemoryBound: 0
; FloatMode: 240
; IeeeMode: 1
; LDSByteSize: 256 bytes/workgroup (compile time only)
; SGPRBlocks: 3
; VGPRBlocks: 1
; NumSGPRsForWavesPerEU: 30
; NumVGPRsForWavesPerEU: 16
; Occupancy: 16
; WaveLimiterHint : 0
; COMPUTE_PGM_RSRC2:SCRATCH_EN: 0
; COMPUTE_PGM_RSRC2:USER_SGPR: 15
; COMPUTE_PGM_RSRC2:TRAP_HANDLER: 0
; COMPUTE_PGM_RSRC2:TGID_X_EN: 1
; COMPUTE_PGM_RSRC2:TGID_Y_EN: 0
; COMPUTE_PGM_RSRC2:TGID_Z_EN: 0
; COMPUTE_PGM_RSRC2:TIDIG_COMP_CNT: 0
	.section	.text._ZN7rocprim17ROCPRIM_400000_NS6detail17trampoline_kernelINS0_14default_configENS1_22reduce_config_selectorIN6thrust23THRUST_200600_302600_NS5tupleIblNS6_9null_typeES8_S8_S8_S8_S8_S8_S8_EEEEZNS1_11reduce_implILb1ES3_NS6_12zip_iteratorINS7_INS6_11hip_rocprim26transform_input_iterator_tIbNSD_35transform_pair_of_input_iterators_tIbNS6_6detail15normal_iteratorINS6_10device_ptrIKtEEEESL_NS6_8equal_toItEEEENSG_9not_fun_tINSD_8identityEEEEENSD_19counting_iterator_tIlEES8_S8_S8_S8_S8_S8_S8_S8_EEEEPS9_S9_NSD_9__find_if7functorIS9_EEEE10hipError_tPvRmT1_T2_T3_mT4_P12ihipStream_tbEUlT_E0_NS1_11comp_targetILNS1_3genE8ELNS1_11target_archE1030ELNS1_3gpuE2ELNS1_3repE0EEENS1_30default_config_static_selectorELNS0_4arch9wavefront6targetE0EEEvS14_,"axG",@progbits,_ZN7rocprim17ROCPRIM_400000_NS6detail17trampoline_kernelINS0_14default_configENS1_22reduce_config_selectorIN6thrust23THRUST_200600_302600_NS5tupleIblNS6_9null_typeES8_S8_S8_S8_S8_S8_S8_EEEEZNS1_11reduce_implILb1ES3_NS6_12zip_iteratorINS7_INS6_11hip_rocprim26transform_input_iterator_tIbNSD_35transform_pair_of_input_iterators_tIbNS6_6detail15normal_iteratorINS6_10device_ptrIKtEEEESL_NS6_8equal_toItEEEENSG_9not_fun_tINSD_8identityEEEEENSD_19counting_iterator_tIlEES8_S8_S8_S8_S8_S8_S8_S8_EEEEPS9_S9_NSD_9__find_if7functorIS9_EEEE10hipError_tPvRmT1_T2_T3_mT4_P12ihipStream_tbEUlT_E0_NS1_11comp_targetILNS1_3genE8ELNS1_11target_archE1030ELNS1_3gpuE2ELNS1_3repE0EEENS1_30default_config_static_selectorELNS0_4arch9wavefront6targetE0EEEvS14_,comdat
	.protected	_ZN7rocprim17ROCPRIM_400000_NS6detail17trampoline_kernelINS0_14default_configENS1_22reduce_config_selectorIN6thrust23THRUST_200600_302600_NS5tupleIblNS6_9null_typeES8_S8_S8_S8_S8_S8_S8_EEEEZNS1_11reduce_implILb1ES3_NS6_12zip_iteratorINS7_INS6_11hip_rocprim26transform_input_iterator_tIbNSD_35transform_pair_of_input_iterators_tIbNS6_6detail15normal_iteratorINS6_10device_ptrIKtEEEESL_NS6_8equal_toItEEEENSG_9not_fun_tINSD_8identityEEEEENSD_19counting_iterator_tIlEES8_S8_S8_S8_S8_S8_S8_S8_EEEEPS9_S9_NSD_9__find_if7functorIS9_EEEE10hipError_tPvRmT1_T2_T3_mT4_P12ihipStream_tbEUlT_E0_NS1_11comp_targetILNS1_3genE8ELNS1_11target_archE1030ELNS1_3gpuE2ELNS1_3repE0EEENS1_30default_config_static_selectorELNS0_4arch9wavefront6targetE0EEEvS14_ ; -- Begin function _ZN7rocprim17ROCPRIM_400000_NS6detail17trampoline_kernelINS0_14default_configENS1_22reduce_config_selectorIN6thrust23THRUST_200600_302600_NS5tupleIblNS6_9null_typeES8_S8_S8_S8_S8_S8_S8_EEEEZNS1_11reduce_implILb1ES3_NS6_12zip_iteratorINS7_INS6_11hip_rocprim26transform_input_iterator_tIbNSD_35transform_pair_of_input_iterators_tIbNS6_6detail15normal_iteratorINS6_10device_ptrIKtEEEESL_NS6_8equal_toItEEEENSG_9not_fun_tINSD_8identityEEEEENSD_19counting_iterator_tIlEES8_S8_S8_S8_S8_S8_S8_S8_EEEEPS9_S9_NSD_9__find_if7functorIS9_EEEE10hipError_tPvRmT1_T2_T3_mT4_P12ihipStream_tbEUlT_E0_NS1_11comp_targetILNS1_3genE8ELNS1_11target_archE1030ELNS1_3gpuE2ELNS1_3repE0EEENS1_30default_config_static_selectorELNS0_4arch9wavefront6targetE0EEEvS14_
	.globl	_ZN7rocprim17ROCPRIM_400000_NS6detail17trampoline_kernelINS0_14default_configENS1_22reduce_config_selectorIN6thrust23THRUST_200600_302600_NS5tupleIblNS6_9null_typeES8_S8_S8_S8_S8_S8_S8_EEEEZNS1_11reduce_implILb1ES3_NS6_12zip_iteratorINS7_INS6_11hip_rocprim26transform_input_iterator_tIbNSD_35transform_pair_of_input_iterators_tIbNS6_6detail15normal_iteratorINS6_10device_ptrIKtEEEESL_NS6_8equal_toItEEEENSG_9not_fun_tINSD_8identityEEEEENSD_19counting_iterator_tIlEES8_S8_S8_S8_S8_S8_S8_S8_EEEEPS9_S9_NSD_9__find_if7functorIS9_EEEE10hipError_tPvRmT1_T2_T3_mT4_P12ihipStream_tbEUlT_E0_NS1_11comp_targetILNS1_3genE8ELNS1_11target_archE1030ELNS1_3gpuE2ELNS1_3repE0EEENS1_30default_config_static_selectorELNS0_4arch9wavefront6targetE0EEEvS14_
	.p2align	8
	.type	_ZN7rocprim17ROCPRIM_400000_NS6detail17trampoline_kernelINS0_14default_configENS1_22reduce_config_selectorIN6thrust23THRUST_200600_302600_NS5tupleIblNS6_9null_typeES8_S8_S8_S8_S8_S8_S8_EEEEZNS1_11reduce_implILb1ES3_NS6_12zip_iteratorINS7_INS6_11hip_rocprim26transform_input_iterator_tIbNSD_35transform_pair_of_input_iterators_tIbNS6_6detail15normal_iteratorINS6_10device_ptrIKtEEEESL_NS6_8equal_toItEEEENSG_9not_fun_tINSD_8identityEEEEENSD_19counting_iterator_tIlEES8_S8_S8_S8_S8_S8_S8_S8_EEEEPS9_S9_NSD_9__find_if7functorIS9_EEEE10hipError_tPvRmT1_T2_T3_mT4_P12ihipStream_tbEUlT_E0_NS1_11comp_targetILNS1_3genE8ELNS1_11target_archE1030ELNS1_3gpuE2ELNS1_3repE0EEENS1_30default_config_static_selectorELNS0_4arch9wavefront6targetE0EEEvS14_,@function
_ZN7rocprim17ROCPRIM_400000_NS6detail17trampoline_kernelINS0_14default_configENS1_22reduce_config_selectorIN6thrust23THRUST_200600_302600_NS5tupleIblNS6_9null_typeES8_S8_S8_S8_S8_S8_S8_EEEEZNS1_11reduce_implILb1ES3_NS6_12zip_iteratorINS7_INS6_11hip_rocprim26transform_input_iterator_tIbNSD_35transform_pair_of_input_iterators_tIbNS6_6detail15normal_iteratorINS6_10device_ptrIKtEEEESL_NS6_8equal_toItEEEENSG_9not_fun_tINSD_8identityEEEEENSD_19counting_iterator_tIlEES8_S8_S8_S8_S8_S8_S8_S8_EEEEPS9_S9_NSD_9__find_if7functorIS9_EEEE10hipError_tPvRmT1_T2_T3_mT4_P12ihipStream_tbEUlT_E0_NS1_11comp_targetILNS1_3genE8ELNS1_11target_archE1030ELNS1_3gpuE2ELNS1_3repE0EEENS1_30default_config_static_selectorELNS0_4arch9wavefront6targetE0EEEvS14_: ; @_ZN7rocprim17ROCPRIM_400000_NS6detail17trampoline_kernelINS0_14default_configENS1_22reduce_config_selectorIN6thrust23THRUST_200600_302600_NS5tupleIblNS6_9null_typeES8_S8_S8_S8_S8_S8_S8_EEEEZNS1_11reduce_implILb1ES3_NS6_12zip_iteratorINS7_INS6_11hip_rocprim26transform_input_iterator_tIbNSD_35transform_pair_of_input_iterators_tIbNS6_6detail15normal_iteratorINS6_10device_ptrIKtEEEESL_NS6_8equal_toItEEEENSG_9not_fun_tINSD_8identityEEEEENSD_19counting_iterator_tIlEES8_S8_S8_S8_S8_S8_S8_S8_EEEEPS9_S9_NSD_9__find_if7functorIS9_EEEE10hipError_tPvRmT1_T2_T3_mT4_P12ihipStream_tbEUlT_E0_NS1_11comp_targetILNS1_3genE8ELNS1_11target_archE1030ELNS1_3gpuE2ELNS1_3repE0EEENS1_30default_config_static_selectorELNS0_4arch9wavefront6targetE0EEEvS14_
; %bb.0:
	.section	.rodata,"a",@progbits
	.p2align	6, 0x0
	.amdhsa_kernel _ZN7rocprim17ROCPRIM_400000_NS6detail17trampoline_kernelINS0_14default_configENS1_22reduce_config_selectorIN6thrust23THRUST_200600_302600_NS5tupleIblNS6_9null_typeES8_S8_S8_S8_S8_S8_S8_EEEEZNS1_11reduce_implILb1ES3_NS6_12zip_iteratorINS7_INS6_11hip_rocprim26transform_input_iterator_tIbNSD_35transform_pair_of_input_iterators_tIbNS6_6detail15normal_iteratorINS6_10device_ptrIKtEEEESL_NS6_8equal_toItEEEENSG_9not_fun_tINSD_8identityEEEEENSD_19counting_iterator_tIlEES8_S8_S8_S8_S8_S8_S8_S8_EEEEPS9_S9_NSD_9__find_if7functorIS9_EEEE10hipError_tPvRmT1_T2_T3_mT4_P12ihipStream_tbEUlT_E0_NS1_11comp_targetILNS1_3genE8ELNS1_11target_archE1030ELNS1_3gpuE2ELNS1_3repE0EEENS1_30default_config_static_selectorELNS0_4arch9wavefront6targetE0EEEvS14_
		.amdhsa_group_segment_fixed_size 0
		.amdhsa_private_segment_fixed_size 0
		.amdhsa_kernarg_size 104
		.amdhsa_user_sgpr_count 15
		.amdhsa_user_sgpr_dispatch_ptr 0
		.amdhsa_user_sgpr_queue_ptr 0
		.amdhsa_user_sgpr_kernarg_segment_ptr 1
		.amdhsa_user_sgpr_dispatch_id 0
		.amdhsa_user_sgpr_private_segment_size 0
		.amdhsa_wavefront_size32 1
		.amdhsa_uses_dynamic_stack 0
		.amdhsa_enable_private_segment 0
		.amdhsa_system_sgpr_workgroup_id_x 1
		.amdhsa_system_sgpr_workgroup_id_y 0
		.amdhsa_system_sgpr_workgroup_id_z 0
		.amdhsa_system_sgpr_workgroup_info 0
		.amdhsa_system_vgpr_workitem_id 0
		.amdhsa_next_free_vgpr 1
		.amdhsa_next_free_sgpr 1
		.amdhsa_reserve_vcc 0
		.amdhsa_float_round_mode_32 0
		.amdhsa_float_round_mode_16_64 0
		.amdhsa_float_denorm_mode_32 3
		.amdhsa_float_denorm_mode_16_64 3
		.amdhsa_dx10_clamp 1
		.amdhsa_ieee_mode 1
		.amdhsa_fp16_overflow 0
		.amdhsa_workgroup_processor_mode 1
		.amdhsa_memory_ordered 1
		.amdhsa_forward_progress 0
		.amdhsa_shared_vgpr_count 0
		.amdhsa_exception_fp_ieee_invalid_op 0
		.amdhsa_exception_fp_denorm_src 0
		.amdhsa_exception_fp_ieee_div_zero 0
		.amdhsa_exception_fp_ieee_overflow 0
		.amdhsa_exception_fp_ieee_underflow 0
		.amdhsa_exception_fp_ieee_inexact 0
		.amdhsa_exception_int_div_zero 0
	.end_amdhsa_kernel
	.section	.text._ZN7rocprim17ROCPRIM_400000_NS6detail17trampoline_kernelINS0_14default_configENS1_22reduce_config_selectorIN6thrust23THRUST_200600_302600_NS5tupleIblNS6_9null_typeES8_S8_S8_S8_S8_S8_S8_EEEEZNS1_11reduce_implILb1ES3_NS6_12zip_iteratorINS7_INS6_11hip_rocprim26transform_input_iterator_tIbNSD_35transform_pair_of_input_iterators_tIbNS6_6detail15normal_iteratorINS6_10device_ptrIKtEEEESL_NS6_8equal_toItEEEENSG_9not_fun_tINSD_8identityEEEEENSD_19counting_iterator_tIlEES8_S8_S8_S8_S8_S8_S8_S8_EEEEPS9_S9_NSD_9__find_if7functorIS9_EEEE10hipError_tPvRmT1_T2_T3_mT4_P12ihipStream_tbEUlT_E0_NS1_11comp_targetILNS1_3genE8ELNS1_11target_archE1030ELNS1_3gpuE2ELNS1_3repE0EEENS1_30default_config_static_selectorELNS0_4arch9wavefront6targetE0EEEvS14_,"axG",@progbits,_ZN7rocprim17ROCPRIM_400000_NS6detail17trampoline_kernelINS0_14default_configENS1_22reduce_config_selectorIN6thrust23THRUST_200600_302600_NS5tupleIblNS6_9null_typeES8_S8_S8_S8_S8_S8_S8_EEEEZNS1_11reduce_implILb1ES3_NS6_12zip_iteratorINS7_INS6_11hip_rocprim26transform_input_iterator_tIbNSD_35transform_pair_of_input_iterators_tIbNS6_6detail15normal_iteratorINS6_10device_ptrIKtEEEESL_NS6_8equal_toItEEEENSG_9not_fun_tINSD_8identityEEEEENSD_19counting_iterator_tIlEES8_S8_S8_S8_S8_S8_S8_S8_EEEEPS9_S9_NSD_9__find_if7functorIS9_EEEE10hipError_tPvRmT1_T2_T3_mT4_P12ihipStream_tbEUlT_E0_NS1_11comp_targetILNS1_3genE8ELNS1_11target_archE1030ELNS1_3gpuE2ELNS1_3repE0EEENS1_30default_config_static_selectorELNS0_4arch9wavefront6targetE0EEEvS14_,comdat
.Lfunc_end838:
	.size	_ZN7rocprim17ROCPRIM_400000_NS6detail17trampoline_kernelINS0_14default_configENS1_22reduce_config_selectorIN6thrust23THRUST_200600_302600_NS5tupleIblNS6_9null_typeES8_S8_S8_S8_S8_S8_S8_EEEEZNS1_11reduce_implILb1ES3_NS6_12zip_iteratorINS7_INS6_11hip_rocprim26transform_input_iterator_tIbNSD_35transform_pair_of_input_iterators_tIbNS6_6detail15normal_iteratorINS6_10device_ptrIKtEEEESL_NS6_8equal_toItEEEENSG_9not_fun_tINSD_8identityEEEEENSD_19counting_iterator_tIlEES8_S8_S8_S8_S8_S8_S8_S8_EEEEPS9_S9_NSD_9__find_if7functorIS9_EEEE10hipError_tPvRmT1_T2_T3_mT4_P12ihipStream_tbEUlT_E0_NS1_11comp_targetILNS1_3genE8ELNS1_11target_archE1030ELNS1_3gpuE2ELNS1_3repE0EEENS1_30default_config_static_selectorELNS0_4arch9wavefront6targetE0EEEvS14_, .Lfunc_end838-_ZN7rocprim17ROCPRIM_400000_NS6detail17trampoline_kernelINS0_14default_configENS1_22reduce_config_selectorIN6thrust23THRUST_200600_302600_NS5tupleIblNS6_9null_typeES8_S8_S8_S8_S8_S8_S8_EEEEZNS1_11reduce_implILb1ES3_NS6_12zip_iteratorINS7_INS6_11hip_rocprim26transform_input_iterator_tIbNSD_35transform_pair_of_input_iterators_tIbNS6_6detail15normal_iteratorINS6_10device_ptrIKtEEEESL_NS6_8equal_toItEEEENSG_9not_fun_tINSD_8identityEEEEENSD_19counting_iterator_tIlEES8_S8_S8_S8_S8_S8_S8_S8_EEEEPS9_S9_NSD_9__find_if7functorIS9_EEEE10hipError_tPvRmT1_T2_T3_mT4_P12ihipStream_tbEUlT_E0_NS1_11comp_targetILNS1_3genE8ELNS1_11target_archE1030ELNS1_3gpuE2ELNS1_3repE0EEENS1_30default_config_static_selectorELNS0_4arch9wavefront6targetE0EEEvS14_
                                        ; -- End function
	.section	.AMDGPU.csdata,"",@progbits
; Kernel info:
; codeLenInByte = 0
; NumSgprs: 0
; NumVgprs: 0
; ScratchSize: 0
; MemoryBound: 0
; FloatMode: 240
; IeeeMode: 1
; LDSByteSize: 0 bytes/workgroup (compile time only)
; SGPRBlocks: 0
; VGPRBlocks: 0
; NumSGPRsForWavesPerEU: 1
; NumVGPRsForWavesPerEU: 1
; Occupancy: 16
; WaveLimiterHint : 0
; COMPUTE_PGM_RSRC2:SCRATCH_EN: 0
; COMPUTE_PGM_RSRC2:USER_SGPR: 15
; COMPUTE_PGM_RSRC2:TRAP_HANDLER: 0
; COMPUTE_PGM_RSRC2:TGID_X_EN: 1
; COMPUTE_PGM_RSRC2:TGID_Y_EN: 0
; COMPUTE_PGM_RSRC2:TGID_Z_EN: 0
; COMPUTE_PGM_RSRC2:TIDIG_COMP_CNT: 0
	.section	.text._ZN7rocprim17ROCPRIM_400000_NS6detail17trampoline_kernelINS0_14default_configENS1_22reduce_config_selectorIN6thrust23THRUST_200600_302600_NS5tupleIblNS6_9null_typeES8_S8_S8_S8_S8_S8_S8_EEEEZNS1_11reduce_implILb1ES3_NS6_12zip_iteratorINS7_INS6_11hip_rocprim26transform_input_iterator_tIbNSD_35transform_pair_of_input_iterators_tIbNS6_6detail15normal_iteratorINS6_10device_ptrIKtEEEESL_NS6_8equal_toItEEEENSG_9not_fun_tINSD_8identityEEEEENSD_19counting_iterator_tIlEES8_S8_S8_S8_S8_S8_S8_S8_EEEEPS9_S9_NSD_9__find_if7functorIS9_EEEE10hipError_tPvRmT1_T2_T3_mT4_P12ihipStream_tbEUlT_E1_NS1_11comp_targetILNS1_3genE0ELNS1_11target_archE4294967295ELNS1_3gpuE0ELNS1_3repE0EEENS1_30default_config_static_selectorELNS0_4arch9wavefront6targetE0EEEvS14_,"axG",@progbits,_ZN7rocprim17ROCPRIM_400000_NS6detail17trampoline_kernelINS0_14default_configENS1_22reduce_config_selectorIN6thrust23THRUST_200600_302600_NS5tupleIblNS6_9null_typeES8_S8_S8_S8_S8_S8_S8_EEEEZNS1_11reduce_implILb1ES3_NS6_12zip_iteratorINS7_INS6_11hip_rocprim26transform_input_iterator_tIbNSD_35transform_pair_of_input_iterators_tIbNS6_6detail15normal_iteratorINS6_10device_ptrIKtEEEESL_NS6_8equal_toItEEEENSG_9not_fun_tINSD_8identityEEEEENSD_19counting_iterator_tIlEES8_S8_S8_S8_S8_S8_S8_S8_EEEEPS9_S9_NSD_9__find_if7functorIS9_EEEE10hipError_tPvRmT1_T2_T3_mT4_P12ihipStream_tbEUlT_E1_NS1_11comp_targetILNS1_3genE0ELNS1_11target_archE4294967295ELNS1_3gpuE0ELNS1_3repE0EEENS1_30default_config_static_selectorELNS0_4arch9wavefront6targetE0EEEvS14_,comdat
	.protected	_ZN7rocprim17ROCPRIM_400000_NS6detail17trampoline_kernelINS0_14default_configENS1_22reduce_config_selectorIN6thrust23THRUST_200600_302600_NS5tupleIblNS6_9null_typeES8_S8_S8_S8_S8_S8_S8_EEEEZNS1_11reduce_implILb1ES3_NS6_12zip_iteratorINS7_INS6_11hip_rocprim26transform_input_iterator_tIbNSD_35transform_pair_of_input_iterators_tIbNS6_6detail15normal_iteratorINS6_10device_ptrIKtEEEESL_NS6_8equal_toItEEEENSG_9not_fun_tINSD_8identityEEEEENSD_19counting_iterator_tIlEES8_S8_S8_S8_S8_S8_S8_S8_EEEEPS9_S9_NSD_9__find_if7functorIS9_EEEE10hipError_tPvRmT1_T2_T3_mT4_P12ihipStream_tbEUlT_E1_NS1_11comp_targetILNS1_3genE0ELNS1_11target_archE4294967295ELNS1_3gpuE0ELNS1_3repE0EEENS1_30default_config_static_selectorELNS0_4arch9wavefront6targetE0EEEvS14_ ; -- Begin function _ZN7rocprim17ROCPRIM_400000_NS6detail17trampoline_kernelINS0_14default_configENS1_22reduce_config_selectorIN6thrust23THRUST_200600_302600_NS5tupleIblNS6_9null_typeES8_S8_S8_S8_S8_S8_S8_EEEEZNS1_11reduce_implILb1ES3_NS6_12zip_iteratorINS7_INS6_11hip_rocprim26transform_input_iterator_tIbNSD_35transform_pair_of_input_iterators_tIbNS6_6detail15normal_iteratorINS6_10device_ptrIKtEEEESL_NS6_8equal_toItEEEENSG_9not_fun_tINSD_8identityEEEEENSD_19counting_iterator_tIlEES8_S8_S8_S8_S8_S8_S8_S8_EEEEPS9_S9_NSD_9__find_if7functorIS9_EEEE10hipError_tPvRmT1_T2_T3_mT4_P12ihipStream_tbEUlT_E1_NS1_11comp_targetILNS1_3genE0ELNS1_11target_archE4294967295ELNS1_3gpuE0ELNS1_3repE0EEENS1_30default_config_static_selectorELNS0_4arch9wavefront6targetE0EEEvS14_
	.globl	_ZN7rocprim17ROCPRIM_400000_NS6detail17trampoline_kernelINS0_14default_configENS1_22reduce_config_selectorIN6thrust23THRUST_200600_302600_NS5tupleIblNS6_9null_typeES8_S8_S8_S8_S8_S8_S8_EEEEZNS1_11reduce_implILb1ES3_NS6_12zip_iteratorINS7_INS6_11hip_rocprim26transform_input_iterator_tIbNSD_35transform_pair_of_input_iterators_tIbNS6_6detail15normal_iteratorINS6_10device_ptrIKtEEEESL_NS6_8equal_toItEEEENSG_9not_fun_tINSD_8identityEEEEENSD_19counting_iterator_tIlEES8_S8_S8_S8_S8_S8_S8_S8_EEEEPS9_S9_NSD_9__find_if7functorIS9_EEEE10hipError_tPvRmT1_T2_T3_mT4_P12ihipStream_tbEUlT_E1_NS1_11comp_targetILNS1_3genE0ELNS1_11target_archE4294967295ELNS1_3gpuE0ELNS1_3repE0EEENS1_30default_config_static_selectorELNS0_4arch9wavefront6targetE0EEEvS14_
	.p2align	8
	.type	_ZN7rocprim17ROCPRIM_400000_NS6detail17trampoline_kernelINS0_14default_configENS1_22reduce_config_selectorIN6thrust23THRUST_200600_302600_NS5tupleIblNS6_9null_typeES8_S8_S8_S8_S8_S8_S8_EEEEZNS1_11reduce_implILb1ES3_NS6_12zip_iteratorINS7_INS6_11hip_rocprim26transform_input_iterator_tIbNSD_35transform_pair_of_input_iterators_tIbNS6_6detail15normal_iteratorINS6_10device_ptrIKtEEEESL_NS6_8equal_toItEEEENSG_9not_fun_tINSD_8identityEEEEENSD_19counting_iterator_tIlEES8_S8_S8_S8_S8_S8_S8_S8_EEEEPS9_S9_NSD_9__find_if7functorIS9_EEEE10hipError_tPvRmT1_T2_T3_mT4_P12ihipStream_tbEUlT_E1_NS1_11comp_targetILNS1_3genE0ELNS1_11target_archE4294967295ELNS1_3gpuE0ELNS1_3repE0EEENS1_30default_config_static_selectorELNS0_4arch9wavefront6targetE0EEEvS14_,@function
_ZN7rocprim17ROCPRIM_400000_NS6detail17trampoline_kernelINS0_14default_configENS1_22reduce_config_selectorIN6thrust23THRUST_200600_302600_NS5tupleIblNS6_9null_typeES8_S8_S8_S8_S8_S8_S8_EEEEZNS1_11reduce_implILb1ES3_NS6_12zip_iteratorINS7_INS6_11hip_rocprim26transform_input_iterator_tIbNSD_35transform_pair_of_input_iterators_tIbNS6_6detail15normal_iteratorINS6_10device_ptrIKtEEEESL_NS6_8equal_toItEEEENSG_9not_fun_tINSD_8identityEEEEENSD_19counting_iterator_tIlEES8_S8_S8_S8_S8_S8_S8_S8_EEEEPS9_S9_NSD_9__find_if7functorIS9_EEEE10hipError_tPvRmT1_T2_T3_mT4_P12ihipStream_tbEUlT_E1_NS1_11comp_targetILNS1_3genE0ELNS1_11target_archE4294967295ELNS1_3gpuE0ELNS1_3repE0EEENS1_30default_config_static_selectorELNS0_4arch9wavefront6targetE0EEEvS14_: ; @_ZN7rocprim17ROCPRIM_400000_NS6detail17trampoline_kernelINS0_14default_configENS1_22reduce_config_selectorIN6thrust23THRUST_200600_302600_NS5tupleIblNS6_9null_typeES8_S8_S8_S8_S8_S8_S8_EEEEZNS1_11reduce_implILb1ES3_NS6_12zip_iteratorINS7_INS6_11hip_rocprim26transform_input_iterator_tIbNSD_35transform_pair_of_input_iterators_tIbNS6_6detail15normal_iteratorINS6_10device_ptrIKtEEEESL_NS6_8equal_toItEEEENSG_9not_fun_tINSD_8identityEEEEENSD_19counting_iterator_tIlEES8_S8_S8_S8_S8_S8_S8_S8_EEEEPS9_S9_NSD_9__find_if7functorIS9_EEEE10hipError_tPvRmT1_T2_T3_mT4_P12ihipStream_tbEUlT_E1_NS1_11comp_targetILNS1_3genE0ELNS1_11target_archE4294967295ELNS1_3gpuE0ELNS1_3repE0EEENS1_30default_config_static_selectorELNS0_4arch9wavefront6targetE0EEEvS14_
; %bb.0:
	.section	.rodata,"a",@progbits
	.p2align	6, 0x0
	.amdhsa_kernel _ZN7rocprim17ROCPRIM_400000_NS6detail17trampoline_kernelINS0_14default_configENS1_22reduce_config_selectorIN6thrust23THRUST_200600_302600_NS5tupleIblNS6_9null_typeES8_S8_S8_S8_S8_S8_S8_EEEEZNS1_11reduce_implILb1ES3_NS6_12zip_iteratorINS7_INS6_11hip_rocprim26transform_input_iterator_tIbNSD_35transform_pair_of_input_iterators_tIbNS6_6detail15normal_iteratorINS6_10device_ptrIKtEEEESL_NS6_8equal_toItEEEENSG_9not_fun_tINSD_8identityEEEEENSD_19counting_iterator_tIlEES8_S8_S8_S8_S8_S8_S8_S8_EEEEPS9_S9_NSD_9__find_if7functorIS9_EEEE10hipError_tPvRmT1_T2_T3_mT4_P12ihipStream_tbEUlT_E1_NS1_11comp_targetILNS1_3genE0ELNS1_11target_archE4294967295ELNS1_3gpuE0ELNS1_3repE0EEENS1_30default_config_static_selectorELNS0_4arch9wavefront6targetE0EEEvS14_
		.amdhsa_group_segment_fixed_size 0
		.amdhsa_private_segment_fixed_size 0
		.amdhsa_kernarg_size 88
		.amdhsa_user_sgpr_count 15
		.amdhsa_user_sgpr_dispatch_ptr 0
		.amdhsa_user_sgpr_queue_ptr 0
		.amdhsa_user_sgpr_kernarg_segment_ptr 1
		.amdhsa_user_sgpr_dispatch_id 0
		.amdhsa_user_sgpr_private_segment_size 0
		.amdhsa_wavefront_size32 1
		.amdhsa_uses_dynamic_stack 0
		.amdhsa_enable_private_segment 0
		.amdhsa_system_sgpr_workgroup_id_x 1
		.amdhsa_system_sgpr_workgroup_id_y 0
		.amdhsa_system_sgpr_workgroup_id_z 0
		.amdhsa_system_sgpr_workgroup_info 0
		.amdhsa_system_vgpr_workitem_id 0
		.amdhsa_next_free_vgpr 1
		.amdhsa_next_free_sgpr 1
		.amdhsa_reserve_vcc 0
		.amdhsa_float_round_mode_32 0
		.amdhsa_float_round_mode_16_64 0
		.amdhsa_float_denorm_mode_32 3
		.amdhsa_float_denorm_mode_16_64 3
		.amdhsa_dx10_clamp 1
		.amdhsa_ieee_mode 1
		.amdhsa_fp16_overflow 0
		.amdhsa_workgroup_processor_mode 1
		.amdhsa_memory_ordered 1
		.amdhsa_forward_progress 0
		.amdhsa_shared_vgpr_count 0
		.amdhsa_exception_fp_ieee_invalid_op 0
		.amdhsa_exception_fp_denorm_src 0
		.amdhsa_exception_fp_ieee_div_zero 0
		.amdhsa_exception_fp_ieee_overflow 0
		.amdhsa_exception_fp_ieee_underflow 0
		.amdhsa_exception_fp_ieee_inexact 0
		.amdhsa_exception_int_div_zero 0
	.end_amdhsa_kernel
	.section	.text._ZN7rocprim17ROCPRIM_400000_NS6detail17trampoline_kernelINS0_14default_configENS1_22reduce_config_selectorIN6thrust23THRUST_200600_302600_NS5tupleIblNS6_9null_typeES8_S8_S8_S8_S8_S8_S8_EEEEZNS1_11reduce_implILb1ES3_NS6_12zip_iteratorINS7_INS6_11hip_rocprim26transform_input_iterator_tIbNSD_35transform_pair_of_input_iterators_tIbNS6_6detail15normal_iteratorINS6_10device_ptrIKtEEEESL_NS6_8equal_toItEEEENSG_9not_fun_tINSD_8identityEEEEENSD_19counting_iterator_tIlEES8_S8_S8_S8_S8_S8_S8_S8_EEEEPS9_S9_NSD_9__find_if7functorIS9_EEEE10hipError_tPvRmT1_T2_T3_mT4_P12ihipStream_tbEUlT_E1_NS1_11comp_targetILNS1_3genE0ELNS1_11target_archE4294967295ELNS1_3gpuE0ELNS1_3repE0EEENS1_30default_config_static_selectorELNS0_4arch9wavefront6targetE0EEEvS14_,"axG",@progbits,_ZN7rocprim17ROCPRIM_400000_NS6detail17trampoline_kernelINS0_14default_configENS1_22reduce_config_selectorIN6thrust23THRUST_200600_302600_NS5tupleIblNS6_9null_typeES8_S8_S8_S8_S8_S8_S8_EEEEZNS1_11reduce_implILb1ES3_NS6_12zip_iteratorINS7_INS6_11hip_rocprim26transform_input_iterator_tIbNSD_35transform_pair_of_input_iterators_tIbNS6_6detail15normal_iteratorINS6_10device_ptrIKtEEEESL_NS6_8equal_toItEEEENSG_9not_fun_tINSD_8identityEEEEENSD_19counting_iterator_tIlEES8_S8_S8_S8_S8_S8_S8_S8_EEEEPS9_S9_NSD_9__find_if7functorIS9_EEEE10hipError_tPvRmT1_T2_T3_mT4_P12ihipStream_tbEUlT_E1_NS1_11comp_targetILNS1_3genE0ELNS1_11target_archE4294967295ELNS1_3gpuE0ELNS1_3repE0EEENS1_30default_config_static_selectorELNS0_4arch9wavefront6targetE0EEEvS14_,comdat
.Lfunc_end839:
	.size	_ZN7rocprim17ROCPRIM_400000_NS6detail17trampoline_kernelINS0_14default_configENS1_22reduce_config_selectorIN6thrust23THRUST_200600_302600_NS5tupleIblNS6_9null_typeES8_S8_S8_S8_S8_S8_S8_EEEEZNS1_11reduce_implILb1ES3_NS6_12zip_iteratorINS7_INS6_11hip_rocprim26transform_input_iterator_tIbNSD_35transform_pair_of_input_iterators_tIbNS6_6detail15normal_iteratorINS6_10device_ptrIKtEEEESL_NS6_8equal_toItEEEENSG_9not_fun_tINSD_8identityEEEEENSD_19counting_iterator_tIlEES8_S8_S8_S8_S8_S8_S8_S8_EEEEPS9_S9_NSD_9__find_if7functorIS9_EEEE10hipError_tPvRmT1_T2_T3_mT4_P12ihipStream_tbEUlT_E1_NS1_11comp_targetILNS1_3genE0ELNS1_11target_archE4294967295ELNS1_3gpuE0ELNS1_3repE0EEENS1_30default_config_static_selectorELNS0_4arch9wavefront6targetE0EEEvS14_, .Lfunc_end839-_ZN7rocprim17ROCPRIM_400000_NS6detail17trampoline_kernelINS0_14default_configENS1_22reduce_config_selectorIN6thrust23THRUST_200600_302600_NS5tupleIblNS6_9null_typeES8_S8_S8_S8_S8_S8_S8_EEEEZNS1_11reduce_implILb1ES3_NS6_12zip_iteratorINS7_INS6_11hip_rocprim26transform_input_iterator_tIbNSD_35transform_pair_of_input_iterators_tIbNS6_6detail15normal_iteratorINS6_10device_ptrIKtEEEESL_NS6_8equal_toItEEEENSG_9not_fun_tINSD_8identityEEEEENSD_19counting_iterator_tIlEES8_S8_S8_S8_S8_S8_S8_S8_EEEEPS9_S9_NSD_9__find_if7functorIS9_EEEE10hipError_tPvRmT1_T2_T3_mT4_P12ihipStream_tbEUlT_E1_NS1_11comp_targetILNS1_3genE0ELNS1_11target_archE4294967295ELNS1_3gpuE0ELNS1_3repE0EEENS1_30default_config_static_selectorELNS0_4arch9wavefront6targetE0EEEvS14_
                                        ; -- End function
	.section	.AMDGPU.csdata,"",@progbits
; Kernel info:
; codeLenInByte = 0
; NumSgprs: 0
; NumVgprs: 0
; ScratchSize: 0
; MemoryBound: 0
; FloatMode: 240
; IeeeMode: 1
; LDSByteSize: 0 bytes/workgroup (compile time only)
; SGPRBlocks: 0
; VGPRBlocks: 0
; NumSGPRsForWavesPerEU: 1
; NumVGPRsForWavesPerEU: 1
; Occupancy: 16
; WaveLimiterHint : 0
; COMPUTE_PGM_RSRC2:SCRATCH_EN: 0
; COMPUTE_PGM_RSRC2:USER_SGPR: 15
; COMPUTE_PGM_RSRC2:TRAP_HANDLER: 0
; COMPUTE_PGM_RSRC2:TGID_X_EN: 1
; COMPUTE_PGM_RSRC2:TGID_Y_EN: 0
; COMPUTE_PGM_RSRC2:TGID_Z_EN: 0
; COMPUTE_PGM_RSRC2:TIDIG_COMP_CNT: 0
	.section	.text._ZN7rocprim17ROCPRIM_400000_NS6detail17trampoline_kernelINS0_14default_configENS1_22reduce_config_selectorIN6thrust23THRUST_200600_302600_NS5tupleIblNS6_9null_typeES8_S8_S8_S8_S8_S8_S8_EEEEZNS1_11reduce_implILb1ES3_NS6_12zip_iteratorINS7_INS6_11hip_rocprim26transform_input_iterator_tIbNSD_35transform_pair_of_input_iterators_tIbNS6_6detail15normal_iteratorINS6_10device_ptrIKtEEEESL_NS6_8equal_toItEEEENSG_9not_fun_tINSD_8identityEEEEENSD_19counting_iterator_tIlEES8_S8_S8_S8_S8_S8_S8_S8_EEEEPS9_S9_NSD_9__find_if7functorIS9_EEEE10hipError_tPvRmT1_T2_T3_mT4_P12ihipStream_tbEUlT_E1_NS1_11comp_targetILNS1_3genE5ELNS1_11target_archE942ELNS1_3gpuE9ELNS1_3repE0EEENS1_30default_config_static_selectorELNS0_4arch9wavefront6targetE0EEEvS14_,"axG",@progbits,_ZN7rocprim17ROCPRIM_400000_NS6detail17trampoline_kernelINS0_14default_configENS1_22reduce_config_selectorIN6thrust23THRUST_200600_302600_NS5tupleIblNS6_9null_typeES8_S8_S8_S8_S8_S8_S8_EEEEZNS1_11reduce_implILb1ES3_NS6_12zip_iteratorINS7_INS6_11hip_rocprim26transform_input_iterator_tIbNSD_35transform_pair_of_input_iterators_tIbNS6_6detail15normal_iteratorINS6_10device_ptrIKtEEEESL_NS6_8equal_toItEEEENSG_9not_fun_tINSD_8identityEEEEENSD_19counting_iterator_tIlEES8_S8_S8_S8_S8_S8_S8_S8_EEEEPS9_S9_NSD_9__find_if7functorIS9_EEEE10hipError_tPvRmT1_T2_T3_mT4_P12ihipStream_tbEUlT_E1_NS1_11comp_targetILNS1_3genE5ELNS1_11target_archE942ELNS1_3gpuE9ELNS1_3repE0EEENS1_30default_config_static_selectorELNS0_4arch9wavefront6targetE0EEEvS14_,comdat
	.protected	_ZN7rocprim17ROCPRIM_400000_NS6detail17trampoline_kernelINS0_14default_configENS1_22reduce_config_selectorIN6thrust23THRUST_200600_302600_NS5tupleIblNS6_9null_typeES8_S8_S8_S8_S8_S8_S8_EEEEZNS1_11reduce_implILb1ES3_NS6_12zip_iteratorINS7_INS6_11hip_rocprim26transform_input_iterator_tIbNSD_35transform_pair_of_input_iterators_tIbNS6_6detail15normal_iteratorINS6_10device_ptrIKtEEEESL_NS6_8equal_toItEEEENSG_9not_fun_tINSD_8identityEEEEENSD_19counting_iterator_tIlEES8_S8_S8_S8_S8_S8_S8_S8_EEEEPS9_S9_NSD_9__find_if7functorIS9_EEEE10hipError_tPvRmT1_T2_T3_mT4_P12ihipStream_tbEUlT_E1_NS1_11comp_targetILNS1_3genE5ELNS1_11target_archE942ELNS1_3gpuE9ELNS1_3repE0EEENS1_30default_config_static_selectorELNS0_4arch9wavefront6targetE0EEEvS14_ ; -- Begin function _ZN7rocprim17ROCPRIM_400000_NS6detail17trampoline_kernelINS0_14default_configENS1_22reduce_config_selectorIN6thrust23THRUST_200600_302600_NS5tupleIblNS6_9null_typeES8_S8_S8_S8_S8_S8_S8_EEEEZNS1_11reduce_implILb1ES3_NS6_12zip_iteratorINS7_INS6_11hip_rocprim26transform_input_iterator_tIbNSD_35transform_pair_of_input_iterators_tIbNS6_6detail15normal_iteratorINS6_10device_ptrIKtEEEESL_NS6_8equal_toItEEEENSG_9not_fun_tINSD_8identityEEEEENSD_19counting_iterator_tIlEES8_S8_S8_S8_S8_S8_S8_S8_EEEEPS9_S9_NSD_9__find_if7functorIS9_EEEE10hipError_tPvRmT1_T2_T3_mT4_P12ihipStream_tbEUlT_E1_NS1_11comp_targetILNS1_3genE5ELNS1_11target_archE942ELNS1_3gpuE9ELNS1_3repE0EEENS1_30default_config_static_selectorELNS0_4arch9wavefront6targetE0EEEvS14_
	.globl	_ZN7rocprim17ROCPRIM_400000_NS6detail17trampoline_kernelINS0_14default_configENS1_22reduce_config_selectorIN6thrust23THRUST_200600_302600_NS5tupleIblNS6_9null_typeES8_S8_S8_S8_S8_S8_S8_EEEEZNS1_11reduce_implILb1ES3_NS6_12zip_iteratorINS7_INS6_11hip_rocprim26transform_input_iterator_tIbNSD_35transform_pair_of_input_iterators_tIbNS6_6detail15normal_iteratorINS6_10device_ptrIKtEEEESL_NS6_8equal_toItEEEENSG_9not_fun_tINSD_8identityEEEEENSD_19counting_iterator_tIlEES8_S8_S8_S8_S8_S8_S8_S8_EEEEPS9_S9_NSD_9__find_if7functorIS9_EEEE10hipError_tPvRmT1_T2_T3_mT4_P12ihipStream_tbEUlT_E1_NS1_11comp_targetILNS1_3genE5ELNS1_11target_archE942ELNS1_3gpuE9ELNS1_3repE0EEENS1_30default_config_static_selectorELNS0_4arch9wavefront6targetE0EEEvS14_
	.p2align	8
	.type	_ZN7rocprim17ROCPRIM_400000_NS6detail17trampoline_kernelINS0_14default_configENS1_22reduce_config_selectorIN6thrust23THRUST_200600_302600_NS5tupleIblNS6_9null_typeES8_S8_S8_S8_S8_S8_S8_EEEEZNS1_11reduce_implILb1ES3_NS6_12zip_iteratorINS7_INS6_11hip_rocprim26transform_input_iterator_tIbNSD_35transform_pair_of_input_iterators_tIbNS6_6detail15normal_iteratorINS6_10device_ptrIKtEEEESL_NS6_8equal_toItEEEENSG_9not_fun_tINSD_8identityEEEEENSD_19counting_iterator_tIlEES8_S8_S8_S8_S8_S8_S8_S8_EEEEPS9_S9_NSD_9__find_if7functorIS9_EEEE10hipError_tPvRmT1_T2_T3_mT4_P12ihipStream_tbEUlT_E1_NS1_11comp_targetILNS1_3genE5ELNS1_11target_archE942ELNS1_3gpuE9ELNS1_3repE0EEENS1_30default_config_static_selectorELNS0_4arch9wavefront6targetE0EEEvS14_,@function
_ZN7rocprim17ROCPRIM_400000_NS6detail17trampoline_kernelINS0_14default_configENS1_22reduce_config_selectorIN6thrust23THRUST_200600_302600_NS5tupleIblNS6_9null_typeES8_S8_S8_S8_S8_S8_S8_EEEEZNS1_11reduce_implILb1ES3_NS6_12zip_iteratorINS7_INS6_11hip_rocprim26transform_input_iterator_tIbNSD_35transform_pair_of_input_iterators_tIbNS6_6detail15normal_iteratorINS6_10device_ptrIKtEEEESL_NS6_8equal_toItEEEENSG_9not_fun_tINSD_8identityEEEEENSD_19counting_iterator_tIlEES8_S8_S8_S8_S8_S8_S8_S8_EEEEPS9_S9_NSD_9__find_if7functorIS9_EEEE10hipError_tPvRmT1_T2_T3_mT4_P12ihipStream_tbEUlT_E1_NS1_11comp_targetILNS1_3genE5ELNS1_11target_archE942ELNS1_3gpuE9ELNS1_3repE0EEENS1_30default_config_static_selectorELNS0_4arch9wavefront6targetE0EEEvS14_: ; @_ZN7rocprim17ROCPRIM_400000_NS6detail17trampoline_kernelINS0_14default_configENS1_22reduce_config_selectorIN6thrust23THRUST_200600_302600_NS5tupleIblNS6_9null_typeES8_S8_S8_S8_S8_S8_S8_EEEEZNS1_11reduce_implILb1ES3_NS6_12zip_iteratorINS7_INS6_11hip_rocprim26transform_input_iterator_tIbNSD_35transform_pair_of_input_iterators_tIbNS6_6detail15normal_iteratorINS6_10device_ptrIKtEEEESL_NS6_8equal_toItEEEENSG_9not_fun_tINSD_8identityEEEEENSD_19counting_iterator_tIlEES8_S8_S8_S8_S8_S8_S8_S8_EEEEPS9_S9_NSD_9__find_if7functorIS9_EEEE10hipError_tPvRmT1_T2_T3_mT4_P12ihipStream_tbEUlT_E1_NS1_11comp_targetILNS1_3genE5ELNS1_11target_archE942ELNS1_3gpuE9ELNS1_3repE0EEENS1_30default_config_static_selectorELNS0_4arch9wavefront6targetE0EEEvS14_
; %bb.0:
	.section	.rodata,"a",@progbits
	.p2align	6, 0x0
	.amdhsa_kernel _ZN7rocprim17ROCPRIM_400000_NS6detail17trampoline_kernelINS0_14default_configENS1_22reduce_config_selectorIN6thrust23THRUST_200600_302600_NS5tupleIblNS6_9null_typeES8_S8_S8_S8_S8_S8_S8_EEEEZNS1_11reduce_implILb1ES3_NS6_12zip_iteratorINS7_INS6_11hip_rocprim26transform_input_iterator_tIbNSD_35transform_pair_of_input_iterators_tIbNS6_6detail15normal_iteratorINS6_10device_ptrIKtEEEESL_NS6_8equal_toItEEEENSG_9not_fun_tINSD_8identityEEEEENSD_19counting_iterator_tIlEES8_S8_S8_S8_S8_S8_S8_S8_EEEEPS9_S9_NSD_9__find_if7functorIS9_EEEE10hipError_tPvRmT1_T2_T3_mT4_P12ihipStream_tbEUlT_E1_NS1_11comp_targetILNS1_3genE5ELNS1_11target_archE942ELNS1_3gpuE9ELNS1_3repE0EEENS1_30default_config_static_selectorELNS0_4arch9wavefront6targetE0EEEvS14_
		.amdhsa_group_segment_fixed_size 0
		.amdhsa_private_segment_fixed_size 0
		.amdhsa_kernarg_size 88
		.amdhsa_user_sgpr_count 15
		.amdhsa_user_sgpr_dispatch_ptr 0
		.amdhsa_user_sgpr_queue_ptr 0
		.amdhsa_user_sgpr_kernarg_segment_ptr 1
		.amdhsa_user_sgpr_dispatch_id 0
		.amdhsa_user_sgpr_private_segment_size 0
		.amdhsa_wavefront_size32 1
		.amdhsa_uses_dynamic_stack 0
		.amdhsa_enable_private_segment 0
		.amdhsa_system_sgpr_workgroup_id_x 1
		.amdhsa_system_sgpr_workgroup_id_y 0
		.amdhsa_system_sgpr_workgroup_id_z 0
		.amdhsa_system_sgpr_workgroup_info 0
		.amdhsa_system_vgpr_workitem_id 0
		.amdhsa_next_free_vgpr 1
		.amdhsa_next_free_sgpr 1
		.amdhsa_reserve_vcc 0
		.amdhsa_float_round_mode_32 0
		.amdhsa_float_round_mode_16_64 0
		.amdhsa_float_denorm_mode_32 3
		.amdhsa_float_denorm_mode_16_64 3
		.amdhsa_dx10_clamp 1
		.amdhsa_ieee_mode 1
		.amdhsa_fp16_overflow 0
		.amdhsa_workgroup_processor_mode 1
		.amdhsa_memory_ordered 1
		.amdhsa_forward_progress 0
		.amdhsa_shared_vgpr_count 0
		.amdhsa_exception_fp_ieee_invalid_op 0
		.amdhsa_exception_fp_denorm_src 0
		.amdhsa_exception_fp_ieee_div_zero 0
		.amdhsa_exception_fp_ieee_overflow 0
		.amdhsa_exception_fp_ieee_underflow 0
		.amdhsa_exception_fp_ieee_inexact 0
		.amdhsa_exception_int_div_zero 0
	.end_amdhsa_kernel
	.section	.text._ZN7rocprim17ROCPRIM_400000_NS6detail17trampoline_kernelINS0_14default_configENS1_22reduce_config_selectorIN6thrust23THRUST_200600_302600_NS5tupleIblNS6_9null_typeES8_S8_S8_S8_S8_S8_S8_EEEEZNS1_11reduce_implILb1ES3_NS6_12zip_iteratorINS7_INS6_11hip_rocprim26transform_input_iterator_tIbNSD_35transform_pair_of_input_iterators_tIbNS6_6detail15normal_iteratorINS6_10device_ptrIKtEEEESL_NS6_8equal_toItEEEENSG_9not_fun_tINSD_8identityEEEEENSD_19counting_iterator_tIlEES8_S8_S8_S8_S8_S8_S8_S8_EEEEPS9_S9_NSD_9__find_if7functorIS9_EEEE10hipError_tPvRmT1_T2_T3_mT4_P12ihipStream_tbEUlT_E1_NS1_11comp_targetILNS1_3genE5ELNS1_11target_archE942ELNS1_3gpuE9ELNS1_3repE0EEENS1_30default_config_static_selectorELNS0_4arch9wavefront6targetE0EEEvS14_,"axG",@progbits,_ZN7rocprim17ROCPRIM_400000_NS6detail17trampoline_kernelINS0_14default_configENS1_22reduce_config_selectorIN6thrust23THRUST_200600_302600_NS5tupleIblNS6_9null_typeES8_S8_S8_S8_S8_S8_S8_EEEEZNS1_11reduce_implILb1ES3_NS6_12zip_iteratorINS7_INS6_11hip_rocprim26transform_input_iterator_tIbNSD_35transform_pair_of_input_iterators_tIbNS6_6detail15normal_iteratorINS6_10device_ptrIKtEEEESL_NS6_8equal_toItEEEENSG_9not_fun_tINSD_8identityEEEEENSD_19counting_iterator_tIlEES8_S8_S8_S8_S8_S8_S8_S8_EEEEPS9_S9_NSD_9__find_if7functorIS9_EEEE10hipError_tPvRmT1_T2_T3_mT4_P12ihipStream_tbEUlT_E1_NS1_11comp_targetILNS1_3genE5ELNS1_11target_archE942ELNS1_3gpuE9ELNS1_3repE0EEENS1_30default_config_static_selectorELNS0_4arch9wavefront6targetE0EEEvS14_,comdat
.Lfunc_end840:
	.size	_ZN7rocprim17ROCPRIM_400000_NS6detail17trampoline_kernelINS0_14default_configENS1_22reduce_config_selectorIN6thrust23THRUST_200600_302600_NS5tupleIblNS6_9null_typeES8_S8_S8_S8_S8_S8_S8_EEEEZNS1_11reduce_implILb1ES3_NS6_12zip_iteratorINS7_INS6_11hip_rocprim26transform_input_iterator_tIbNSD_35transform_pair_of_input_iterators_tIbNS6_6detail15normal_iteratorINS6_10device_ptrIKtEEEESL_NS6_8equal_toItEEEENSG_9not_fun_tINSD_8identityEEEEENSD_19counting_iterator_tIlEES8_S8_S8_S8_S8_S8_S8_S8_EEEEPS9_S9_NSD_9__find_if7functorIS9_EEEE10hipError_tPvRmT1_T2_T3_mT4_P12ihipStream_tbEUlT_E1_NS1_11comp_targetILNS1_3genE5ELNS1_11target_archE942ELNS1_3gpuE9ELNS1_3repE0EEENS1_30default_config_static_selectorELNS0_4arch9wavefront6targetE0EEEvS14_, .Lfunc_end840-_ZN7rocprim17ROCPRIM_400000_NS6detail17trampoline_kernelINS0_14default_configENS1_22reduce_config_selectorIN6thrust23THRUST_200600_302600_NS5tupleIblNS6_9null_typeES8_S8_S8_S8_S8_S8_S8_EEEEZNS1_11reduce_implILb1ES3_NS6_12zip_iteratorINS7_INS6_11hip_rocprim26transform_input_iterator_tIbNSD_35transform_pair_of_input_iterators_tIbNS6_6detail15normal_iteratorINS6_10device_ptrIKtEEEESL_NS6_8equal_toItEEEENSG_9not_fun_tINSD_8identityEEEEENSD_19counting_iterator_tIlEES8_S8_S8_S8_S8_S8_S8_S8_EEEEPS9_S9_NSD_9__find_if7functorIS9_EEEE10hipError_tPvRmT1_T2_T3_mT4_P12ihipStream_tbEUlT_E1_NS1_11comp_targetILNS1_3genE5ELNS1_11target_archE942ELNS1_3gpuE9ELNS1_3repE0EEENS1_30default_config_static_selectorELNS0_4arch9wavefront6targetE0EEEvS14_
                                        ; -- End function
	.section	.AMDGPU.csdata,"",@progbits
; Kernel info:
; codeLenInByte = 0
; NumSgprs: 0
; NumVgprs: 0
; ScratchSize: 0
; MemoryBound: 0
; FloatMode: 240
; IeeeMode: 1
; LDSByteSize: 0 bytes/workgroup (compile time only)
; SGPRBlocks: 0
; VGPRBlocks: 0
; NumSGPRsForWavesPerEU: 1
; NumVGPRsForWavesPerEU: 1
; Occupancy: 16
; WaveLimiterHint : 0
; COMPUTE_PGM_RSRC2:SCRATCH_EN: 0
; COMPUTE_PGM_RSRC2:USER_SGPR: 15
; COMPUTE_PGM_RSRC2:TRAP_HANDLER: 0
; COMPUTE_PGM_RSRC2:TGID_X_EN: 1
; COMPUTE_PGM_RSRC2:TGID_Y_EN: 0
; COMPUTE_PGM_RSRC2:TGID_Z_EN: 0
; COMPUTE_PGM_RSRC2:TIDIG_COMP_CNT: 0
	.section	.text._ZN7rocprim17ROCPRIM_400000_NS6detail17trampoline_kernelINS0_14default_configENS1_22reduce_config_selectorIN6thrust23THRUST_200600_302600_NS5tupleIblNS6_9null_typeES8_S8_S8_S8_S8_S8_S8_EEEEZNS1_11reduce_implILb1ES3_NS6_12zip_iteratorINS7_INS6_11hip_rocprim26transform_input_iterator_tIbNSD_35transform_pair_of_input_iterators_tIbNS6_6detail15normal_iteratorINS6_10device_ptrIKtEEEESL_NS6_8equal_toItEEEENSG_9not_fun_tINSD_8identityEEEEENSD_19counting_iterator_tIlEES8_S8_S8_S8_S8_S8_S8_S8_EEEEPS9_S9_NSD_9__find_if7functorIS9_EEEE10hipError_tPvRmT1_T2_T3_mT4_P12ihipStream_tbEUlT_E1_NS1_11comp_targetILNS1_3genE4ELNS1_11target_archE910ELNS1_3gpuE8ELNS1_3repE0EEENS1_30default_config_static_selectorELNS0_4arch9wavefront6targetE0EEEvS14_,"axG",@progbits,_ZN7rocprim17ROCPRIM_400000_NS6detail17trampoline_kernelINS0_14default_configENS1_22reduce_config_selectorIN6thrust23THRUST_200600_302600_NS5tupleIblNS6_9null_typeES8_S8_S8_S8_S8_S8_S8_EEEEZNS1_11reduce_implILb1ES3_NS6_12zip_iteratorINS7_INS6_11hip_rocprim26transform_input_iterator_tIbNSD_35transform_pair_of_input_iterators_tIbNS6_6detail15normal_iteratorINS6_10device_ptrIKtEEEESL_NS6_8equal_toItEEEENSG_9not_fun_tINSD_8identityEEEEENSD_19counting_iterator_tIlEES8_S8_S8_S8_S8_S8_S8_S8_EEEEPS9_S9_NSD_9__find_if7functorIS9_EEEE10hipError_tPvRmT1_T2_T3_mT4_P12ihipStream_tbEUlT_E1_NS1_11comp_targetILNS1_3genE4ELNS1_11target_archE910ELNS1_3gpuE8ELNS1_3repE0EEENS1_30default_config_static_selectorELNS0_4arch9wavefront6targetE0EEEvS14_,comdat
	.protected	_ZN7rocprim17ROCPRIM_400000_NS6detail17trampoline_kernelINS0_14default_configENS1_22reduce_config_selectorIN6thrust23THRUST_200600_302600_NS5tupleIblNS6_9null_typeES8_S8_S8_S8_S8_S8_S8_EEEEZNS1_11reduce_implILb1ES3_NS6_12zip_iteratorINS7_INS6_11hip_rocprim26transform_input_iterator_tIbNSD_35transform_pair_of_input_iterators_tIbNS6_6detail15normal_iteratorINS6_10device_ptrIKtEEEESL_NS6_8equal_toItEEEENSG_9not_fun_tINSD_8identityEEEEENSD_19counting_iterator_tIlEES8_S8_S8_S8_S8_S8_S8_S8_EEEEPS9_S9_NSD_9__find_if7functorIS9_EEEE10hipError_tPvRmT1_T2_T3_mT4_P12ihipStream_tbEUlT_E1_NS1_11comp_targetILNS1_3genE4ELNS1_11target_archE910ELNS1_3gpuE8ELNS1_3repE0EEENS1_30default_config_static_selectorELNS0_4arch9wavefront6targetE0EEEvS14_ ; -- Begin function _ZN7rocprim17ROCPRIM_400000_NS6detail17trampoline_kernelINS0_14default_configENS1_22reduce_config_selectorIN6thrust23THRUST_200600_302600_NS5tupleIblNS6_9null_typeES8_S8_S8_S8_S8_S8_S8_EEEEZNS1_11reduce_implILb1ES3_NS6_12zip_iteratorINS7_INS6_11hip_rocprim26transform_input_iterator_tIbNSD_35transform_pair_of_input_iterators_tIbNS6_6detail15normal_iteratorINS6_10device_ptrIKtEEEESL_NS6_8equal_toItEEEENSG_9not_fun_tINSD_8identityEEEEENSD_19counting_iterator_tIlEES8_S8_S8_S8_S8_S8_S8_S8_EEEEPS9_S9_NSD_9__find_if7functorIS9_EEEE10hipError_tPvRmT1_T2_T3_mT4_P12ihipStream_tbEUlT_E1_NS1_11comp_targetILNS1_3genE4ELNS1_11target_archE910ELNS1_3gpuE8ELNS1_3repE0EEENS1_30default_config_static_selectorELNS0_4arch9wavefront6targetE0EEEvS14_
	.globl	_ZN7rocprim17ROCPRIM_400000_NS6detail17trampoline_kernelINS0_14default_configENS1_22reduce_config_selectorIN6thrust23THRUST_200600_302600_NS5tupleIblNS6_9null_typeES8_S8_S8_S8_S8_S8_S8_EEEEZNS1_11reduce_implILb1ES3_NS6_12zip_iteratorINS7_INS6_11hip_rocprim26transform_input_iterator_tIbNSD_35transform_pair_of_input_iterators_tIbNS6_6detail15normal_iteratorINS6_10device_ptrIKtEEEESL_NS6_8equal_toItEEEENSG_9not_fun_tINSD_8identityEEEEENSD_19counting_iterator_tIlEES8_S8_S8_S8_S8_S8_S8_S8_EEEEPS9_S9_NSD_9__find_if7functorIS9_EEEE10hipError_tPvRmT1_T2_T3_mT4_P12ihipStream_tbEUlT_E1_NS1_11comp_targetILNS1_3genE4ELNS1_11target_archE910ELNS1_3gpuE8ELNS1_3repE0EEENS1_30default_config_static_selectorELNS0_4arch9wavefront6targetE0EEEvS14_
	.p2align	8
	.type	_ZN7rocprim17ROCPRIM_400000_NS6detail17trampoline_kernelINS0_14default_configENS1_22reduce_config_selectorIN6thrust23THRUST_200600_302600_NS5tupleIblNS6_9null_typeES8_S8_S8_S8_S8_S8_S8_EEEEZNS1_11reduce_implILb1ES3_NS6_12zip_iteratorINS7_INS6_11hip_rocprim26transform_input_iterator_tIbNSD_35transform_pair_of_input_iterators_tIbNS6_6detail15normal_iteratorINS6_10device_ptrIKtEEEESL_NS6_8equal_toItEEEENSG_9not_fun_tINSD_8identityEEEEENSD_19counting_iterator_tIlEES8_S8_S8_S8_S8_S8_S8_S8_EEEEPS9_S9_NSD_9__find_if7functorIS9_EEEE10hipError_tPvRmT1_T2_T3_mT4_P12ihipStream_tbEUlT_E1_NS1_11comp_targetILNS1_3genE4ELNS1_11target_archE910ELNS1_3gpuE8ELNS1_3repE0EEENS1_30default_config_static_selectorELNS0_4arch9wavefront6targetE0EEEvS14_,@function
_ZN7rocprim17ROCPRIM_400000_NS6detail17trampoline_kernelINS0_14default_configENS1_22reduce_config_selectorIN6thrust23THRUST_200600_302600_NS5tupleIblNS6_9null_typeES8_S8_S8_S8_S8_S8_S8_EEEEZNS1_11reduce_implILb1ES3_NS6_12zip_iteratorINS7_INS6_11hip_rocprim26transform_input_iterator_tIbNSD_35transform_pair_of_input_iterators_tIbNS6_6detail15normal_iteratorINS6_10device_ptrIKtEEEESL_NS6_8equal_toItEEEENSG_9not_fun_tINSD_8identityEEEEENSD_19counting_iterator_tIlEES8_S8_S8_S8_S8_S8_S8_S8_EEEEPS9_S9_NSD_9__find_if7functorIS9_EEEE10hipError_tPvRmT1_T2_T3_mT4_P12ihipStream_tbEUlT_E1_NS1_11comp_targetILNS1_3genE4ELNS1_11target_archE910ELNS1_3gpuE8ELNS1_3repE0EEENS1_30default_config_static_selectorELNS0_4arch9wavefront6targetE0EEEvS14_: ; @_ZN7rocprim17ROCPRIM_400000_NS6detail17trampoline_kernelINS0_14default_configENS1_22reduce_config_selectorIN6thrust23THRUST_200600_302600_NS5tupleIblNS6_9null_typeES8_S8_S8_S8_S8_S8_S8_EEEEZNS1_11reduce_implILb1ES3_NS6_12zip_iteratorINS7_INS6_11hip_rocprim26transform_input_iterator_tIbNSD_35transform_pair_of_input_iterators_tIbNS6_6detail15normal_iteratorINS6_10device_ptrIKtEEEESL_NS6_8equal_toItEEEENSG_9not_fun_tINSD_8identityEEEEENSD_19counting_iterator_tIlEES8_S8_S8_S8_S8_S8_S8_S8_EEEEPS9_S9_NSD_9__find_if7functorIS9_EEEE10hipError_tPvRmT1_T2_T3_mT4_P12ihipStream_tbEUlT_E1_NS1_11comp_targetILNS1_3genE4ELNS1_11target_archE910ELNS1_3gpuE8ELNS1_3repE0EEENS1_30default_config_static_selectorELNS0_4arch9wavefront6targetE0EEEvS14_
; %bb.0:
	.section	.rodata,"a",@progbits
	.p2align	6, 0x0
	.amdhsa_kernel _ZN7rocprim17ROCPRIM_400000_NS6detail17trampoline_kernelINS0_14default_configENS1_22reduce_config_selectorIN6thrust23THRUST_200600_302600_NS5tupleIblNS6_9null_typeES8_S8_S8_S8_S8_S8_S8_EEEEZNS1_11reduce_implILb1ES3_NS6_12zip_iteratorINS7_INS6_11hip_rocprim26transform_input_iterator_tIbNSD_35transform_pair_of_input_iterators_tIbNS6_6detail15normal_iteratorINS6_10device_ptrIKtEEEESL_NS6_8equal_toItEEEENSG_9not_fun_tINSD_8identityEEEEENSD_19counting_iterator_tIlEES8_S8_S8_S8_S8_S8_S8_S8_EEEEPS9_S9_NSD_9__find_if7functorIS9_EEEE10hipError_tPvRmT1_T2_T3_mT4_P12ihipStream_tbEUlT_E1_NS1_11comp_targetILNS1_3genE4ELNS1_11target_archE910ELNS1_3gpuE8ELNS1_3repE0EEENS1_30default_config_static_selectorELNS0_4arch9wavefront6targetE0EEEvS14_
		.amdhsa_group_segment_fixed_size 0
		.amdhsa_private_segment_fixed_size 0
		.amdhsa_kernarg_size 88
		.amdhsa_user_sgpr_count 15
		.amdhsa_user_sgpr_dispatch_ptr 0
		.amdhsa_user_sgpr_queue_ptr 0
		.amdhsa_user_sgpr_kernarg_segment_ptr 1
		.amdhsa_user_sgpr_dispatch_id 0
		.amdhsa_user_sgpr_private_segment_size 0
		.amdhsa_wavefront_size32 1
		.amdhsa_uses_dynamic_stack 0
		.amdhsa_enable_private_segment 0
		.amdhsa_system_sgpr_workgroup_id_x 1
		.amdhsa_system_sgpr_workgroup_id_y 0
		.amdhsa_system_sgpr_workgroup_id_z 0
		.amdhsa_system_sgpr_workgroup_info 0
		.amdhsa_system_vgpr_workitem_id 0
		.amdhsa_next_free_vgpr 1
		.amdhsa_next_free_sgpr 1
		.amdhsa_reserve_vcc 0
		.amdhsa_float_round_mode_32 0
		.amdhsa_float_round_mode_16_64 0
		.amdhsa_float_denorm_mode_32 3
		.amdhsa_float_denorm_mode_16_64 3
		.amdhsa_dx10_clamp 1
		.amdhsa_ieee_mode 1
		.amdhsa_fp16_overflow 0
		.amdhsa_workgroup_processor_mode 1
		.amdhsa_memory_ordered 1
		.amdhsa_forward_progress 0
		.amdhsa_shared_vgpr_count 0
		.amdhsa_exception_fp_ieee_invalid_op 0
		.amdhsa_exception_fp_denorm_src 0
		.amdhsa_exception_fp_ieee_div_zero 0
		.amdhsa_exception_fp_ieee_overflow 0
		.amdhsa_exception_fp_ieee_underflow 0
		.amdhsa_exception_fp_ieee_inexact 0
		.amdhsa_exception_int_div_zero 0
	.end_amdhsa_kernel
	.section	.text._ZN7rocprim17ROCPRIM_400000_NS6detail17trampoline_kernelINS0_14default_configENS1_22reduce_config_selectorIN6thrust23THRUST_200600_302600_NS5tupleIblNS6_9null_typeES8_S8_S8_S8_S8_S8_S8_EEEEZNS1_11reduce_implILb1ES3_NS6_12zip_iteratorINS7_INS6_11hip_rocprim26transform_input_iterator_tIbNSD_35transform_pair_of_input_iterators_tIbNS6_6detail15normal_iteratorINS6_10device_ptrIKtEEEESL_NS6_8equal_toItEEEENSG_9not_fun_tINSD_8identityEEEEENSD_19counting_iterator_tIlEES8_S8_S8_S8_S8_S8_S8_S8_EEEEPS9_S9_NSD_9__find_if7functorIS9_EEEE10hipError_tPvRmT1_T2_T3_mT4_P12ihipStream_tbEUlT_E1_NS1_11comp_targetILNS1_3genE4ELNS1_11target_archE910ELNS1_3gpuE8ELNS1_3repE0EEENS1_30default_config_static_selectorELNS0_4arch9wavefront6targetE0EEEvS14_,"axG",@progbits,_ZN7rocprim17ROCPRIM_400000_NS6detail17trampoline_kernelINS0_14default_configENS1_22reduce_config_selectorIN6thrust23THRUST_200600_302600_NS5tupleIblNS6_9null_typeES8_S8_S8_S8_S8_S8_S8_EEEEZNS1_11reduce_implILb1ES3_NS6_12zip_iteratorINS7_INS6_11hip_rocprim26transform_input_iterator_tIbNSD_35transform_pair_of_input_iterators_tIbNS6_6detail15normal_iteratorINS6_10device_ptrIKtEEEESL_NS6_8equal_toItEEEENSG_9not_fun_tINSD_8identityEEEEENSD_19counting_iterator_tIlEES8_S8_S8_S8_S8_S8_S8_S8_EEEEPS9_S9_NSD_9__find_if7functorIS9_EEEE10hipError_tPvRmT1_T2_T3_mT4_P12ihipStream_tbEUlT_E1_NS1_11comp_targetILNS1_3genE4ELNS1_11target_archE910ELNS1_3gpuE8ELNS1_3repE0EEENS1_30default_config_static_selectorELNS0_4arch9wavefront6targetE0EEEvS14_,comdat
.Lfunc_end841:
	.size	_ZN7rocprim17ROCPRIM_400000_NS6detail17trampoline_kernelINS0_14default_configENS1_22reduce_config_selectorIN6thrust23THRUST_200600_302600_NS5tupleIblNS6_9null_typeES8_S8_S8_S8_S8_S8_S8_EEEEZNS1_11reduce_implILb1ES3_NS6_12zip_iteratorINS7_INS6_11hip_rocprim26transform_input_iterator_tIbNSD_35transform_pair_of_input_iterators_tIbNS6_6detail15normal_iteratorINS6_10device_ptrIKtEEEESL_NS6_8equal_toItEEEENSG_9not_fun_tINSD_8identityEEEEENSD_19counting_iterator_tIlEES8_S8_S8_S8_S8_S8_S8_S8_EEEEPS9_S9_NSD_9__find_if7functorIS9_EEEE10hipError_tPvRmT1_T2_T3_mT4_P12ihipStream_tbEUlT_E1_NS1_11comp_targetILNS1_3genE4ELNS1_11target_archE910ELNS1_3gpuE8ELNS1_3repE0EEENS1_30default_config_static_selectorELNS0_4arch9wavefront6targetE0EEEvS14_, .Lfunc_end841-_ZN7rocprim17ROCPRIM_400000_NS6detail17trampoline_kernelINS0_14default_configENS1_22reduce_config_selectorIN6thrust23THRUST_200600_302600_NS5tupleIblNS6_9null_typeES8_S8_S8_S8_S8_S8_S8_EEEEZNS1_11reduce_implILb1ES3_NS6_12zip_iteratorINS7_INS6_11hip_rocprim26transform_input_iterator_tIbNSD_35transform_pair_of_input_iterators_tIbNS6_6detail15normal_iteratorINS6_10device_ptrIKtEEEESL_NS6_8equal_toItEEEENSG_9not_fun_tINSD_8identityEEEEENSD_19counting_iterator_tIlEES8_S8_S8_S8_S8_S8_S8_S8_EEEEPS9_S9_NSD_9__find_if7functorIS9_EEEE10hipError_tPvRmT1_T2_T3_mT4_P12ihipStream_tbEUlT_E1_NS1_11comp_targetILNS1_3genE4ELNS1_11target_archE910ELNS1_3gpuE8ELNS1_3repE0EEENS1_30default_config_static_selectorELNS0_4arch9wavefront6targetE0EEEvS14_
                                        ; -- End function
	.section	.AMDGPU.csdata,"",@progbits
; Kernel info:
; codeLenInByte = 0
; NumSgprs: 0
; NumVgprs: 0
; ScratchSize: 0
; MemoryBound: 0
; FloatMode: 240
; IeeeMode: 1
; LDSByteSize: 0 bytes/workgroup (compile time only)
; SGPRBlocks: 0
; VGPRBlocks: 0
; NumSGPRsForWavesPerEU: 1
; NumVGPRsForWavesPerEU: 1
; Occupancy: 16
; WaveLimiterHint : 0
; COMPUTE_PGM_RSRC2:SCRATCH_EN: 0
; COMPUTE_PGM_RSRC2:USER_SGPR: 15
; COMPUTE_PGM_RSRC2:TRAP_HANDLER: 0
; COMPUTE_PGM_RSRC2:TGID_X_EN: 1
; COMPUTE_PGM_RSRC2:TGID_Y_EN: 0
; COMPUTE_PGM_RSRC2:TGID_Z_EN: 0
; COMPUTE_PGM_RSRC2:TIDIG_COMP_CNT: 0
	.section	.text._ZN7rocprim17ROCPRIM_400000_NS6detail17trampoline_kernelINS0_14default_configENS1_22reduce_config_selectorIN6thrust23THRUST_200600_302600_NS5tupleIblNS6_9null_typeES8_S8_S8_S8_S8_S8_S8_EEEEZNS1_11reduce_implILb1ES3_NS6_12zip_iteratorINS7_INS6_11hip_rocprim26transform_input_iterator_tIbNSD_35transform_pair_of_input_iterators_tIbNS6_6detail15normal_iteratorINS6_10device_ptrIKtEEEESL_NS6_8equal_toItEEEENSG_9not_fun_tINSD_8identityEEEEENSD_19counting_iterator_tIlEES8_S8_S8_S8_S8_S8_S8_S8_EEEEPS9_S9_NSD_9__find_if7functorIS9_EEEE10hipError_tPvRmT1_T2_T3_mT4_P12ihipStream_tbEUlT_E1_NS1_11comp_targetILNS1_3genE3ELNS1_11target_archE908ELNS1_3gpuE7ELNS1_3repE0EEENS1_30default_config_static_selectorELNS0_4arch9wavefront6targetE0EEEvS14_,"axG",@progbits,_ZN7rocprim17ROCPRIM_400000_NS6detail17trampoline_kernelINS0_14default_configENS1_22reduce_config_selectorIN6thrust23THRUST_200600_302600_NS5tupleIblNS6_9null_typeES8_S8_S8_S8_S8_S8_S8_EEEEZNS1_11reduce_implILb1ES3_NS6_12zip_iteratorINS7_INS6_11hip_rocprim26transform_input_iterator_tIbNSD_35transform_pair_of_input_iterators_tIbNS6_6detail15normal_iteratorINS6_10device_ptrIKtEEEESL_NS6_8equal_toItEEEENSG_9not_fun_tINSD_8identityEEEEENSD_19counting_iterator_tIlEES8_S8_S8_S8_S8_S8_S8_S8_EEEEPS9_S9_NSD_9__find_if7functorIS9_EEEE10hipError_tPvRmT1_T2_T3_mT4_P12ihipStream_tbEUlT_E1_NS1_11comp_targetILNS1_3genE3ELNS1_11target_archE908ELNS1_3gpuE7ELNS1_3repE0EEENS1_30default_config_static_selectorELNS0_4arch9wavefront6targetE0EEEvS14_,comdat
	.protected	_ZN7rocprim17ROCPRIM_400000_NS6detail17trampoline_kernelINS0_14default_configENS1_22reduce_config_selectorIN6thrust23THRUST_200600_302600_NS5tupleIblNS6_9null_typeES8_S8_S8_S8_S8_S8_S8_EEEEZNS1_11reduce_implILb1ES3_NS6_12zip_iteratorINS7_INS6_11hip_rocprim26transform_input_iterator_tIbNSD_35transform_pair_of_input_iterators_tIbNS6_6detail15normal_iteratorINS6_10device_ptrIKtEEEESL_NS6_8equal_toItEEEENSG_9not_fun_tINSD_8identityEEEEENSD_19counting_iterator_tIlEES8_S8_S8_S8_S8_S8_S8_S8_EEEEPS9_S9_NSD_9__find_if7functorIS9_EEEE10hipError_tPvRmT1_T2_T3_mT4_P12ihipStream_tbEUlT_E1_NS1_11comp_targetILNS1_3genE3ELNS1_11target_archE908ELNS1_3gpuE7ELNS1_3repE0EEENS1_30default_config_static_selectorELNS0_4arch9wavefront6targetE0EEEvS14_ ; -- Begin function _ZN7rocprim17ROCPRIM_400000_NS6detail17trampoline_kernelINS0_14default_configENS1_22reduce_config_selectorIN6thrust23THRUST_200600_302600_NS5tupleIblNS6_9null_typeES8_S8_S8_S8_S8_S8_S8_EEEEZNS1_11reduce_implILb1ES3_NS6_12zip_iteratorINS7_INS6_11hip_rocprim26transform_input_iterator_tIbNSD_35transform_pair_of_input_iterators_tIbNS6_6detail15normal_iteratorINS6_10device_ptrIKtEEEESL_NS6_8equal_toItEEEENSG_9not_fun_tINSD_8identityEEEEENSD_19counting_iterator_tIlEES8_S8_S8_S8_S8_S8_S8_S8_EEEEPS9_S9_NSD_9__find_if7functorIS9_EEEE10hipError_tPvRmT1_T2_T3_mT4_P12ihipStream_tbEUlT_E1_NS1_11comp_targetILNS1_3genE3ELNS1_11target_archE908ELNS1_3gpuE7ELNS1_3repE0EEENS1_30default_config_static_selectorELNS0_4arch9wavefront6targetE0EEEvS14_
	.globl	_ZN7rocprim17ROCPRIM_400000_NS6detail17trampoline_kernelINS0_14default_configENS1_22reduce_config_selectorIN6thrust23THRUST_200600_302600_NS5tupleIblNS6_9null_typeES8_S8_S8_S8_S8_S8_S8_EEEEZNS1_11reduce_implILb1ES3_NS6_12zip_iteratorINS7_INS6_11hip_rocprim26transform_input_iterator_tIbNSD_35transform_pair_of_input_iterators_tIbNS6_6detail15normal_iteratorINS6_10device_ptrIKtEEEESL_NS6_8equal_toItEEEENSG_9not_fun_tINSD_8identityEEEEENSD_19counting_iterator_tIlEES8_S8_S8_S8_S8_S8_S8_S8_EEEEPS9_S9_NSD_9__find_if7functorIS9_EEEE10hipError_tPvRmT1_T2_T3_mT4_P12ihipStream_tbEUlT_E1_NS1_11comp_targetILNS1_3genE3ELNS1_11target_archE908ELNS1_3gpuE7ELNS1_3repE0EEENS1_30default_config_static_selectorELNS0_4arch9wavefront6targetE0EEEvS14_
	.p2align	8
	.type	_ZN7rocprim17ROCPRIM_400000_NS6detail17trampoline_kernelINS0_14default_configENS1_22reduce_config_selectorIN6thrust23THRUST_200600_302600_NS5tupleIblNS6_9null_typeES8_S8_S8_S8_S8_S8_S8_EEEEZNS1_11reduce_implILb1ES3_NS6_12zip_iteratorINS7_INS6_11hip_rocprim26transform_input_iterator_tIbNSD_35transform_pair_of_input_iterators_tIbNS6_6detail15normal_iteratorINS6_10device_ptrIKtEEEESL_NS6_8equal_toItEEEENSG_9not_fun_tINSD_8identityEEEEENSD_19counting_iterator_tIlEES8_S8_S8_S8_S8_S8_S8_S8_EEEEPS9_S9_NSD_9__find_if7functorIS9_EEEE10hipError_tPvRmT1_T2_T3_mT4_P12ihipStream_tbEUlT_E1_NS1_11comp_targetILNS1_3genE3ELNS1_11target_archE908ELNS1_3gpuE7ELNS1_3repE0EEENS1_30default_config_static_selectorELNS0_4arch9wavefront6targetE0EEEvS14_,@function
_ZN7rocprim17ROCPRIM_400000_NS6detail17trampoline_kernelINS0_14default_configENS1_22reduce_config_selectorIN6thrust23THRUST_200600_302600_NS5tupleIblNS6_9null_typeES8_S8_S8_S8_S8_S8_S8_EEEEZNS1_11reduce_implILb1ES3_NS6_12zip_iteratorINS7_INS6_11hip_rocprim26transform_input_iterator_tIbNSD_35transform_pair_of_input_iterators_tIbNS6_6detail15normal_iteratorINS6_10device_ptrIKtEEEESL_NS6_8equal_toItEEEENSG_9not_fun_tINSD_8identityEEEEENSD_19counting_iterator_tIlEES8_S8_S8_S8_S8_S8_S8_S8_EEEEPS9_S9_NSD_9__find_if7functorIS9_EEEE10hipError_tPvRmT1_T2_T3_mT4_P12ihipStream_tbEUlT_E1_NS1_11comp_targetILNS1_3genE3ELNS1_11target_archE908ELNS1_3gpuE7ELNS1_3repE0EEENS1_30default_config_static_selectorELNS0_4arch9wavefront6targetE0EEEvS14_: ; @_ZN7rocprim17ROCPRIM_400000_NS6detail17trampoline_kernelINS0_14default_configENS1_22reduce_config_selectorIN6thrust23THRUST_200600_302600_NS5tupleIblNS6_9null_typeES8_S8_S8_S8_S8_S8_S8_EEEEZNS1_11reduce_implILb1ES3_NS6_12zip_iteratorINS7_INS6_11hip_rocprim26transform_input_iterator_tIbNSD_35transform_pair_of_input_iterators_tIbNS6_6detail15normal_iteratorINS6_10device_ptrIKtEEEESL_NS6_8equal_toItEEEENSG_9not_fun_tINSD_8identityEEEEENSD_19counting_iterator_tIlEES8_S8_S8_S8_S8_S8_S8_S8_EEEEPS9_S9_NSD_9__find_if7functorIS9_EEEE10hipError_tPvRmT1_T2_T3_mT4_P12ihipStream_tbEUlT_E1_NS1_11comp_targetILNS1_3genE3ELNS1_11target_archE908ELNS1_3gpuE7ELNS1_3repE0EEENS1_30default_config_static_selectorELNS0_4arch9wavefront6targetE0EEEvS14_
; %bb.0:
	.section	.rodata,"a",@progbits
	.p2align	6, 0x0
	.amdhsa_kernel _ZN7rocprim17ROCPRIM_400000_NS6detail17trampoline_kernelINS0_14default_configENS1_22reduce_config_selectorIN6thrust23THRUST_200600_302600_NS5tupleIblNS6_9null_typeES8_S8_S8_S8_S8_S8_S8_EEEEZNS1_11reduce_implILb1ES3_NS6_12zip_iteratorINS7_INS6_11hip_rocprim26transform_input_iterator_tIbNSD_35transform_pair_of_input_iterators_tIbNS6_6detail15normal_iteratorINS6_10device_ptrIKtEEEESL_NS6_8equal_toItEEEENSG_9not_fun_tINSD_8identityEEEEENSD_19counting_iterator_tIlEES8_S8_S8_S8_S8_S8_S8_S8_EEEEPS9_S9_NSD_9__find_if7functorIS9_EEEE10hipError_tPvRmT1_T2_T3_mT4_P12ihipStream_tbEUlT_E1_NS1_11comp_targetILNS1_3genE3ELNS1_11target_archE908ELNS1_3gpuE7ELNS1_3repE0EEENS1_30default_config_static_selectorELNS0_4arch9wavefront6targetE0EEEvS14_
		.amdhsa_group_segment_fixed_size 0
		.amdhsa_private_segment_fixed_size 0
		.amdhsa_kernarg_size 88
		.amdhsa_user_sgpr_count 15
		.amdhsa_user_sgpr_dispatch_ptr 0
		.amdhsa_user_sgpr_queue_ptr 0
		.amdhsa_user_sgpr_kernarg_segment_ptr 1
		.amdhsa_user_sgpr_dispatch_id 0
		.amdhsa_user_sgpr_private_segment_size 0
		.amdhsa_wavefront_size32 1
		.amdhsa_uses_dynamic_stack 0
		.amdhsa_enable_private_segment 0
		.amdhsa_system_sgpr_workgroup_id_x 1
		.amdhsa_system_sgpr_workgroup_id_y 0
		.amdhsa_system_sgpr_workgroup_id_z 0
		.amdhsa_system_sgpr_workgroup_info 0
		.amdhsa_system_vgpr_workitem_id 0
		.amdhsa_next_free_vgpr 1
		.amdhsa_next_free_sgpr 1
		.amdhsa_reserve_vcc 0
		.amdhsa_float_round_mode_32 0
		.amdhsa_float_round_mode_16_64 0
		.amdhsa_float_denorm_mode_32 3
		.amdhsa_float_denorm_mode_16_64 3
		.amdhsa_dx10_clamp 1
		.amdhsa_ieee_mode 1
		.amdhsa_fp16_overflow 0
		.amdhsa_workgroup_processor_mode 1
		.amdhsa_memory_ordered 1
		.amdhsa_forward_progress 0
		.amdhsa_shared_vgpr_count 0
		.amdhsa_exception_fp_ieee_invalid_op 0
		.amdhsa_exception_fp_denorm_src 0
		.amdhsa_exception_fp_ieee_div_zero 0
		.amdhsa_exception_fp_ieee_overflow 0
		.amdhsa_exception_fp_ieee_underflow 0
		.amdhsa_exception_fp_ieee_inexact 0
		.amdhsa_exception_int_div_zero 0
	.end_amdhsa_kernel
	.section	.text._ZN7rocprim17ROCPRIM_400000_NS6detail17trampoline_kernelINS0_14default_configENS1_22reduce_config_selectorIN6thrust23THRUST_200600_302600_NS5tupleIblNS6_9null_typeES8_S8_S8_S8_S8_S8_S8_EEEEZNS1_11reduce_implILb1ES3_NS6_12zip_iteratorINS7_INS6_11hip_rocprim26transform_input_iterator_tIbNSD_35transform_pair_of_input_iterators_tIbNS6_6detail15normal_iteratorINS6_10device_ptrIKtEEEESL_NS6_8equal_toItEEEENSG_9not_fun_tINSD_8identityEEEEENSD_19counting_iterator_tIlEES8_S8_S8_S8_S8_S8_S8_S8_EEEEPS9_S9_NSD_9__find_if7functorIS9_EEEE10hipError_tPvRmT1_T2_T3_mT4_P12ihipStream_tbEUlT_E1_NS1_11comp_targetILNS1_3genE3ELNS1_11target_archE908ELNS1_3gpuE7ELNS1_3repE0EEENS1_30default_config_static_selectorELNS0_4arch9wavefront6targetE0EEEvS14_,"axG",@progbits,_ZN7rocprim17ROCPRIM_400000_NS6detail17trampoline_kernelINS0_14default_configENS1_22reduce_config_selectorIN6thrust23THRUST_200600_302600_NS5tupleIblNS6_9null_typeES8_S8_S8_S8_S8_S8_S8_EEEEZNS1_11reduce_implILb1ES3_NS6_12zip_iteratorINS7_INS6_11hip_rocprim26transform_input_iterator_tIbNSD_35transform_pair_of_input_iterators_tIbNS6_6detail15normal_iteratorINS6_10device_ptrIKtEEEESL_NS6_8equal_toItEEEENSG_9not_fun_tINSD_8identityEEEEENSD_19counting_iterator_tIlEES8_S8_S8_S8_S8_S8_S8_S8_EEEEPS9_S9_NSD_9__find_if7functorIS9_EEEE10hipError_tPvRmT1_T2_T3_mT4_P12ihipStream_tbEUlT_E1_NS1_11comp_targetILNS1_3genE3ELNS1_11target_archE908ELNS1_3gpuE7ELNS1_3repE0EEENS1_30default_config_static_selectorELNS0_4arch9wavefront6targetE0EEEvS14_,comdat
.Lfunc_end842:
	.size	_ZN7rocprim17ROCPRIM_400000_NS6detail17trampoline_kernelINS0_14default_configENS1_22reduce_config_selectorIN6thrust23THRUST_200600_302600_NS5tupleIblNS6_9null_typeES8_S8_S8_S8_S8_S8_S8_EEEEZNS1_11reduce_implILb1ES3_NS6_12zip_iteratorINS7_INS6_11hip_rocprim26transform_input_iterator_tIbNSD_35transform_pair_of_input_iterators_tIbNS6_6detail15normal_iteratorINS6_10device_ptrIKtEEEESL_NS6_8equal_toItEEEENSG_9not_fun_tINSD_8identityEEEEENSD_19counting_iterator_tIlEES8_S8_S8_S8_S8_S8_S8_S8_EEEEPS9_S9_NSD_9__find_if7functorIS9_EEEE10hipError_tPvRmT1_T2_T3_mT4_P12ihipStream_tbEUlT_E1_NS1_11comp_targetILNS1_3genE3ELNS1_11target_archE908ELNS1_3gpuE7ELNS1_3repE0EEENS1_30default_config_static_selectorELNS0_4arch9wavefront6targetE0EEEvS14_, .Lfunc_end842-_ZN7rocprim17ROCPRIM_400000_NS6detail17trampoline_kernelINS0_14default_configENS1_22reduce_config_selectorIN6thrust23THRUST_200600_302600_NS5tupleIblNS6_9null_typeES8_S8_S8_S8_S8_S8_S8_EEEEZNS1_11reduce_implILb1ES3_NS6_12zip_iteratorINS7_INS6_11hip_rocprim26transform_input_iterator_tIbNSD_35transform_pair_of_input_iterators_tIbNS6_6detail15normal_iteratorINS6_10device_ptrIKtEEEESL_NS6_8equal_toItEEEENSG_9not_fun_tINSD_8identityEEEEENSD_19counting_iterator_tIlEES8_S8_S8_S8_S8_S8_S8_S8_EEEEPS9_S9_NSD_9__find_if7functorIS9_EEEE10hipError_tPvRmT1_T2_T3_mT4_P12ihipStream_tbEUlT_E1_NS1_11comp_targetILNS1_3genE3ELNS1_11target_archE908ELNS1_3gpuE7ELNS1_3repE0EEENS1_30default_config_static_selectorELNS0_4arch9wavefront6targetE0EEEvS14_
                                        ; -- End function
	.section	.AMDGPU.csdata,"",@progbits
; Kernel info:
; codeLenInByte = 0
; NumSgprs: 0
; NumVgprs: 0
; ScratchSize: 0
; MemoryBound: 0
; FloatMode: 240
; IeeeMode: 1
; LDSByteSize: 0 bytes/workgroup (compile time only)
; SGPRBlocks: 0
; VGPRBlocks: 0
; NumSGPRsForWavesPerEU: 1
; NumVGPRsForWavesPerEU: 1
; Occupancy: 16
; WaveLimiterHint : 0
; COMPUTE_PGM_RSRC2:SCRATCH_EN: 0
; COMPUTE_PGM_RSRC2:USER_SGPR: 15
; COMPUTE_PGM_RSRC2:TRAP_HANDLER: 0
; COMPUTE_PGM_RSRC2:TGID_X_EN: 1
; COMPUTE_PGM_RSRC2:TGID_Y_EN: 0
; COMPUTE_PGM_RSRC2:TGID_Z_EN: 0
; COMPUTE_PGM_RSRC2:TIDIG_COMP_CNT: 0
	.section	.text._ZN7rocprim17ROCPRIM_400000_NS6detail17trampoline_kernelINS0_14default_configENS1_22reduce_config_selectorIN6thrust23THRUST_200600_302600_NS5tupleIblNS6_9null_typeES8_S8_S8_S8_S8_S8_S8_EEEEZNS1_11reduce_implILb1ES3_NS6_12zip_iteratorINS7_INS6_11hip_rocprim26transform_input_iterator_tIbNSD_35transform_pair_of_input_iterators_tIbNS6_6detail15normal_iteratorINS6_10device_ptrIKtEEEESL_NS6_8equal_toItEEEENSG_9not_fun_tINSD_8identityEEEEENSD_19counting_iterator_tIlEES8_S8_S8_S8_S8_S8_S8_S8_EEEEPS9_S9_NSD_9__find_if7functorIS9_EEEE10hipError_tPvRmT1_T2_T3_mT4_P12ihipStream_tbEUlT_E1_NS1_11comp_targetILNS1_3genE2ELNS1_11target_archE906ELNS1_3gpuE6ELNS1_3repE0EEENS1_30default_config_static_selectorELNS0_4arch9wavefront6targetE0EEEvS14_,"axG",@progbits,_ZN7rocprim17ROCPRIM_400000_NS6detail17trampoline_kernelINS0_14default_configENS1_22reduce_config_selectorIN6thrust23THRUST_200600_302600_NS5tupleIblNS6_9null_typeES8_S8_S8_S8_S8_S8_S8_EEEEZNS1_11reduce_implILb1ES3_NS6_12zip_iteratorINS7_INS6_11hip_rocprim26transform_input_iterator_tIbNSD_35transform_pair_of_input_iterators_tIbNS6_6detail15normal_iteratorINS6_10device_ptrIKtEEEESL_NS6_8equal_toItEEEENSG_9not_fun_tINSD_8identityEEEEENSD_19counting_iterator_tIlEES8_S8_S8_S8_S8_S8_S8_S8_EEEEPS9_S9_NSD_9__find_if7functorIS9_EEEE10hipError_tPvRmT1_T2_T3_mT4_P12ihipStream_tbEUlT_E1_NS1_11comp_targetILNS1_3genE2ELNS1_11target_archE906ELNS1_3gpuE6ELNS1_3repE0EEENS1_30default_config_static_selectorELNS0_4arch9wavefront6targetE0EEEvS14_,comdat
	.protected	_ZN7rocprim17ROCPRIM_400000_NS6detail17trampoline_kernelINS0_14default_configENS1_22reduce_config_selectorIN6thrust23THRUST_200600_302600_NS5tupleIblNS6_9null_typeES8_S8_S8_S8_S8_S8_S8_EEEEZNS1_11reduce_implILb1ES3_NS6_12zip_iteratorINS7_INS6_11hip_rocprim26transform_input_iterator_tIbNSD_35transform_pair_of_input_iterators_tIbNS6_6detail15normal_iteratorINS6_10device_ptrIKtEEEESL_NS6_8equal_toItEEEENSG_9not_fun_tINSD_8identityEEEEENSD_19counting_iterator_tIlEES8_S8_S8_S8_S8_S8_S8_S8_EEEEPS9_S9_NSD_9__find_if7functorIS9_EEEE10hipError_tPvRmT1_T2_T3_mT4_P12ihipStream_tbEUlT_E1_NS1_11comp_targetILNS1_3genE2ELNS1_11target_archE906ELNS1_3gpuE6ELNS1_3repE0EEENS1_30default_config_static_selectorELNS0_4arch9wavefront6targetE0EEEvS14_ ; -- Begin function _ZN7rocprim17ROCPRIM_400000_NS6detail17trampoline_kernelINS0_14default_configENS1_22reduce_config_selectorIN6thrust23THRUST_200600_302600_NS5tupleIblNS6_9null_typeES8_S8_S8_S8_S8_S8_S8_EEEEZNS1_11reduce_implILb1ES3_NS6_12zip_iteratorINS7_INS6_11hip_rocprim26transform_input_iterator_tIbNSD_35transform_pair_of_input_iterators_tIbNS6_6detail15normal_iteratorINS6_10device_ptrIKtEEEESL_NS6_8equal_toItEEEENSG_9not_fun_tINSD_8identityEEEEENSD_19counting_iterator_tIlEES8_S8_S8_S8_S8_S8_S8_S8_EEEEPS9_S9_NSD_9__find_if7functorIS9_EEEE10hipError_tPvRmT1_T2_T3_mT4_P12ihipStream_tbEUlT_E1_NS1_11comp_targetILNS1_3genE2ELNS1_11target_archE906ELNS1_3gpuE6ELNS1_3repE0EEENS1_30default_config_static_selectorELNS0_4arch9wavefront6targetE0EEEvS14_
	.globl	_ZN7rocprim17ROCPRIM_400000_NS6detail17trampoline_kernelINS0_14default_configENS1_22reduce_config_selectorIN6thrust23THRUST_200600_302600_NS5tupleIblNS6_9null_typeES8_S8_S8_S8_S8_S8_S8_EEEEZNS1_11reduce_implILb1ES3_NS6_12zip_iteratorINS7_INS6_11hip_rocprim26transform_input_iterator_tIbNSD_35transform_pair_of_input_iterators_tIbNS6_6detail15normal_iteratorINS6_10device_ptrIKtEEEESL_NS6_8equal_toItEEEENSG_9not_fun_tINSD_8identityEEEEENSD_19counting_iterator_tIlEES8_S8_S8_S8_S8_S8_S8_S8_EEEEPS9_S9_NSD_9__find_if7functorIS9_EEEE10hipError_tPvRmT1_T2_T3_mT4_P12ihipStream_tbEUlT_E1_NS1_11comp_targetILNS1_3genE2ELNS1_11target_archE906ELNS1_3gpuE6ELNS1_3repE0EEENS1_30default_config_static_selectorELNS0_4arch9wavefront6targetE0EEEvS14_
	.p2align	8
	.type	_ZN7rocprim17ROCPRIM_400000_NS6detail17trampoline_kernelINS0_14default_configENS1_22reduce_config_selectorIN6thrust23THRUST_200600_302600_NS5tupleIblNS6_9null_typeES8_S8_S8_S8_S8_S8_S8_EEEEZNS1_11reduce_implILb1ES3_NS6_12zip_iteratorINS7_INS6_11hip_rocprim26transform_input_iterator_tIbNSD_35transform_pair_of_input_iterators_tIbNS6_6detail15normal_iteratorINS6_10device_ptrIKtEEEESL_NS6_8equal_toItEEEENSG_9not_fun_tINSD_8identityEEEEENSD_19counting_iterator_tIlEES8_S8_S8_S8_S8_S8_S8_S8_EEEEPS9_S9_NSD_9__find_if7functorIS9_EEEE10hipError_tPvRmT1_T2_T3_mT4_P12ihipStream_tbEUlT_E1_NS1_11comp_targetILNS1_3genE2ELNS1_11target_archE906ELNS1_3gpuE6ELNS1_3repE0EEENS1_30default_config_static_selectorELNS0_4arch9wavefront6targetE0EEEvS14_,@function
_ZN7rocprim17ROCPRIM_400000_NS6detail17trampoline_kernelINS0_14default_configENS1_22reduce_config_selectorIN6thrust23THRUST_200600_302600_NS5tupleIblNS6_9null_typeES8_S8_S8_S8_S8_S8_S8_EEEEZNS1_11reduce_implILb1ES3_NS6_12zip_iteratorINS7_INS6_11hip_rocprim26transform_input_iterator_tIbNSD_35transform_pair_of_input_iterators_tIbNS6_6detail15normal_iteratorINS6_10device_ptrIKtEEEESL_NS6_8equal_toItEEEENSG_9not_fun_tINSD_8identityEEEEENSD_19counting_iterator_tIlEES8_S8_S8_S8_S8_S8_S8_S8_EEEEPS9_S9_NSD_9__find_if7functorIS9_EEEE10hipError_tPvRmT1_T2_T3_mT4_P12ihipStream_tbEUlT_E1_NS1_11comp_targetILNS1_3genE2ELNS1_11target_archE906ELNS1_3gpuE6ELNS1_3repE0EEENS1_30default_config_static_selectorELNS0_4arch9wavefront6targetE0EEEvS14_: ; @_ZN7rocprim17ROCPRIM_400000_NS6detail17trampoline_kernelINS0_14default_configENS1_22reduce_config_selectorIN6thrust23THRUST_200600_302600_NS5tupleIblNS6_9null_typeES8_S8_S8_S8_S8_S8_S8_EEEEZNS1_11reduce_implILb1ES3_NS6_12zip_iteratorINS7_INS6_11hip_rocprim26transform_input_iterator_tIbNSD_35transform_pair_of_input_iterators_tIbNS6_6detail15normal_iteratorINS6_10device_ptrIKtEEEESL_NS6_8equal_toItEEEENSG_9not_fun_tINSD_8identityEEEEENSD_19counting_iterator_tIlEES8_S8_S8_S8_S8_S8_S8_S8_EEEEPS9_S9_NSD_9__find_if7functorIS9_EEEE10hipError_tPvRmT1_T2_T3_mT4_P12ihipStream_tbEUlT_E1_NS1_11comp_targetILNS1_3genE2ELNS1_11target_archE906ELNS1_3gpuE6ELNS1_3repE0EEENS1_30default_config_static_selectorELNS0_4arch9wavefront6targetE0EEEvS14_
; %bb.0:
	.section	.rodata,"a",@progbits
	.p2align	6, 0x0
	.amdhsa_kernel _ZN7rocprim17ROCPRIM_400000_NS6detail17trampoline_kernelINS0_14default_configENS1_22reduce_config_selectorIN6thrust23THRUST_200600_302600_NS5tupleIblNS6_9null_typeES8_S8_S8_S8_S8_S8_S8_EEEEZNS1_11reduce_implILb1ES3_NS6_12zip_iteratorINS7_INS6_11hip_rocprim26transform_input_iterator_tIbNSD_35transform_pair_of_input_iterators_tIbNS6_6detail15normal_iteratorINS6_10device_ptrIKtEEEESL_NS6_8equal_toItEEEENSG_9not_fun_tINSD_8identityEEEEENSD_19counting_iterator_tIlEES8_S8_S8_S8_S8_S8_S8_S8_EEEEPS9_S9_NSD_9__find_if7functorIS9_EEEE10hipError_tPvRmT1_T2_T3_mT4_P12ihipStream_tbEUlT_E1_NS1_11comp_targetILNS1_3genE2ELNS1_11target_archE906ELNS1_3gpuE6ELNS1_3repE0EEENS1_30default_config_static_selectorELNS0_4arch9wavefront6targetE0EEEvS14_
		.amdhsa_group_segment_fixed_size 0
		.amdhsa_private_segment_fixed_size 0
		.amdhsa_kernarg_size 88
		.amdhsa_user_sgpr_count 15
		.amdhsa_user_sgpr_dispatch_ptr 0
		.amdhsa_user_sgpr_queue_ptr 0
		.amdhsa_user_sgpr_kernarg_segment_ptr 1
		.amdhsa_user_sgpr_dispatch_id 0
		.amdhsa_user_sgpr_private_segment_size 0
		.amdhsa_wavefront_size32 1
		.amdhsa_uses_dynamic_stack 0
		.amdhsa_enable_private_segment 0
		.amdhsa_system_sgpr_workgroup_id_x 1
		.amdhsa_system_sgpr_workgroup_id_y 0
		.amdhsa_system_sgpr_workgroup_id_z 0
		.amdhsa_system_sgpr_workgroup_info 0
		.amdhsa_system_vgpr_workitem_id 0
		.amdhsa_next_free_vgpr 1
		.amdhsa_next_free_sgpr 1
		.amdhsa_reserve_vcc 0
		.amdhsa_float_round_mode_32 0
		.amdhsa_float_round_mode_16_64 0
		.amdhsa_float_denorm_mode_32 3
		.amdhsa_float_denorm_mode_16_64 3
		.amdhsa_dx10_clamp 1
		.amdhsa_ieee_mode 1
		.amdhsa_fp16_overflow 0
		.amdhsa_workgroup_processor_mode 1
		.amdhsa_memory_ordered 1
		.amdhsa_forward_progress 0
		.amdhsa_shared_vgpr_count 0
		.amdhsa_exception_fp_ieee_invalid_op 0
		.amdhsa_exception_fp_denorm_src 0
		.amdhsa_exception_fp_ieee_div_zero 0
		.amdhsa_exception_fp_ieee_overflow 0
		.amdhsa_exception_fp_ieee_underflow 0
		.amdhsa_exception_fp_ieee_inexact 0
		.amdhsa_exception_int_div_zero 0
	.end_amdhsa_kernel
	.section	.text._ZN7rocprim17ROCPRIM_400000_NS6detail17trampoline_kernelINS0_14default_configENS1_22reduce_config_selectorIN6thrust23THRUST_200600_302600_NS5tupleIblNS6_9null_typeES8_S8_S8_S8_S8_S8_S8_EEEEZNS1_11reduce_implILb1ES3_NS6_12zip_iteratorINS7_INS6_11hip_rocprim26transform_input_iterator_tIbNSD_35transform_pair_of_input_iterators_tIbNS6_6detail15normal_iteratorINS6_10device_ptrIKtEEEESL_NS6_8equal_toItEEEENSG_9not_fun_tINSD_8identityEEEEENSD_19counting_iterator_tIlEES8_S8_S8_S8_S8_S8_S8_S8_EEEEPS9_S9_NSD_9__find_if7functorIS9_EEEE10hipError_tPvRmT1_T2_T3_mT4_P12ihipStream_tbEUlT_E1_NS1_11comp_targetILNS1_3genE2ELNS1_11target_archE906ELNS1_3gpuE6ELNS1_3repE0EEENS1_30default_config_static_selectorELNS0_4arch9wavefront6targetE0EEEvS14_,"axG",@progbits,_ZN7rocprim17ROCPRIM_400000_NS6detail17trampoline_kernelINS0_14default_configENS1_22reduce_config_selectorIN6thrust23THRUST_200600_302600_NS5tupleIblNS6_9null_typeES8_S8_S8_S8_S8_S8_S8_EEEEZNS1_11reduce_implILb1ES3_NS6_12zip_iteratorINS7_INS6_11hip_rocprim26transform_input_iterator_tIbNSD_35transform_pair_of_input_iterators_tIbNS6_6detail15normal_iteratorINS6_10device_ptrIKtEEEESL_NS6_8equal_toItEEEENSG_9not_fun_tINSD_8identityEEEEENSD_19counting_iterator_tIlEES8_S8_S8_S8_S8_S8_S8_S8_EEEEPS9_S9_NSD_9__find_if7functorIS9_EEEE10hipError_tPvRmT1_T2_T3_mT4_P12ihipStream_tbEUlT_E1_NS1_11comp_targetILNS1_3genE2ELNS1_11target_archE906ELNS1_3gpuE6ELNS1_3repE0EEENS1_30default_config_static_selectorELNS0_4arch9wavefront6targetE0EEEvS14_,comdat
.Lfunc_end843:
	.size	_ZN7rocprim17ROCPRIM_400000_NS6detail17trampoline_kernelINS0_14default_configENS1_22reduce_config_selectorIN6thrust23THRUST_200600_302600_NS5tupleIblNS6_9null_typeES8_S8_S8_S8_S8_S8_S8_EEEEZNS1_11reduce_implILb1ES3_NS6_12zip_iteratorINS7_INS6_11hip_rocprim26transform_input_iterator_tIbNSD_35transform_pair_of_input_iterators_tIbNS6_6detail15normal_iteratorINS6_10device_ptrIKtEEEESL_NS6_8equal_toItEEEENSG_9not_fun_tINSD_8identityEEEEENSD_19counting_iterator_tIlEES8_S8_S8_S8_S8_S8_S8_S8_EEEEPS9_S9_NSD_9__find_if7functorIS9_EEEE10hipError_tPvRmT1_T2_T3_mT4_P12ihipStream_tbEUlT_E1_NS1_11comp_targetILNS1_3genE2ELNS1_11target_archE906ELNS1_3gpuE6ELNS1_3repE0EEENS1_30default_config_static_selectorELNS0_4arch9wavefront6targetE0EEEvS14_, .Lfunc_end843-_ZN7rocprim17ROCPRIM_400000_NS6detail17trampoline_kernelINS0_14default_configENS1_22reduce_config_selectorIN6thrust23THRUST_200600_302600_NS5tupleIblNS6_9null_typeES8_S8_S8_S8_S8_S8_S8_EEEEZNS1_11reduce_implILb1ES3_NS6_12zip_iteratorINS7_INS6_11hip_rocprim26transform_input_iterator_tIbNSD_35transform_pair_of_input_iterators_tIbNS6_6detail15normal_iteratorINS6_10device_ptrIKtEEEESL_NS6_8equal_toItEEEENSG_9not_fun_tINSD_8identityEEEEENSD_19counting_iterator_tIlEES8_S8_S8_S8_S8_S8_S8_S8_EEEEPS9_S9_NSD_9__find_if7functorIS9_EEEE10hipError_tPvRmT1_T2_T3_mT4_P12ihipStream_tbEUlT_E1_NS1_11comp_targetILNS1_3genE2ELNS1_11target_archE906ELNS1_3gpuE6ELNS1_3repE0EEENS1_30default_config_static_selectorELNS0_4arch9wavefront6targetE0EEEvS14_
                                        ; -- End function
	.section	.AMDGPU.csdata,"",@progbits
; Kernel info:
; codeLenInByte = 0
; NumSgprs: 0
; NumVgprs: 0
; ScratchSize: 0
; MemoryBound: 0
; FloatMode: 240
; IeeeMode: 1
; LDSByteSize: 0 bytes/workgroup (compile time only)
; SGPRBlocks: 0
; VGPRBlocks: 0
; NumSGPRsForWavesPerEU: 1
; NumVGPRsForWavesPerEU: 1
; Occupancy: 16
; WaveLimiterHint : 0
; COMPUTE_PGM_RSRC2:SCRATCH_EN: 0
; COMPUTE_PGM_RSRC2:USER_SGPR: 15
; COMPUTE_PGM_RSRC2:TRAP_HANDLER: 0
; COMPUTE_PGM_RSRC2:TGID_X_EN: 1
; COMPUTE_PGM_RSRC2:TGID_Y_EN: 0
; COMPUTE_PGM_RSRC2:TGID_Z_EN: 0
; COMPUTE_PGM_RSRC2:TIDIG_COMP_CNT: 0
	.section	.text._ZN7rocprim17ROCPRIM_400000_NS6detail17trampoline_kernelINS0_14default_configENS1_22reduce_config_selectorIN6thrust23THRUST_200600_302600_NS5tupleIblNS6_9null_typeES8_S8_S8_S8_S8_S8_S8_EEEEZNS1_11reduce_implILb1ES3_NS6_12zip_iteratorINS7_INS6_11hip_rocprim26transform_input_iterator_tIbNSD_35transform_pair_of_input_iterators_tIbNS6_6detail15normal_iteratorINS6_10device_ptrIKtEEEESL_NS6_8equal_toItEEEENSG_9not_fun_tINSD_8identityEEEEENSD_19counting_iterator_tIlEES8_S8_S8_S8_S8_S8_S8_S8_EEEEPS9_S9_NSD_9__find_if7functorIS9_EEEE10hipError_tPvRmT1_T2_T3_mT4_P12ihipStream_tbEUlT_E1_NS1_11comp_targetILNS1_3genE10ELNS1_11target_archE1201ELNS1_3gpuE5ELNS1_3repE0EEENS1_30default_config_static_selectorELNS0_4arch9wavefront6targetE0EEEvS14_,"axG",@progbits,_ZN7rocprim17ROCPRIM_400000_NS6detail17trampoline_kernelINS0_14default_configENS1_22reduce_config_selectorIN6thrust23THRUST_200600_302600_NS5tupleIblNS6_9null_typeES8_S8_S8_S8_S8_S8_S8_EEEEZNS1_11reduce_implILb1ES3_NS6_12zip_iteratorINS7_INS6_11hip_rocprim26transform_input_iterator_tIbNSD_35transform_pair_of_input_iterators_tIbNS6_6detail15normal_iteratorINS6_10device_ptrIKtEEEESL_NS6_8equal_toItEEEENSG_9not_fun_tINSD_8identityEEEEENSD_19counting_iterator_tIlEES8_S8_S8_S8_S8_S8_S8_S8_EEEEPS9_S9_NSD_9__find_if7functorIS9_EEEE10hipError_tPvRmT1_T2_T3_mT4_P12ihipStream_tbEUlT_E1_NS1_11comp_targetILNS1_3genE10ELNS1_11target_archE1201ELNS1_3gpuE5ELNS1_3repE0EEENS1_30default_config_static_selectorELNS0_4arch9wavefront6targetE0EEEvS14_,comdat
	.protected	_ZN7rocprim17ROCPRIM_400000_NS6detail17trampoline_kernelINS0_14default_configENS1_22reduce_config_selectorIN6thrust23THRUST_200600_302600_NS5tupleIblNS6_9null_typeES8_S8_S8_S8_S8_S8_S8_EEEEZNS1_11reduce_implILb1ES3_NS6_12zip_iteratorINS7_INS6_11hip_rocprim26transform_input_iterator_tIbNSD_35transform_pair_of_input_iterators_tIbNS6_6detail15normal_iteratorINS6_10device_ptrIKtEEEESL_NS6_8equal_toItEEEENSG_9not_fun_tINSD_8identityEEEEENSD_19counting_iterator_tIlEES8_S8_S8_S8_S8_S8_S8_S8_EEEEPS9_S9_NSD_9__find_if7functorIS9_EEEE10hipError_tPvRmT1_T2_T3_mT4_P12ihipStream_tbEUlT_E1_NS1_11comp_targetILNS1_3genE10ELNS1_11target_archE1201ELNS1_3gpuE5ELNS1_3repE0EEENS1_30default_config_static_selectorELNS0_4arch9wavefront6targetE0EEEvS14_ ; -- Begin function _ZN7rocprim17ROCPRIM_400000_NS6detail17trampoline_kernelINS0_14default_configENS1_22reduce_config_selectorIN6thrust23THRUST_200600_302600_NS5tupleIblNS6_9null_typeES8_S8_S8_S8_S8_S8_S8_EEEEZNS1_11reduce_implILb1ES3_NS6_12zip_iteratorINS7_INS6_11hip_rocprim26transform_input_iterator_tIbNSD_35transform_pair_of_input_iterators_tIbNS6_6detail15normal_iteratorINS6_10device_ptrIKtEEEESL_NS6_8equal_toItEEEENSG_9not_fun_tINSD_8identityEEEEENSD_19counting_iterator_tIlEES8_S8_S8_S8_S8_S8_S8_S8_EEEEPS9_S9_NSD_9__find_if7functorIS9_EEEE10hipError_tPvRmT1_T2_T3_mT4_P12ihipStream_tbEUlT_E1_NS1_11comp_targetILNS1_3genE10ELNS1_11target_archE1201ELNS1_3gpuE5ELNS1_3repE0EEENS1_30default_config_static_selectorELNS0_4arch9wavefront6targetE0EEEvS14_
	.globl	_ZN7rocprim17ROCPRIM_400000_NS6detail17trampoline_kernelINS0_14default_configENS1_22reduce_config_selectorIN6thrust23THRUST_200600_302600_NS5tupleIblNS6_9null_typeES8_S8_S8_S8_S8_S8_S8_EEEEZNS1_11reduce_implILb1ES3_NS6_12zip_iteratorINS7_INS6_11hip_rocprim26transform_input_iterator_tIbNSD_35transform_pair_of_input_iterators_tIbNS6_6detail15normal_iteratorINS6_10device_ptrIKtEEEESL_NS6_8equal_toItEEEENSG_9not_fun_tINSD_8identityEEEEENSD_19counting_iterator_tIlEES8_S8_S8_S8_S8_S8_S8_S8_EEEEPS9_S9_NSD_9__find_if7functorIS9_EEEE10hipError_tPvRmT1_T2_T3_mT4_P12ihipStream_tbEUlT_E1_NS1_11comp_targetILNS1_3genE10ELNS1_11target_archE1201ELNS1_3gpuE5ELNS1_3repE0EEENS1_30default_config_static_selectorELNS0_4arch9wavefront6targetE0EEEvS14_
	.p2align	8
	.type	_ZN7rocprim17ROCPRIM_400000_NS6detail17trampoline_kernelINS0_14default_configENS1_22reduce_config_selectorIN6thrust23THRUST_200600_302600_NS5tupleIblNS6_9null_typeES8_S8_S8_S8_S8_S8_S8_EEEEZNS1_11reduce_implILb1ES3_NS6_12zip_iteratorINS7_INS6_11hip_rocprim26transform_input_iterator_tIbNSD_35transform_pair_of_input_iterators_tIbNS6_6detail15normal_iteratorINS6_10device_ptrIKtEEEESL_NS6_8equal_toItEEEENSG_9not_fun_tINSD_8identityEEEEENSD_19counting_iterator_tIlEES8_S8_S8_S8_S8_S8_S8_S8_EEEEPS9_S9_NSD_9__find_if7functorIS9_EEEE10hipError_tPvRmT1_T2_T3_mT4_P12ihipStream_tbEUlT_E1_NS1_11comp_targetILNS1_3genE10ELNS1_11target_archE1201ELNS1_3gpuE5ELNS1_3repE0EEENS1_30default_config_static_selectorELNS0_4arch9wavefront6targetE0EEEvS14_,@function
_ZN7rocprim17ROCPRIM_400000_NS6detail17trampoline_kernelINS0_14default_configENS1_22reduce_config_selectorIN6thrust23THRUST_200600_302600_NS5tupleIblNS6_9null_typeES8_S8_S8_S8_S8_S8_S8_EEEEZNS1_11reduce_implILb1ES3_NS6_12zip_iteratorINS7_INS6_11hip_rocprim26transform_input_iterator_tIbNSD_35transform_pair_of_input_iterators_tIbNS6_6detail15normal_iteratorINS6_10device_ptrIKtEEEESL_NS6_8equal_toItEEEENSG_9not_fun_tINSD_8identityEEEEENSD_19counting_iterator_tIlEES8_S8_S8_S8_S8_S8_S8_S8_EEEEPS9_S9_NSD_9__find_if7functorIS9_EEEE10hipError_tPvRmT1_T2_T3_mT4_P12ihipStream_tbEUlT_E1_NS1_11comp_targetILNS1_3genE10ELNS1_11target_archE1201ELNS1_3gpuE5ELNS1_3repE0EEENS1_30default_config_static_selectorELNS0_4arch9wavefront6targetE0EEEvS14_: ; @_ZN7rocprim17ROCPRIM_400000_NS6detail17trampoline_kernelINS0_14default_configENS1_22reduce_config_selectorIN6thrust23THRUST_200600_302600_NS5tupleIblNS6_9null_typeES8_S8_S8_S8_S8_S8_S8_EEEEZNS1_11reduce_implILb1ES3_NS6_12zip_iteratorINS7_INS6_11hip_rocprim26transform_input_iterator_tIbNSD_35transform_pair_of_input_iterators_tIbNS6_6detail15normal_iteratorINS6_10device_ptrIKtEEEESL_NS6_8equal_toItEEEENSG_9not_fun_tINSD_8identityEEEEENSD_19counting_iterator_tIlEES8_S8_S8_S8_S8_S8_S8_S8_EEEEPS9_S9_NSD_9__find_if7functorIS9_EEEE10hipError_tPvRmT1_T2_T3_mT4_P12ihipStream_tbEUlT_E1_NS1_11comp_targetILNS1_3genE10ELNS1_11target_archE1201ELNS1_3gpuE5ELNS1_3repE0EEENS1_30default_config_static_selectorELNS0_4arch9wavefront6targetE0EEEvS14_
; %bb.0:
	.section	.rodata,"a",@progbits
	.p2align	6, 0x0
	.amdhsa_kernel _ZN7rocprim17ROCPRIM_400000_NS6detail17trampoline_kernelINS0_14default_configENS1_22reduce_config_selectorIN6thrust23THRUST_200600_302600_NS5tupleIblNS6_9null_typeES8_S8_S8_S8_S8_S8_S8_EEEEZNS1_11reduce_implILb1ES3_NS6_12zip_iteratorINS7_INS6_11hip_rocprim26transform_input_iterator_tIbNSD_35transform_pair_of_input_iterators_tIbNS6_6detail15normal_iteratorINS6_10device_ptrIKtEEEESL_NS6_8equal_toItEEEENSG_9not_fun_tINSD_8identityEEEEENSD_19counting_iterator_tIlEES8_S8_S8_S8_S8_S8_S8_S8_EEEEPS9_S9_NSD_9__find_if7functorIS9_EEEE10hipError_tPvRmT1_T2_T3_mT4_P12ihipStream_tbEUlT_E1_NS1_11comp_targetILNS1_3genE10ELNS1_11target_archE1201ELNS1_3gpuE5ELNS1_3repE0EEENS1_30default_config_static_selectorELNS0_4arch9wavefront6targetE0EEEvS14_
		.amdhsa_group_segment_fixed_size 0
		.amdhsa_private_segment_fixed_size 0
		.amdhsa_kernarg_size 88
		.amdhsa_user_sgpr_count 15
		.amdhsa_user_sgpr_dispatch_ptr 0
		.amdhsa_user_sgpr_queue_ptr 0
		.amdhsa_user_sgpr_kernarg_segment_ptr 1
		.amdhsa_user_sgpr_dispatch_id 0
		.amdhsa_user_sgpr_private_segment_size 0
		.amdhsa_wavefront_size32 1
		.amdhsa_uses_dynamic_stack 0
		.amdhsa_enable_private_segment 0
		.amdhsa_system_sgpr_workgroup_id_x 1
		.amdhsa_system_sgpr_workgroup_id_y 0
		.amdhsa_system_sgpr_workgroup_id_z 0
		.amdhsa_system_sgpr_workgroup_info 0
		.amdhsa_system_vgpr_workitem_id 0
		.amdhsa_next_free_vgpr 1
		.amdhsa_next_free_sgpr 1
		.amdhsa_reserve_vcc 0
		.amdhsa_float_round_mode_32 0
		.amdhsa_float_round_mode_16_64 0
		.amdhsa_float_denorm_mode_32 3
		.amdhsa_float_denorm_mode_16_64 3
		.amdhsa_dx10_clamp 1
		.amdhsa_ieee_mode 1
		.amdhsa_fp16_overflow 0
		.amdhsa_workgroup_processor_mode 1
		.amdhsa_memory_ordered 1
		.amdhsa_forward_progress 0
		.amdhsa_shared_vgpr_count 0
		.amdhsa_exception_fp_ieee_invalid_op 0
		.amdhsa_exception_fp_denorm_src 0
		.amdhsa_exception_fp_ieee_div_zero 0
		.amdhsa_exception_fp_ieee_overflow 0
		.amdhsa_exception_fp_ieee_underflow 0
		.amdhsa_exception_fp_ieee_inexact 0
		.amdhsa_exception_int_div_zero 0
	.end_amdhsa_kernel
	.section	.text._ZN7rocprim17ROCPRIM_400000_NS6detail17trampoline_kernelINS0_14default_configENS1_22reduce_config_selectorIN6thrust23THRUST_200600_302600_NS5tupleIblNS6_9null_typeES8_S8_S8_S8_S8_S8_S8_EEEEZNS1_11reduce_implILb1ES3_NS6_12zip_iteratorINS7_INS6_11hip_rocprim26transform_input_iterator_tIbNSD_35transform_pair_of_input_iterators_tIbNS6_6detail15normal_iteratorINS6_10device_ptrIKtEEEESL_NS6_8equal_toItEEEENSG_9not_fun_tINSD_8identityEEEEENSD_19counting_iterator_tIlEES8_S8_S8_S8_S8_S8_S8_S8_EEEEPS9_S9_NSD_9__find_if7functorIS9_EEEE10hipError_tPvRmT1_T2_T3_mT4_P12ihipStream_tbEUlT_E1_NS1_11comp_targetILNS1_3genE10ELNS1_11target_archE1201ELNS1_3gpuE5ELNS1_3repE0EEENS1_30default_config_static_selectorELNS0_4arch9wavefront6targetE0EEEvS14_,"axG",@progbits,_ZN7rocprim17ROCPRIM_400000_NS6detail17trampoline_kernelINS0_14default_configENS1_22reduce_config_selectorIN6thrust23THRUST_200600_302600_NS5tupleIblNS6_9null_typeES8_S8_S8_S8_S8_S8_S8_EEEEZNS1_11reduce_implILb1ES3_NS6_12zip_iteratorINS7_INS6_11hip_rocprim26transform_input_iterator_tIbNSD_35transform_pair_of_input_iterators_tIbNS6_6detail15normal_iteratorINS6_10device_ptrIKtEEEESL_NS6_8equal_toItEEEENSG_9not_fun_tINSD_8identityEEEEENSD_19counting_iterator_tIlEES8_S8_S8_S8_S8_S8_S8_S8_EEEEPS9_S9_NSD_9__find_if7functorIS9_EEEE10hipError_tPvRmT1_T2_T3_mT4_P12ihipStream_tbEUlT_E1_NS1_11comp_targetILNS1_3genE10ELNS1_11target_archE1201ELNS1_3gpuE5ELNS1_3repE0EEENS1_30default_config_static_selectorELNS0_4arch9wavefront6targetE0EEEvS14_,comdat
.Lfunc_end844:
	.size	_ZN7rocprim17ROCPRIM_400000_NS6detail17trampoline_kernelINS0_14default_configENS1_22reduce_config_selectorIN6thrust23THRUST_200600_302600_NS5tupleIblNS6_9null_typeES8_S8_S8_S8_S8_S8_S8_EEEEZNS1_11reduce_implILb1ES3_NS6_12zip_iteratorINS7_INS6_11hip_rocprim26transform_input_iterator_tIbNSD_35transform_pair_of_input_iterators_tIbNS6_6detail15normal_iteratorINS6_10device_ptrIKtEEEESL_NS6_8equal_toItEEEENSG_9not_fun_tINSD_8identityEEEEENSD_19counting_iterator_tIlEES8_S8_S8_S8_S8_S8_S8_S8_EEEEPS9_S9_NSD_9__find_if7functorIS9_EEEE10hipError_tPvRmT1_T2_T3_mT4_P12ihipStream_tbEUlT_E1_NS1_11comp_targetILNS1_3genE10ELNS1_11target_archE1201ELNS1_3gpuE5ELNS1_3repE0EEENS1_30default_config_static_selectorELNS0_4arch9wavefront6targetE0EEEvS14_, .Lfunc_end844-_ZN7rocprim17ROCPRIM_400000_NS6detail17trampoline_kernelINS0_14default_configENS1_22reduce_config_selectorIN6thrust23THRUST_200600_302600_NS5tupleIblNS6_9null_typeES8_S8_S8_S8_S8_S8_S8_EEEEZNS1_11reduce_implILb1ES3_NS6_12zip_iteratorINS7_INS6_11hip_rocprim26transform_input_iterator_tIbNSD_35transform_pair_of_input_iterators_tIbNS6_6detail15normal_iteratorINS6_10device_ptrIKtEEEESL_NS6_8equal_toItEEEENSG_9not_fun_tINSD_8identityEEEEENSD_19counting_iterator_tIlEES8_S8_S8_S8_S8_S8_S8_S8_EEEEPS9_S9_NSD_9__find_if7functorIS9_EEEE10hipError_tPvRmT1_T2_T3_mT4_P12ihipStream_tbEUlT_E1_NS1_11comp_targetILNS1_3genE10ELNS1_11target_archE1201ELNS1_3gpuE5ELNS1_3repE0EEENS1_30default_config_static_selectorELNS0_4arch9wavefront6targetE0EEEvS14_
                                        ; -- End function
	.section	.AMDGPU.csdata,"",@progbits
; Kernel info:
; codeLenInByte = 0
; NumSgprs: 0
; NumVgprs: 0
; ScratchSize: 0
; MemoryBound: 0
; FloatMode: 240
; IeeeMode: 1
; LDSByteSize: 0 bytes/workgroup (compile time only)
; SGPRBlocks: 0
; VGPRBlocks: 0
; NumSGPRsForWavesPerEU: 1
; NumVGPRsForWavesPerEU: 1
; Occupancy: 16
; WaveLimiterHint : 0
; COMPUTE_PGM_RSRC2:SCRATCH_EN: 0
; COMPUTE_PGM_RSRC2:USER_SGPR: 15
; COMPUTE_PGM_RSRC2:TRAP_HANDLER: 0
; COMPUTE_PGM_RSRC2:TGID_X_EN: 1
; COMPUTE_PGM_RSRC2:TGID_Y_EN: 0
; COMPUTE_PGM_RSRC2:TGID_Z_EN: 0
; COMPUTE_PGM_RSRC2:TIDIG_COMP_CNT: 0
	.section	.text._ZN7rocprim17ROCPRIM_400000_NS6detail17trampoline_kernelINS0_14default_configENS1_22reduce_config_selectorIN6thrust23THRUST_200600_302600_NS5tupleIblNS6_9null_typeES8_S8_S8_S8_S8_S8_S8_EEEEZNS1_11reduce_implILb1ES3_NS6_12zip_iteratorINS7_INS6_11hip_rocprim26transform_input_iterator_tIbNSD_35transform_pair_of_input_iterators_tIbNS6_6detail15normal_iteratorINS6_10device_ptrIKtEEEESL_NS6_8equal_toItEEEENSG_9not_fun_tINSD_8identityEEEEENSD_19counting_iterator_tIlEES8_S8_S8_S8_S8_S8_S8_S8_EEEEPS9_S9_NSD_9__find_if7functorIS9_EEEE10hipError_tPvRmT1_T2_T3_mT4_P12ihipStream_tbEUlT_E1_NS1_11comp_targetILNS1_3genE10ELNS1_11target_archE1200ELNS1_3gpuE4ELNS1_3repE0EEENS1_30default_config_static_selectorELNS0_4arch9wavefront6targetE0EEEvS14_,"axG",@progbits,_ZN7rocprim17ROCPRIM_400000_NS6detail17trampoline_kernelINS0_14default_configENS1_22reduce_config_selectorIN6thrust23THRUST_200600_302600_NS5tupleIblNS6_9null_typeES8_S8_S8_S8_S8_S8_S8_EEEEZNS1_11reduce_implILb1ES3_NS6_12zip_iteratorINS7_INS6_11hip_rocprim26transform_input_iterator_tIbNSD_35transform_pair_of_input_iterators_tIbNS6_6detail15normal_iteratorINS6_10device_ptrIKtEEEESL_NS6_8equal_toItEEEENSG_9not_fun_tINSD_8identityEEEEENSD_19counting_iterator_tIlEES8_S8_S8_S8_S8_S8_S8_S8_EEEEPS9_S9_NSD_9__find_if7functorIS9_EEEE10hipError_tPvRmT1_T2_T3_mT4_P12ihipStream_tbEUlT_E1_NS1_11comp_targetILNS1_3genE10ELNS1_11target_archE1200ELNS1_3gpuE4ELNS1_3repE0EEENS1_30default_config_static_selectorELNS0_4arch9wavefront6targetE0EEEvS14_,comdat
	.protected	_ZN7rocprim17ROCPRIM_400000_NS6detail17trampoline_kernelINS0_14default_configENS1_22reduce_config_selectorIN6thrust23THRUST_200600_302600_NS5tupleIblNS6_9null_typeES8_S8_S8_S8_S8_S8_S8_EEEEZNS1_11reduce_implILb1ES3_NS6_12zip_iteratorINS7_INS6_11hip_rocprim26transform_input_iterator_tIbNSD_35transform_pair_of_input_iterators_tIbNS6_6detail15normal_iteratorINS6_10device_ptrIKtEEEESL_NS6_8equal_toItEEEENSG_9not_fun_tINSD_8identityEEEEENSD_19counting_iterator_tIlEES8_S8_S8_S8_S8_S8_S8_S8_EEEEPS9_S9_NSD_9__find_if7functorIS9_EEEE10hipError_tPvRmT1_T2_T3_mT4_P12ihipStream_tbEUlT_E1_NS1_11comp_targetILNS1_3genE10ELNS1_11target_archE1200ELNS1_3gpuE4ELNS1_3repE0EEENS1_30default_config_static_selectorELNS0_4arch9wavefront6targetE0EEEvS14_ ; -- Begin function _ZN7rocprim17ROCPRIM_400000_NS6detail17trampoline_kernelINS0_14default_configENS1_22reduce_config_selectorIN6thrust23THRUST_200600_302600_NS5tupleIblNS6_9null_typeES8_S8_S8_S8_S8_S8_S8_EEEEZNS1_11reduce_implILb1ES3_NS6_12zip_iteratorINS7_INS6_11hip_rocprim26transform_input_iterator_tIbNSD_35transform_pair_of_input_iterators_tIbNS6_6detail15normal_iteratorINS6_10device_ptrIKtEEEESL_NS6_8equal_toItEEEENSG_9not_fun_tINSD_8identityEEEEENSD_19counting_iterator_tIlEES8_S8_S8_S8_S8_S8_S8_S8_EEEEPS9_S9_NSD_9__find_if7functorIS9_EEEE10hipError_tPvRmT1_T2_T3_mT4_P12ihipStream_tbEUlT_E1_NS1_11comp_targetILNS1_3genE10ELNS1_11target_archE1200ELNS1_3gpuE4ELNS1_3repE0EEENS1_30default_config_static_selectorELNS0_4arch9wavefront6targetE0EEEvS14_
	.globl	_ZN7rocprim17ROCPRIM_400000_NS6detail17trampoline_kernelINS0_14default_configENS1_22reduce_config_selectorIN6thrust23THRUST_200600_302600_NS5tupleIblNS6_9null_typeES8_S8_S8_S8_S8_S8_S8_EEEEZNS1_11reduce_implILb1ES3_NS6_12zip_iteratorINS7_INS6_11hip_rocprim26transform_input_iterator_tIbNSD_35transform_pair_of_input_iterators_tIbNS6_6detail15normal_iteratorINS6_10device_ptrIKtEEEESL_NS6_8equal_toItEEEENSG_9not_fun_tINSD_8identityEEEEENSD_19counting_iterator_tIlEES8_S8_S8_S8_S8_S8_S8_S8_EEEEPS9_S9_NSD_9__find_if7functorIS9_EEEE10hipError_tPvRmT1_T2_T3_mT4_P12ihipStream_tbEUlT_E1_NS1_11comp_targetILNS1_3genE10ELNS1_11target_archE1200ELNS1_3gpuE4ELNS1_3repE0EEENS1_30default_config_static_selectorELNS0_4arch9wavefront6targetE0EEEvS14_
	.p2align	8
	.type	_ZN7rocprim17ROCPRIM_400000_NS6detail17trampoline_kernelINS0_14default_configENS1_22reduce_config_selectorIN6thrust23THRUST_200600_302600_NS5tupleIblNS6_9null_typeES8_S8_S8_S8_S8_S8_S8_EEEEZNS1_11reduce_implILb1ES3_NS6_12zip_iteratorINS7_INS6_11hip_rocprim26transform_input_iterator_tIbNSD_35transform_pair_of_input_iterators_tIbNS6_6detail15normal_iteratorINS6_10device_ptrIKtEEEESL_NS6_8equal_toItEEEENSG_9not_fun_tINSD_8identityEEEEENSD_19counting_iterator_tIlEES8_S8_S8_S8_S8_S8_S8_S8_EEEEPS9_S9_NSD_9__find_if7functorIS9_EEEE10hipError_tPvRmT1_T2_T3_mT4_P12ihipStream_tbEUlT_E1_NS1_11comp_targetILNS1_3genE10ELNS1_11target_archE1200ELNS1_3gpuE4ELNS1_3repE0EEENS1_30default_config_static_selectorELNS0_4arch9wavefront6targetE0EEEvS14_,@function
_ZN7rocprim17ROCPRIM_400000_NS6detail17trampoline_kernelINS0_14default_configENS1_22reduce_config_selectorIN6thrust23THRUST_200600_302600_NS5tupleIblNS6_9null_typeES8_S8_S8_S8_S8_S8_S8_EEEEZNS1_11reduce_implILb1ES3_NS6_12zip_iteratorINS7_INS6_11hip_rocprim26transform_input_iterator_tIbNSD_35transform_pair_of_input_iterators_tIbNS6_6detail15normal_iteratorINS6_10device_ptrIKtEEEESL_NS6_8equal_toItEEEENSG_9not_fun_tINSD_8identityEEEEENSD_19counting_iterator_tIlEES8_S8_S8_S8_S8_S8_S8_S8_EEEEPS9_S9_NSD_9__find_if7functorIS9_EEEE10hipError_tPvRmT1_T2_T3_mT4_P12ihipStream_tbEUlT_E1_NS1_11comp_targetILNS1_3genE10ELNS1_11target_archE1200ELNS1_3gpuE4ELNS1_3repE0EEENS1_30default_config_static_selectorELNS0_4arch9wavefront6targetE0EEEvS14_: ; @_ZN7rocprim17ROCPRIM_400000_NS6detail17trampoline_kernelINS0_14default_configENS1_22reduce_config_selectorIN6thrust23THRUST_200600_302600_NS5tupleIblNS6_9null_typeES8_S8_S8_S8_S8_S8_S8_EEEEZNS1_11reduce_implILb1ES3_NS6_12zip_iteratorINS7_INS6_11hip_rocprim26transform_input_iterator_tIbNSD_35transform_pair_of_input_iterators_tIbNS6_6detail15normal_iteratorINS6_10device_ptrIKtEEEESL_NS6_8equal_toItEEEENSG_9not_fun_tINSD_8identityEEEEENSD_19counting_iterator_tIlEES8_S8_S8_S8_S8_S8_S8_S8_EEEEPS9_S9_NSD_9__find_if7functorIS9_EEEE10hipError_tPvRmT1_T2_T3_mT4_P12ihipStream_tbEUlT_E1_NS1_11comp_targetILNS1_3genE10ELNS1_11target_archE1200ELNS1_3gpuE4ELNS1_3repE0EEENS1_30default_config_static_selectorELNS0_4arch9wavefront6targetE0EEEvS14_
; %bb.0:
	.section	.rodata,"a",@progbits
	.p2align	6, 0x0
	.amdhsa_kernel _ZN7rocprim17ROCPRIM_400000_NS6detail17trampoline_kernelINS0_14default_configENS1_22reduce_config_selectorIN6thrust23THRUST_200600_302600_NS5tupleIblNS6_9null_typeES8_S8_S8_S8_S8_S8_S8_EEEEZNS1_11reduce_implILb1ES3_NS6_12zip_iteratorINS7_INS6_11hip_rocprim26transform_input_iterator_tIbNSD_35transform_pair_of_input_iterators_tIbNS6_6detail15normal_iteratorINS6_10device_ptrIKtEEEESL_NS6_8equal_toItEEEENSG_9not_fun_tINSD_8identityEEEEENSD_19counting_iterator_tIlEES8_S8_S8_S8_S8_S8_S8_S8_EEEEPS9_S9_NSD_9__find_if7functorIS9_EEEE10hipError_tPvRmT1_T2_T3_mT4_P12ihipStream_tbEUlT_E1_NS1_11comp_targetILNS1_3genE10ELNS1_11target_archE1200ELNS1_3gpuE4ELNS1_3repE0EEENS1_30default_config_static_selectorELNS0_4arch9wavefront6targetE0EEEvS14_
		.amdhsa_group_segment_fixed_size 0
		.amdhsa_private_segment_fixed_size 0
		.amdhsa_kernarg_size 88
		.amdhsa_user_sgpr_count 15
		.amdhsa_user_sgpr_dispatch_ptr 0
		.amdhsa_user_sgpr_queue_ptr 0
		.amdhsa_user_sgpr_kernarg_segment_ptr 1
		.amdhsa_user_sgpr_dispatch_id 0
		.amdhsa_user_sgpr_private_segment_size 0
		.amdhsa_wavefront_size32 1
		.amdhsa_uses_dynamic_stack 0
		.amdhsa_enable_private_segment 0
		.amdhsa_system_sgpr_workgroup_id_x 1
		.amdhsa_system_sgpr_workgroup_id_y 0
		.amdhsa_system_sgpr_workgroup_id_z 0
		.amdhsa_system_sgpr_workgroup_info 0
		.amdhsa_system_vgpr_workitem_id 0
		.amdhsa_next_free_vgpr 1
		.amdhsa_next_free_sgpr 1
		.amdhsa_reserve_vcc 0
		.amdhsa_float_round_mode_32 0
		.amdhsa_float_round_mode_16_64 0
		.amdhsa_float_denorm_mode_32 3
		.amdhsa_float_denorm_mode_16_64 3
		.amdhsa_dx10_clamp 1
		.amdhsa_ieee_mode 1
		.amdhsa_fp16_overflow 0
		.amdhsa_workgroup_processor_mode 1
		.amdhsa_memory_ordered 1
		.amdhsa_forward_progress 0
		.amdhsa_shared_vgpr_count 0
		.amdhsa_exception_fp_ieee_invalid_op 0
		.amdhsa_exception_fp_denorm_src 0
		.amdhsa_exception_fp_ieee_div_zero 0
		.amdhsa_exception_fp_ieee_overflow 0
		.amdhsa_exception_fp_ieee_underflow 0
		.amdhsa_exception_fp_ieee_inexact 0
		.amdhsa_exception_int_div_zero 0
	.end_amdhsa_kernel
	.section	.text._ZN7rocprim17ROCPRIM_400000_NS6detail17trampoline_kernelINS0_14default_configENS1_22reduce_config_selectorIN6thrust23THRUST_200600_302600_NS5tupleIblNS6_9null_typeES8_S8_S8_S8_S8_S8_S8_EEEEZNS1_11reduce_implILb1ES3_NS6_12zip_iteratorINS7_INS6_11hip_rocprim26transform_input_iterator_tIbNSD_35transform_pair_of_input_iterators_tIbNS6_6detail15normal_iteratorINS6_10device_ptrIKtEEEESL_NS6_8equal_toItEEEENSG_9not_fun_tINSD_8identityEEEEENSD_19counting_iterator_tIlEES8_S8_S8_S8_S8_S8_S8_S8_EEEEPS9_S9_NSD_9__find_if7functorIS9_EEEE10hipError_tPvRmT1_T2_T3_mT4_P12ihipStream_tbEUlT_E1_NS1_11comp_targetILNS1_3genE10ELNS1_11target_archE1200ELNS1_3gpuE4ELNS1_3repE0EEENS1_30default_config_static_selectorELNS0_4arch9wavefront6targetE0EEEvS14_,"axG",@progbits,_ZN7rocprim17ROCPRIM_400000_NS6detail17trampoline_kernelINS0_14default_configENS1_22reduce_config_selectorIN6thrust23THRUST_200600_302600_NS5tupleIblNS6_9null_typeES8_S8_S8_S8_S8_S8_S8_EEEEZNS1_11reduce_implILb1ES3_NS6_12zip_iteratorINS7_INS6_11hip_rocprim26transform_input_iterator_tIbNSD_35transform_pair_of_input_iterators_tIbNS6_6detail15normal_iteratorINS6_10device_ptrIKtEEEESL_NS6_8equal_toItEEEENSG_9not_fun_tINSD_8identityEEEEENSD_19counting_iterator_tIlEES8_S8_S8_S8_S8_S8_S8_S8_EEEEPS9_S9_NSD_9__find_if7functorIS9_EEEE10hipError_tPvRmT1_T2_T3_mT4_P12ihipStream_tbEUlT_E1_NS1_11comp_targetILNS1_3genE10ELNS1_11target_archE1200ELNS1_3gpuE4ELNS1_3repE0EEENS1_30default_config_static_selectorELNS0_4arch9wavefront6targetE0EEEvS14_,comdat
.Lfunc_end845:
	.size	_ZN7rocprim17ROCPRIM_400000_NS6detail17trampoline_kernelINS0_14default_configENS1_22reduce_config_selectorIN6thrust23THRUST_200600_302600_NS5tupleIblNS6_9null_typeES8_S8_S8_S8_S8_S8_S8_EEEEZNS1_11reduce_implILb1ES3_NS6_12zip_iteratorINS7_INS6_11hip_rocprim26transform_input_iterator_tIbNSD_35transform_pair_of_input_iterators_tIbNS6_6detail15normal_iteratorINS6_10device_ptrIKtEEEESL_NS6_8equal_toItEEEENSG_9not_fun_tINSD_8identityEEEEENSD_19counting_iterator_tIlEES8_S8_S8_S8_S8_S8_S8_S8_EEEEPS9_S9_NSD_9__find_if7functorIS9_EEEE10hipError_tPvRmT1_T2_T3_mT4_P12ihipStream_tbEUlT_E1_NS1_11comp_targetILNS1_3genE10ELNS1_11target_archE1200ELNS1_3gpuE4ELNS1_3repE0EEENS1_30default_config_static_selectorELNS0_4arch9wavefront6targetE0EEEvS14_, .Lfunc_end845-_ZN7rocprim17ROCPRIM_400000_NS6detail17trampoline_kernelINS0_14default_configENS1_22reduce_config_selectorIN6thrust23THRUST_200600_302600_NS5tupleIblNS6_9null_typeES8_S8_S8_S8_S8_S8_S8_EEEEZNS1_11reduce_implILb1ES3_NS6_12zip_iteratorINS7_INS6_11hip_rocprim26transform_input_iterator_tIbNSD_35transform_pair_of_input_iterators_tIbNS6_6detail15normal_iteratorINS6_10device_ptrIKtEEEESL_NS6_8equal_toItEEEENSG_9not_fun_tINSD_8identityEEEEENSD_19counting_iterator_tIlEES8_S8_S8_S8_S8_S8_S8_S8_EEEEPS9_S9_NSD_9__find_if7functorIS9_EEEE10hipError_tPvRmT1_T2_T3_mT4_P12ihipStream_tbEUlT_E1_NS1_11comp_targetILNS1_3genE10ELNS1_11target_archE1200ELNS1_3gpuE4ELNS1_3repE0EEENS1_30default_config_static_selectorELNS0_4arch9wavefront6targetE0EEEvS14_
                                        ; -- End function
	.section	.AMDGPU.csdata,"",@progbits
; Kernel info:
; codeLenInByte = 0
; NumSgprs: 0
; NumVgprs: 0
; ScratchSize: 0
; MemoryBound: 0
; FloatMode: 240
; IeeeMode: 1
; LDSByteSize: 0 bytes/workgroup (compile time only)
; SGPRBlocks: 0
; VGPRBlocks: 0
; NumSGPRsForWavesPerEU: 1
; NumVGPRsForWavesPerEU: 1
; Occupancy: 16
; WaveLimiterHint : 0
; COMPUTE_PGM_RSRC2:SCRATCH_EN: 0
; COMPUTE_PGM_RSRC2:USER_SGPR: 15
; COMPUTE_PGM_RSRC2:TRAP_HANDLER: 0
; COMPUTE_PGM_RSRC2:TGID_X_EN: 1
; COMPUTE_PGM_RSRC2:TGID_Y_EN: 0
; COMPUTE_PGM_RSRC2:TGID_Z_EN: 0
; COMPUTE_PGM_RSRC2:TIDIG_COMP_CNT: 0
	.section	.text._ZN7rocprim17ROCPRIM_400000_NS6detail17trampoline_kernelINS0_14default_configENS1_22reduce_config_selectorIN6thrust23THRUST_200600_302600_NS5tupleIblNS6_9null_typeES8_S8_S8_S8_S8_S8_S8_EEEEZNS1_11reduce_implILb1ES3_NS6_12zip_iteratorINS7_INS6_11hip_rocprim26transform_input_iterator_tIbNSD_35transform_pair_of_input_iterators_tIbNS6_6detail15normal_iteratorINS6_10device_ptrIKtEEEESL_NS6_8equal_toItEEEENSG_9not_fun_tINSD_8identityEEEEENSD_19counting_iterator_tIlEES8_S8_S8_S8_S8_S8_S8_S8_EEEEPS9_S9_NSD_9__find_if7functorIS9_EEEE10hipError_tPvRmT1_T2_T3_mT4_P12ihipStream_tbEUlT_E1_NS1_11comp_targetILNS1_3genE9ELNS1_11target_archE1100ELNS1_3gpuE3ELNS1_3repE0EEENS1_30default_config_static_selectorELNS0_4arch9wavefront6targetE0EEEvS14_,"axG",@progbits,_ZN7rocprim17ROCPRIM_400000_NS6detail17trampoline_kernelINS0_14default_configENS1_22reduce_config_selectorIN6thrust23THRUST_200600_302600_NS5tupleIblNS6_9null_typeES8_S8_S8_S8_S8_S8_S8_EEEEZNS1_11reduce_implILb1ES3_NS6_12zip_iteratorINS7_INS6_11hip_rocprim26transform_input_iterator_tIbNSD_35transform_pair_of_input_iterators_tIbNS6_6detail15normal_iteratorINS6_10device_ptrIKtEEEESL_NS6_8equal_toItEEEENSG_9not_fun_tINSD_8identityEEEEENSD_19counting_iterator_tIlEES8_S8_S8_S8_S8_S8_S8_S8_EEEEPS9_S9_NSD_9__find_if7functorIS9_EEEE10hipError_tPvRmT1_T2_T3_mT4_P12ihipStream_tbEUlT_E1_NS1_11comp_targetILNS1_3genE9ELNS1_11target_archE1100ELNS1_3gpuE3ELNS1_3repE0EEENS1_30default_config_static_selectorELNS0_4arch9wavefront6targetE0EEEvS14_,comdat
	.protected	_ZN7rocprim17ROCPRIM_400000_NS6detail17trampoline_kernelINS0_14default_configENS1_22reduce_config_selectorIN6thrust23THRUST_200600_302600_NS5tupleIblNS6_9null_typeES8_S8_S8_S8_S8_S8_S8_EEEEZNS1_11reduce_implILb1ES3_NS6_12zip_iteratorINS7_INS6_11hip_rocprim26transform_input_iterator_tIbNSD_35transform_pair_of_input_iterators_tIbNS6_6detail15normal_iteratorINS6_10device_ptrIKtEEEESL_NS6_8equal_toItEEEENSG_9not_fun_tINSD_8identityEEEEENSD_19counting_iterator_tIlEES8_S8_S8_S8_S8_S8_S8_S8_EEEEPS9_S9_NSD_9__find_if7functorIS9_EEEE10hipError_tPvRmT1_T2_T3_mT4_P12ihipStream_tbEUlT_E1_NS1_11comp_targetILNS1_3genE9ELNS1_11target_archE1100ELNS1_3gpuE3ELNS1_3repE0EEENS1_30default_config_static_selectorELNS0_4arch9wavefront6targetE0EEEvS14_ ; -- Begin function _ZN7rocprim17ROCPRIM_400000_NS6detail17trampoline_kernelINS0_14default_configENS1_22reduce_config_selectorIN6thrust23THRUST_200600_302600_NS5tupleIblNS6_9null_typeES8_S8_S8_S8_S8_S8_S8_EEEEZNS1_11reduce_implILb1ES3_NS6_12zip_iteratorINS7_INS6_11hip_rocprim26transform_input_iterator_tIbNSD_35transform_pair_of_input_iterators_tIbNS6_6detail15normal_iteratorINS6_10device_ptrIKtEEEESL_NS6_8equal_toItEEEENSG_9not_fun_tINSD_8identityEEEEENSD_19counting_iterator_tIlEES8_S8_S8_S8_S8_S8_S8_S8_EEEEPS9_S9_NSD_9__find_if7functorIS9_EEEE10hipError_tPvRmT1_T2_T3_mT4_P12ihipStream_tbEUlT_E1_NS1_11comp_targetILNS1_3genE9ELNS1_11target_archE1100ELNS1_3gpuE3ELNS1_3repE0EEENS1_30default_config_static_selectorELNS0_4arch9wavefront6targetE0EEEvS14_
	.globl	_ZN7rocprim17ROCPRIM_400000_NS6detail17trampoline_kernelINS0_14default_configENS1_22reduce_config_selectorIN6thrust23THRUST_200600_302600_NS5tupleIblNS6_9null_typeES8_S8_S8_S8_S8_S8_S8_EEEEZNS1_11reduce_implILb1ES3_NS6_12zip_iteratorINS7_INS6_11hip_rocprim26transform_input_iterator_tIbNSD_35transform_pair_of_input_iterators_tIbNS6_6detail15normal_iteratorINS6_10device_ptrIKtEEEESL_NS6_8equal_toItEEEENSG_9not_fun_tINSD_8identityEEEEENSD_19counting_iterator_tIlEES8_S8_S8_S8_S8_S8_S8_S8_EEEEPS9_S9_NSD_9__find_if7functorIS9_EEEE10hipError_tPvRmT1_T2_T3_mT4_P12ihipStream_tbEUlT_E1_NS1_11comp_targetILNS1_3genE9ELNS1_11target_archE1100ELNS1_3gpuE3ELNS1_3repE0EEENS1_30default_config_static_selectorELNS0_4arch9wavefront6targetE0EEEvS14_
	.p2align	8
	.type	_ZN7rocprim17ROCPRIM_400000_NS6detail17trampoline_kernelINS0_14default_configENS1_22reduce_config_selectorIN6thrust23THRUST_200600_302600_NS5tupleIblNS6_9null_typeES8_S8_S8_S8_S8_S8_S8_EEEEZNS1_11reduce_implILb1ES3_NS6_12zip_iteratorINS7_INS6_11hip_rocprim26transform_input_iterator_tIbNSD_35transform_pair_of_input_iterators_tIbNS6_6detail15normal_iteratorINS6_10device_ptrIKtEEEESL_NS6_8equal_toItEEEENSG_9not_fun_tINSD_8identityEEEEENSD_19counting_iterator_tIlEES8_S8_S8_S8_S8_S8_S8_S8_EEEEPS9_S9_NSD_9__find_if7functorIS9_EEEE10hipError_tPvRmT1_T2_T3_mT4_P12ihipStream_tbEUlT_E1_NS1_11comp_targetILNS1_3genE9ELNS1_11target_archE1100ELNS1_3gpuE3ELNS1_3repE0EEENS1_30default_config_static_selectorELNS0_4arch9wavefront6targetE0EEEvS14_,@function
_ZN7rocprim17ROCPRIM_400000_NS6detail17trampoline_kernelINS0_14default_configENS1_22reduce_config_selectorIN6thrust23THRUST_200600_302600_NS5tupleIblNS6_9null_typeES8_S8_S8_S8_S8_S8_S8_EEEEZNS1_11reduce_implILb1ES3_NS6_12zip_iteratorINS7_INS6_11hip_rocprim26transform_input_iterator_tIbNSD_35transform_pair_of_input_iterators_tIbNS6_6detail15normal_iteratorINS6_10device_ptrIKtEEEESL_NS6_8equal_toItEEEENSG_9not_fun_tINSD_8identityEEEEENSD_19counting_iterator_tIlEES8_S8_S8_S8_S8_S8_S8_S8_EEEEPS9_S9_NSD_9__find_if7functorIS9_EEEE10hipError_tPvRmT1_T2_T3_mT4_P12ihipStream_tbEUlT_E1_NS1_11comp_targetILNS1_3genE9ELNS1_11target_archE1100ELNS1_3gpuE3ELNS1_3repE0EEENS1_30default_config_static_selectorELNS0_4arch9wavefront6targetE0EEEvS14_: ; @_ZN7rocprim17ROCPRIM_400000_NS6detail17trampoline_kernelINS0_14default_configENS1_22reduce_config_selectorIN6thrust23THRUST_200600_302600_NS5tupleIblNS6_9null_typeES8_S8_S8_S8_S8_S8_S8_EEEEZNS1_11reduce_implILb1ES3_NS6_12zip_iteratorINS7_INS6_11hip_rocprim26transform_input_iterator_tIbNSD_35transform_pair_of_input_iterators_tIbNS6_6detail15normal_iteratorINS6_10device_ptrIKtEEEESL_NS6_8equal_toItEEEENSG_9not_fun_tINSD_8identityEEEEENSD_19counting_iterator_tIlEES8_S8_S8_S8_S8_S8_S8_S8_EEEEPS9_S9_NSD_9__find_if7functorIS9_EEEE10hipError_tPvRmT1_T2_T3_mT4_P12ihipStream_tbEUlT_E1_NS1_11comp_targetILNS1_3genE9ELNS1_11target_archE1100ELNS1_3gpuE3ELNS1_3repE0EEENS1_30default_config_static_selectorELNS0_4arch9wavefront6targetE0EEEvS14_
; %bb.0:
	s_mov_b32 s10, s15
	s_clause 0x4
	s_load_b32 s25, s[0:1], 0x4
	s_load_b128 s[16:19], s[0:1], 0x8
	s_load_b128 s[12:15], s[0:1], 0x28
	s_load_b32 s24, s[0:1], 0x40
	s_load_b64 s[20:21], s[0:1], 0x48
	s_waitcnt lgkmcnt(0)
	s_cmp_lt_i32 s25, 4
	s_cbranch_scc1 .LBB846_19
; %bb.1:
	s_cmp_gt_i32 s25, 7
	s_cbranch_scc0 .LBB846_20
; %bb.2:
	s_cmp_eq_u32 s25, 8
	s_mov_b32 s27, 0
	s_cbranch_scc0 .LBB846_21
; %bb.3:
	s_mov_b32 s11, 0
	s_lshl_b32 s6, s10, 11
	s_mov_b32 s7, s11
	s_lshr_b64 s[4:5], s[14:15], 11
	s_lshl_b64 s[2:3], s[6:7], 1
	s_delay_alu instid0(SALU_CYCLE_1)
	s_add_u32 s8, s16, s2
	s_addc_u32 s9, s17, s3
	s_add_u32 s22, s18, s2
	s_addc_u32 s23, s19, s3
	;; [unrolled: 2-line block ×3, first 2 shown]
	s_cmp_lg_u64 s[4:5], s[10:11]
	s_cbranch_scc0 .LBB846_40
; %bb.4:
	v_dual_mov_b32 v18, 0x300 :: v_dual_lshlrev_b32 v1, 1, v0
	v_mov_b32_e32 v17, 0x100
	v_mov_b32_e32 v19, 0x500
	s_clause 0xf
	global_load_u16 v2, v1, s[22:23]
	global_load_u16 v3, v1, s[22:23] offset:512
	global_load_u16 v4, v1, s[22:23] offset:1024
	global_load_u16 v5, v1, s[8:9]
	global_load_u16 v6, v1, s[8:9] offset:512
	global_load_u16 v7, v1, s[8:9] offset:1024
	;; [unrolled: 1-line block ×12, first 2 shown]
	s_waitcnt vmcnt(12)
	v_cmp_ne_u16_e64 s2, v5, v2
	s_waitcnt vmcnt(11)
	v_cmp_ne_u16_e32 vcc_lo, v6, v3
	s_waitcnt vmcnt(10)
	v_cmp_ne_u16_e64 s3, v7, v4
	s_waitcnt vmcnt(7)
	v_cmp_ne_u16_e64 s4, v9, v10
	v_cndmask_b32_e32 v3, 0x200, v17, vcc_lo
	s_waitcnt vmcnt(6)
	v_cmp_ne_u16_e64 s5, v8, v11
	s_delay_alu instid0(VALU_DEP_2) | instskip(NEXT) | instid1(VALU_DEP_2)
	v_cndmask_b32_e64 v3, v3, 0, s2
	v_cndmask_b32_e64 v2, 0x400, v18, s5
	s_or_b32 s2, s2, vcc_lo
	s_waitcnt vmcnt(4)
	v_cmp_ne_u16_e32 vcc_lo, v12, v13
	s_or_b32 s2, s2, s3
	s_delay_alu instid0(SALU_CYCLE_1)
	v_cndmask_b32_e64 v2, v2, v3, s2
	s_or_b32 s3, s2, s5
	v_cndmask_b32_e32 v4, 0x600, v19, vcc_lo
	s_waitcnt vmcnt(2)
	v_cmp_ne_u16_e64 s2, v15, v14
	s_or_b32 s3, s3, s4
	s_waitcnt vmcnt(0)
	v_cmp_ne_u16_e64 s4, v16, v1
	v_cndmask_b32_e64 v2, v4, v2, s3
	s_or_b32 s3, s3, vcc_lo
	s_delay_alu instid0(SALU_CYCLE_1) | instskip(NEXT) | instid1(VALU_DEP_1)
	s_or_b32 vcc_lo, s3, s2
	v_cndmask_b32_e32 v1, 0x700, v2, vcc_lo
	s_or_b32 s3, vcc_lo, s4
	v_add_co_u32 v2, s2, s26, v0
	v_cndmask_b32_e64 v5, 0, 1, s3
	v_add_co_ci_u32_e64 v3, null, s28, 0, s2
	s_delay_alu instid0(VALU_DEP_3) | instskip(NEXT) | instid1(VALU_DEP_3)
	v_add_co_u32 v1, vcc_lo, v2, v1
	v_mov_b32_dpp v6, v5 quad_perm:[1,0,3,2] row_mask:0xf bank_mask:0xf
	s_delay_alu instid0(VALU_DEP_3) | instskip(NEXT) | instid1(VALU_DEP_3)
	v_add_co_ci_u32_e32 v2, vcc_lo, 0, v3, vcc_lo
	v_mov_b32_dpp v3, v1 quad_perm:[1,0,3,2] row_mask:0xf bank_mask:0xf
	s_mov_b32 s4, exec_lo
	s_delay_alu instid0(VALU_DEP_3) | instskip(NEXT) | instid1(VALU_DEP_3)
	v_and_b32_e32 v7, 1, v6
	v_mov_b32_dpp v4, v2 quad_perm:[1,0,3,2] row_mask:0xf bank_mask:0xf
	s_delay_alu instid0(VALU_DEP_2)
	v_cmpx_eq_u32_e32 1, v7
; %bb.5:
	v_cndmask_b32_e64 v5, v6, 1, s3
	s_delay_alu instid0(VALU_DEP_3) | instskip(NEXT) | instid1(VALU_DEP_2)
	v_cmp_lt_i64_e32 vcc_lo, v[1:2], v[3:4]
	v_and_b32_e32 v6, 1, v5
	v_and_b32_e32 v5, 0xff, v5
	s_and_b32 vcc_lo, s3, vcc_lo
	s_and_not1_b32 s3, s3, exec_lo
	v_dual_cndmask_b32 v2, v4, v2 :: v_dual_cndmask_b32 v1, v3, v1
	v_cmp_eq_u32_e64 s2, 1, v6
	s_delay_alu instid0(VALU_DEP_1) | instskip(NEXT) | instid1(SALU_CYCLE_1)
	s_and_b32 s2, s2, exec_lo
	s_or_b32 s3, s3, s2
; %bb.6:
	s_or_b32 exec_lo, exec_lo, s4
	v_mov_b32_dpp v6, v5 quad_perm:[2,3,0,1] row_mask:0xf bank_mask:0xf
	v_mov_b32_dpp v3, v1 quad_perm:[2,3,0,1] row_mask:0xf bank_mask:0xf
	;; [unrolled: 1-line block ×3, first 2 shown]
	s_mov_b32 s4, exec_lo
	s_delay_alu instid0(VALU_DEP_3) | instskip(NEXT) | instid1(VALU_DEP_1)
	v_and_b32_e32 v7, 1, v6
	v_cmpx_eq_u32_e32 1, v7
; %bb.7:
	v_cndmask_b32_e64 v5, v6, 1, s3
	v_cmp_lt_i64_e32 vcc_lo, v[1:2], v[3:4]
	s_delay_alu instid0(VALU_DEP_2)
	v_and_b32_e32 v6, 1, v5
	v_and_b32_e32 v5, 0xff, v5
	s_and_b32 vcc_lo, s3, vcc_lo
	s_and_not1_b32 s3, s3, exec_lo
	v_dual_cndmask_b32 v2, v4, v2 :: v_dual_cndmask_b32 v1, v3, v1
	v_cmp_eq_u32_e64 s2, 1, v6
	s_delay_alu instid0(VALU_DEP_1) | instskip(NEXT) | instid1(SALU_CYCLE_1)
	s_and_b32 s2, s2, exec_lo
	s_or_b32 s3, s3, s2
; %bb.8:
	s_or_b32 exec_lo, exec_lo, s4
	v_mov_b32_dpp v6, v5 row_ror:4 row_mask:0xf bank_mask:0xf
	v_mov_b32_dpp v3, v1 row_ror:4 row_mask:0xf bank_mask:0xf
	;; [unrolled: 1-line block ×3, first 2 shown]
	s_mov_b32 s4, exec_lo
	s_delay_alu instid0(VALU_DEP_3) | instskip(NEXT) | instid1(VALU_DEP_1)
	v_and_b32_e32 v7, 1, v6
	v_cmpx_eq_u32_e32 1, v7
; %bb.9:
	v_cndmask_b32_e64 v5, v6, 1, s3
	v_cmp_lt_i64_e32 vcc_lo, v[1:2], v[3:4]
	s_delay_alu instid0(VALU_DEP_2)
	v_and_b32_e32 v6, 1, v5
	v_and_b32_e32 v5, 0xff, v5
	s_and_b32 vcc_lo, s3, vcc_lo
	s_and_not1_b32 s3, s3, exec_lo
	v_dual_cndmask_b32 v2, v4, v2 :: v_dual_cndmask_b32 v1, v3, v1
	v_cmp_eq_u32_e64 s2, 1, v6
	s_delay_alu instid0(VALU_DEP_1) | instskip(NEXT) | instid1(SALU_CYCLE_1)
	s_and_b32 s2, s2, exec_lo
	s_or_b32 s3, s3, s2
; %bb.10:
	s_or_b32 exec_lo, exec_lo, s4
	v_mov_b32_dpp v6, v5 row_ror:8 row_mask:0xf bank_mask:0xf
	v_mov_b32_dpp v3, v1 row_ror:8 row_mask:0xf bank_mask:0xf
	;; [unrolled: 1-line block ×3, first 2 shown]
	s_mov_b32 s4, exec_lo
	s_delay_alu instid0(VALU_DEP_3) | instskip(NEXT) | instid1(VALU_DEP_1)
	v_and_b32_e32 v7, 1, v6
	v_cmpx_eq_u32_e32 1, v7
; %bb.11:
	v_cndmask_b32_e64 v5, v6, 1, s3
	v_cmp_lt_i64_e32 vcc_lo, v[1:2], v[3:4]
	s_delay_alu instid0(VALU_DEP_2)
	v_and_b32_e32 v6, 1, v5
	v_and_b32_e32 v5, 0xff, v5
	s_and_b32 vcc_lo, s3, vcc_lo
	s_and_not1_b32 s3, s3, exec_lo
	v_dual_cndmask_b32 v2, v4, v2 :: v_dual_cndmask_b32 v1, v3, v1
	v_cmp_eq_u32_e64 s2, 1, v6
	s_delay_alu instid0(VALU_DEP_1) | instskip(NEXT) | instid1(SALU_CYCLE_1)
	s_and_b32 s2, s2, exec_lo
	s_or_b32 s3, s3, s2
; %bb.12:
	s_or_b32 exec_lo, exec_lo, s4
	ds_swizzle_b32 v6, v5 offset:swizzle(BROADCAST,32,15)
	ds_swizzle_b32 v3, v1 offset:swizzle(BROADCAST,32,15)
	;; [unrolled: 1-line block ×3, first 2 shown]
	s_mov_b32 s2, exec_lo
	s_waitcnt lgkmcnt(2)
	v_and_b32_e32 v7, 1, v6
	s_delay_alu instid0(VALU_DEP_1)
	v_cmpx_eq_u32_e32 1, v7
	s_cbranch_execz .LBB846_14
; %bb.13:
	s_waitcnt lgkmcnt(0)
	v_cmp_lt_i64_e32 vcc_lo, v[1:2], v[3:4]
	v_and_b32_e32 v5, 0xff, v6
	s_delay_alu instid0(VALU_DEP_1)
	v_cndmask_b32_e64 v5, v5, 1, s3
	s_and_b32 vcc_lo, s3, vcc_lo
	v_dual_cndmask_b32 v1, v3, v1 :: v_dual_cndmask_b32 v2, v4, v2
.LBB846_14:
	s_or_b32 exec_lo, exec_lo, s2
	s_waitcnt lgkmcnt(1)
	v_mov_b32_e32 v3, 0
	s_mov_b32 s2, exec_lo
	ds_bpermute_b32 v6, v3, v5 offset:124
	ds_bpermute_b32 v1, v3, v1 offset:124
	;; [unrolled: 1-line block ×3, first 2 shown]
	v_mbcnt_lo_u32_b32 v3, -1, 0
	s_delay_alu instid0(VALU_DEP_1)
	v_cmpx_eq_u32_e32 0, v3
	s_cbranch_execz .LBB846_16
; %bb.15:
	s_waitcnt lgkmcnt(3)
	v_lshrrev_b32_e32 v4, 1, v0
	s_delay_alu instid0(VALU_DEP_1)
	v_and_b32_e32 v4, 0x70, v4
	s_waitcnt lgkmcnt(2)
	ds_store_b8 v4, v6 offset:384
	s_waitcnt lgkmcnt(1)
	ds_store_b64 v4, v[1:2] offset:392
.LBB846_16:
	s_or_b32 exec_lo, exec_lo, s2
	s_delay_alu instid0(SALU_CYCLE_1)
	s_mov_b32 s4, exec_lo
	s_waitcnt lgkmcnt(0)
	s_barrier
	buffer_gl0_inv
	v_cmpx_gt_u32_e32 32, v0
	s_cbranch_execz .LBB846_18
; %bb.17:
	v_and_b32_e32 v6, 7, v3
	s_delay_alu instid0(VALU_DEP_1)
	v_lshlrev_b32_e32 v1, 4, v6
	v_cmp_ne_u32_e32 vcc_lo, 7, v6
	ds_load_u8 v7, v1 offset:384
	ds_load_b64 v[1:2], v1 offset:392
	v_add_co_ci_u32_e32 v4, vcc_lo, 0, v3, vcc_lo
	v_cmp_gt_u32_e32 vcc_lo, 6, v6
	s_delay_alu instid0(VALU_DEP_2)
	v_lshlrev_b32_e32 v5, 2, v4
	v_cndmask_b32_e64 v10, 0, 1, vcc_lo
	s_waitcnt lgkmcnt(1)
	v_and_b32_e32 v4, 0xff, v7
	v_and_b32_e32 v11, 1, v7
	ds_bpermute_b32 v8, v5, v4
	s_waitcnt lgkmcnt(1)
	ds_bpermute_b32 v4, v5, v1
	ds_bpermute_b32 v5, v5, v2
	v_cmp_eq_u32_e64 s3, 1, v11
	s_waitcnt lgkmcnt(2)
	v_and_b32_e32 v9, 1, v8
	s_waitcnt lgkmcnt(0)
	v_cmp_lt_i64_e64 s2, v[4:5], v[1:2]
	s_delay_alu instid0(VALU_DEP_2) | instskip(SKIP_2) | instid1(VALU_DEP_4)
	v_cmp_eq_u32_e32 vcc_lo, 1, v9
	v_lshlrev_b32_e32 v9, 1, v10
	v_cndmask_b32_e64 v7, v7, 1, vcc_lo
	s_and_b32 vcc_lo, vcc_lo, s2
	v_dual_cndmask_b32 v1, v1, v4 :: v_dual_cndmask_b32 v2, v2, v5
	s_delay_alu instid0(VALU_DEP_2) | instskip(SKIP_2) | instid1(VALU_DEP_4)
	v_cndmask_b32_e64 v7, v8, v7, s3
	v_add_lshl_u32 v8, v9, v3, 2
	v_cmp_gt_u32_e32 vcc_lo, 4, v6
	v_cndmask_b32_e64 v1, v4, v1, s3
	v_cndmask_b32_e64 v2, v5, v2, s3
	v_and_b32_e32 v9, 0xff, v7
	v_and_b32_e32 v10, 1, v7
	v_cndmask_b32_e64 v6, 0, 1, vcc_lo
	ds_bpermute_b32 v4, v8, v1
	ds_bpermute_b32 v5, v8, v2
	;; [unrolled: 1-line block ×3, first 2 shown]
	v_cmp_eq_u32_e64 s3, 1, v10
	s_waitcnt lgkmcnt(1)
	v_cmp_lt_i64_e64 s2, v[4:5], v[1:2]
	s_waitcnt lgkmcnt(0)
	v_and_b32_e32 v8, 1, v9
	s_delay_alu instid0(VALU_DEP_1) | instskip(SKIP_1) | instid1(VALU_DEP_4)
	v_cmp_eq_u32_e32 vcc_lo, 1, v8
	v_cndmask_b32_e64 v7, v7, 1, vcc_lo
	s_and_b32 vcc_lo, vcc_lo, s2
	v_dual_cndmask_b32 v1, v1, v4 :: v_dual_cndmask_b32 v2, v2, v5
	s_delay_alu instid0(VALU_DEP_2) | instskip(NEXT) | instid1(VALU_DEP_2)
	v_cndmask_b32_e64 v7, v9, v7, s3
	v_cndmask_b32_e64 v1, v4, v1, s3
	v_lshlrev_b32_e32 v6, 2, v6
	s_delay_alu instid0(VALU_DEP_4) | instskip(NEXT) | instid1(VALU_DEP_2)
	v_cndmask_b32_e64 v2, v5, v2, s3
	v_add_lshl_u32 v6, v6, v3, 2
	v_and_b32_e32 v3, 0xff, v7
	ds_bpermute_b32 v4, v6, v2
	ds_bpermute_b32 v5, v6, v3
	;; [unrolled: 1-line block ×3, first 2 shown]
	s_waitcnt lgkmcnt(1)
	v_and_b32_e32 v6, 1, v5
	s_waitcnt lgkmcnt(0)
	v_cmp_lt_i64_e32 vcc_lo, v[3:4], v[1:2]
	s_delay_alu instid0(VALU_DEP_2) | instskip(SKIP_1) | instid1(VALU_DEP_2)
	v_cmp_eq_u32_e64 s2, 1, v6
	v_and_b32_e32 v6, 1, v7
	v_cndmask_b32_e64 v7, v7, 1, s2
	s_and_b32 vcc_lo, s2, vcc_lo
	s_delay_alu instid0(VALU_DEP_2) | instskip(SKIP_1) | instid1(VALU_DEP_2)
	v_cmp_eq_u32_e64 s2, 1, v6
	v_dual_cndmask_b32 v1, v1, v3 :: v_dual_cndmask_b32 v2, v2, v4
	v_cndmask_b32_e64 v5, v5, v7, s2
	s_delay_alu instid0(VALU_DEP_2) | instskip(NEXT) | instid1(VALU_DEP_3)
	v_cndmask_b32_e64 v1, v3, v1, s2
	v_cndmask_b32_e64 v2, v4, v2, s2
	s_delay_alu instid0(VALU_DEP_3)
	v_and_b32_e32 v6, 0xff, v5
.LBB846_18:
	s_or_b32 exec_lo, exec_lo, s4
	s_branch .LBB846_85
.LBB846_19:
	s_mov_b32 s26, 0
                                        ; implicit-def: $vgpr3_vgpr4
                                        ; implicit-def: $vgpr5
	s_cbranch_execnz .LBB846_129
	s_branch .LBB846_200
.LBB846_20:
	s_mov_b32 s27, -1
.LBB846_21:
	s_mov_b32 s26, 0
                                        ; implicit-def: $vgpr3_vgpr4
                                        ; implicit-def: $vgpr5
	s_and_b32 vcc_lo, exec_lo, s27
	s_cbranch_vccz .LBB846_90
.LBB846_22:
	s_cmp_eq_u32 s25, 4
	s_cbranch_scc0 .LBB846_39
; %bb.23:
	s_mov_b32 s11, 0
	s_lshl_b32 s22, s10, 10
	s_mov_b32 s23, s11
	s_lshr_b64 s[28:29], s[14:15], 10
	s_lshl_b64 s[2:3], s[22:23], 1
	s_delay_alu instid0(SALU_CYCLE_1)
	s_add_u32 s6, s16, s2
	s_addc_u32 s7, s17, s3
	s_add_u32 s8, s18, s2
	s_addc_u32 s9, s19, s3
	;; [unrolled: 2-line block ×3, first 2 shown]
	s_cmp_lg_u64 s[28:29], s[10:11]
	s_cbranch_scc0 .LBB846_91
; %bb.24:
	v_mov_b32_e32 v9, 0x100
	v_lshlrev_b32_e32 v1, 1, v0
	global_load_u16 v2, v1, s[8:9] offset:512
	s_waitcnt lgkmcnt(1)
	global_load_u16 v3, v1, s[6:7] offset:512
	s_waitcnt lgkmcnt(0)
	s_clause 0x5
	global_load_u16 v4, v1, s[6:7]
	global_load_u16 v5, v1, s[8:9]
	global_load_u16 v6, v1, s[6:7] offset:1024
	global_load_u16 v7, v1, s[8:9] offset:1024
	;; [unrolled: 1-line block ×4, first 2 shown]
	s_waitcnt vmcnt(6)
	v_cmp_ne_u16_e32 vcc_lo, v3, v2
	s_waitcnt vmcnt(4)
	v_cmp_ne_u16_e64 s2, v4, v5
	s_waitcnt vmcnt(2)
	v_cmp_ne_u16_e64 s3, v6, v7
	v_cndmask_b32_e32 v2, 0x200, v9, vcc_lo
	s_waitcnt vmcnt(0)
	v_cmp_ne_u16_e64 s4, v1, v8
	s_delay_alu instid0(VALU_DEP_2) | instskip(SKIP_1) | instid1(SALU_CYCLE_1)
	v_cndmask_b32_e64 v2, v2, 0, s2
	s_or_b32 s2, s2, vcc_lo
	s_or_b32 vcc_lo, s2, s3
	s_delay_alu instid0(VALU_DEP_1) | instskip(SKIP_4) | instid1(VALU_DEP_3)
	v_cndmask_b32_e32 v1, 0x300, v2, vcc_lo
	s_or_b32 s3, vcc_lo, s4
	v_add_co_u32 v2, s2, s5, v0
	v_cndmask_b32_e64 v5, 0, 1, s3
	v_add_co_ci_u32_e64 v3, null, s23, 0, s2
	v_add_co_u32 v1, vcc_lo, v2, v1
	s_delay_alu instid0(VALU_DEP_3) | instskip(NEXT) | instid1(VALU_DEP_3)
	v_mov_b32_dpp v6, v5 quad_perm:[1,0,3,2] row_mask:0xf bank_mask:0xf
	v_add_co_ci_u32_e32 v2, vcc_lo, 0, v3, vcc_lo
	s_delay_alu instid0(VALU_DEP_3) | instskip(SKIP_1) | instid1(VALU_DEP_3)
	v_mov_b32_dpp v3, v1 quad_perm:[1,0,3,2] row_mask:0xf bank_mask:0xf
	s_mov_b32 s4, exec_lo
	v_and_b32_e32 v7, 1, v6
	s_delay_alu instid0(VALU_DEP_3) | instskip(NEXT) | instid1(VALU_DEP_2)
	v_mov_b32_dpp v4, v2 quad_perm:[1,0,3,2] row_mask:0xf bank_mask:0xf
	v_cmpx_eq_u32_e32 1, v7
; %bb.25:
	v_cndmask_b32_e64 v5, v6, 1, s3
	s_delay_alu instid0(VALU_DEP_3) | instskip(NEXT) | instid1(VALU_DEP_2)
	v_cmp_lt_i64_e32 vcc_lo, v[1:2], v[3:4]
	v_and_b32_e32 v6, 1, v5
	v_and_b32_e32 v5, 0xff, v5
	s_and_b32 vcc_lo, s3, vcc_lo
	s_and_not1_b32 s3, s3, exec_lo
	v_dual_cndmask_b32 v2, v4, v2 :: v_dual_cndmask_b32 v1, v3, v1
	v_cmp_eq_u32_e64 s2, 1, v6
	s_delay_alu instid0(VALU_DEP_1) | instskip(NEXT) | instid1(SALU_CYCLE_1)
	s_and_b32 s2, s2, exec_lo
	s_or_b32 s3, s3, s2
; %bb.26:
	s_or_b32 exec_lo, exec_lo, s4
	v_mov_b32_dpp v6, v5 quad_perm:[2,3,0,1] row_mask:0xf bank_mask:0xf
	v_mov_b32_dpp v3, v1 quad_perm:[2,3,0,1] row_mask:0xf bank_mask:0xf
	;; [unrolled: 1-line block ×3, first 2 shown]
	s_mov_b32 s4, exec_lo
	s_delay_alu instid0(VALU_DEP_3) | instskip(NEXT) | instid1(VALU_DEP_1)
	v_and_b32_e32 v7, 1, v6
	v_cmpx_eq_u32_e32 1, v7
; %bb.27:
	v_cndmask_b32_e64 v5, v6, 1, s3
	v_cmp_lt_i64_e32 vcc_lo, v[1:2], v[3:4]
	s_delay_alu instid0(VALU_DEP_2)
	v_and_b32_e32 v6, 1, v5
	v_and_b32_e32 v5, 0xff, v5
	s_and_b32 vcc_lo, s3, vcc_lo
	s_and_not1_b32 s3, s3, exec_lo
	v_dual_cndmask_b32 v2, v4, v2 :: v_dual_cndmask_b32 v1, v3, v1
	v_cmp_eq_u32_e64 s2, 1, v6
	s_delay_alu instid0(VALU_DEP_1) | instskip(NEXT) | instid1(SALU_CYCLE_1)
	s_and_b32 s2, s2, exec_lo
	s_or_b32 s3, s3, s2
; %bb.28:
	s_or_b32 exec_lo, exec_lo, s4
	v_mov_b32_dpp v6, v5 row_ror:4 row_mask:0xf bank_mask:0xf
	v_mov_b32_dpp v3, v1 row_ror:4 row_mask:0xf bank_mask:0xf
	;; [unrolled: 1-line block ×3, first 2 shown]
	s_mov_b32 s4, exec_lo
	s_delay_alu instid0(VALU_DEP_3) | instskip(NEXT) | instid1(VALU_DEP_1)
	v_and_b32_e32 v7, 1, v6
	v_cmpx_eq_u32_e32 1, v7
; %bb.29:
	v_cndmask_b32_e64 v5, v6, 1, s3
	v_cmp_lt_i64_e32 vcc_lo, v[1:2], v[3:4]
	s_delay_alu instid0(VALU_DEP_2)
	v_and_b32_e32 v6, 1, v5
	v_and_b32_e32 v5, 0xff, v5
	s_and_b32 vcc_lo, s3, vcc_lo
	s_and_not1_b32 s3, s3, exec_lo
	v_dual_cndmask_b32 v2, v4, v2 :: v_dual_cndmask_b32 v1, v3, v1
	v_cmp_eq_u32_e64 s2, 1, v6
	s_delay_alu instid0(VALU_DEP_1) | instskip(NEXT) | instid1(SALU_CYCLE_1)
	s_and_b32 s2, s2, exec_lo
	s_or_b32 s3, s3, s2
; %bb.30:
	s_or_b32 exec_lo, exec_lo, s4
	v_mov_b32_dpp v6, v5 row_ror:8 row_mask:0xf bank_mask:0xf
	v_mov_b32_dpp v3, v1 row_ror:8 row_mask:0xf bank_mask:0xf
	;; [unrolled: 1-line block ×3, first 2 shown]
	s_mov_b32 s4, exec_lo
	s_delay_alu instid0(VALU_DEP_3) | instskip(NEXT) | instid1(VALU_DEP_1)
	v_and_b32_e32 v7, 1, v6
	v_cmpx_eq_u32_e32 1, v7
; %bb.31:
	v_cndmask_b32_e64 v5, v6, 1, s3
	v_cmp_lt_i64_e32 vcc_lo, v[1:2], v[3:4]
	s_delay_alu instid0(VALU_DEP_2)
	v_and_b32_e32 v6, 1, v5
	v_and_b32_e32 v5, 0xff, v5
	s_and_b32 vcc_lo, s3, vcc_lo
	s_and_not1_b32 s3, s3, exec_lo
	v_dual_cndmask_b32 v2, v4, v2 :: v_dual_cndmask_b32 v1, v3, v1
	v_cmp_eq_u32_e64 s2, 1, v6
	s_delay_alu instid0(VALU_DEP_1) | instskip(NEXT) | instid1(SALU_CYCLE_1)
	s_and_b32 s2, s2, exec_lo
	s_or_b32 s3, s3, s2
; %bb.32:
	s_or_b32 exec_lo, exec_lo, s4
	ds_swizzle_b32 v6, v5 offset:swizzle(BROADCAST,32,15)
	ds_swizzle_b32 v3, v1 offset:swizzle(BROADCAST,32,15)
	;; [unrolled: 1-line block ×3, first 2 shown]
	s_mov_b32 s2, exec_lo
	s_waitcnt lgkmcnt(2)
	v_and_b32_e32 v7, 1, v6
	s_delay_alu instid0(VALU_DEP_1)
	v_cmpx_eq_u32_e32 1, v7
	s_cbranch_execz .LBB846_34
; %bb.33:
	s_waitcnt lgkmcnt(0)
	v_cmp_lt_i64_e32 vcc_lo, v[1:2], v[3:4]
	v_and_b32_e32 v5, 0xff, v6
	s_delay_alu instid0(VALU_DEP_1)
	v_cndmask_b32_e64 v5, v5, 1, s3
	s_and_b32 vcc_lo, s3, vcc_lo
	v_dual_cndmask_b32 v1, v3, v1 :: v_dual_cndmask_b32 v2, v4, v2
.LBB846_34:
	s_or_b32 exec_lo, exec_lo, s2
	s_waitcnt lgkmcnt(1)
	v_mov_b32_e32 v3, 0
	s_mov_b32 s2, exec_lo
	ds_bpermute_b32 v6, v3, v5 offset:124
	ds_bpermute_b32 v1, v3, v1 offset:124
	;; [unrolled: 1-line block ×3, first 2 shown]
	v_mbcnt_lo_u32_b32 v3, -1, 0
	s_delay_alu instid0(VALU_DEP_1)
	v_cmpx_eq_u32_e32 0, v3
	s_cbranch_execz .LBB846_36
; %bb.35:
	s_waitcnt lgkmcnt(3)
	v_lshrrev_b32_e32 v4, 1, v0
	s_delay_alu instid0(VALU_DEP_1)
	v_and_b32_e32 v4, 0x70, v4
	s_waitcnt lgkmcnt(2)
	ds_store_b8 v4, v6 offset:256
	s_waitcnt lgkmcnt(1)
	ds_store_b64 v4, v[1:2] offset:264
.LBB846_36:
	s_or_b32 exec_lo, exec_lo, s2
	s_delay_alu instid0(SALU_CYCLE_1)
	s_mov_b32 s4, exec_lo
	s_waitcnt lgkmcnt(0)
	s_barrier
	buffer_gl0_inv
	v_cmpx_gt_u32_e32 32, v0
	s_cbranch_execz .LBB846_38
; %bb.37:
	v_and_b32_e32 v6, 7, v3
	s_delay_alu instid0(VALU_DEP_1)
	v_lshlrev_b32_e32 v1, 4, v6
	v_cmp_ne_u32_e32 vcc_lo, 7, v6
	ds_load_u8 v7, v1 offset:256
	ds_load_b64 v[1:2], v1 offset:264
	v_add_co_ci_u32_e32 v4, vcc_lo, 0, v3, vcc_lo
	v_cmp_gt_u32_e32 vcc_lo, 6, v6
	s_delay_alu instid0(VALU_DEP_2)
	v_lshlrev_b32_e32 v5, 2, v4
	v_cndmask_b32_e64 v10, 0, 1, vcc_lo
	s_waitcnt lgkmcnt(1)
	v_and_b32_e32 v4, 0xff, v7
	v_and_b32_e32 v11, 1, v7
	ds_bpermute_b32 v8, v5, v4
	s_waitcnt lgkmcnt(1)
	ds_bpermute_b32 v4, v5, v1
	ds_bpermute_b32 v5, v5, v2
	v_cmp_eq_u32_e64 s3, 1, v11
	s_waitcnt lgkmcnt(2)
	v_and_b32_e32 v9, 1, v8
	s_waitcnt lgkmcnt(0)
	v_cmp_lt_i64_e64 s2, v[4:5], v[1:2]
	s_delay_alu instid0(VALU_DEP_2) | instskip(SKIP_2) | instid1(VALU_DEP_4)
	v_cmp_eq_u32_e32 vcc_lo, 1, v9
	v_lshlrev_b32_e32 v9, 1, v10
	v_cndmask_b32_e64 v7, v7, 1, vcc_lo
	s_and_b32 vcc_lo, vcc_lo, s2
	v_dual_cndmask_b32 v1, v1, v4 :: v_dual_cndmask_b32 v2, v2, v5
	s_delay_alu instid0(VALU_DEP_2) | instskip(SKIP_2) | instid1(VALU_DEP_4)
	v_cndmask_b32_e64 v7, v8, v7, s3
	v_add_lshl_u32 v8, v9, v3, 2
	v_cmp_gt_u32_e32 vcc_lo, 4, v6
	v_cndmask_b32_e64 v1, v4, v1, s3
	v_cndmask_b32_e64 v2, v5, v2, s3
	v_and_b32_e32 v9, 0xff, v7
	v_and_b32_e32 v10, 1, v7
	v_cndmask_b32_e64 v6, 0, 1, vcc_lo
	ds_bpermute_b32 v4, v8, v1
	ds_bpermute_b32 v5, v8, v2
	;; [unrolled: 1-line block ×3, first 2 shown]
	v_cmp_eq_u32_e64 s3, 1, v10
	s_waitcnt lgkmcnt(1)
	v_cmp_lt_i64_e64 s2, v[4:5], v[1:2]
	s_waitcnt lgkmcnt(0)
	v_and_b32_e32 v8, 1, v9
	s_delay_alu instid0(VALU_DEP_1) | instskip(SKIP_1) | instid1(VALU_DEP_4)
	v_cmp_eq_u32_e32 vcc_lo, 1, v8
	v_cndmask_b32_e64 v7, v7, 1, vcc_lo
	s_and_b32 vcc_lo, vcc_lo, s2
	v_dual_cndmask_b32 v1, v1, v4 :: v_dual_cndmask_b32 v2, v2, v5
	s_delay_alu instid0(VALU_DEP_2) | instskip(NEXT) | instid1(VALU_DEP_2)
	v_cndmask_b32_e64 v7, v9, v7, s3
	v_cndmask_b32_e64 v1, v4, v1, s3
	v_lshlrev_b32_e32 v6, 2, v6
	s_delay_alu instid0(VALU_DEP_4) | instskip(NEXT) | instid1(VALU_DEP_2)
	v_cndmask_b32_e64 v2, v5, v2, s3
	v_add_lshl_u32 v6, v6, v3, 2
	v_and_b32_e32 v3, 0xff, v7
	ds_bpermute_b32 v4, v6, v2
	ds_bpermute_b32 v5, v6, v3
	;; [unrolled: 1-line block ×3, first 2 shown]
	s_waitcnt lgkmcnt(1)
	v_and_b32_e32 v6, 1, v5
	s_waitcnt lgkmcnt(0)
	v_cmp_lt_i64_e32 vcc_lo, v[3:4], v[1:2]
	s_delay_alu instid0(VALU_DEP_2) | instskip(SKIP_1) | instid1(VALU_DEP_2)
	v_cmp_eq_u32_e64 s2, 1, v6
	v_and_b32_e32 v6, 1, v7
	v_cndmask_b32_e64 v7, v7, 1, s2
	s_and_b32 vcc_lo, s2, vcc_lo
	s_delay_alu instid0(VALU_DEP_2) | instskip(SKIP_1) | instid1(VALU_DEP_2)
	v_cmp_eq_u32_e64 s2, 1, v6
	v_dual_cndmask_b32 v1, v1, v3 :: v_dual_cndmask_b32 v2, v2, v4
	v_cndmask_b32_e64 v5, v5, v7, s2
	s_delay_alu instid0(VALU_DEP_2) | instskip(NEXT) | instid1(VALU_DEP_3)
	v_cndmask_b32_e64 v1, v3, v1, s2
	v_cndmask_b32_e64 v2, v4, v2, s2
	s_delay_alu instid0(VALU_DEP_3)
	v_and_b32_e32 v6, 0xff, v5
.LBB846_38:
	s_or_b32 exec_lo, exec_lo, s4
	s_branch .LBB846_124
.LBB846_39:
                                        ; implicit-def: $vgpr3_vgpr4
                                        ; implicit-def: $vgpr5
	s_branch .LBB846_200
.LBB846_40:
                                        ; implicit-def: $vgpr1_vgpr2
                                        ; implicit-def: $vgpr6
	s_cbranch_execz .LBB846_85
; %bb.41:
	v_mov_b32_e32 v9, 0
	v_dual_mov_b32 v10, 0 :: v_dual_mov_b32 v21, 0
	s_delay_alu instid0(VALU_DEP_2) | instskip(SKIP_2) | instid1(VALU_DEP_3)
	v_mov_b32_e32 v1, v9
	v_mov_b32_e32 v17, 0
	s_sub_i32 s29, s14, s6
	v_mov_b32_e32 v2, v10
	s_mov_b32 s2, exec_lo
	v_cmpx_gt_u32_e64 s29, v0
	s_cbranch_execz .LBB846_43
; %bb.42:
	v_lshlrev_b32_e32 v1, 1, v0
	s_clause 0x1
	global_load_u16 v3, v1, s[8:9]
	global_load_u16 v4, v1, s[22:23]
	v_add_co_u32 v1, s3, s26, v0
	s_delay_alu instid0(VALU_DEP_1)
	v_add_co_ci_u32_e64 v2, null, s28, 0, s3
	s_waitcnt vmcnt(0)
	v_cmp_ne_u16_e32 vcc_lo, v3, v4
	v_cndmask_b32_e64 v17, 0, 1, vcc_lo
.LBB846_43:
	s_or_b32 exec_lo, exec_lo, s2
	v_or_b32_e32 v3, 0x100, v0
	s_delay_alu instid0(VALU_DEP_1) | instskip(NEXT) | instid1(VALU_DEP_1)
	v_cmp_gt_u32_e64 s7, s29, v3
	s_and_saveexec_b32 s2, s7
	s_cbranch_execz .LBB846_45
; %bb.44:
	v_lshlrev_b32_e32 v4, 1, v0
	v_add_co_u32 v9, s3, s26, v3
	s_delay_alu instid0(VALU_DEP_1)
	v_add_co_ci_u32_e64 v10, null, s28, 0, s3
	s_clause 0x1
	global_load_u16 v5, v4, s[8:9] offset:512
	global_load_u16 v4, v4, s[22:23] offset:512
	s_waitcnt vmcnt(0)
	v_cmp_ne_u16_e32 vcc_lo, v5, v4
	v_cndmask_b32_e64 v21, 0, 1, vcc_lo
.LBB846_45:
	s_or_b32 exec_lo, exec_lo, s2
	v_dual_mov_b32 v7, 0 :: v_dual_mov_b32 v20, 0
	v_mov_b32_e32 v8, 0
	v_or_b32_e32 v3, 0x200, v0
	v_mov_b32_e32 v24, 0
	s_delay_alu instid0(VALU_DEP_3) | instskip(NEXT) | instid1(VALU_DEP_3)
	v_dual_mov_b32 v16, v8 :: v_dual_mov_b32 v15, v7
	v_cmp_gt_u32_e64 s6, s29, v3
	s_delay_alu instid0(VALU_DEP_1)
	s_and_saveexec_b32 s2, s6
	s_cbranch_execz .LBB846_47
; %bb.46:
	v_lshlrev_b32_e32 v4, 1, v0
	v_add_co_u32 v15, s3, s26, v3
	s_delay_alu instid0(VALU_DEP_1)
	v_add_co_ci_u32_e64 v16, null, s28, 0, s3
	s_clause 0x1
	global_load_u16 v5, v4, s[8:9] offset:1024
	global_load_u16 v4, v4, s[22:23] offset:1024
	s_waitcnt vmcnt(0)
	v_cmp_ne_u16_e32 vcc_lo, v5, v4
	v_cndmask_b32_e64 v24, 0, 1, vcc_lo
.LBB846_47:
	s_or_b32 exec_lo, exec_lo, s2
	v_or_b32_e32 v3, 0x300, v0
	s_delay_alu instid0(VALU_DEP_1) | instskip(NEXT) | instid1(VALU_DEP_1)
	v_cmp_gt_u32_e64 s5, s29, v3
	s_and_saveexec_b32 s2, s5
	s_cbranch_execz .LBB846_49
; %bb.48:
	v_lshlrev_b32_e32 v4, 1, v0
	v_add_co_u32 v7, s3, s26, v3
	s_delay_alu instid0(VALU_DEP_1)
	v_add_co_ci_u32_e64 v8, null, s28, 0, s3
	s_clause 0x1
	global_load_u16 v5, v4, s[8:9] offset:1536
	global_load_u16 v4, v4, s[22:23] offset:1536
	s_waitcnt vmcnt(0)
	v_cmp_ne_u16_e32 vcc_lo, v5, v4
	v_cndmask_b32_e64 v20, 0, 1, vcc_lo
.LBB846_49:
	s_or_b32 exec_lo, exec_lo, s2
	v_mov_b32_e32 v5, 0
	v_dual_mov_b32 v6, 0 :: v_dual_mov_b32 v19, 0
	v_or_b32_e32 v3, 0x400, v0
	s_delay_alu instid0(VALU_DEP_2) | instskip(NEXT) | instid1(VALU_DEP_4)
	v_dual_mov_b32 v23, 0 :: v_dual_mov_b32 v14, v6
	v_mov_b32_e32 v13, v5
	s_delay_alu instid0(VALU_DEP_3) | instskip(NEXT) | instid1(VALU_DEP_1)
	v_cmp_gt_u32_e64 s4, s29, v3
	s_and_saveexec_b32 s2, s4
	s_cbranch_execz .LBB846_51
; %bb.50:
	v_lshlrev_b32_e32 v4, 1, v0
	v_add_co_u32 v13, s3, s26, v3
	s_delay_alu instid0(VALU_DEP_1)
	v_add_co_ci_u32_e64 v14, null, s28, 0, s3
	s_clause 0x1
	global_load_u16 v11, v4, s[8:9] offset:2048
	global_load_u16 v4, v4, s[22:23] offset:2048
	s_waitcnt vmcnt(0)
	v_cmp_ne_u16_e32 vcc_lo, v11, v4
	v_cndmask_b32_e64 v23, 0, 1, vcc_lo
.LBB846_51:
	s_or_b32 exec_lo, exec_lo, s2
	v_or_b32_e32 v3, 0x500, v0
	s_delay_alu instid0(VALU_DEP_1) | instskip(NEXT) | instid1(VALU_DEP_1)
	v_cmp_gt_u32_e64 s3, s29, v3
	s_and_saveexec_b32 s2, s3
	s_cbranch_execz .LBB846_53
; %bb.52:
	v_lshlrev_b32_e32 v4, 1, v0
	v_add_co_u32 v5, s30, s26, v3
	s_delay_alu instid0(VALU_DEP_1)
	v_add_co_ci_u32_e64 v6, null, s28, 0, s30
	s_clause 0x1
	global_load_u16 v11, v4, s[8:9] offset:2560
	global_load_u16 v4, v4, s[22:23] offset:2560
	s_waitcnt vmcnt(0)
	v_cmp_ne_u16_e32 vcc_lo, v11, v4
	v_cndmask_b32_e64 v19, 0, 1, vcc_lo
.LBB846_53:
	s_or_b32 exec_lo, exec_lo, s2
	v_dual_mov_b32 v3, 0 :: v_dual_mov_b32 v18, 0
	v_mov_b32_e32 v4, 0
	v_or_b32_e32 v25, 0x600, v0
	v_mov_b32_e32 v22, 0
	s_delay_alu instid0(VALU_DEP_3) | instskip(NEXT) | instid1(VALU_DEP_3)
	v_dual_mov_b32 v12, v4 :: v_dual_mov_b32 v11, v3
	v_cmp_gt_u32_e64 s2, s29, v25
	s_delay_alu instid0(VALU_DEP_1)
	s_and_saveexec_b32 s30, s2
	s_cbranch_execz .LBB846_55
; %bb.54:
	v_lshlrev_b32_e32 v11, 1, v0
	s_clause 0x1
	global_load_u16 v22, v11, s[8:9] offset:3072
	global_load_u16 v26, v11, s[22:23] offset:3072
	v_add_co_u32 v11, s31, s26, v25
	s_delay_alu instid0(VALU_DEP_1)
	v_add_co_ci_u32_e64 v12, null, s28, 0, s31
	s_waitcnt vmcnt(0)
	v_cmp_ne_u16_e32 vcc_lo, v22, v26
	v_cndmask_b32_e64 v22, 0, 1, vcc_lo
.LBB846_55:
	s_or_b32 exec_lo, exec_lo, s30
	v_or_b32_e32 v25, 0x700, v0
	s_delay_alu instid0(VALU_DEP_1)
	v_cmp_gt_u32_e32 vcc_lo, s29, v25
	s_and_saveexec_b32 s30, vcc_lo
	s_cbranch_execnz .LBB846_232
; %bb.56:
	s_or_b32 exec_lo, exec_lo, s30
	s_and_saveexec_b32 s9, s7
	s_cbranch_execnz .LBB846_233
.LBB846_57:
	s_or_b32 exec_lo, exec_lo, s9
	s_and_saveexec_b32 s8, s6
	s_cbranch_execnz .LBB846_234
.LBB846_58:
	s_or_b32 exec_lo, exec_lo, s8
	s_and_saveexec_b32 s7, s5
	s_cbranch_execnz .LBB846_235
.LBB846_59:
	s_or_b32 exec_lo, exec_lo, s7
	s_and_saveexec_b32 s6, s4
	s_cbranch_execnz .LBB846_236
.LBB846_60:
	s_or_b32 exec_lo, exec_lo, s6
	s_and_saveexec_b32 s5, s3
	s_cbranch_execnz .LBB846_237
.LBB846_61:
	s_or_b32 exec_lo, exec_lo, s5
	s_and_saveexec_b32 s4, s2
	s_cbranch_execnz .LBB846_238
.LBB846_62:
	s_or_b32 exec_lo, exec_lo, s4
	s_and_saveexec_b32 s3, vcc_lo
.LBB846_63:
	v_and_b32_e32 v5, 1, v18
	v_cmp_lt_i64_e32 vcc_lo, v[3:4], v[1:2]
	s_delay_alu instid0(VALU_DEP_2) | instskip(NEXT) | instid1(VALU_DEP_1)
	v_cmp_eq_u32_e64 s2, 1, v5
	s_and_b32 vcc_lo, s2, vcc_lo
	v_cndmask_b32_e64 v6, v17, 1, s2
	v_dual_cndmask_b32 v2, v2, v4 :: v_dual_and_b32 v5, 1, v17
	v_cndmask_b32_e32 v1, v1, v3, vcc_lo
	s_delay_alu instid0(VALU_DEP_2) | instskip(NEXT) | instid1(VALU_DEP_3)
	v_cmp_eq_u32_e32 vcc_lo, 1, v5
	v_cndmask_b32_e32 v2, v4, v2, vcc_lo
	v_cndmask_b32_e32 v17, v18, v6, vcc_lo
	s_delay_alu instid0(VALU_DEP_4)
	v_cndmask_b32_e32 v1, v3, v1, vcc_lo
.LBB846_64:
	s_or_b32 exec_lo, exec_lo, s3
	v_mbcnt_lo_u32_b32 v5, -1, 0
	v_and_b32_e32 v7, 0xe0, v0
	s_min_u32 s3, s29, 0x100
	v_and_b32_e32 v6, 0xffff, v17
	s_delay_alu instid0(VALU_DEP_3) | instskip(NEXT) | instid1(VALU_DEP_3)
	v_cmp_ne_u32_e32 vcc_lo, 31, v5
	v_sub_nc_u32_e64 v8, s3, v7 clamp
	v_add_nc_u32_e32 v7, 1, v5
	v_add_co_ci_u32_e32 v3, vcc_lo, 0, v5, vcc_lo
	s_delay_alu instid0(VALU_DEP_2) | instskip(NEXT) | instid1(VALU_DEP_2)
	v_cmp_lt_u32_e32 vcc_lo, v7, v8
	v_dual_mov_b32 v7, v6 :: v_dual_lshlrev_b32 v4, 2, v3
	ds_bpermute_b32 v9, v4, v6
	ds_bpermute_b32 v3, v4, v1
	;; [unrolled: 1-line block ×3, first 2 shown]
	s_and_saveexec_b32 s2, vcc_lo
	s_delay_alu instid0(SALU_CYCLE_1)
	s_xor_b32 s4, exec_lo, s2
	s_cbranch_execz .LBB846_66
; %bb.65:
	s_waitcnt lgkmcnt(2)
	v_and_b32_e32 v7, 1, v9
	s_waitcnt lgkmcnt(0)
	v_cmp_lt_i64_e32 vcc_lo, v[3:4], v[1:2]
	s_delay_alu instid0(VALU_DEP_2) | instskip(SKIP_1) | instid1(VALU_DEP_2)
	v_cmp_eq_u32_e64 s2, 1, v7
	v_and_b32_e32 v7, 1, v17
	v_cndmask_b32_e64 v6, v6, 1, s2
	s_and_b32 vcc_lo, s2, vcc_lo
	s_delay_alu instid0(VALU_DEP_2) | instskip(SKIP_1) | instid1(VALU_DEP_2)
	v_cmp_eq_u32_e64 s2, 1, v7
	v_dual_cndmask_b32 v2, v2, v4 :: v_dual_cndmask_b32 v1, v1, v3
	v_cndmask_b32_e64 v7, v9, v6, s2
	s_delay_alu instid0(VALU_DEP_2) | instskip(NEXT) | instid1(VALU_DEP_3)
	v_cndmask_b32_e64 v2, v4, v2, s2
	v_cndmask_b32_e64 v1, v3, v1, s2
	s_delay_alu instid0(VALU_DEP_3)
	v_and_b32_e32 v6, 0xff, v7
.LBB846_66:
	s_or_b32 exec_lo, exec_lo, s4
	v_cmp_gt_u32_e32 vcc_lo, 30, v5
	v_add_nc_u32_e32 v10, 2, v5
	s_mov_b32 s4, exec_lo
	s_waitcnt lgkmcnt(1)
	v_cndmask_b32_e64 v3, 0, 1, vcc_lo
	s_delay_alu instid0(VALU_DEP_1) | instskip(SKIP_1) | instid1(VALU_DEP_1)
	v_lshlrev_b32_e32 v3, 1, v3
	s_waitcnt lgkmcnt(0)
	v_add_lshl_u32 v4, v3, v5, 2
	ds_bpermute_b32 v9, v4, v6
	ds_bpermute_b32 v3, v4, v1
	ds_bpermute_b32 v4, v4, v2
	v_cmpx_lt_u32_e64 v10, v8
	s_cbranch_execz .LBB846_68
; %bb.67:
	s_waitcnt lgkmcnt(2)
	v_and_b32_e32 v6, 1, v9
	s_waitcnt lgkmcnt(0)
	v_cmp_lt_i64_e32 vcc_lo, v[3:4], v[1:2]
	s_delay_alu instid0(VALU_DEP_2) | instskip(SKIP_1) | instid1(VALU_DEP_2)
	v_cmp_eq_u32_e64 s2, 1, v6
	v_and_b32_e32 v6, 1, v7
	v_cndmask_b32_e64 v7, v7, 1, s2
	s_and_b32 vcc_lo, s2, vcc_lo
	s_delay_alu instid0(VALU_DEP_2) | instskip(SKIP_1) | instid1(VALU_DEP_2)
	v_cmp_eq_u32_e64 s2, 1, v6
	v_dual_cndmask_b32 v1, v1, v3 :: v_dual_cndmask_b32 v2, v2, v4
	v_cndmask_b32_e64 v7, v9, v7, s2
	s_delay_alu instid0(VALU_DEP_2) | instskip(NEXT) | instid1(VALU_DEP_3)
	v_cndmask_b32_e64 v1, v3, v1, s2
	v_cndmask_b32_e64 v2, v4, v2, s2
	s_delay_alu instid0(VALU_DEP_3)
	v_and_b32_e32 v6, 0xff, v7
.LBB846_68:
	s_or_b32 exec_lo, exec_lo, s4
	v_cmp_gt_u32_e32 vcc_lo, 28, v5
	v_add_nc_u32_e32 v10, 4, v5
	s_mov_b32 s4, exec_lo
	s_waitcnt lgkmcnt(1)
	v_cndmask_b32_e64 v3, 0, 1, vcc_lo
	s_delay_alu instid0(VALU_DEP_1) | instskip(SKIP_1) | instid1(VALU_DEP_1)
	v_lshlrev_b32_e32 v3, 2, v3
	s_waitcnt lgkmcnt(0)
	v_add_lshl_u32 v4, v3, v5, 2
	ds_bpermute_b32 v9, v4, v6
	ds_bpermute_b32 v3, v4, v1
	ds_bpermute_b32 v4, v4, v2
	v_cmpx_lt_u32_e64 v10, v8
	;; [unrolled: 35-line block ×4, first 2 shown]
	s_cbranch_execz .LBB846_74
; %bb.73:
	s_waitcnt lgkmcnt(2)
	v_and_b32_e32 v6, 1, v9
	s_waitcnt lgkmcnt(0)
	v_cmp_lt_i64_e32 vcc_lo, v[3:4], v[1:2]
	s_delay_alu instid0(VALU_DEP_2) | instskip(SKIP_1) | instid1(VALU_DEP_2)
	v_cmp_eq_u32_e64 s2, 1, v6
	v_and_b32_e32 v6, 1, v7
	v_cndmask_b32_e64 v7, v7, 1, s2
	s_and_b32 vcc_lo, s2, vcc_lo
	s_delay_alu instid0(VALU_DEP_2) | instskip(SKIP_1) | instid1(VALU_DEP_2)
	v_cmp_eq_u32_e64 s2, 1, v6
	v_dual_cndmask_b32 v1, v1, v3 :: v_dual_cndmask_b32 v2, v2, v4
	v_cndmask_b32_e64 v7, v9, v7, s2
	s_delay_alu instid0(VALU_DEP_2) | instskip(NEXT) | instid1(VALU_DEP_3)
	v_cndmask_b32_e64 v1, v3, v1, s2
	v_cndmask_b32_e64 v2, v4, v2, s2
	s_delay_alu instid0(VALU_DEP_3)
	v_and_b32_e32 v6, 0xff, v7
.LBB846_74:
	s_or_b32 exec_lo, exec_lo, s4
	s_delay_alu instid0(SALU_CYCLE_1)
	s_mov_b32 s2, exec_lo
	v_cmpx_eq_u32_e32 0, v5
	s_cbranch_execz .LBB846_76
; %bb.75:
	s_waitcnt lgkmcnt(1)
	v_lshrrev_b32_e32 v3, 1, v0
	s_delay_alu instid0(VALU_DEP_1)
	v_and_b32_e32 v3, 0x70, v3
	ds_store_b8 v3, v7 offset:512
	ds_store_b64 v3, v[1:2] offset:520
.LBB846_76:
	s_or_b32 exec_lo, exec_lo, s2
	s_delay_alu instid0(SALU_CYCLE_1)
	s_mov_b32 s4, exec_lo
	s_waitcnt lgkmcnt(0)
	s_barrier
	buffer_gl0_inv
	v_cmpx_gt_u32_e32 8, v0
	s_cbranch_execz .LBB846_84
; %bb.77:
	v_lshlrev_b32_e32 v1, 4, v5
	v_and_b32_e32 v8, 7, v5
	s_add_i32 s3, s3, 31
	s_mov_b32 s5, exec_lo
	s_lshr_b32 s3, s3, 5
	ds_load_u8 v7, v1 offset:512
	ds_load_b64 v[1:2], v1 offset:520
	v_cmp_ne_u32_e32 vcc_lo, 7, v8
	v_add_nc_u32_e32 v10, 1, v8
	v_add_co_ci_u32_e32 v3, vcc_lo, 0, v5, vcc_lo
	s_delay_alu instid0(VALU_DEP_1)
	v_lshlrev_b32_e32 v4, 2, v3
	s_waitcnt lgkmcnt(1)
	v_and_b32_e32 v6, 0xff, v7
	s_waitcnt lgkmcnt(0)
	ds_bpermute_b32 v3, v4, v1
	ds_bpermute_b32 v9, v4, v6
	;; [unrolled: 1-line block ×3, first 2 shown]
	v_cmpx_gt_u32_e64 s3, v10
	s_cbranch_execz .LBB846_79
; %bb.78:
	s_waitcnt lgkmcnt(1)
	v_and_b32_e32 v6, 1, v9
	s_waitcnt lgkmcnt(0)
	v_cmp_lt_i64_e32 vcc_lo, v[3:4], v[1:2]
	s_delay_alu instid0(VALU_DEP_2) | instskip(SKIP_1) | instid1(VALU_DEP_2)
	v_cmp_eq_u32_e64 s2, 1, v6
	v_and_b32_e32 v6, 1, v7
	v_cndmask_b32_e64 v7, v7, 1, s2
	s_and_b32 vcc_lo, s2, vcc_lo
	s_delay_alu instid0(VALU_DEP_2) | instskip(SKIP_1) | instid1(VALU_DEP_2)
	v_cmp_eq_u32_e64 s2, 1, v6
	v_dual_cndmask_b32 v1, v1, v3 :: v_dual_cndmask_b32 v2, v2, v4
	v_cndmask_b32_e64 v7, v9, v7, s2
	s_delay_alu instid0(VALU_DEP_2) | instskip(NEXT) | instid1(VALU_DEP_3)
	v_cndmask_b32_e64 v1, v3, v1, s2
	v_cndmask_b32_e64 v2, v4, v2, s2
	s_delay_alu instid0(VALU_DEP_3)
	v_and_b32_e32 v6, 0xff, v7
.LBB846_79:
	s_or_b32 exec_lo, exec_lo, s5
	v_cmp_gt_u32_e32 vcc_lo, 6, v8
	v_add_nc_u32_e32 v10, 2, v8
	s_mov_b32 s5, exec_lo
	s_waitcnt lgkmcnt(2)
	v_cndmask_b32_e64 v3, 0, 1, vcc_lo
	s_delay_alu instid0(VALU_DEP_1) | instskip(SKIP_1) | instid1(VALU_DEP_1)
	v_lshlrev_b32_e32 v3, 1, v3
	s_waitcnt lgkmcnt(0)
	v_add_lshl_u32 v4, v3, v5, 2
	ds_bpermute_b32 v9, v4, v6
	ds_bpermute_b32 v3, v4, v1
	;; [unrolled: 1-line block ×3, first 2 shown]
	v_cmpx_gt_u32_e64 s3, v10
	s_cbranch_execz .LBB846_81
; %bb.80:
	s_waitcnt lgkmcnt(2)
	v_and_b32_e32 v6, 1, v9
	s_waitcnt lgkmcnt(0)
	v_cmp_lt_i64_e32 vcc_lo, v[3:4], v[1:2]
	s_delay_alu instid0(VALU_DEP_2) | instskip(SKIP_1) | instid1(VALU_DEP_2)
	v_cmp_eq_u32_e64 s2, 1, v6
	v_and_b32_e32 v6, 1, v7
	v_cndmask_b32_e64 v7, v7, 1, s2
	s_and_b32 vcc_lo, s2, vcc_lo
	s_delay_alu instid0(VALU_DEP_2) | instskip(SKIP_1) | instid1(VALU_DEP_2)
	v_cmp_eq_u32_e64 s2, 1, v6
	v_dual_cndmask_b32 v1, v1, v3 :: v_dual_cndmask_b32 v2, v2, v4
	v_cndmask_b32_e64 v7, v9, v7, s2
	s_delay_alu instid0(VALU_DEP_2) | instskip(NEXT) | instid1(VALU_DEP_3)
	v_cndmask_b32_e64 v1, v3, v1, s2
	v_cndmask_b32_e64 v2, v4, v2, s2
	s_delay_alu instid0(VALU_DEP_3)
	v_and_b32_e32 v6, 0xff, v7
.LBB846_81:
	s_or_b32 exec_lo, exec_lo, s5
	v_cmp_gt_u32_e32 vcc_lo, 4, v8
	v_add_nc_u32_e32 v8, 4, v8
	s_waitcnt lgkmcnt(1)
	v_cndmask_b32_e64 v3, 0, 1, vcc_lo
	s_delay_alu instid0(VALU_DEP_2) | instskip(NEXT) | instid1(VALU_DEP_2)
	v_cmp_gt_u32_e32 vcc_lo, s3, v8
	v_lshlrev_b32_e32 v3, 2, v3
	s_waitcnt lgkmcnt(0)
	s_delay_alu instid0(VALU_DEP_1)
	v_add_lshl_u32 v4, v3, v5, 2
	ds_bpermute_b32 v5, v4, v6
	ds_bpermute_b32 v3, v4, v1
	;; [unrolled: 1-line block ×3, first 2 shown]
	s_and_saveexec_b32 s3, vcc_lo
	s_cbranch_execz .LBB846_83
; %bb.82:
	s_waitcnt lgkmcnt(2)
	v_and_b32_e32 v6, 1, v5
	s_waitcnt lgkmcnt(0)
	v_cmp_lt_i64_e32 vcc_lo, v[3:4], v[1:2]
	s_delay_alu instid0(VALU_DEP_2) | instskip(SKIP_1) | instid1(VALU_DEP_2)
	v_cmp_eq_u32_e64 s2, 1, v6
	v_and_b32_e32 v6, 1, v7
	v_cndmask_b32_e64 v7, v7, 1, s2
	s_and_b32 vcc_lo, s2, vcc_lo
	s_delay_alu instid0(VALU_DEP_2) | instskip(SKIP_1) | instid1(VALU_DEP_2)
	v_cmp_eq_u32_e64 s2, 1, v6
	v_dual_cndmask_b32 v1, v1, v3 :: v_dual_cndmask_b32 v2, v2, v4
	v_cndmask_b32_e64 v5, v5, v7, s2
	s_delay_alu instid0(VALU_DEP_2) | instskip(NEXT) | instid1(VALU_DEP_3)
	v_cndmask_b32_e64 v1, v3, v1, s2
	v_cndmask_b32_e64 v2, v4, v2, s2
	s_delay_alu instid0(VALU_DEP_3)
	v_and_b32_e32 v6, 0xff, v5
.LBB846_83:
	s_or_b32 exec_lo, exec_lo, s3
.LBB846_84:
	s_delay_alu instid0(SALU_CYCLE_1)
	s_or_b32 exec_lo, exec_lo, s4
.LBB846_85:
	s_mov_b32 s26, 0
                                        ; implicit-def: $vgpr3_vgpr4
                                        ; implicit-def: $vgpr5
	s_mov_b32 s2, exec_lo
	v_cmpx_eq_u32_e32 0, v0
	s_xor_b32 s4, exec_lo, s2
	s_cbranch_execz .LBB846_89
; %bb.86:
	s_waitcnt lgkmcnt(0)
	v_dual_mov_b32 v3, s20 :: v_dual_mov_b32 v4, s21
	v_mov_b32_e32 v5, s24
	s_cmp_eq_u64 s[14:15], 0
	s_cbranch_scc1 .LBB846_88
; %bb.87:
	v_and_b32_e32 v3, 1, v6
	v_cmp_gt_i64_e32 vcc_lo, s[20:21], v[1:2]
	s_bitcmp1_b32 s24, 0
	s_cselect_b32 s3, -1, 0
	s_delay_alu instid0(VALU_DEP_2) | instskip(NEXT) | instid1(VALU_DEP_1)
	v_cmp_eq_u32_e64 s2, 1, v3
	s_and_b32 vcc_lo, s2, vcc_lo
	v_cndmask_b32_e64 v3, s24, 1, s2
	v_cndmask_b32_e32 v7, s20, v1, vcc_lo
	v_cndmask_b32_e32 v4, s21, v2, vcc_lo
	s_delay_alu instid0(VALU_DEP_3) | instskip(NEXT) | instid1(VALU_DEP_3)
	v_cndmask_b32_e64 v5, v6, v3, s3
	v_cndmask_b32_e64 v3, v1, v7, s3
	s_delay_alu instid0(VALU_DEP_3)
	v_cndmask_b32_e64 v4, v2, v4, s3
.LBB846_88:
	s_mov_b32 s26, exec_lo
.LBB846_89:
	s_or_b32 exec_lo, exec_lo, s4
	s_delay_alu instid0(SALU_CYCLE_1)
	s_and_b32 vcc_lo, exec_lo, s27
	s_cbranch_vccnz .LBB846_22
.LBB846_90:
	s_branch .LBB846_200
.LBB846_91:
                                        ; implicit-def: $vgpr1_vgpr2
                                        ; implicit-def: $vgpr6
	s_cbranch_execz .LBB846_124
; %bb.92:
	s_waitcnt lgkmcnt(2)
	v_mov_b32_e32 v5, 0
	v_dual_mov_b32 v6, 0 :: v_dual_mov_b32 v11, 0
	s_delay_alu instid0(VALU_DEP_2) | instskip(SKIP_2) | instid1(VALU_DEP_3)
	v_mov_b32_e32 v1, v5
	v_mov_b32_e32 v9, 0
	s_sub_i32 s22, s14, s22
	v_mov_b32_e32 v2, v6
	s_mov_b32 s2, exec_lo
	v_cmpx_gt_u32_e64 s22, v0
	s_cbranch_execz .LBB846_94
; %bb.93:
	v_lshlrev_b32_e32 v1, 1, v0
	s_waitcnt lgkmcnt(1)
	global_load_u16 v3, v1, s[6:7]
	s_waitcnt lgkmcnt(0)
	global_load_u16 v4, v1, s[8:9]
	v_add_co_u32 v1, s3, s5, v0
	s_delay_alu instid0(VALU_DEP_1)
	v_add_co_ci_u32_e64 v2, null, s23, 0, s3
	s_waitcnt vmcnt(0)
	v_cmp_ne_u16_e32 vcc_lo, v3, v4
	v_cndmask_b32_e64 v9, 0, 1, vcc_lo
.LBB846_94:
	s_or_b32 exec_lo, exec_lo, s2
	s_waitcnt lgkmcnt(1)
	v_or_b32_e32 v3, 0x100, v0
	s_delay_alu instid0(VALU_DEP_1) | instskip(NEXT) | instid1(VALU_DEP_1)
	v_cmp_gt_u32_e64 s3, s22, v3
	s_and_saveexec_b32 s2, s3
	s_cbranch_execz .LBB846_96
; %bb.95:
	s_waitcnt lgkmcnt(0)
	v_lshlrev_b32_e32 v4, 1, v0
	v_add_co_u32 v5, s4, s5, v3
	s_delay_alu instid0(VALU_DEP_1)
	v_add_co_ci_u32_e64 v6, null, s23, 0, s4
	s_clause 0x1
	global_load_u16 v7, v4, s[6:7] offset:512
	global_load_u16 v4, v4, s[8:9] offset:512
	s_waitcnt vmcnt(0)
	v_cmp_ne_u16_e32 vcc_lo, v7, v4
	v_cndmask_b32_e64 v11, 0, 1, vcc_lo
.LBB846_96:
	s_or_b32 exec_lo, exec_lo, s2
	s_waitcnt lgkmcnt(0)
	v_dual_mov_b32 v3, 0 :: v_dual_mov_b32 v10, 0
	v_mov_b32_e32 v4, 0
	v_or_b32_e32 v13, 0x200, v0
	v_mov_b32_e32 v12, 0
	s_delay_alu instid0(VALU_DEP_3) | instskip(NEXT) | instid1(VALU_DEP_3)
	v_dual_mov_b32 v8, v4 :: v_dual_mov_b32 v7, v3
	v_cmp_gt_u32_e64 s2, s22, v13
	s_delay_alu instid0(VALU_DEP_1)
	s_and_saveexec_b32 s4, s2
	s_cbranch_execz .LBB846_98
; %bb.97:
	v_lshlrev_b32_e32 v7, 1, v0
	s_clause 0x1
	global_load_u16 v12, v7, s[6:7] offset:1024
	global_load_u16 v14, v7, s[8:9] offset:1024
	v_add_co_u32 v7, s27, s5, v13
	s_delay_alu instid0(VALU_DEP_1)
	v_add_co_ci_u32_e64 v8, null, s23, 0, s27
	s_waitcnt vmcnt(0)
	v_cmp_ne_u16_e32 vcc_lo, v12, v14
	v_cndmask_b32_e64 v12, 0, 1, vcc_lo
.LBB846_98:
	s_or_b32 exec_lo, exec_lo, s4
	v_or_b32_e32 v13, 0x300, v0
	s_delay_alu instid0(VALU_DEP_1)
	v_cmp_gt_u32_e32 vcc_lo, s22, v13
	s_and_saveexec_b32 s27, vcc_lo
	s_cbranch_execnz .LBB846_239
; %bb.99:
	s_or_b32 exec_lo, exec_lo, s27
	s_and_saveexec_b32 s5, s3
	s_cbranch_execnz .LBB846_240
.LBB846_100:
	s_or_b32 exec_lo, exec_lo, s5
	s_and_saveexec_b32 s4, s2
	s_cbranch_execnz .LBB846_241
.LBB846_101:
	s_or_b32 exec_lo, exec_lo, s4
	s_and_saveexec_b32 s3, vcc_lo
.LBB846_102:
	v_and_b32_e32 v5, 1, v10
	v_cmp_lt_i64_e32 vcc_lo, v[3:4], v[1:2]
	s_delay_alu instid0(VALU_DEP_2) | instskip(NEXT) | instid1(VALU_DEP_1)
	v_cmp_eq_u32_e64 s2, 1, v5
	s_and_b32 vcc_lo, s2, vcc_lo
	v_cndmask_b32_e64 v6, v9, 1, s2
	v_dual_cndmask_b32 v2, v2, v4 :: v_dual_and_b32 v5, 1, v9
	v_cndmask_b32_e32 v1, v1, v3, vcc_lo
	s_delay_alu instid0(VALU_DEP_2) | instskip(NEXT) | instid1(VALU_DEP_3)
	v_cmp_eq_u32_e32 vcc_lo, 1, v5
	v_cndmask_b32_e32 v2, v4, v2, vcc_lo
	v_cndmask_b32_e32 v9, v10, v6, vcc_lo
	s_delay_alu instid0(VALU_DEP_4)
	v_cndmask_b32_e32 v1, v3, v1, vcc_lo
.LBB846_103:
	s_or_b32 exec_lo, exec_lo, s3
	v_mbcnt_lo_u32_b32 v5, -1, 0
	v_and_b32_e32 v7, 0xe0, v0
	s_min_u32 s3, s22, 0x100
	v_and_b32_e32 v6, 0xffff, v9
	s_delay_alu instid0(VALU_DEP_3) | instskip(NEXT) | instid1(VALU_DEP_3)
	v_cmp_ne_u32_e32 vcc_lo, 31, v5
	v_sub_nc_u32_e64 v8, s3, v7 clamp
	v_add_nc_u32_e32 v7, 1, v5
	v_add_co_ci_u32_e32 v3, vcc_lo, 0, v5, vcc_lo
	s_delay_alu instid0(VALU_DEP_2) | instskip(NEXT) | instid1(VALU_DEP_2)
	v_cmp_lt_u32_e32 vcc_lo, v7, v8
	v_dual_mov_b32 v7, v6 :: v_dual_lshlrev_b32 v4, 2, v3
	ds_bpermute_b32 v10, v4, v6
	ds_bpermute_b32 v3, v4, v1
	ds_bpermute_b32 v4, v4, v2
	s_and_saveexec_b32 s2, vcc_lo
	s_delay_alu instid0(SALU_CYCLE_1)
	s_xor_b32 s4, exec_lo, s2
	s_cbranch_execz .LBB846_105
; %bb.104:
	s_waitcnt lgkmcnt(2)
	v_and_b32_e32 v7, 1, v10
	s_waitcnt lgkmcnt(0)
	v_cmp_lt_i64_e32 vcc_lo, v[3:4], v[1:2]
	s_delay_alu instid0(VALU_DEP_2) | instskip(SKIP_1) | instid1(VALU_DEP_2)
	v_cmp_eq_u32_e64 s2, 1, v7
	v_and_b32_e32 v7, 1, v9
	v_cndmask_b32_e64 v6, v6, 1, s2
	s_and_b32 vcc_lo, s2, vcc_lo
	s_delay_alu instid0(VALU_DEP_2) | instskip(SKIP_1) | instid1(VALU_DEP_2)
	v_cmp_eq_u32_e64 s2, 1, v7
	v_dual_cndmask_b32 v2, v2, v4 :: v_dual_cndmask_b32 v1, v1, v3
	v_cndmask_b32_e64 v7, v10, v6, s2
	s_delay_alu instid0(VALU_DEP_2) | instskip(NEXT) | instid1(VALU_DEP_3)
	v_cndmask_b32_e64 v2, v4, v2, s2
	v_cndmask_b32_e64 v1, v3, v1, s2
	s_delay_alu instid0(VALU_DEP_3)
	v_and_b32_e32 v6, 0xff, v7
.LBB846_105:
	s_or_b32 exec_lo, exec_lo, s4
	v_cmp_gt_u32_e32 vcc_lo, 30, v5
	s_waitcnt lgkmcnt(2)
	v_add_nc_u32_e32 v10, 2, v5
	s_mov_b32 s4, exec_lo
	s_waitcnt lgkmcnt(1)
	v_cndmask_b32_e64 v3, 0, 1, vcc_lo
	s_delay_alu instid0(VALU_DEP_1) | instskip(SKIP_1) | instid1(VALU_DEP_1)
	v_lshlrev_b32_e32 v3, 1, v3
	s_waitcnt lgkmcnt(0)
	v_add_lshl_u32 v4, v3, v5, 2
	ds_bpermute_b32 v9, v4, v6
	ds_bpermute_b32 v3, v4, v1
	ds_bpermute_b32 v4, v4, v2
	v_cmpx_lt_u32_e64 v10, v8
	s_cbranch_execz .LBB846_107
; %bb.106:
	s_waitcnt lgkmcnt(2)
	v_and_b32_e32 v6, 1, v9
	s_waitcnt lgkmcnt(0)
	v_cmp_lt_i64_e32 vcc_lo, v[3:4], v[1:2]
	s_delay_alu instid0(VALU_DEP_2) | instskip(SKIP_1) | instid1(VALU_DEP_2)
	v_cmp_eq_u32_e64 s2, 1, v6
	v_and_b32_e32 v6, 1, v7
	v_cndmask_b32_e64 v7, v7, 1, s2
	s_and_b32 vcc_lo, s2, vcc_lo
	s_delay_alu instid0(VALU_DEP_2) | instskip(SKIP_1) | instid1(VALU_DEP_2)
	v_cmp_eq_u32_e64 s2, 1, v6
	v_dual_cndmask_b32 v1, v1, v3 :: v_dual_cndmask_b32 v2, v2, v4
	v_cndmask_b32_e64 v7, v9, v7, s2
	s_delay_alu instid0(VALU_DEP_2) | instskip(NEXT) | instid1(VALU_DEP_3)
	v_cndmask_b32_e64 v1, v3, v1, s2
	v_cndmask_b32_e64 v2, v4, v2, s2
	s_delay_alu instid0(VALU_DEP_3)
	v_and_b32_e32 v6, 0xff, v7
.LBB846_107:
	s_or_b32 exec_lo, exec_lo, s4
	v_cmp_gt_u32_e32 vcc_lo, 28, v5
	v_add_nc_u32_e32 v10, 4, v5
	s_mov_b32 s4, exec_lo
	s_waitcnt lgkmcnt(1)
	v_cndmask_b32_e64 v3, 0, 1, vcc_lo
	s_delay_alu instid0(VALU_DEP_1) | instskip(SKIP_1) | instid1(VALU_DEP_1)
	v_lshlrev_b32_e32 v3, 2, v3
	s_waitcnt lgkmcnt(0)
	v_add_lshl_u32 v4, v3, v5, 2
	ds_bpermute_b32 v9, v4, v6
	ds_bpermute_b32 v3, v4, v1
	ds_bpermute_b32 v4, v4, v2
	v_cmpx_lt_u32_e64 v10, v8
	s_cbranch_execz .LBB846_109
; %bb.108:
	s_waitcnt lgkmcnt(2)
	v_and_b32_e32 v6, 1, v9
	s_waitcnt lgkmcnt(0)
	v_cmp_lt_i64_e32 vcc_lo, v[3:4], v[1:2]
	s_delay_alu instid0(VALU_DEP_2) | instskip(SKIP_1) | instid1(VALU_DEP_2)
	v_cmp_eq_u32_e64 s2, 1, v6
	v_and_b32_e32 v6, 1, v7
	v_cndmask_b32_e64 v7, v7, 1, s2
	s_and_b32 vcc_lo, s2, vcc_lo
	s_delay_alu instid0(VALU_DEP_2) | instskip(SKIP_1) | instid1(VALU_DEP_2)
	v_cmp_eq_u32_e64 s2, 1, v6
	v_dual_cndmask_b32 v1, v1, v3 :: v_dual_cndmask_b32 v2, v2, v4
	v_cndmask_b32_e64 v7, v9, v7, s2
	s_delay_alu instid0(VALU_DEP_2) | instskip(NEXT) | instid1(VALU_DEP_3)
	v_cndmask_b32_e64 v1, v3, v1, s2
	v_cndmask_b32_e64 v2, v4, v2, s2
	s_delay_alu instid0(VALU_DEP_3)
	v_and_b32_e32 v6, 0xff, v7
.LBB846_109:
	s_or_b32 exec_lo, exec_lo, s4
	v_cmp_gt_u32_e32 vcc_lo, 24, v5
	v_add_nc_u32_e32 v10, 8, v5
	s_mov_b32 s4, exec_lo
	s_waitcnt lgkmcnt(1)
	v_cndmask_b32_e64 v3, 0, 1, vcc_lo
	s_delay_alu instid0(VALU_DEP_1) | instskip(SKIP_1) | instid1(VALU_DEP_1)
	v_lshlrev_b32_e32 v3, 3, v3
	s_waitcnt lgkmcnt(0)
	v_add_lshl_u32 v4, v3, v5, 2
	ds_bpermute_b32 v9, v4, v6
	ds_bpermute_b32 v3, v4, v1
	ds_bpermute_b32 v4, v4, v2
	v_cmpx_lt_u32_e64 v10, v8
	s_cbranch_execz .LBB846_111
; %bb.110:
	s_waitcnt lgkmcnt(2)
	v_and_b32_e32 v6, 1, v9
	s_waitcnt lgkmcnt(0)
	v_cmp_lt_i64_e32 vcc_lo, v[3:4], v[1:2]
	s_delay_alu instid0(VALU_DEP_2) | instskip(SKIP_1) | instid1(VALU_DEP_2)
	v_cmp_eq_u32_e64 s2, 1, v6
	v_and_b32_e32 v6, 1, v7
	v_cndmask_b32_e64 v7, v7, 1, s2
	s_and_b32 vcc_lo, s2, vcc_lo
	s_delay_alu instid0(VALU_DEP_2) | instskip(SKIP_1) | instid1(VALU_DEP_2)
	v_cmp_eq_u32_e64 s2, 1, v6
	v_dual_cndmask_b32 v1, v1, v3 :: v_dual_cndmask_b32 v2, v2, v4
	v_cndmask_b32_e64 v7, v9, v7, s2
	s_delay_alu instid0(VALU_DEP_2) | instskip(NEXT) | instid1(VALU_DEP_3)
	v_cndmask_b32_e64 v1, v3, v1, s2
	v_cndmask_b32_e64 v2, v4, v2, s2
	s_delay_alu instid0(VALU_DEP_3)
	v_and_b32_e32 v6, 0xff, v7
.LBB846_111:
	s_or_b32 exec_lo, exec_lo, s4
	v_cmp_gt_u32_e32 vcc_lo, 16, v5
	v_add_nc_u32_e32 v10, 16, v5
	s_mov_b32 s4, exec_lo
	s_waitcnt lgkmcnt(1)
	v_cndmask_b32_e64 v3, 0, 1, vcc_lo
	s_delay_alu instid0(VALU_DEP_1) | instskip(SKIP_1) | instid1(VALU_DEP_1)
	v_lshlrev_b32_e32 v3, 4, v3
	s_waitcnt lgkmcnt(0)
	v_add_lshl_u32 v4, v3, v5, 2
	ds_bpermute_b32 v9, v4, v6
	ds_bpermute_b32 v3, v4, v1
	;; [unrolled: 1-line block ×3, first 2 shown]
	v_cmpx_lt_u32_e64 v10, v8
	s_cbranch_execz .LBB846_113
; %bb.112:
	s_waitcnt lgkmcnt(2)
	v_and_b32_e32 v6, 1, v9
	s_waitcnt lgkmcnt(0)
	v_cmp_lt_i64_e32 vcc_lo, v[3:4], v[1:2]
	s_delay_alu instid0(VALU_DEP_2) | instskip(SKIP_1) | instid1(VALU_DEP_2)
	v_cmp_eq_u32_e64 s2, 1, v6
	v_and_b32_e32 v6, 1, v7
	v_cndmask_b32_e64 v7, v7, 1, s2
	s_and_b32 vcc_lo, s2, vcc_lo
	s_delay_alu instid0(VALU_DEP_2) | instskip(SKIP_1) | instid1(VALU_DEP_2)
	v_cmp_eq_u32_e64 s2, 1, v6
	v_dual_cndmask_b32 v1, v1, v3 :: v_dual_cndmask_b32 v2, v2, v4
	v_cndmask_b32_e64 v7, v9, v7, s2
	s_delay_alu instid0(VALU_DEP_2) | instskip(NEXT) | instid1(VALU_DEP_3)
	v_cndmask_b32_e64 v1, v3, v1, s2
	v_cndmask_b32_e64 v2, v4, v2, s2
	s_delay_alu instid0(VALU_DEP_3)
	v_and_b32_e32 v6, 0xff, v7
.LBB846_113:
	s_or_b32 exec_lo, exec_lo, s4
	s_delay_alu instid0(SALU_CYCLE_1)
	s_mov_b32 s2, exec_lo
	v_cmpx_eq_u32_e32 0, v5
	s_cbranch_execz .LBB846_115
; %bb.114:
	s_waitcnt lgkmcnt(1)
	v_lshrrev_b32_e32 v3, 1, v0
	s_delay_alu instid0(VALU_DEP_1)
	v_and_b32_e32 v3, 0x70, v3
	ds_store_b8 v3, v7 offset:512
	ds_store_b64 v3, v[1:2] offset:520
.LBB846_115:
	s_or_b32 exec_lo, exec_lo, s2
	s_delay_alu instid0(SALU_CYCLE_1)
	s_mov_b32 s4, exec_lo
	s_waitcnt lgkmcnt(0)
	s_barrier
	buffer_gl0_inv
	v_cmpx_gt_u32_e32 8, v0
	s_cbranch_execz .LBB846_123
; %bb.116:
	v_lshlrev_b32_e32 v1, 4, v5
	v_and_b32_e32 v8, 7, v5
	s_add_i32 s3, s3, 31
	s_mov_b32 s5, exec_lo
	s_lshr_b32 s3, s3, 5
	ds_load_u8 v7, v1 offset:512
	ds_load_b64 v[1:2], v1 offset:520
	v_cmp_ne_u32_e32 vcc_lo, 7, v8
	v_add_nc_u32_e32 v10, 1, v8
	v_add_co_ci_u32_e32 v3, vcc_lo, 0, v5, vcc_lo
	s_delay_alu instid0(VALU_DEP_1)
	v_lshlrev_b32_e32 v4, 2, v3
	s_waitcnt lgkmcnt(1)
	v_and_b32_e32 v6, 0xff, v7
	s_waitcnt lgkmcnt(0)
	ds_bpermute_b32 v3, v4, v1
	ds_bpermute_b32 v9, v4, v6
	;; [unrolled: 1-line block ×3, first 2 shown]
	v_cmpx_gt_u32_e64 s3, v10
	s_cbranch_execz .LBB846_118
; %bb.117:
	s_waitcnt lgkmcnt(1)
	v_and_b32_e32 v6, 1, v9
	s_waitcnt lgkmcnt(0)
	v_cmp_lt_i64_e32 vcc_lo, v[3:4], v[1:2]
	s_delay_alu instid0(VALU_DEP_2) | instskip(SKIP_1) | instid1(VALU_DEP_2)
	v_cmp_eq_u32_e64 s2, 1, v6
	v_and_b32_e32 v6, 1, v7
	v_cndmask_b32_e64 v7, v7, 1, s2
	s_and_b32 vcc_lo, s2, vcc_lo
	s_delay_alu instid0(VALU_DEP_2) | instskip(SKIP_1) | instid1(VALU_DEP_2)
	v_cmp_eq_u32_e64 s2, 1, v6
	v_dual_cndmask_b32 v1, v1, v3 :: v_dual_cndmask_b32 v2, v2, v4
	v_cndmask_b32_e64 v7, v9, v7, s2
	s_delay_alu instid0(VALU_DEP_2) | instskip(NEXT) | instid1(VALU_DEP_3)
	v_cndmask_b32_e64 v1, v3, v1, s2
	v_cndmask_b32_e64 v2, v4, v2, s2
	s_delay_alu instid0(VALU_DEP_3)
	v_and_b32_e32 v6, 0xff, v7
.LBB846_118:
	s_or_b32 exec_lo, exec_lo, s5
	v_cmp_gt_u32_e32 vcc_lo, 6, v8
	v_add_nc_u32_e32 v10, 2, v8
	s_mov_b32 s5, exec_lo
	s_waitcnt lgkmcnt(2)
	v_cndmask_b32_e64 v3, 0, 1, vcc_lo
	s_delay_alu instid0(VALU_DEP_1) | instskip(SKIP_1) | instid1(VALU_DEP_1)
	v_lshlrev_b32_e32 v3, 1, v3
	s_waitcnt lgkmcnt(0)
	v_add_lshl_u32 v4, v3, v5, 2
	ds_bpermute_b32 v9, v4, v6
	ds_bpermute_b32 v3, v4, v1
	;; [unrolled: 1-line block ×3, first 2 shown]
	v_cmpx_gt_u32_e64 s3, v10
	s_cbranch_execz .LBB846_120
; %bb.119:
	s_waitcnt lgkmcnt(2)
	v_and_b32_e32 v6, 1, v9
	s_waitcnt lgkmcnt(0)
	v_cmp_lt_i64_e32 vcc_lo, v[3:4], v[1:2]
	s_delay_alu instid0(VALU_DEP_2) | instskip(SKIP_1) | instid1(VALU_DEP_2)
	v_cmp_eq_u32_e64 s2, 1, v6
	v_and_b32_e32 v6, 1, v7
	v_cndmask_b32_e64 v7, v7, 1, s2
	s_and_b32 vcc_lo, s2, vcc_lo
	s_delay_alu instid0(VALU_DEP_2) | instskip(SKIP_1) | instid1(VALU_DEP_2)
	v_cmp_eq_u32_e64 s2, 1, v6
	v_dual_cndmask_b32 v1, v1, v3 :: v_dual_cndmask_b32 v2, v2, v4
	v_cndmask_b32_e64 v7, v9, v7, s2
	s_delay_alu instid0(VALU_DEP_2) | instskip(NEXT) | instid1(VALU_DEP_3)
	v_cndmask_b32_e64 v1, v3, v1, s2
	v_cndmask_b32_e64 v2, v4, v2, s2
	s_delay_alu instid0(VALU_DEP_3)
	v_and_b32_e32 v6, 0xff, v7
.LBB846_120:
	s_or_b32 exec_lo, exec_lo, s5
	v_cmp_gt_u32_e32 vcc_lo, 4, v8
	v_add_nc_u32_e32 v8, 4, v8
	s_waitcnt lgkmcnt(1)
	v_cndmask_b32_e64 v3, 0, 1, vcc_lo
	s_delay_alu instid0(VALU_DEP_2) | instskip(NEXT) | instid1(VALU_DEP_2)
	v_cmp_gt_u32_e32 vcc_lo, s3, v8
	v_lshlrev_b32_e32 v3, 2, v3
	s_waitcnt lgkmcnt(0)
	s_delay_alu instid0(VALU_DEP_1)
	v_add_lshl_u32 v4, v3, v5, 2
	ds_bpermute_b32 v5, v4, v6
	ds_bpermute_b32 v3, v4, v1
	;; [unrolled: 1-line block ×3, first 2 shown]
	s_and_saveexec_b32 s3, vcc_lo
	s_cbranch_execz .LBB846_122
; %bb.121:
	s_waitcnt lgkmcnt(2)
	v_and_b32_e32 v6, 1, v5
	s_waitcnt lgkmcnt(0)
	v_cmp_lt_i64_e32 vcc_lo, v[3:4], v[1:2]
	s_delay_alu instid0(VALU_DEP_2) | instskip(SKIP_1) | instid1(VALU_DEP_2)
	v_cmp_eq_u32_e64 s2, 1, v6
	v_and_b32_e32 v6, 1, v7
	v_cndmask_b32_e64 v7, v7, 1, s2
	s_and_b32 vcc_lo, s2, vcc_lo
	s_delay_alu instid0(VALU_DEP_2) | instskip(SKIP_1) | instid1(VALU_DEP_2)
	v_cmp_eq_u32_e64 s2, 1, v6
	v_dual_cndmask_b32 v1, v1, v3 :: v_dual_cndmask_b32 v2, v2, v4
	v_cndmask_b32_e64 v5, v5, v7, s2
	s_delay_alu instid0(VALU_DEP_2) | instskip(NEXT) | instid1(VALU_DEP_3)
	v_cndmask_b32_e64 v1, v3, v1, s2
	v_cndmask_b32_e64 v2, v4, v2, s2
	s_delay_alu instid0(VALU_DEP_3)
	v_and_b32_e32 v6, 0xff, v5
.LBB846_122:
	s_or_b32 exec_lo, exec_lo, s3
.LBB846_123:
	s_delay_alu instid0(SALU_CYCLE_1)
	s_or_b32 exec_lo, exec_lo, s4
.LBB846_124:
                                        ; implicit-def: $vgpr3_vgpr4
                                        ; implicit-def: $vgpr5
	s_delay_alu instid0(SALU_CYCLE_1)
	s_mov_b32 s2, exec_lo
	v_cmpx_eq_u32_e32 0, v0
	s_xor_b32 s4, exec_lo, s2
	s_cbranch_execz .LBB846_128
; %bb.125:
	s_waitcnt lgkmcnt(0)
	v_dual_mov_b32 v3, s20 :: v_dual_mov_b32 v4, s21
	v_mov_b32_e32 v5, s24
	s_cmp_eq_u64 s[14:15], 0
	s_cbranch_scc1 .LBB846_127
; %bb.126:
	v_and_b32_e32 v3, 1, v6
	v_cmp_gt_i64_e32 vcc_lo, s[20:21], v[1:2]
	s_bitcmp1_b32 s24, 0
	s_cselect_b32 s3, -1, 0
	s_delay_alu instid0(VALU_DEP_2) | instskip(NEXT) | instid1(VALU_DEP_1)
	v_cmp_eq_u32_e64 s2, 1, v3
	s_and_b32 vcc_lo, s2, vcc_lo
	v_cndmask_b32_e64 v3, s24, 1, s2
	v_cndmask_b32_e32 v7, s20, v1, vcc_lo
	v_cndmask_b32_e32 v4, s21, v2, vcc_lo
	s_delay_alu instid0(VALU_DEP_3) | instskip(NEXT) | instid1(VALU_DEP_3)
	v_cndmask_b32_e64 v5, v6, v3, s3
	v_cndmask_b32_e64 v3, v1, v7, s3
	s_delay_alu instid0(VALU_DEP_3)
	v_cndmask_b32_e64 v4, v2, v4, s3
.LBB846_127:
	s_or_b32 s26, s26, exec_lo
.LBB846_128:
	s_or_b32 exec_lo, exec_lo, s4
	s_branch .LBB846_200
.LBB846_129:
	s_cmp_gt_i32 s25, 1
	s_cbranch_scc0 .LBB846_147
; %bb.130:
	s_cmp_eq_u32 s25, 2
	s_cbranch_scc0 .LBB846_148
; %bb.131:
	s_mov_b32 s11, 0
	s_lshl_b32 s8, s10, 9
	s_mov_b32 s9, s11
	s_lshr_b64 s[28:29], s[14:15], 9
	s_lshl_b64 s[2:3], s[8:9], 1
	s_delay_alu instid0(SALU_CYCLE_1)
	s_add_u32 s4, s16, s2
	s_addc_u32 s5, s17, s3
	s_add_u32 s6, s18, s2
	s_addc_u32 s7, s19, s3
	s_add_u32 s9, s12, s8
	s_addc_u32 s22, s13, 0
	s_cmp_lg_u64 s[28:29], s[10:11]
	s_cbranch_scc0 .LBB846_149
; %bb.132:
	v_lshlrev_b32_e32 v1, 1, v0
	v_add_co_u32 v7, s2, s9, v0
	s_waitcnt lgkmcnt(2)
	v_add_co_ci_u32_e64 v5, null, s22, 0, s2
	global_load_u16 v2, v1, s[6:7] offset:512
	s_waitcnt lgkmcnt(1)
	global_load_u16 v3, v1, s[6:7]
	s_waitcnt lgkmcnt(0)
	s_clause 0x1
	global_load_u16 v4, v1, s[4:5] offset:512
	global_load_u16 v1, v1, s[4:5]
	v_add_co_u32 v8, vcc_lo, 0x100, v7
	v_add_co_ci_u32_e32 v6, vcc_lo, 0, v5, vcc_lo
	s_mov_b32 s23, exec_lo
	s_waitcnt vmcnt(1)
	v_cmp_ne_u16_e32 vcc_lo, v4, v2
	s_waitcnt vmcnt(0)
	v_cmp_ne_u16_e64 s2, v1, v3
	s_delay_alu instid0(VALU_DEP_1) | instskip(SKIP_3) | instid1(VALU_DEP_3)
	s_or_b32 s3, s2, vcc_lo
	v_cndmask_b32_e64 v2, v6, v5, s2
	v_cndmask_b32_e64 v5, 0, 1, s3
	;; [unrolled: 1-line block ×3, first 2 shown]
	v_mov_b32_dpp v4, v2 quad_perm:[1,0,3,2] row_mask:0xf bank_mask:0xf
	s_delay_alu instid0(VALU_DEP_3) | instskip(NEXT) | instid1(VALU_DEP_3)
	v_mov_b32_dpp v6, v5 quad_perm:[1,0,3,2] row_mask:0xf bank_mask:0xf
	v_mov_b32_dpp v3, v1 quad_perm:[1,0,3,2] row_mask:0xf bank_mask:0xf
	s_delay_alu instid0(VALU_DEP_2) | instskip(NEXT) | instid1(VALU_DEP_1)
	v_and_b32_e32 v7, 1, v6
	v_cmpx_eq_u32_e32 1, v7
; %bb.133:
	v_cndmask_b32_e64 v5, v6, 1, s3
	s_delay_alu instid0(VALU_DEP_4) | instskip(NEXT) | instid1(VALU_DEP_2)
	v_cmp_lt_i64_e32 vcc_lo, v[1:2], v[3:4]
	v_and_b32_e32 v6, 1, v5
	v_and_b32_e32 v5, 0xff, v5
	s_and_b32 vcc_lo, s3, vcc_lo
	s_and_not1_b32 s3, s3, exec_lo
	v_dual_cndmask_b32 v2, v4, v2 :: v_dual_cndmask_b32 v1, v3, v1
	v_cmp_eq_u32_e64 s2, 1, v6
	s_delay_alu instid0(VALU_DEP_1) | instskip(NEXT) | instid1(SALU_CYCLE_1)
	s_and_b32 s2, s2, exec_lo
	s_or_b32 s3, s3, s2
; %bb.134:
	s_or_b32 exec_lo, exec_lo, s23
	v_mov_b32_dpp v6, v5 quad_perm:[2,3,0,1] row_mask:0xf bank_mask:0xf
	v_mov_b32_dpp v3, v1 quad_perm:[2,3,0,1] row_mask:0xf bank_mask:0xf
	;; [unrolled: 1-line block ×3, first 2 shown]
	s_mov_b32 s23, exec_lo
	s_delay_alu instid0(VALU_DEP_3) | instskip(NEXT) | instid1(VALU_DEP_1)
	v_and_b32_e32 v7, 1, v6
	v_cmpx_eq_u32_e32 1, v7
; %bb.135:
	v_cndmask_b32_e64 v5, v6, 1, s3
	v_cmp_lt_i64_e32 vcc_lo, v[1:2], v[3:4]
	s_delay_alu instid0(VALU_DEP_2)
	v_and_b32_e32 v6, 1, v5
	v_and_b32_e32 v5, 0xff, v5
	s_and_b32 vcc_lo, s3, vcc_lo
	s_and_not1_b32 s3, s3, exec_lo
	v_dual_cndmask_b32 v2, v4, v2 :: v_dual_cndmask_b32 v1, v3, v1
	v_cmp_eq_u32_e64 s2, 1, v6
	s_delay_alu instid0(VALU_DEP_1) | instskip(NEXT) | instid1(SALU_CYCLE_1)
	s_and_b32 s2, s2, exec_lo
	s_or_b32 s3, s3, s2
; %bb.136:
	s_or_b32 exec_lo, exec_lo, s23
	v_mov_b32_dpp v6, v5 row_ror:4 row_mask:0xf bank_mask:0xf
	v_mov_b32_dpp v3, v1 row_ror:4 row_mask:0xf bank_mask:0xf
	;; [unrolled: 1-line block ×3, first 2 shown]
	s_mov_b32 s23, exec_lo
	s_delay_alu instid0(VALU_DEP_3) | instskip(NEXT) | instid1(VALU_DEP_1)
	v_and_b32_e32 v7, 1, v6
	v_cmpx_eq_u32_e32 1, v7
; %bb.137:
	v_cndmask_b32_e64 v5, v6, 1, s3
	v_cmp_lt_i64_e32 vcc_lo, v[1:2], v[3:4]
	s_delay_alu instid0(VALU_DEP_2)
	v_and_b32_e32 v6, 1, v5
	v_and_b32_e32 v5, 0xff, v5
	s_and_b32 vcc_lo, s3, vcc_lo
	s_and_not1_b32 s3, s3, exec_lo
	v_dual_cndmask_b32 v2, v4, v2 :: v_dual_cndmask_b32 v1, v3, v1
	v_cmp_eq_u32_e64 s2, 1, v6
	s_delay_alu instid0(VALU_DEP_1) | instskip(NEXT) | instid1(SALU_CYCLE_1)
	s_and_b32 s2, s2, exec_lo
	s_or_b32 s3, s3, s2
; %bb.138:
	s_or_b32 exec_lo, exec_lo, s23
	v_mov_b32_dpp v6, v5 row_ror:8 row_mask:0xf bank_mask:0xf
	v_mov_b32_dpp v3, v1 row_ror:8 row_mask:0xf bank_mask:0xf
	;; [unrolled: 1-line block ×3, first 2 shown]
	s_mov_b32 s23, exec_lo
	s_delay_alu instid0(VALU_DEP_3) | instskip(NEXT) | instid1(VALU_DEP_1)
	v_and_b32_e32 v7, 1, v6
	v_cmpx_eq_u32_e32 1, v7
; %bb.139:
	v_cndmask_b32_e64 v5, v6, 1, s3
	v_cmp_lt_i64_e32 vcc_lo, v[1:2], v[3:4]
	s_delay_alu instid0(VALU_DEP_2)
	v_and_b32_e32 v6, 1, v5
	v_and_b32_e32 v5, 0xff, v5
	s_and_b32 vcc_lo, s3, vcc_lo
	s_and_not1_b32 s3, s3, exec_lo
	v_dual_cndmask_b32 v2, v4, v2 :: v_dual_cndmask_b32 v1, v3, v1
	v_cmp_eq_u32_e64 s2, 1, v6
	s_delay_alu instid0(VALU_DEP_1) | instskip(NEXT) | instid1(SALU_CYCLE_1)
	s_and_b32 s2, s2, exec_lo
	s_or_b32 s3, s3, s2
; %bb.140:
	s_or_b32 exec_lo, exec_lo, s23
	ds_swizzle_b32 v6, v5 offset:swizzle(BROADCAST,32,15)
	ds_swizzle_b32 v3, v1 offset:swizzle(BROADCAST,32,15)
	;; [unrolled: 1-line block ×3, first 2 shown]
	s_mov_b32 s2, exec_lo
	s_waitcnt lgkmcnt(2)
	v_and_b32_e32 v7, 1, v6
	s_delay_alu instid0(VALU_DEP_1)
	v_cmpx_eq_u32_e32 1, v7
	s_cbranch_execz .LBB846_142
; %bb.141:
	s_waitcnt lgkmcnt(0)
	v_cmp_lt_i64_e32 vcc_lo, v[1:2], v[3:4]
	v_and_b32_e32 v5, 0xff, v6
	s_delay_alu instid0(VALU_DEP_1)
	v_cndmask_b32_e64 v5, v5, 1, s3
	s_and_b32 vcc_lo, s3, vcc_lo
	v_dual_cndmask_b32 v1, v3, v1 :: v_dual_cndmask_b32 v2, v4, v2
.LBB846_142:
	s_or_b32 exec_lo, exec_lo, s2
	s_waitcnt lgkmcnt(1)
	v_mov_b32_e32 v3, 0
	s_mov_b32 s2, exec_lo
	ds_bpermute_b32 v6, v3, v5 offset:124
	ds_bpermute_b32 v1, v3, v1 offset:124
	;; [unrolled: 1-line block ×3, first 2 shown]
	v_mbcnt_lo_u32_b32 v3, -1, 0
	s_delay_alu instid0(VALU_DEP_1)
	v_cmpx_eq_u32_e32 0, v3
	s_cbranch_execz .LBB846_144
; %bb.143:
	s_waitcnt lgkmcnt(3)
	v_lshrrev_b32_e32 v4, 1, v0
	s_delay_alu instid0(VALU_DEP_1)
	v_and_b32_e32 v4, 0x70, v4
	s_waitcnt lgkmcnt(2)
	ds_store_b8 v4, v6 offset:128
	s_waitcnt lgkmcnt(1)
	ds_store_b64 v4, v[1:2] offset:136
.LBB846_144:
	s_or_b32 exec_lo, exec_lo, s2
	s_delay_alu instid0(SALU_CYCLE_1)
	s_mov_b32 s23, exec_lo
	s_waitcnt lgkmcnt(0)
	s_barrier
	buffer_gl0_inv
	v_cmpx_gt_u32_e32 32, v0
	s_cbranch_execz .LBB846_146
; %bb.145:
	v_and_b32_e32 v6, 7, v3
	s_delay_alu instid0(VALU_DEP_1)
	v_lshlrev_b32_e32 v1, 4, v6
	v_cmp_ne_u32_e32 vcc_lo, 7, v6
	ds_load_u8 v7, v1 offset:128
	ds_load_b64 v[1:2], v1 offset:136
	v_add_co_ci_u32_e32 v4, vcc_lo, 0, v3, vcc_lo
	v_cmp_gt_u32_e32 vcc_lo, 6, v6
	s_delay_alu instid0(VALU_DEP_2)
	v_lshlrev_b32_e32 v5, 2, v4
	v_cndmask_b32_e64 v10, 0, 1, vcc_lo
	s_waitcnt lgkmcnt(1)
	v_and_b32_e32 v4, 0xff, v7
	v_and_b32_e32 v11, 1, v7
	ds_bpermute_b32 v8, v5, v4
	s_waitcnt lgkmcnt(1)
	ds_bpermute_b32 v4, v5, v1
	ds_bpermute_b32 v5, v5, v2
	v_cmp_eq_u32_e64 s3, 1, v11
	s_waitcnt lgkmcnt(2)
	v_and_b32_e32 v9, 1, v8
	s_waitcnt lgkmcnt(0)
	v_cmp_lt_i64_e64 s2, v[4:5], v[1:2]
	s_delay_alu instid0(VALU_DEP_2) | instskip(SKIP_2) | instid1(VALU_DEP_4)
	v_cmp_eq_u32_e32 vcc_lo, 1, v9
	v_lshlrev_b32_e32 v9, 1, v10
	v_cndmask_b32_e64 v7, v7, 1, vcc_lo
	s_and_b32 vcc_lo, vcc_lo, s2
	v_dual_cndmask_b32 v1, v1, v4 :: v_dual_cndmask_b32 v2, v2, v5
	s_delay_alu instid0(VALU_DEP_2) | instskip(SKIP_2) | instid1(VALU_DEP_4)
	v_cndmask_b32_e64 v7, v8, v7, s3
	v_add_lshl_u32 v8, v9, v3, 2
	v_cmp_gt_u32_e32 vcc_lo, 4, v6
	v_cndmask_b32_e64 v1, v4, v1, s3
	v_cndmask_b32_e64 v2, v5, v2, s3
	v_and_b32_e32 v9, 0xff, v7
	v_and_b32_e32 v10, 1, v7
	v_cndmask_b32_e64 v6, 0, 1, vcc_lo
	ds_bpermute_b32 v4, v8, v1
	ds_bpermute_b32 v5, v8, v2
	;; [unrolled: 1-line block ×3, first 2 shown]
	v_cmp_eq_u32_e64 s3, 1, v10
	s_waitcnt lgkmcnt(1)
	v_cmp_lt_i64_e64 s2, v[4:5], v[1:2]
	s_waitcnt lgkmcnt(0)
	v_and_b32_e32 v8, 1, v9
	s_delay_alu instid0(VALU_DEP_1) | instskip(SKIP_1) | instid1(VALU_DEP_4)
	v_cmp_eq_u32_e32 vcc_lo, 1, v8
	v_cndmask_b32_e64 v7, v7, 1, vcc_lo
	s_and_b32 vcc_lo, vcc_lo, s2
	v_dual_cndmask_b32 v1, v1, v4 :: v_dual_cndmask_b32 v2, v2, v5
	s_delay_alu instid0(VALU_DEP_2) | instskip(NEXT) | instid1(VALU_DEP_2)
	v_cndmask_b32_e64 v7, v9, v7, s3
	v_cndmask_b32_e64 v1, v4, v1, s3
	v_lshlrev_b32_e32 v6, 2, v6
	s_delay_alu instid0(VALU_DEP_4) | instskip(NEXT) | instid1(VALU_DEP_2)
	v_cndmask_b32_e64 v2, v5, v2, s3
	v_add_lshl_u32 v6, v6, v3, 2
	v_and_b32_e32 v3, 0xff, v7
	ds_bpermute_b32 v4, v6, v2
	ds_bpermute_b32 v5, v6, v3
	;; [unrolled: 1-line block ×3, first 2 shown]
	s_waitcnt lgkmcnt(1)
	v_and_b32_e32 v6, 1, v5
	s_waitcnt lgkmcnt(0)
	v_cmp_lt_i64_e32 vcc_lo, v[3:4], v[1:2]
	s_delay_alu instid0(VALU_DEP_2) | instskip(SKIP_1) | instid1(VALU_DEP_2)
	v_cmp_eq_u32_e64 s2, 1, v6
	v_and_b32_e32 v6, 1, v7
	v_cndmask_b32_e64 v7, v7, 1, s2
	s_and_b32 vcc_lo, s2, vcc_lo
	s_delay_alu instid0(VALU_DEP_2) | instskip(SKIP_1) | instid1(VALU_DEP_2)
	v_cmp_eq_u32_e64 s2, 1, v6
	v_dual_cndmask_b32 v1, v1, v3 :: v_dual_cndmask_b32 v2, v2, v4
	v_cndmask_b32_e64 v5, v5, v7, s2
	s_delay_alu instid0(VALU_DEP_2) | instskip(NEXT) | instid1(VALU_DEP_3)
	v_cndmask_b32_e64 v1, v3, v1, s2
	v_cndmask_b32_e64 v2, v4, v2, s2
	s_delay_alu instid0(VALU_DEP_3)
	v_and_b32_e32 v6, 0xff, v5
.LBB846_146:
	s_or_b32 exec_lo, exec_lo, s23
	s_branch .LBB846_177
.LBB846_147:
                                        ; implicit-def: $vgpr3_vgpr4
                                        ; implicit-def: $vgpr5
	s_cbranch_execnz .LBB846_182
	s_branch .LBB846_200
.LBB846_148:
                                        ; implicit-def: $vgpr3_vgpr4
                                        ; implicit-def: $vgpr5
	s_branch .LBB846_200
.LBB846_149:
                                        ; implicit-def: $vgpr1_vgpr2
                                        ; implicit-def: $vgpr6
	s_cbranch_execz .LBB846_177
; %bb.150:
	s_waitcnt lgkmcnt(0)
	v_mov_b32_e32 v3, 0
	v_dual_mov_b32 v4, 0 :: v_dual_mov_b32 v5, 0
	s_delay_alu instid0(VALU_DEP_2) | instskip(SKIP_2) | instid1(VALU_DEP_3)
	v_mov_b32_e32 v1, v3
	v_mov_b32_e32 v7, 0
	s_sub_i32 s3, s14, s8
	v_mov_b32_e32 v2, v4
	s_mov_b32 s2, exec_lo
	v_cmpx_gt_u32_e64 s3, v0
	s_cbranch_execz .LBB846_152
; %bb.151:
	v_lshlrev_b32_e32 v1, 1, v0
	s_clause 0x1
	global_load_u16 v6, v1, s[4:5]
	global_load_u16 v7, v1, s[6:7]
	v_add_co_u32 v1, s8, s9, v0
	s_delay_alu instid0(VALU_DEP_1)
	v_add_co_ci_u32_e64 v2, null, s22, 0, s8
	s_waitcnt vmcnt(0)
	v_cmp_ne_u16_e32 vcc_lo, v6, v7
	v_cndmask_b32_e64 v7, 0, 1, vcc_lo
.LBB846_152:
	s_or_b32 exec_lo, exec_lo, s2
	v_or_b32_e32 v6, 0x100, v0
	s_delay_alu instid0(VALU_DEP_1)
	v_cmp_gt_u32_e32 vcc_lo, s3, v6
	s_and_saveexec_b32 s8, vcc_lo
	s_cbranch_execz .LBB846_154
; %bb.153:
	v_lshlrev_b32_e32 v3, 1, v0
	s_clause 0x1
	global_load_u16 v5, v3, s[4:5] offset:512
	global_load_u16 v8, v3, s[6:7] offset:512
	v_add_co_u32 v3, s2, s9, v6
	s_delay_alu instid0(VALU_DEP_1) | instskip(SKIP_2) | instid1(VALU_DEP_1)
	v_add_co_ci_u32_e64 v4, null, s22, 0, s2
	s_waitcnt vmcnt(0)
	v_cmp_ne_u16_e64 s2, v5, v8
	v_cndmask_b32_e64 v5, 0, 1, s2
.LBB846_154:
	s_or_b32 exec_lo, exec_lo, s8
	s_and_saveexec_b32 s4, vcc_lo
; %bb.155:
	s_delay_alu instid0(VALU_DEP_1) | instskip(SKIP_1) | instid1(VALU_DEP_2)
	v_and_b32_e32 v6, 1, v5
	v_cmp_lt_i64_e32 vcc_lo, v[3:4], v[1:2]
	v_cmp_eq_u32_e64 s2, 1, v6
	s_delay_alu instid0(VALU_DEP_1) | instskip(SKIP_4) | instid1(VALU_DEP_3)
	s_and_b32 vcc_lo, s2, vcc_lo
	v_cndmask_b32_e32 v1, v1, v3, vcc_lo
	v_and_b32_e32 v6, 1, v7
	v_cndmask_b32_e64 v7, v7, 1, s2
	v_cndmask_b32_e32 v2, v2, v4, vcc_lo
	v_cmp_eq_u32_e32 vcc_lo, 1, v6
	s_delay_alu instid0(VALU_DEP_2)
	v_dual_cndmask_b32 v7, v5, v7 :: v_dual_cndmask_b32 v2, v4, v2
	v_cndmask_b32_e32 v1, v3, v1, vcc_lo
; %bb.156:
	s_or_b32 exec_lo, exec_lo, s4
	v_mbcnt_lo_u32_b32 v5, -1, 0
	s_delay_alu instid0(VALU_DEP_3)
	v_and_b32_e32 v6, 0xffff, v7
	v_and_b32_e32 v8, 0xe0, v0
	s_min_u32 s3, s3, 0x100
	s_mov_b32 s4, exec_lo
	v_cmp_ne_u32_e32 vcc_lo, 31, v5
	v_add_nc_u32_e32 v10, 1, v5
	v_sub_nc_u32_e64 v8, s3, v8 clamp
	v_add_co_ci_u32_e32 v3, vcc_lo, 0, v5, vcc_lo
	s_delay_alu instid0(VALU_DEP_1)
	v_lshlrev_b32_e32 v4, 2, v3
	ds_bpermute_b32 v9, v4, v6
	ds_bpermute_b32 v3, v4, v1
	ds_bpermute_b32 v4, v4, v2
	v_cmpx_lt_u32_e64 v10, v8
	s_cbranch_execz .LBB846_158
; %bb.157:
	s_waitcnt lgkmcnt(2)
	v_and_b32_e32 v6, 1, v9
	s_waitcnt lgkmcnt(0)
	v_cmp_lt_i64_e32 vcc_lo, v[3:4], v[1:2]
	s_delay_alu instid0(VALU_DEP_2) | instskip(SKIP_1) | instid1(VALU_DEP_2)
	v_cmp_eq_u32_e64 s2, 1, v6
	v_and_b32_e32 v6, 1, v7
	v_cndmask_b32_e64 v7, v7, 1, s2
	s_and_b32 vcc_lo, s2, vcc_lo
	s_delay_alu instid0(VALU_DEP_2) | instskip(SKIP_1) | instid1(VALU_DEP_2)
	v_cmp_eq_u32_e64 s2, 1, v6
	v_dual_cndmask_b32 v1, v1, v3 :: v_dual_cndmask_b32 v2, v2, v4
	v_cndmask_b32_e64 v7, v9, v7, s2
	s_delay_alu instid0(VALU_DEP_2) | instskip(NEXT) | instid1(VALU_DEP_3)
	v_cndmask_b32_e64 v1, v3, v1, s2
	v_cndmask_b32_e64 v2, v4, v2, s2
	s_delay_alu instid0(VALU_DEP_3)
	v_and_b32_e32 v6, 0xff, v7
.LBB846_158:
	s_or_b32 exec_lo, exec_lo, s4
	v_cmp_gt_u32_e32 vcc_lo, 30, v5
	v_add_nc_u32_e32 v10, 2, v5
	s_mov_b32 s4, exec_lo
	s_waitcnt lgkmcnt(1)
	v_cndmask_b32_e64 v3, 0, 1, vcc_lo
	s_delay_alu instid0(VALU_DEP_1) | instskip(SKIP_1) | instid1(VALU_DEP_1)
	v_lshlrev_b32_e32 v3, 1, v3
	s_waitcnt lgkmcnt(0)
	v_add_lshl_u32 v4, v3, v5, 2
	ds_bpermute_b32 v9, v4, v6
	ds_bpermute_b32 v3, v4, v1
	ds_bpermute_b32 v4, v4, v2
	v_cmpx_lt_u32_e64 v10, v8
	s_cbranch_execz .LBB846_160
; %bb.159:
	s_waitcnt lgkmcnt(2)
	v_and_b32_e32 v6, 1, v9
	s_waitcnt lgkmcnt(0)
	v_cmp_lt_i64_e32 vcc_lo, v[3:4], v[1:2]
	s_delay_alu instid0(VALU_DEP_2) | instskip(SKIP_1) | instid1(VALU_DEP_2)
	v_cmp_eq_u32_e64 s2, 1, v6
	v_and_b32_e32 v6, 1, v7
	v_cndmask_b32_e64 v7, v7, 1, s2
	s_and_b32 vcc_lo, s2, vcc_lo
	s_delay_alu instid0(VALU_DEP_2) | instskip(SKIP_1) | instid1(VALU_DEP_2)
	v_cmp_eq_u32_e64 s2, 1, v6
	v_dual_cndmask_b32 v1, v1, v3 :: v_dual_cndmask_b32 v2, v2, v4
	v_cndmask_b32_e64 v7, v9, v7, s2
	s_delay_alu instid0(VALU_DEP_2) | instskip(NEXT) | instid1(VALU_DEP_3)
	v_cndmask_b32_e64 v1, v3, v1, s2
	v_cndmask_b32_e64 v2, v4, v2, s2
	s_delay_alu instid0(VALU_DEP_3)
	v_and_b32_e32 v6, 0xff, v7
.LBB846_160:
	s_or_b32 exec_lo, exec_lo, s4
	v_cmp_gt_u32_e32 vcc_lo, 28, v5
	v_add_nc_u32_e32 v10, 4, v5
	s_mov_b32 s4, exec_lo
	s_waitcnt lgkmcnt(1)
	v_cndmask_b32_e64 v3, 0, 1, vcc_lo
	s_delay_alu instid0(VALU_DEP_1) | instskip(SKIP_1) | instid1(VALU_DEP_1)
	v_lshlrev_b32_e32 v3, 2, v3
	s_waitcnt lgkmcnt(0)
	v_add_lshl_u32 v4, v3, v5, 2
	;; [unrolled: 35-line block ×4, first 2 shown]
	ds_bpermute_b32 v9, v4, v6
	ds_bpermute_b32 v3, v4, v1
	;; [unrolled: 1-line block ×3, first 2 shown]
	v_cmpx_lt_u32_e64 v10, v8
	s_cbranch_execz .LBB846_166
; %bb.165:
	s_waitcnt lgkmcnt(2)
	v_and_b32_e32 v6, 1, v9
	s_waitcnt lgkmcnt(0)
	v_cmp_lt_i64_e32 vcc_lo, v[3:4], v[1:2]
	s_delay_alu instid0(VALU_DEP_2) | instskip(SKIP_1) | instid1(VALU_DEP_2)
	v_cmp_eq_u32_e64 s2, 1, v6
	v_and_b32_e32 v6, 1, v7
	v_cndmask_b32_e64 v7, v7, 1, s2
	s_and_b32 vcc_lo, s2, vcc_lo
	s_delay_alu instid0(VALU_DEP_2) | instskip(SKIP_1) | instid1(VALU_DEP_2)
	v_cmp_eq_u32_e64 s2, 1, v6
	v_dual_cndmask_b32 v1, v1, v3 :: v_dual_cndmask_b32 v2, v2, v4
	v_cndmask_b32_e64 v7, v9, v7, s2
	s_delay_alu instid0(VALU_DEP_2) | instskip(NEXT) | instid1(VALU_DEP_3)
	v_cndmask_b32_e64 v1, v3, v1, s2
	v_cndmask_b32_e64 v2, v4, v2, s2
	s_delay_alu instid0(VALU_DEP_3)
	v_and_b32_e32 v6, 0xff, v7
.LBB846_166:
	s_or_b32 exec_lo, exec_lo, s4
	s_delay_alu instid0(SALU_CYCLE_1)
	s_mov_b32 s2, exec_lo
	v_cmpx_eq_u32_e32 0, v5
	s_cbranch_execz .LBB846_168
; %bb.167:
	s_waitcnt lgkmcnt(1)
	v_lshrrev_b32_e32 v3, 1, v0
	s_delay_alu instid0(VALU_DEP_1)
	v_and_b32_e32 v3, 0x70, v3
	ds_store_b8 v3, v7 offset:512
	ds_store_b64 v3, v[1:2] offset:520
.LBB846_168:
	s_or_b32 exec_lo, exec_lo, s2
	s_delay_alu instid0(SALU_CYCLE_1)
	s_mov_b32 s4, exec_lo
	s_waitcnt lgkmcnt(0)
	s_barrier
	buffer_gl0_inv
	v_cmpx_gt_u32_e32 8, v0
	s_cbranch_execz .LBB846_176
; %bb.169:
	v_lshlrev_b32_e32 v1, 4, v5
	v_and_b32_e32 v8, 7, v5
	s_add_i32 s3, s3, 31
	s_mov_b32 s5, exec_lo
	s_lshr_b32 s3, s3, 5
	ds_load_u8 v7, v1 offset:512
	ds_load_b64 v[1:2], v1 offset:520
	v_cmp_ne_u32_e32 vcc_lo, 7, v8
	v_add_nc_u32_e32 v10, 1, v8
	v_add_co_ci_u32_e32 v3, vcc_lo, 0, v5, vcc_lo
	s_delay_alu instid0(VALU_DEP_1)
	v_lshlrev_b32_e32 v4, 2, v3
	s_waitcnt lgkmcnt(1)
	v_and_b32_e32 v6, 0xff, v7
	s_waitcnt lgkmcnt(0)
	ds_bpermute_b32 v3, v4, v1
	ds_bpermute_b32 v9, v4, v6
	;; [unrolled: 1-line block ×3, first 2 shown]
	v_cmpx_gt_u32_e64 s3, v10
	s_cbranch_execz .LBB846_171
; %bb.170:
	s_waitcnt lgkmcnt(1)
	v_and_b32_e32 v6, 1, v9
	s_waitcnt lgkmcnt(0)
	v_cmp_lt_i64_e32 vcc_lo, v[3:4], v[1:2]
	s_delay_alu instid0(VALU_DEP_2) | instskip(SKIP_1) | instid1(VALU_DEP_2)
	v_cmp_eq_u32_e64 s2, 1, v6
	v_and_b32_e32 v6, 1, v7
	v_cndmask_b32_e64 v7, v7, 1, s2
	s_and_b32 vcc_lo, s2, vcc_lo
	s_delay_alu instid0(VALU_DEP_2) | instskip(SKIP_1) | instid1(VALU_DEP_2)
	v_cmp_eq_u32_e64 s2, 1, v6
	v_dual_cndmask_b32 v1, v1, v3 :: v_dual_cndmask_b32 v2, v2, v4
	v_cndmask_b32_e64 v7, v9, v7, s2
	s_delay_alu instid0(VALU_DEP_2) | instskip(NEXT) | instid1(VALU_DEP_3)
	v_cndmask_b32_e64 v1, v3, v1, s2
	v_cndmask_b32_e64 v2, v4, v2, s2
	s_delay_alu instid0(VALU_DEP_3)
	v_and_b32_e32 v6, 0xff, v7
.LBB846_171:
	s_or_b32 exec_lo, exec_lo, s5
	v_cmp_gt_u32_e32 vcc_lo, 6, v8
	v_add_nc_u32_e32 v10, 2, v8
	s_mov_b32 s5, exec_lo
	s_waitcnt lgkmcnt(2)
	v_cndmask_b32_e64 v3, 0, 1, vcc_lo
	s_delay_alu instid0(VALU_DEP_1) | instskip(SKIP_1) | instid1(VALU_DEP_1)
	v_lshlrev_b32_e32 v3, 1, v3
	s_waitcnt lgkmcnt(0)
	v_add_lshl_u32 v4, v3, v5, 2
	ds_bpermute_b32 v9, v4, v6
	ds_bpermute_b32 v3, v4, v1
	;; [unrolled: 1-line block ×3, first 2 shown]
	v_cmpx_gt_u32_e64 s3, v10
	s_cbranch_execz .LBB846_173
; %bb.172:
	s_waitcnt lgkmcnt(2)
	v_and_b32_e32 v6, 1, v9
	s_waitcnt lgkmcnt(0)
	v_cmp_lt_i64_e32 vcc_lo, v[3:4], v[1:2]
	s_delay_alu instid0(VALU_DEP_2) | instskip(SKIP_1) | instid1(VALU_DEP_2)
	v_cmp_eq_u32_e64 s2, 1, v6
	v_and_b32_e32 v6, 1, v7
	v_cndmask_b32_e64 v7, v7, 1, s2
	s_and_b32 vcc_lo, s2, vcc_lo
	s_delay_alu instid0(VALU_DEP_2) | instskip(SKIP_1) | instid1(VALU_DEP_2)
	v_cmp_eq_u32_e64 s2, 1, v6
	v_dual_cndmask_b32 v1, v1, v3 :: v_dual_cndmask_b32 v2, v2, v4
	v_cndmask_b32_e64 v7, v9, v7, s2
	s_delay_alu instid0(VALU_DEP_2) | instskip(NEXT) | instid1(VALU_DEP_3)
	v_cndmask_b32_e64 v1, v3, v1, s2
	v_cndmask_b32_e64 v2, v4, v2, s2
	s_delay_alu instid0(VALU_DEP_3)
	v_and_b32_e32 v6, 0xff, v7
.LBB846_173:
	s_or_b32 exec_lo, exec_lo, s5
	v_cmp_gt_u32_e32 vcc_lo, 4, v8
	v_add_nc_u32_e32 v8, 4, v8
	s_waitcnt lgkmcnt(1)
	v_cndmask_b32_e64 v3, 0, 1, vcc_lo
	s_delay_alu instid0(VALU_DEP_2) | instskip(NEXT) | instid1(VALU_DEP_2)
	v_cmp_gt_u32_e32 vcc_lo, s3, v8
	v_lshlrev_b32_e32 v3, 2, v3
	s_waitcnt lgkmcnt(0)
	s_delay_alu instid0(VALU_DEP_1)
	v_add_lshl_u32 v4, v3, v5, 2
	ds_bpermute_b32 v5, v4, v6
	ds_bpermute_b32 v3, v4, v1
	;; [unrolled: 1-line block ×3, first 2 shown]
	s_and_saveexec_b32 s3, vcc_lo
	s_cbranch_execz .LBB846_175
; %bb.174:
	s_waitcnt lgkmcnt(2)
	v_and_b32_e32 v6, 1, v5
	s_waitcnt lgkmcnt(0)
	v_cmp_lt_i64_e32 vcc_lo, v[3:4], v[1:2]
	s_delay_alu instid0(VALU_DEP_2) | instskip(SKIP_1) | instid1(VALU_DEP_2)
	v_cmp_eq_u32_e64 s2, 1, v6
	v_and_b32_e32 v6, 1, v7
	v_cndmask_b32_e64 v7, v7, 1, s2
	s_and_b32 vcc_lo, s2, vcc_lo
	s_delay_alu instid0(VALU_DEP_2) | instskip(SKIP_1) | instid1(VALU_DEP_2)
	v_cmp_eq_u32_e64 s2, 1, v6
	v_dual_cndmask_b32 v1, v1, v3 :: v_dual_cndmask_b32 v2, v2, v4
	v_cndmask_b32_e64 v5, v5, v7, s2
	s_delay_alu instid0(VALU_DEP_2) | instskip(NEXT) | instid1(VALU_DEP_3)
	v_cndmask_b32_e64 v1, v3, v1, s2
	v_cndmask_b32_e64 v2, v4, v2, s2
	s_delay_alu instid0(VALU_DEP_3)
	v_and_b32_e32 v6, 0xff, v5
.LBB846_175:
	s_or_b32 exec_lo, exec_lo, s3
.LBB846_176:
	s_delay_alu instid0(SALU_CYCLE_1)
	s_or_b32 exec_lo, exec_lo, s4
.LBB846_177:
                                        ; implicit-def: $vgpr3_vgpr4
                                        ; implicit-def: $vgpr5
	s_delay_alu instid0(SALU_CYCLE_1)
	s_mov_b32 s2, exec_lo
	v_cmpx_eq_u32_e32 0, v0
	s_xor_b32 s4, exec_lo, s2
	s_cbranch_execz .LBB846_181
; %bb.178:
	s_waitcnt lgkmcnt(0)
	v_dual_mov_b32 v3, s20 :: v_dual_mov_b32 v4, s21
	v_mov_b32_e32 v5, s24
	s_cmp_eq_u64 s[14:15], 0
	s_cbranch_scc1 .LBB846_180
; %bb.179:
	v_and_b32_e32 v3, 1, v6
	v_cmp_gt_i64_e32 vcc_lo, s[20:21], v[1:2]
	s_bitcmp1_b32 s24, 0
	s_cselect_b32 s3, -1, 0
	s_delay_alu instid0(VALU_DEP_2) | instskip(NEXT) | instid1(VALU_DEP_1)
	v_cmp_eq_u32_e64 s2, 1, v3
	s_and_b32 vcc_lo, s2, vcc_lo
	v_cndmask_b32_e64 v3, s24, 1, s2
	v_cndmask_b32_e32 v7, s20, v1, vcc_lo
	v_cndmask_b32_e32 v4, s21, v2, vcc_lo
	s_delay_alu instid0(VALU_DEP_3) | instskip(NEXT) | instid1(VALU_DEP_3)
	v_cndmask_b32_e64 v5, v6, v3, s3
	v_cndmask_b32_e64 v3, v1, v7, s3
	s_delay_alu instid0(VALU_DEP_3)
	v_cndmask_b32_e64 v4, v2, v4, s3
.LBB846_180:
	s_or_b32 s26, s26, exec_lo
.LBB846_181:
	s_or_b32 exec_lo, exec_lo, s4
	s_branch .LBB846_200
.LBB846_182:
	s_cmp_eq_u32 s25, 1
	s_cbranch_scc0 .LBB846_199
; %bb.183:
	s_mov_b32 s5, 0
	s_lshr_b64 s[2:3], s[14:15], 8
	s_mov_b32 s11, s5
	s_lshl_b32 s4, s10, 8
	s_cmp_lg_u64 s[2:3], s[10:11]
	s_cbranch_scc0 .LBB846_203
; %bb.184:
	s_lshl_b64 s[2:3], s[4:5], 1
	v_lshlrev_b32_e32 v1, 1, v0
	s_add_u32 s6, s16, s2
	s_addc_u32 s7, s17, s3
	s_add_u32 s2, s18, s2
	s_addc_u32 s3, s19, s3
	s_clause 0x1
	global_load_u16 v2, v1, s[6:7]
	global_load_u16 v1, v1, s[2:3]
	s_add_u32 s2, s12, s4
	s_addc_u32 s3, s13, 0
	s_waitcnt vmcnt(0)
	v_cmp_ne_u16_e32 vcc_lo, v2, v1
	v_cndmask_b32_e64 v1, 0, 1, vcc_lo
	v_cndmask_b32_e64 v6, 0, 1, vcc_lo
	s_waitcnt lgkmcnt(2)
	s_delay_alu instid0(VALU_DEP_2) | instskip(SKIP_1) | instid1(VALU_DEP_1)
	v_mov_b32_dpp v5, v1 quad_perm:[1,0,3,2] row_mask:0xf bank_mask:0xf
	v_add_co_u32 v1, s2, s2, v0
	v_add_co_ci_u32_e64 v2, null, s3, 0, s2
	s_delay_alu instid0(VALU_DEP_3) | instskip(SKIP_1) | instid1(VALU_DEP_3)
	v_and_b32_e32 v7, 1, v5
	s_waitcnt lgkmcnt(1)
	v_mov_b32_dpp v3, v1 quad_perm:[1,0,3,2] row_mask:0xf bank_mask:0xf
	s_mov_b32 s3, exec_lo
	s_waitcnt lgkmcnt(0)
	v_mov_b32_dpp v4, v2 quad_perm:[1,0,3,2] row_mask:0xf bank_mask:0xf
	v_cmpx_eq_u32_e32 1, v7
; %bb.185:
	s_delay_alu instid0(VALU_DEP_2) | instskip(SKIP_1) | instid1(VALU_DEP_2)
	v_cmp_lt_i64_e64 s2, v[1:2], v[3:4]
	v_cndmask_b32_e64 v6, v5, 1, vcc_lo
	s_and_b32 vcc_lo, vcc_lo, s2
	v_dual_cndmask_b32 v2, v4, v2 :: v_dual_cndmask_b32 v1, v3, v1
; %bb.186:
	s_or_b32 exec_lo, exec_lo, s3
	s_delay_alu instid0(VALU_DEP_2) | instskip(SKIP_1) | instid1(VALU_DEP_3)
	v_and_b32_e32 v5, 0xff, v6
	v_and_b32_e32 v6, 1, v6
	v_mov_b32_dpp v3, v1 quad_perm:[2,3,0,1] row_mask:0xf bank_mask:0xf
	v_mov_b32_dpp v4, v2 quad_perm:[2,3,0,1] row_mask:0xf bank_mask:0xf
	s_mov_b32 s6, exec_lo
	v_mov_b32_dpp v7, v5 quad_perm:[2,3,0,1] row_mask:0xf bank_mask:0xf
	v_cmp_eq_u32_e64 s3, 1, v6
	s_delay_alu instid0(VALU_DEP_2) | instskip(NEXT) | instid1(VALU_DEP_1)
	v_and_b32_e32 v8, 1, v7
	v_cmpx_eq_u32_e32 1, v8
; %bb.187:
	s_delay_alu instid0(VALU_DEP_3) | instskip(SKIP_1) | instid1(VALU_DEP_2)
	v_cndmask_b32_e64 v5, v7, 1, s3
	v_cmp_lt_i64_e32 vcc_lo, v[1:2], v[3:4]
	v_and_b32_e32 v6, 1, v5
	v_and_b32_e32 v5, 0xff, v5
	s_and_b32 vcc_lo, s3, vcc_lo
	s_and_not1_b32 s3, s3, exec_lo
	v_dual_cndmask_b32 v2, v4, v2 :: v_dual_cndmask_b32 v1, v3, v1
	v_cmp_eq_u32_e64 s2, 1, v6
	s_delay_alu instid0(VALU_DEP_1) | instskip(NEXT) | instid1(SALU_CYCLE_1)
	s_and_b32 s2, s2, exec_lo
	s_or_b32 s3, s3, s2
; %bb.188:
	s_or_b32 exec_lo, exec_lo, s6
	v_mov_b32_dpp v6, v5 row_ror:4 row_mask:0xf bank_mask:0xf
	v_mov_b32_dpp v3, v1 row_ror:4 row_mask:0xf bank_mask:0xf
	v_mov_b32_dpp v4, v2 row_ror:4 row_mask:0xf bank_mask:0xf
	s_mov_b32 s6, exec_lo
	s_delay_alu instid0(VALU_DEP_3) | instskip(NEXT) | instid1(VALU_DEP_1)
	v_and_b32_e32 v7, 1, v6
	v_cmpx_eq_u32_e32 1, v7
; %bb.189:
	v_cndmask_b32_e64 v5, v6, 1, s3
	v_cmp_lt_i64_e32 vcc_lo, v[1:2], v[3:4]
	s_delay_alu instid0(VALU_DEP_2)
	v_and_b32_e32 v6, 1, v5
	v_and_b32_e32 v5, 0xff, v5
	s_and_b32 vcc_lo, s3, vcc_lo
	s_and_not1_b32 s3, s3, exec_lo
	v_dual_cndmask_b32 v2, v4, v2 :: v_dual_cndmask_b32 v1, v3, v1
	v_cmp_eq_u32_e64 s2, 1, v6
	s_delay_alu instid0(VALU_DEP_1) | instskip(NEXT) | instid1(SALU_CYCLE_1)
	s_and_b32 s2, s2, exec_lo
	s_or_b32 s3, s3, s2
; %bb.190:
	s_or_b32 exec_lo, exec_lo, s6
	v_mov_b32_dpp v6, v5 row_ror:8 row_mask:0xf bank_mask:0xf
	v_mov_b32_dpp v3, v1 row_ror:8 row_mask:0xf bank_mask:0xf
	;; [unrolled: 1-line block ×3, first 2 shown]
	s_mov_b32 s6, exec_lo
	s_delay_alu instid0(VALU_DEP_3) | instskip(NEXT) | instid1(VALU_DEP_1)
	v_and_b32_e32 v7, 1, v6
	v_cmpx_eq_u32_e32 1, v7
; %bb.191:
	v_cndmask_b32_e64 v5, v6, 1, s3
	v_cmp_lt_i64_e32 vcc_lo, v[1:2], v[3:4]
	s_delay_alu instid0(VALU_DEP_2)
	v_and_b32_e32 v6, 1, v5
	v_and_b32_e32 v5, 0xff, v5
	s_and_b32 vcc_lo, s3, vcc_lo
	s_and_not1_b32 s3, s3, exec_lo
	v_dual_cndmask_b32 v2, v4, v2 :: v_dual_cndmask_b32 v1, v3, v1
	v_cmp_eq_u32_e64 s2, 1, v6
	s_delay_alu instid0(VALU_DEP_1) | instskip(NEXT) | instid1(SALU_CYCLE_1)
	s_and_b32 s2, s2, exec_lo
	s_or_b32 s3, s3, s2
; %bb.192:
	s_or_b32 exec_lo, exec_lo, s6
	ds_swizzle_b32 v6, v5 offset:swizzle(BROADCAST,32,15)
	ds_swizzle_b32 v3, v1 offset:swizzle(BROADCAST,32,15)
	;; [unrolled: 1-line block ×3, first 2 shown]
	s_mov_b32 s2, exec_lo
	s_waitcnt lgkmcnt(2)
	v_and_b32_e32 v7, 1, v6
	s_delay_alu instid0(VALU_DEP_1)
	v_cmpx_eq_u32_e32 1, v7
	s_cbranch_execz .LBB846_194
; %bb.193:
	s_waitcnt lgkmcnt(0)
	v_cmp_lt_i64_e32 vcc_lo, v[1:2], v[3:4]
	v_and_b32_e32 v5, 0xff, v6
	s_delay_alu instid0(VALU_DEP_1)
	v_cndmask_b32_e64 v5, v5, 1, s3
	s_and_b32 vcc_lo, s3, vcc_lo
	v_dual_cndmask_b32 v1, v3, v1 :: v_dual_cndmask_b32 v2, v4, v2
.LBB846_194:
	s_or_b32 exec_lo, exec_lo, s2
	s_waitcnt lgkmcnt(1)
	v_mov_b32_e32 v3, 0
	s_mov_b32 s2, exec_lo
	ds_bpermute_b32 v6, v3, v5 offset:124
	ds_bpermute_b32 v1, v3, v1 offset:124
	;; [unrolled: 1-line block ×3, first 2 shown]
	v_mbcnt_lo_u32_b32 v3, -1, 0
	s_delay_alu instid0(VALU_DEP_1)
	v_cmpx_eq_u32_e32 0, v3
	s_cbranch_execz .LBB846_196
; %bb.195:
	s_waitcnt lgkmcnt(3)
	v_lshrrev_b32_e32 v4, 1, v0
	s_delay_alu instid0(VALU_DEP_1)
	v_and_b32_e32 v4, 0x70, v4
	s_waitcnt lgkmcnt(2)
	ds_store_b8 v4, v6
	s_waitcnt lgkmcnt(1)
	ds_store_b64 v4, v[1:2] offset:8
.LBB846_196:
	s_or_b32 exec_lo, exec_lo, s2
	s_delay_alu instid0(SALU_CYCLE_1)
	s_mov_b32 s6, exec_lo
	s_waitcnt lgkmcnt(0)
	s_barrier
	buffer_gl0_inv
	v_cmpx_gt_u32_e32 32, v0
	s_cbranch_execz .LBB846_198
; %bb.197:
	v_and_b32_e32 v6, 7, v3
	s_delay_alu instid0(VALU_DEP_1)
	v_lshlrev_b32_e32 v1, 4, v6
	v_cmp_ne_u32_e32 vcc_lo, 7, v6
	ds_load_u8 v7, v1
	ds_load_b64 v[1:2], v1 offset:8
	v_add_co_ci_u32_e32 v4, vcc_lo, 0, v3, vcc_lo
	v_cmp_gt_u32_e32 vcc_lo, 6, v6
	s_delay_alu instid0(VALU_DEP_2)
	v_lshlrev_b32_e32 v5, 2, v4
	v_cndmask_b32_e64 v10, 0, 1, vcc_lo
	s_waitcnt lgkmcnt(1)
	v_and_b32_e32 v4, 0xff, v7
	v_and_b32_e32 v11, 1, v7
	ds_bpermute_b32 v8, v5, v4
	s_waitcnt lgkmcnt(1)
	ds_bpermute_b32 v4, v5, v1
	ds_bpermute_b32 v5, v5, v2
	v_cmp_eq_u32_e64 s3, 1, v11
	s_waitcnt lgkmcnt(2)
	v_and_b32_e32 v9, 1, v8
	s_waitcnt lgkmcnt(0)
	v_cmp_lt_i64_e64 s2, v[4:5], v[1:2]
	s_delay_alu instid0(VALU_DEP_2) | instskip(SKIP_2) | instid1(VALU_DEP_4)
	v_cmp_eq_u32_e32 vcc_lo, 1, v9
	v_lshlrev_b32_e32 v9, 1, v10
	v_cndmask_b32_e64 v7, v7, 1, vcc_lo
	s_and_b32 vcc_lo, vcc_lo, s2
	v_dual_cndmask_b32 v1, v1, v4 :: v_dual_cndmask_b32 v2, v2, v5
	s_delay_alu instid0(VALU_DEP_2) | instskip(SKIP_2) | instid1(VALU_DEP_4)
	v_cndmask_b32_e64 v7, v8, v7, s3
	v_add_lshl_u32 v8, v9, v3, 2
	v_cmp_gt_u32_e32 vcc_lo, 4, v6
	v_cndmask_b32_e64 v1, v4, v1, s3
	v_cndmask_b32_e64 v2, v5, v2, s3
	v_and_b32_e32 v9, 0xff, v7
	v_and_b32_e32 v10, 1, v7
	v_cndmask_b32_e64 v6, 0, 1, vcc_lo
	ds_bpermute_b32 v4, v8, v1
	ds_bpermute_b32 v5, v8, v2
	;; [unrolled: 1-line block ×3, first 2 shown]
	v_cmp_eq_u32_e64 s3, 1, v10
	s_waitcnt lgkmcnt(1)
	v_cmp_lt_i64_e64 s2, v[4:5], v[1:2]
	s_waitcnt lgkmcnt(0)
	v_and_b32_e32 v8, 1, v9
	s_delay_alu instid0(VALU_DEP_1) | instskip(SKIP_1) | instid1(VALU_DEP_4)
	v_cmp_eq_u32_e32 vcc_lo, 1, v8
	v_cndmask_b32_e64 v7, v7, 1, vcc_lo
	s_and_b32 vcc_lo, vcc_lo, s2
	v_dual_cndmask_b32 v1, v1, v4 :: v_dual_cndmask_b32 v2, v2, v5
	s_delay_alu instid0(VALU_DEP_2) | instskip(NEXT) | instid1(VALU_DEP_2)
	v_cndmask_b32_e64 v7, v9, v7, s3
	v_cndmask_b32_e64 v1, v4, v1, s3
	v_lshlrev_b32_e32 v6, 2, v6
	s_delay_alu instid0(VALU_DEP_4) | instskip(NEXT) | instid1(VALU_DEP_2)
	v_cndmask_b32_e64 v2, v5, v2, s3
	v_add_lshl_u32 v6, v6, v3, 2
	v_and_b32_e32 v3, 0xff, v7
	ds_bpermute_b32 v4, v6, v2
	ds_bpermute_b32 v5, v6, v3
	;; [unrolled: 1-line block ×3, first 2 shown]
	s_waitcnt lgkmcnt(1)
	v_and_b32_e32 v6, 1, v5
	s_waitcnt lgkmcnt(0)
	v_cmp_lt_i64_e32 vcc_lo, v[3:4], v[1:2]
	s_delay_alu instid0(VALU_DEP_2) | instskip(SKIP_1) | instid1(VALU_DEP_2)
	v_cmp_eq_u32_e64 s2, 1, v6
	v_and_b32_e32 v6, 1, v7
	v_cndmask_b32_e64 v7, v7, 1, s2
	s_and_b32 vcc_lo, s2, vcc_lo
	s_delay_alu instid0(VALU_DEP_2) | instskip(SKIP_1) | instid1(VALU_DEP_2)
	v_cmp_eq_u32_e64 s2, 1, v6
	v_dual_cndmask_b32 v1, v1, v3 :: v_dual_cndmask_b32 v2, v2, v4
	v_cndmask_b32_e64 v5, v5, v7, s2
	s_delay_alu instid0(VALU_DEP_2) | instskip(NEXT) | instid1(VALU_DEP_3)
	v_cndmask_b32_e64 v1, v3, v1, s2
	v_cndmask_b32_e64 v2, v4, v2, s2
	s_delay_alu instid0(VALU_DEP_3)
	v_and_b32_e32 v6, 0xff, v5
.LBB846_198:
	s_or_b32 exec_lo, exec_lo, s6
	s_branch .LBB846_227
.LBB846_199:
                                        ; implicit-def: $vgpr3_vgpr4
                                        ; implicit-def: $vgpr5
                                        ; implicit-def: $sgpr10_sgpr11
.LBB846_200:
	s_and_saveexec_b32 s2, s26
	s_cbranch_execz .LBB846_202
.LBB846_201:
	s_load_b64 s[0:1], s[0:1], 0x38
	s_lshl_b64 s[2:3], s[10:11], 4
	v_mov_b32_e32 v0, 0
	s_waitcnt lgkmcnt(0)
	s_add_u32 s0, s0, s2
	s_addc_u32 s1, s1, s3
	s_clause 0x1
	global_store_b8 v0, v5, s[0:1]
	global_store_b64 v0, v[3:4], s[0:1] offset:8
.LBB846_202:
	s_nop 0
	s_sendmsg sendmsg(MSG_DEALLOC_VGPRS)
	s_endpgm
.LBB846_203:
                                        ; implicit-def: $vgpr1_vgpr2
                                        ; implicit-def: $vgpr6
	s_cbranch_execz .LBB846_227
; %bb.204:
	v_mov_b32_e32 v1, 0
	v_dual_mov_b32 v2, 0 :: v_dual_mov_b32 v7, 0
	s_sub_i32 s2, s14, s4
	s_mov_b32 s3, exec_lo
	v_cmpx_gt_u32_e64 s2, v0
	s_cbranch_execz .LBB846_206
; %bb.205:
	s_lshl_b64 s[6:7], s[4:5], 1
	v_lshlrev_b32_e32 v1, 1, v0
	s_add_u32 s8, s18, s6
	s_addc_u32 s9, s19, s7
	s_add_u32 s6, s16, s6
	s_addc_u32 s7, s17, s7
	s_add_u32 s4, s12, s4
	s_waitcnt lgkmcnt(1)
	global_load_u16 v3, v1, s[6:7]
	s_waitcnt lgkmcnt(0)
	global_load_u16 v4, v1, s[8:9]
	s_addc_u32 s5, s13, 0
	v_add_co_u32 v1, s4, s4, v0
	s_delay_alu instid0(VALU_DEP_1)
	v_add_co_ci_u32_e64 v2, null, s5, 0, s4
	s_waitcnt vmcnt(0)
	v_cmp_ne_u16_e32 vcc_lo, v3, v4
	v_cndmask_b32_e64 v7, 0, 1, vcc_lo
.LBB846_206:
	s_or_b32 exec_lo, exec_lo, s3
	s_waitcnt lgkmcnt(2)
	v_mbcnt_lo_u32_b32 v5, -1, 0
	s_delay_alu instid0(VALU_DEP_2)
	v_and_b32_e32 v6, 0xffff, v7
	v_and_b32_e32 v8, 0xe0, v0
	s_min_u32 s3, s2, 0x100
	s_mov_b32 s4, exec_lo
	v_cmp_ne_u32_e32 vcc_lo, 31, v5
	v_add_nc_u32_e32 v10, 1, v5
	v_sub_nc_u32_e64 v8, s3, v8 clamp
	s_waitcnt lgkmcnt(1)
	v_add_co_ci_u32_e32 v3, vcc_lo, 0, v5, vcc_lo
	s_waitcnt lgkmcnt(0)
	s_delay_alu instid0(VALU_DEP_1)
	v_lshlrev_b32_e32 v4, 2, v3
	ds_bpermute_b32 v9, v4, v6
	ds_bpermute_b32 v3, v4, v1
	ds_bpermute_b32 v4, v4, v2
	v_cmpx_lt_u32_e64 v10, v8
	s_cbranch_execz .LBB846_208
; %bb.207:
	s_waitcnt lgkmcnt(2)
	v_and_b32_e32 v6, 1, v9
	s_waitcnt lgkmcnt(0)
	v_cmp_lt_i64_e32 vcc_lo, v[3:4], v[1:2]
	s_delay_alu instid0(VALU_DEP_2) | instskip(SKIP_1) | instid1(VALU_DEP_2)
	v_cmp_eq_u32_e64 s2, 1, v6
	v_and_b32_e32 v6, 1, v7
	v_cndmask_b32_e64 v7, v7, 1, s2
	s_and_b32 vcc_lo, s2, vcc_lo
	s_delay_alu instid0(VALU_DEP_2) | instskip(SKIP_1) | instid1(VALU_DEP_2)
	v_cmp_eq_u32_e64 s2, 1, v6
	v_dual_cndmask_b32 v1, v1, v3 :: v_dual_cndmask_b32 v2, v2, v4
	v_cndmask_b32_e64 v7, v9, v7, s2
	s_delay_alu instid0(VALU_DEP_2) | instskip(NEXT) | instid1(VALU_DEP_3)
	v_cndmask_b32_e64 v1, v3, v1, s2
	v_cndmask_b32_e64 v2, v4, v2, s2
	s_delay_alu instid0(VALU_DEP_3)
	v_and_b32_e32 v6, 0xff, v7
.LBB846_208:
	s_or_b32 exec_lo, exec_lo, s4
	v_cmp_gt_u32_e32 vcc_lo, 30, v5
	v_add_nc_u32_e32 v10, 2, v5
	s_mov_b32 s4, exec_lo
	s_waitcnt lgkmcnt(1)
	v_cndmask_b32_e64 v3, 0, 1, vcc_lo
	s_delay_alu instid0(VALU_DEP_1) | instskip(SKIP_1) | instid1(VALU_DEP_1)
	v_lshlrev_b32_e32 v3, 1, v3
	s_waitcnt lgkmcnt(0)
	v_add_lshl_u32 v4, v3, v5, 2
	ds_bpermute_b32 v9, v4, v6
	ds_bpermute_b32 v3, v4, v1
	ds_bpermute_b32 v4, v4, v2
	v_cmpx_lt_u32_e64 v10, v8
	s_cbranch_execz .LBB846_210
; %bb.209:
	s_waitcnt lgkmcnt(2)
	v_and_b32_e32 v6, 1, v9
	s_waitcnt lgkmcnt(0)
	v_cmp_lt_i64_e32 vcc_lo, v[3:4], v[1:2]
	s_delay_alu instid0(VALU_DEP_2) | instskip(SKIP_1) | instid1(VALU_DEP_2)
	v_cmp_eq_u32_e64 s2, 1, v6
	v_and_b32_e32 v6, 1, v7
	v_cndmask_b32_e64 v7, v7, 1, s2
	s_and_b32 vcc_lo, s2, vcc_lo
	s_delay_alu instid0(VALU_DEP_2) | instskip(SKIP_1) | instid1(VALU_DEP_2)
	v_cmp_eq_u32_e64 s2, 1, v6
	v_dual_cndmask_b32 v1, v1, v3 :: v_dual_cndmask_b32 v2, v2, v4
	v_cndmask_b32_e64 v7, v9, v7, s2
	s_delay_alu instid0(VALU_DEP_2) | instskip(NEXT) | instid1(VALU_DEP_3)
	v_cndmask_b32_e64 v1, v3, v1, s2
	v_cndmask_b32_e64 v2, v4, v2, s2
	s_delay_alu instid0(VALU_DEP_3)
	v_and_b32_e32 v6, 0xff, v7
.LBB846_210:
	s_or_b32 exec_lo, exec_lo, s4
	v_cmp_gt_u32_e32 vcc_lo, 28, v5
	v_add_nc_u32_e32 v10, 4, v5
	s_mov_b32 s4, exec_lo
	s_waitcnt lgkmcnt(1)
	v_cndmask_b32_e64 v3, 0, 1, vcc_lo
	s_delay_alu instid0(VALU_DEP_1) | instskip(SKIP_1) | instid1(VALU_DEP_1)
	v_lshlrev_b32_e32 v3, 2, v3
	s_waitcnt lgkmcnt(0)
	v_add_lshl_u32 v4, v3, v5, 2
	;; [unrolled: 35-line block ×4, first 2 shown]
	ds_bpermute_b32 v9, v4, v6
	ds_bpermute_b32 v3, v4, v1
	;; [unrolled: 1-line block ×3, first 2 shown]
	v_cmpx_lt_u32_e64 v10, v8
	s_cbranch_execz .LBB846_216
; %bb.215:
	s_waitcnt lgkmcnt(2)
	v_and_b32_e32 v6, 1, v9
	s_waitcnt lgkmcnt(0)
	v_cmp_lt_i64_e32 vcc_lo, v[3:4], v[1:2]
	s_delay_alu instid0(VALU_DEP_2) | instskip(SKIP_1) | instid1(VALU_DEP_2)
	v_cmp_eq_u32_e64 s2, 1, v6
	v_and_b32_e32 v6, 1, v7
	v_cndmask_b32_e64 v7, v7, 1, s2
	s_and_b32 vcc_lo, s2, vcc_lo
	s_delay_alu instid0(VALU_DEP_2) | instskip(SKIP_1) | instid1(VALU_DEP_2)
	v_cmp_eq_u32_e64 s2, 1, v6
	v_dual_cndmask_b32 v1, v1, v3 :: v_dual_cndmask_b32 v2, v2, v4
	v_cndmask_b32_e64 v7, v9, v7, s2
	s_delay_alu instid0(VALU_DEP_2) | instskip(NEXT) | instid1(VALU_DEP_3)
	v_cndmask_b32_e64 v1, v3, v1, s2
	v_cndmask_b32_e64 v2, v4, v2, s2
	s_delay_alu instid0(VALU_DEP_3)
	v_and_b32_e32 v6, 0xff, v7
.LBB846_216:
	s_or_b32 exec_lo, exec_lo, s4
	s_delay_alu instid0(SALU_CYCLE_1)
	s_mov_b32 s2, exec_lo
	v_cmpx_eq_u32_e32 0, v5
	s_cbranch_execz .LBB846_218
; %bb.217:
	s_waitcnt lgkmcnt(1)
	v_lshrrev_b32_e32 v3, 1, v0
	s_delay_alu instid0(VALU_DEP_1)
	v_and_b32_e32 v3, 0x70, v3
	ds_store_b8 v3, v7 offset:512
	ds_store_b64 v3, v[1:2] offset:520
.LBB846_218:
	s_or_b32 exec_lo, exec_lo, s2
	s_delay_alu instid0(SALU_CYCLE_1)
	s_mov_b32 s4, exec_lo
	s_waitcnt lgkmcnt(0)
	s_barrier
	buffer_gl0_inv
	v_cmpx_gt_u32_e32 8, v0
	s_cbranch_execz .LBB846_226
; %bb.219:
	v_lshlrev_b32_e32 v1, 4, v5
	v_and_b32_e32 v8, 7, v5
	s_add_i32 s3, s3, 31
	s_mov_b32 s5, exec_lo
	s_lshr_b32 s3, s3, 5
	ds_load_u8 v7, v1 offset:512
	ds_load_b64 v[1:2], v1 offset:520
	v_cmp_ne_u32_e32 vcc_lo, 7, v8
	v_add_nc_u32_e32 v10, 1, v8
	v_add_co_ci_u32_e32 v3, vcc_lo, 0, v5, vcc_lo
	s_delay_alu instid0(VALU_DEP_1)
	v_lshlrev_b32_e32 v4, 2, v3
	s_waitcnt lgkmcnt(1)
	v_and_b32_e32 v6, 0xff, v7
	s_waitcnt lgkmcnt(0)
	ds_bpermute_b32 v3, v4, v1
	ds_bpermute_b32 v9, v4, v6
	;; [unrolled: 1-line block ×3, first 2 shown]
	v_cmpx_gt_u32_e64 s3, v10
	s_cbranch_execz .LBB846_221
; %bb.220:
	s_waitcnt lgkmcnt(1)
	v_and_b32_e32 v6, 1, v9
	s_waitcnt lgkmcnt(0)
	v_cmp_lt_i64_e32 vcc_lo, v[3:4], v[1:2]
	s_delay_alu instid0(VALU_DEP_2) | instskip(SKIP_1) | instid1(VALU_DEP_2)
	v_cmp_eq_u32_e64 s2, 1, v6
	v_and_b32_e32 v6, 1, v7
	v_cndmask_b32_e64 v7, v7, 1, s2
	s_and_b32 vcc_lo, s2, vcc_lo
	s_delay_alu instid0(VALU_DEP_2) | instskip(SKIP_1) | instid1(VALU_DEP_2)
	v_cmp_eq_u32_e64 s2, 1, v6
	v_dual_cndmask_b32 v1, v1, v3 :: v_dual_cndmask_b32 v2, v2, v4
	v_cndmask_b32_e64 v7, v9, v7, s2
	s_delay_alu instid0(VALU_DEP_2) | instskip(NEXT) | instid1(VALU_DEP_3)
	v_cndmask_b32_e64 v1, v3, v1, s2
	v_cndmask_b32_e64 v2, v4, v2, s2
	s_delay_alu instid0(VALU_DEP_3)
	v_and_b32_e32 v6, 0xff, v7
.LBB846_221:
	s_or_b32 exec_lo, exec_lo, s5
	v_cmp_gt_u32_e32 vcc_lo, 6, v8
	v_add_nc_u32_e32 v10, 2, v8
	s_mov_b32 s5, exec_lo
	s_waitcnt lgkmcnt(2)
	v_cndmask_b32_e64 v3, 0, 1, vcc_lo
	s_delay_alu instid0(VALU_DEP_1) | instskip(SKIP_1) | instid1(VALU_DEP_1)
	v_lshlrev_b32_e32 v3, 1, v3
	s_waitcnt lgkmcnt(0)
	v_add_lshl_u32 v4, v3, v5, 2
	ds_bpermute_b32 v9, v4, v6
	ds_bpermute_b32 v3, v4, v1
	;; [unrolled: 1-line block ×3, first 2 shown]
	v_cmpx_gt_u32_e64 s3, v10
	s_cbranch_execz .LBB846_223
; %bb.222:
	s_waitcnt lgkmcnt(2)
	v_and_b32_e32 v6, 1, v9
	s_waitcnt lgkmcnt(0)
	v_cmp_lt_i64_e32 vcc_lo, v[3:4], v[1:2]
	s_delay_alu instid0(VALU_DEP_2) | instskip(SKIP_1) | instid1(VALU_DEP_2)
	v_cmp_eq_u32_e64 s2, 1, v6
	v_and_b32_e32 v6, 1, v7
	v_cndmask_b32_e64 v7, v7, 1, s2
	s_and_b32 vcc_lo, s2, vcc_lo
	s_delay_alu instid0(VALU_DEP_2) | instskip(SKIP_1) | instid1(VALU_DEP_2)
	v_cmp_eq_u32_e64 s2, 1, v6
	v_dual_cndmask_b32 v1, v1, v3 :: v_dual_cndmask_b32 v2, v2, v4
	v_cndmask_b32_e64 v7, v9, v7, s2
	s_delay_alu instid0(VALU_DEP_2) | instskip(NEXT) | instid1(VALU_DEP_3)
	v_cndmask_b32_e64 v1, v3, v1, s2
	v_cndmask_b32_e64 v2, v4, v2, s2
	s_delay_alu instid0(VALU_DEP_3)
	v_and_b32_e32 v6, 0xff, v7
.LBB846_223:
	s_or_b32 exec_lo, exec_lo, s5
	v_cmp_gt_u32_e32 vcc_lo, 4, v8
	v_add_nc_u32_e32 v8, 4, v8
	s_waitcnt lgkmcnt(1)
	v_cndmask_b32_e64 v3, 0, 1, vcc_lo
	s_delay_alu instid0(VALU_DEP_2) | instskip(NEXT) | instid1(VALU_DEP_2)
	v_cmp_gt_u32_e32 vcc_lo, s3, v8
	v_lshlrev_b32_e32 v3, 2, v3
	s_waitcnt lgkmcnt(0)
	s_delay_alu instid0(VALU_DEP_1)
	v_add_lshl_u32 v4, v3, v5, 2
	ds_bpermute_b32 v5, v4, v6
	ds_bpermute_b32 v3, v4, v1
	ds_bpermute_b32 v4, v4, v2
	s_and_saveexec_b32 s3, vcc_lo
	s_cbranch_execz .LBB846_225
; %bb.224:
	s_waitcnt lgkmcnt(2)
	v_and_b32_e32 v6, 1, v5
	s_waitcnt lgkmcnt(0)
	v_cmp_lt_i64_e32 vcc_lo, v[3:4], v[1:2]
	s_delay_alu instid0(VALU_DEP_2) | instskip(SKIP_1) | instid1(VALU_DEP_2)
	v_cmp_eq_u32_e64 s2, 1, v6
	v_and_b32_e32 v6, 1, v7
	v_cndmask_b32_e64 v7, v7, 1, s2
	s_and_b32 vcc_lo, s2, vcc_lo
	s_delay_alu instid0(VALU_DEP_2) | instskip(SKIP_1) | instid1(VALU_DEP_2)
	v_cmp_eq_u32_e64 s2, 1, v6
	v_dual_cndmask_b32 v1, v1, v3 :: v_dual_cndmask_b32 v2, v2, v4
	v_cndmask_b32_e64 v5, v5, v7, s2
	s_delay_alu instid0(VALU_DEP_2) | instskip(NEXT) | instid1(VALU_DEP_3)
	v_cndmask_b32_e64 v1, v3, v1, s2
	v_cndmask_b32_e64 v2, v4, v2, s2
	s_delay_alu instid0(VALU_DEP_3)
	v_and_b32_e32 v6, 0xff, v5
.LBB846_225:
	s_or_b32 exec_lo, exec_lo, s3
.LBB846_226:
	s_delay_alu instid0(SALU_CYCLE_1)
	s_or_b32 exec_lo, exec_lo, s4
.LBB846_227:
	s_delay_alu instid0(SALU_CYCLE_1)
	s_mov_b32 s4, exec_lo
                                        ; implicit-def: $vgpr3_vgpr4
                                        ; implicit-def: $vgpr5
	v_cmpx_eq_u32_e32 0, v0
	s_cbranch_execz .LBB846_231
; %bb.228:
	s_waitcnt lgkmcnt(0)
	v_dual_mov_b32 v3, s20 :: v_dual_mov_b32 v4, s21
	v_mov_b32_e32 v5, s24
	s_cmp_eq_u64 s[14:15], 0
	s_cbranch_scc1 .LBB846_230
; %bb.229:
	v_and_b32_e32 v0, 1, v6
	v_cmp_gt_i64_e32 vcc_lo, s[20:21], v[1:2]
	s_bitcmp1_b32 s24, 0
	s_cselect_b32 s3, -1, 0
	s_delay_alu instid0(VALU_DEP_2) | instskip(NEXT) | instid1(VALU_DEP_1)
	v_cmp_eq_u32_e64 s2, 1, v0
	s_and_b32 vcc_lo, s2, vcc_lo
	v_cndmask_b32_e64 v0, s24, 1, s2
	v_cndmask_b32_e32 v3, s20, v1, vcc_lo
	v_cndmask_b32_e32 v4, s21, v2, vcc_lo
	s_delay_alu instid0(VALU_DEP_3) | instskip(NEXT) | instid1(VALU_DEP_3)
	v_cndmask_b32_e64 v5, v6, v0, s3
	v_cndmask_b32_e64 v3, v1, v3, s3
	s_delay_alu instid0(VALU_DEP_3)
	v_cndmask_b32_e64 v4, v2, v4, s3
.LBB846_230:
	s_or_b32 s26, s26, exec_lo
.LBB846_231:
	s_or_b32 exec_lo, exec_lo, s4
	s_and_saveexec_b32 s2, s26
	s_cbranch_execnz .LBB846_201
	s_branch .LBB846_202
.LBB846_232:
	v_lshlrev_b32_e32 v3, 1, v0
	s_clause 0x1
	global_load_u16 v18, v3, s[8:9] offset:3584
	global_load_u16 v26, v3, s[22:23] offset:3584
	v_add_co_u32 v3, s8, s26, v25
	s_delay_alu instid0(VALU_DEP_1) | instskip(SKIP_2) | instid1(VALU_DEP_1)
	v_add_co_ci_u32_e64 v4, null, s28, 0, s8
	s_waitcnt vmcnt(0)
	v_cmp_ne_u16_e64 s8, v18, v26
	v_cndmask_b32_e64 v18, 0, 1, s8
	s_or_b32 exec_lo, exec_lo, s30
	s_and_saveexec_b32 s9, s7
	s_cbranch_execz .LBB846_57
.LBB846_233:
	v_and_b32_e32 v25, 1, v21
	v_cmp_lt_i64_e64 s7, v[9:10], v[1:2]
	s_delay_alu instid0(VALU_DEP_2) | instskip(SKIP_1) | instid1(VALU_DEP_2)
	v_cmp_eq_u32_e64 s8, 1, v25
	v_and_b32_e32 v25, 1, v17
	s_and_b32 s7, s8, s7
	v_cndmask_b32_e64 v17, v17, 1, s8
	v_cndmask_b32_e64 v1, v1, v9, s7
	;; [unrolled: 1-line block ×3, first 2 shown]
	v_cmp_eq_u32_e64 s7, 1, v25
	s_delay_alu instid0(VALU_DEP_1) | instskip(NEXT) | instid1(VALU_DEP_3)
	v_cndmask_b32_e64 v17, v21, v17, s7
	v_cndmask_b32_e64 v2, v10, v2, s7
	;; [unrolled: 1-line block ×3, first 2 shown]
	s_or_b32 exec_lo, exec_lo, s9
	s_and_saveexec_b32 s8, s6
	s_cbranch_execz .LBB846_58
.LBB846_234:
	v_and_b32_e32 v9, 1, v24
	v_cmp_lt_i64_e64 s6, v[15:16], v[1:2]
	s_delay_alu instid0(VALU_DEP_2) | instskip(SKIP_1) | instid1(VALU_DEP_2)
	v_cmp_eq_u32_e64 s7, 1, v9
	v_and_b32_e32 v9, 1, v17
	s_and_b32 s6, s7, s6
	v_cndmask_b32_e64 v10, v17, 1, s7
	v_cndmask_b32_e64 v1, v1, v15, s6
	;; [unrolled: 1-line block ×3, first 2 shown]
	v_cmp_eq_u32_e64 s6, 1, v9
	s_delay_alu instid0(VALU_DEP_1) | instskip(NEXT) | instid1(VALU_DEP_3)
	v_cndmask_b32_e64 v17, v24, v10, s6
	v_cndmask_b32_e64 v2, v16, v2, s6
	;; [unrolled: 1-line block ×3, first 2 shown]
	s_or_b32 exec_lo, exec_lo, s8
	s_and_saveexec_b32 s7, s5
	s_cbranch_execz .LBB846_59
.LBB846_235:
	v_and_b32_e32 v9, 1, v20
	v_cmp_lt_i64_e64 s5, v[7:8], v[1:2]
	s_delay_alu instid0(VALU_DEP_2) | instskip(SKIP_1) | instid1(VALU_DEP_2)
	v_cmp_eq_u32_e64 s6, 1, v9
	v_and_b32_e32 v9, 1, v17
	s_and_b32 s5, s6, s5
	v_cndmask_b32_e64 v10, v17, 1, s6
	v_cndmask_b32_e64 v1, v1, v7, s5
	;; [unrolled: 1-line block ×3, first 2 shown]
	v_cmp_eq_u32_e64 s5, 1, v9
	s_delay_alu instid0(VALU_DEP_1) | instskip(NEXT) | instid1(VALU_DEP_3)
	v_cndmask_b32_e64 v17, v20, v10, s5
	v_cndmask_b32_e64 v2, v8, v2, s5
	v_cndmask_b32_e64 v1, v7, v1, s5
	s_or_b32 exec_lo, exec_lo, s7
	s_and_saveexec_b32 s6, s4
	s_cbranch_execz .LBB846_60
.LBB846_236:
	v_and_b32_e32 v7, 1, v23
	v_cmp_lt_i64_e64 s4, v[13:14], v[1:2]
	s_delay_alu instid0(VALU_DEP_2) | instskip(SKIP_1) | instid1(VALU_DEP_2)
	v_cmp_eq_u32_e64 s5, 1, v7
	v_and_b32_e32 v7, 1, v17
	s_and_b32 s4, s5, s4
	v_cndmask_b32_e64 v8, v17, 1, s5
	v_cndmask_b32_e64 v1, v1, v13, s4
	;; [unrolled: 1-line block ×3, first 2 shown]
	v_cmp_eq_u32_e64 s4, 1, v7
	s_delay_alu instid0(VALU_DEP_1) | instskip(NEXT) | instid1(VALU_DEP_3)
	v_cndmask_b32_e64 v17, v23, v8, s4
	v_cndmask_b32_e64 v2, v14, v2, s4
	;; [unrolled: 1-line block ×3, first 2 shown]
	s_or_b32 exec_lo, exec_lo, s6
	s_and_saveexec_b32 s5, s3
	s_cbranch_execz .LBB846_61
.LBB846_237:
	v_and_b32_e32 v7, 1, v19
	v_cmp_lt_i64_e64 s3, v[5:6], v[1:2]
	s_delay_alu instid0(VALU_DEP_2) | instskip(SKIP_1) | instid1(VALU_DEP_2)
	v_cmp_eq_u32_e64 s4, 1, v7
	v_and_b32_e32 v7, 1, v17
	s_and_b32 s3, s4, s3
	v_cndmask_b32_e64 v8, v17, 1, s4
	v_cndmask_b32_e64 v1, v1, v5, s3
	;; [unrolled: 1-line block ×3, first 2 shown]
	v_cmp_eq_u32_e64 s3, 1, v7
	s_delay_alu instid0(VALU_DEP_1) | instskip(NEXT) | instid1(VALU_DEP_3)
	v_cndmask_b32_e64 v17, v19, v8, s3
	v_cndmask_b32_e64 v2, v6, v2, s3
	;; [unrolled: 1-line block ×3, first 2 shown]
	s_or_b32 exec_lo, exec_lo, s5
	s_and_saveexec_b32 s4, s2
	s_cbranch_execz .LBB846_62
.LBB846_238:
	v_and_b32_e32 v5, 1, v22
	v_cmp_lt_i64_e64 s2, v[11:12], v[1:2]
	s_delay_alu instid0(VALU_DEP_2) | instskip(SKIP_1) | instid1(VALU_DEP_2)
	v_cmp_eq_u32_e64 s3, 1, v5
	v_and_b32_e32 v5, 1, v17
	s_and_b32 s2, s3, s2
	v_cndmask_b32_e64 v6, v17, 1, s3
	v_cndmask_b32_e64 v1, v1, v11, s2
	;; [unrolled: 1-line block ×3, first 2 shown]
	v_cmp_eq_u32_e64 s2, 1, v5
	s_delay_alu instid0(VALU_DEP_1) | instskip(NEXT) | instid1(VALU_DEP_3)
	v_cndmask_b32_e64 v17, v22, v6, s2
	v_cndmask_b32_e64 v2, v12, v2, s2
	;; [unrolled: 1-line block ×3, first 2 shown]
	s_or_b32 exec_lo, exec_lo, s4
	s_and_saveexec_b32 s3, vcc_lo
	s_cbranch_execnz .LBB846_63
	s_branch .LBB846_64
.LBB846_239:
	v_lshlrev_b32_e32 v3, 1, v0
	s_clause 0x1
	global_load_u16 v10, v3, s[6:7] offset:1536
	global_load_u16 v14, v3, s[8:9] offset:1536
	v_add_co_u32 v3, s4, s5, v13
	s_delay_alu instid0(VALU_DEP_1) | instskip(SKIP_2) | instid1(VALU_DEP_1)
	v_add_co_ci_u32_e64 v4, null, s23, 0, s4
	s_waitcnt vmcnt(0)
	v_cmp_ne_u16_e64 s4, v10, v14
	v_cndmask_b32_e64 v10, 0, 1, s4
	s_or_b32 exec_lo, exec_lo, s27
	s_and_saveexec_b32 s5, s3
	s_cbranch_execz .LBB846_100
.LBB846_240:
	v_and_b32_e32 v13, 1, v11
	v_cmp_lt_i64_e64 s3, v[5:6], v[1:2]
	s_delay_alu instid0(VALU_DEP_2) | instskip(SKIP_1) | instid1(VALU_DEP_2)
	v_cmp_eq_u32_e64 s4, 1, v13
	v_and_b32_e32 v13, 1, v9
	s_and_b32 s3, s4, s3
	v_cndmask_b32_e64 v9, v9, 1, s4
	v_cndmask_b32_e64 v1, v1, v5, s3
	;; [unrolled: 1-line block ×3, first 2 shown]
	v_cmp_eq_u32_e64 s3, 1, v13
	s_delay_alu instid0(VALU_DEP_1) | instskip(NEXT) | instid1(VALU_DEP_3)
	v_cndmask_b32_e64 v9, v11, v9, s3
	v_cndmask_b32_e64 v2, v6, v2, s3
	;; [unrolled: 1-line block ×3, first 2 shown]
	s_or_b32 exec_lo, exec_lo, s5
	s_and_saveexec_b32 s4, s2
	s_cbranch_execz .LBB846_101
.LBB846_241:
	v_and_b32_e32 v5, 1, v12
	v_cmp_lt_i64_e64 s2, v[7:8], v[1:2]
	s_delay_alu instid0(VALU_DEP_2) | instskip(SKIP_1) | instid1(VALU_DEP_2)
	v_cmp_eq_u32_e64 s3, 1, v5
	v_and_b32_e32 v5, 1, v9
	s_and_b32 s2, s3, s2
	v_cndmask_b32_e64 v6, v9, 1, s3
	v_cndmask_b32_e64 v1, v1, v7, s2
	;; [unrolled: 1-line block ×3, first 2 shown]
	v_cmp_eq_u32_e64 s2, 1, v5
	s_delay_alu instid0(VALU_DEP_1) | instskip(NEXT) | instid1(VALU_DEP_3)
	v_cndmask_b32_e64 v9, v12, v6, s2
	v_cndmask_b32_e64 v2, v8, v2, s2
	;; [unrolled: 1-line block ×3, first 2 shown]
	s_or_b32 exec_lo, exec_lo, s4
	s_and_saveexec_b32 s3, vcc_lo
	s_cbranch_execnz .LBB846_102
	s_branch .LBB846_103
	.section	.rodata,"a",@progbits
	.p2align	6, 0x0
	.amdhsa_kernel _ZN7rocprim17ROCPRIM_400000_NS6detail17trampoline_kernelINS0_14default_configENS1_22reduce_config_selectorIN6thrust23THRUST_200600_302600_NS5tupleIblNS6_9null_typeES8_S8_S8_S8_S8_S8_S8_EEEEZNS1_11reduce_implILb1ES3_NS6_12zip_iteratorINS7_INS6_11hip_rocprim26transform_input_iterator_tIbNSD_35transform_pair_of_input_iterators_tIbNS6_6detail15normal_iteratorINS6_10device_ptrIKtEEEESL_NS6_8equal_toItEEEENSG_9not_fun_tINSD_8identityEEEEENSD_19counting_iterator_tIlEES8_S8_S8_S8_S8_S8_S8_S8_EEEEPS9_S9_NSD_9__find_if7functorIS9_EEEE10hipError_tPvRmT1_T2_T3_mT4_P12ihipStream_tbEUlT_E1_NS1_11comp_targetILNS1_3genE9ELNS1_11target_archE1100ELNS1_3gpuE3ELNS1_3repE0EEENS1_30default_config_static_selectorELNS0_4arch9wavefront6targetE0EEEvS14_
		.amdhsa_group_segment_fixed_size 640
		.amdhsa_private_segment_fixed_size 0
		.amdhsa_kernarg_size 88
		.amdhsa_user_sgpr_count 15
		.amdhsa_user_sgpr_dispatch_ptr 0
		.amdhsa_user_sgpr_queue_ptr 0
		.amdhsa_user_sgpr_kernarg_segment_ptr 1
		.amdhsa_user_sgpr_dispatch_id 0
		.amdhsa_user_sgpr_private_segment_size 0
		.amdhsa_wavefront_size32 1
		.amdhsa_uses_dynamic_stack 0
		.amdhsa_enable_private_segment 0
		.amdhsa_system_sgpr_workgroup_id_x 1
		.amdhsa_system_sgpr_workgroup_id_y 0
		.amdhsa_system_sgpr_workgroup_id_z 0
		.amdhsa_system_sgpr_workgroup_info 0
		.amdhsa_system_vgpr_workitem_id 0
		.amdhsa_next_free_vgpr 27
		.amdhsa_next_free_sgpr 32
		.amdhsa_reserve_vcc 1
		.amdhsa_float_round_mode_32 0
		.amdhsa_float_round_mode_16_64 0
		.amdhsa_float_denorm_mode_32 3
		.amdhsa_float_denorm_mode_16_64 3
		.amdhsa_dx10_clamp 1
		.amdhsa_ieee_mode 1
		.amdhsa_fp16_overflow 0
		.amdhsa_workgroup_processor_mode 1
		.amdhsa_memory_ordered 1
		.amdhsa_forward_progress 0
		.amdhsa_shared_vgpr_count 0
		.amdhsa_exception_fp_ieee_invalid_op 0
		.amdhsa_exception_fp_denorm_src 0
		.amdhsa_exception_fp_ieee_div_zero 0
		.amdhsa_exception_fp_ieee_overflow 0
		.amdhsa_exception_fp_ieee_underflow 0
		.amdhsa_exception_fp_ieee_inexact 0
		.amdhsa_exception_int_div_zero 0
	.end_amdhsa_kernel
	.section	.text._ZN7rocprim17ROCPRIM_400000_NS6detail17trampoline_kernelINS0_14default_configENS1_22reduce_config_selectorIN6thrust23THRUST_200600_302600_NS5tupleIblNS6_9null_typeES8_S8_S8_S8_S8_S8_S8_EEEEZNS1_11reduce_implILb1ES3_NS6_12zip_iteratorINS7_INS6_11hip_rocprim26transform_input_iterator_tIbNSD_35transform_pair_of_input_iterators_tIbNS6_6detail15normal_iteratorINS6_10device_ptrIKtEEEESL_NS6_8equal_toItEEEENSG_9not_fun_tINSD_8identityEEEEENSD_19counting_iterator_tIlEES8_S8_S8_S8_S8_S8_S8_S8_EEEEPS9_S9_NSD_9__find_if7functorIS9_EEEE10hipError_tPvRmT1_T2_T3_mT4_P12ihipStream_tbEUlT_E1_NS1_11comp_targetILNS1_3genE9ELNS1_11target_archE1100ELNS1_3gpuE3ELNS1_3repE0EEENS1_30default_config_static_selectorELNS0_4arch9wavefront6targetE0EEEvS14_,"axG",@progbits,_ZN7rocprim17ROCPRIM_400000_NS6detail17trampoline_kernelINS0_14default_configENS1_22reduce_config_selectorIN6thrust23THRUST_200600_302600_NS5tupleIblNS6_9null_typeES8_S8_S8_S8_S8_S8_S8_EEEEZNS1_11reduce_implILb1ES3_NS6_12zip_iteratorINS7_INS6_11hip_rocprim26transform_input_iterator_tIbNSD_35transform_pair_of_input_iterators_tIbNS6_6detail15normal_iteratorINS6_10device_ptrIKtEEEESL_NS6_8equal_toItEEEENSG_9not_fun_tINSD_8identityEEEEENSD_19counting_iterator_tIlEES8_S8_S8_S8_S8_S8_S8_S8_EEEEPS9_S9_NSD_9__find_if7functorIS9_EEEE10hipError_tPvRmT1_T2_T3_mT4_P12ihipStream_tbEUlT_E1_NS1_11comp_targetILNS1_3genE9ELNS1_11target_archE1100ELNS1_3gpuE3ELNS1_3repE0EEENS1_30default_config_static_selectorELNS0_4arch9wavefront6targetE0EEEvS14_,comdat
.Lfunc_end846:
	.size	_ZN7rocprim17ROCPRIM_400000_NS6detail17trampoline_kernelINS0_14default_configENS1_22reduce_config_selectorIN6thrust23THRUST_200600_302600_NS5tupleIblNS6_9null_typeES8_S8_S8_S8_S8_S8_S8_EEEEZNS1_11reduce_implILb1ES3_NS6_12zip_iteratorINS7_INS6_11hip_rocprim26transform_input_iterator_tIbNSD_35transform_pair_of_input_iterators_tIbNS6_6detail15normal_iteratorINS6_10device_ptrIKtEEEESL_NS6_8equal_toItEEEENSG_9not_fun_tINSD_8identityEEEEENSD_19counting_iterator_tIlEES8_S8_S8_S8_S8_S8_S8_S8_EEEEPS9_S9_NSD_9__find_if7functorIS9_EEEE10hipError_tPvRmT1_T2_T3_mT4_P12ihipStream_tbEUlT_E1_NS1_11comp_targetILNS1_3genE9ELNS1_11target_archE1100ELNS1_3gpuE3ELNS1_3repE0EEENS1_30default_config_static_selectorELNS0_4arch9wavefront6targetE0EEEvS14_, .Lfunc_end846-_ZN7rocprim17ROCPRIM_400000_NS6detail17trampoline_kernelINS0_14default_configENS1_22reduce_config_selectorIN6thrust23THRUST_200600_302600_NS5tupleIblNS6_9null_typeES8_S8_S8_S8_S8_S8_S8_EEEEZNS1_11reduce_implILb1ES3_NS6_12zip_iteratorINS7_INS6_11hip_rocprim26transform_input_iterator_tIbNSD_35transform_pair_of_input_iterators_tIbNS6_6detail15normal_iteratorINS6_10device_ptrIKtEEEESL_NS6_8equal_toItEEEENSG_9not_fun_tINSD_8identityEEEEENSD_19counting_iterator_tIlEES8_S8_S8_S8_S8_S8_S8_S8_EEEEPS9_S9_NSD_9__find_if7functorIS9_EEEE10hipError_tPvRmT1_T2_T3_mT4_P12ihipStream_tbEUlT_E1_NS1_11comp_targetILNS1_3genE9ELNS1_11target_archE1100ELNS1_3gpuE3ELNS1_3repE0EEENS1_30default_config_static_selectorELNS0_4arch9wavefront6targetE0EEEvS14_
                                        ; -- End function
	.section	.AMDGPU.csdata,"",@progbits
; Kernel info:
; codeLenInByte = 15880
; NumSgprs: 34
; NumVgprs: 27
; ScratchSize: 0
; MemoryBound: 0
; FloatMode: 240
; IeeeMode: 1
; LDSByteSize: 640 bytes/workgroup (compile time only)
; SGPRBlocks: 4
; VGPRBlocks: 3
; NumSGPRsForWavesPerEU: 34
; NumVGPRsForWavesPerEU: 27
; Occupancy: 16
; WaveLimiterHint : 0
; COMPUTE_PGM_RSRC2:SCRATCH_EN: 0
; COMPUTE_PGM_RSRC2:USER_SGPR: 15
; COMPUTE_PGM_RSRC2:TRAP_HANDLER: 0
; COMPUTE_PGM_RSRC2:TGID_X_EN: 1
; COMPUTE_PGM_RSRC2:TGID_Y_EN: 0
; COMPUTE_PGM_RSRC2:TGID_Z_EN: 0
; COMPUTE_PGM_RSRC2:TIDIG_COMP_CNT: 0
	.section	.text._ZN7rocprim17ROCPRIM_400000_NS6detail17trampoline_kernelINS0_14default_configENS1_22reduce_config_selectorIN6thrust23THRUST_200600_302600_NS5tupleIblNS6_9null_typeES8_S8_S8_S8_S8_S8_S8_EEEEZNS1_11reduce_implILb1ES3_NS6_12zip_iteratorINS7_INS6_11hip_rocprim26transform_input_iterator_tIbNSD_35transform_pair_of_input_iterators_tIbNS6_6detail15normal_iteratorINS6_10device_ptrIKtEEEESL_NS6_8equal_toItEEEENSG_9not_fun_tINSD_8identityEEEEENSD_19counting_iterator_tIlEES8_S8_S8_S8_S8_S8_S8_S8_EEEEPS9_S9_NSD_9__find_if7functorIS9_EEEE10hipError_tPvRmT1_T2_T3_mT4_P12ihipStream_tbEUlT_E1_NS1_11comp_targetILNS1_3genE8ELNS1_11target_archE1030ELNS1_3gpuE2ELNS1_3repE0EEENS1_30default_config_static_selectorELNS0_4arch9wavefront6targetE0EEEvS14_,"axG",@progbits,_ZN7rocprim17ROCPRIM_400000_NS6detail17trampoline_kernelINS0_14default_configENS1_22reduce_config_selectorIN6thrust23THRUST_200600_302600_NS5tupleIblNS6_9null_typeES8_S8_S8_S8_S8_S8_S8_EEEEZNS1_11reduce_implILb1ES3_NS6_12zip_iteratorINS7_INS6_11hip_rocprim26transform_input_iterator_tIbNSD_35transform_pair_of_input_iterators_tIbNS6_6detail15normal_iteratorINS6_10device_ptrIKtEEEESL_NS6_8equal_toItEEEENSG_9not_fun_tINSD_8identityEEEEENSD_19counting_iterator_tIlEES8_S8_S8_S8_S8_S8_S8_S8_EEEEPS9_S9_NSD_9__find_if7functorIS9_EEEE10hipError_tPvRmT1_T2_T3_mT4_P12ihipStream_tbEUlT_E1_NS1_11comp_targetILNS1_3genE8ELNS1_11target_archE1030ELNS1_3gpuE2ELNS1_3repE0EEENS1_30default_config_static_selectorELNS0_4arch9wavefront6targetE0EEEvS14_,comdat
	.protected	_ZN7rocprim17ROCPRIM_400000_NS6detail17trampoline_kernelINS0_14default_configENS1_22reduce_config_selectorIN6thrust23THRUST_200600_302600_NS5tupleIblNS6_9null_typeES8_S8_S8_S8_S8_S8_S8_EEEEZNS1_11reduce_implILb1ES3_NS6_12zip_iteratorINS7_INS6_11hip_rocprim26transform_input_iterator_tIbNSD_35transform_pair_of_input_iterators_tIbNS6_6detail15normal_iteratorINS6_10device_ptrIKtEEEESL_NS6_8equal_toItEEEENSG_9not_fun_tINSD_8identityEEEEENSD_19counting_iterator_tIlEES8_S8_S8_S8_S8_S8_S8_S8_EEEEPS9_S9_NSD_9__find_if7functorIS9_EEEE10hipError_tPvRmT1_T2_T3_mT4_P12ihipStream_tbEUlT_E1_NS1_11comp_targetILNS1_3genE8ELNS1_11target_archE1030ELNS1_3gpuE2ELNS1_3repE0EEENS1_30default_config_static_selectorELNS0_4arch9wavefront6targetE0EEEvS14_ ; -- Begin function _ZN7rocprim17ROCPRIM_400000_NS6detail17trampoline_kernelINS0_14default_configENS1_22reduce_config_selectorIN6thrust23THRUST_200600_302600_NS5tupleIblNS6_9null_typeES8_S8_S8_S8_S8_S8_S8_EEEEZNS1_11reduce_implILb1ES3_NS6_12zip_iteratorINS7_INS6_11hip_rocprim26transform_input_iterator_tIbNSD_35transform_pair_of_input_iterators_tIbNS6_6detail15normal_iteratorINS6_10device_ptrIKtEEEESL_NS6_8equal_toItEEEENSG_9not_fun_tINSD_8identityEEEEENSD_19counting_iterator_tIlEES8_S8_S8_S8_S8_S8_S8_S8_EEEEPS9_S9_NSD_9__find_if7functorIS9_EEEE10hipError_tPvRmT1_T2_T3_mT4_P12ihipStream_tbEUlT_E1_NS1_11comp_targetILNS1_3genE8ELNS1_11target_archE1030ELNS1_3gpuE2ELNS1_3repE0EEENS1_30default_config_static_selectorELNS0_4arch9wavefront6targetE0EEEvS14_
	.globl	_ZN7rocprim17ROCPRIM_400000_NS6detail17trampoline_kernelINS0_14default_configENS1_22reduce_config_selectorIN6thrust23THRUST_200600_302600_NS5tupleIblNS6_9null_typeES8_S8_S8_S8_S8_S8_S8_EEEEZNS1_11reduce_implILb1ES3_NS6_12zip_iteratorINS7_INS6_11hip_rocprim26transform_input_iterator_tIbNSD_35transform_pair_of_input_iterators_tIbNS6_6detail15normal_iteratorINS6_10device_ptrIKtEEEESL_NS6_8equal_toItEEEENSG_9not_fun_tINSD_8identityEEEEENSD_19counting_iterator_tIlEES8_S8_S8_S8_S8_S8_S8_S8_EEEEPS9_S9_NSD_9__find_if7functorIS9_EEEE10hipError_tPvRmT1_T2_T3_mT4_P12ihipStream_tbEUlT_E1_NS1_11comp_targetILNS1_3genE8ELNS1_11target_archE1030ELNS1_3gpuE2ELNS1_3repE0EEENS1_30default_config_static_selectorELNS0_4arch9wavefront6targetE0EEEvS14_
	.p2align	8
	.type	_ZN7rocprim17ROCPRIM_400000_NS6detail17trampoline_kernelINS0_14default_configENS1_22reduce_config_selectorIN6thrust23THRUST_200600_302600_NS5tupleIblNS6_9null_typeES8_S8_S8_S8_S8_S8_S8_EEEEZNS1_11reduce_implILb1ES3_NS6_12zip_iteratorINS7_INS6_11hip_rocprim26transform_input_iterator_tIbNSD_35transform_pair_of_input_iterators_tIbNS6_6detail15normal_iteratorINS6_10device_ptrIKtEEEESL_NS6_8equal_toItEEEENSG_9not_fun_tINSD_8identityEEEEENSD_19counting_iterator_tIlEES8_S8_S8_S8_S8_S8_S8_S8_EEEEPS9_S9_NSD_9__find_if7functorIS9_EEEE10hipError_tPvRmT1_T2_T3_mT4_P12ihipStream_tbEUlT_E1_NS1_11comp_targetILNS1_3genE8ELNS1_11target_archE1030ELNS1_3gpuE2ELNS1_3repE0EEENS1_30default_config_static_selectorELNS0_4arch9wavefront6targetE0EEEvS14_,@function
_ZN7rocprim17ROCPRIM_400000_NS6detail17trampoline_kernelINS0_14default_configENS1_22reduce_config_selectorIN6thrust23THRUST_200600_302600_NS5tupleIblNS6_9null_typeES8_S8_S8_S8_S8_S8_S8_EEEEZNS1_11reduce_implILb1ES3_NS6_12zip_iteratorINS7_INS6_11hip_rocprim26transform_input_iterator_tIbNSD_35transform_pair_of_input_iterators_tIbNS6_6detail15normal_iteratorINS6_10device_ptrIKtEEEESL_NS6_8equal_toItEEEENSG_9not_fun_tINSD_8identityEEEEENSD_19counting_iterator_tIlEES8_S8_S8_S8_S8_S8_S8_S8_EEEEPS9_S9_NSD_9__find_if7functorIS9_EEEE10hipError_tPvRmT1_T2_T3_mT4_P12ihipStream_tbEUlT_E1_NS1_11comp_targetILNS1_3genE8ELNS1_11target_archE1030ELNS1_3gpuE2ELNS1_3repE0EEENS1_30default_config_static_selectorELNS0_4arch9wavefront6targetE0EEEvS14_: ; @_ZN7rocprim17ROCPRIM_400000_NS6detail17trampoline_kernelINS0_14default_configENS1_22reduce_config_selectorIN6thrust23THRUST_200600_302600_NS5tupleIblNS6_9null_typeES8_S8_S8_S8_S8_S8_S8_EEEEZNS1_11reduce_implILb1ES3_NS6_12zip_iteratorINS7_INS6_11hip_rocprim26transform_input_iterator_tIbNSD_35transform_pair_of_input_iterators_tIbNS6_6detail15normal_iteratorINS6_10device_ptrIKtEEEESL_NS6_8equal_toItEEEENSG_9not_fun_tINSD_8identityEEEEENSD_19counting_iterator_tIlEES8_S8_S8_S8_S8_S8_S8_S8_EEEEPS9_S9_NSD_9__find_if7functorIS9_EEEE10hipError_tPvRmT1_T2_T3_mT4_P12ihipStream_tbEUlT_E1_NS1_11comp_targetILNS1_3genE8ELNS1_11target_archE1030ELNS1_3gpuE2ELNS1_3repE0EEENS1_30default_config_static_selectorELNS0_4arch9wavefront6targetE0EEEvS14_
; %bb.0:
	.section	.rodata,"a",@progbits
	.p2align	6, 0x0
	.amdhsa_kernel _ZN7rocprim17ROCPRIM_400000_NS6detail17trampoline_kernelINS0_14default_configENS1_22reduce_config_selectorIN6thrust23THRUST_200600_302600_NS5tupleIblNS6_9null_typeES8_S8_S8_S8_S8_S8_S8_EEEEZNS1_11reduce_implILb1ES3_NS6_12zip_iteratorINS7_INS6_11hip_rocprim26transform_input_iterator_tIbNSD_35transform_pair_of_input_iterators_tIbNS6_6detail15normal_iteratorINS6_10device_ptrIKtEEEESL_NS6_8equal_toItEEEENSG_9not_fun_tINSD_8identityEEEEENSD_19counting_iterator_tIlEES8_S8_S8_S8_S8_S8_S8_S8_EEEEPS9_S9_NSD_9__find_if7functorIS9_EEEE10hipError_tPvRmT1_T2_T3_mT4_P12ihipStream_tbEUlT_E1_NS1_11comp_targetILNS1_3genE8ELNS1_11target_archE1030ELNS1_3gpuE2ELNS1_3repE0EEENS1_30default_config_static_selectorELNS0_4arch9wavefront6targetE0EEEvS14_
		.amdhsa_group_segment_fixed_size 0
		.amdhsa_private_segment_fixed_size 0
		.amdhsa_kernarg_size 88
		.amdhsa_user_sgpr_count 15
		.amdhsa_user_sgpr_dispatch_ptr 0
		.amdhsa_user_sgpr_queue_ptr 0
		.amdhsa_user_sgpr_kernarg_segment_ptr 1
		.amdhsa_user_sgpr_dispatch_id 0
		.amdhsa_user_sgpr_private_segment_size 0
		.amdhsa_wavefront_size32 1
		.amdhsa_uses_dynamic_stack 0
		.amdhsa_enable_private_segment 0
		.amdhsa_system_sgpr_workgroup_id_x 1
		.amdhsa_system_sgpr_workgroup_id_y 0
		.amdhsa_system_sgpr_workgroup_id_z 0
		.amdhsa_system_sgpr_workgroup_info 0
		.amdhsa_system_vgpr_workitem_id 0
		.amdhsa_next_free_vgpr 1
		.amdhsa_next_free_sgpr 1
		.amdhsa_reserve_vcc 0
		.amdhsa_float_round_mode_32 0
		.amdhsa_float_round_mode_16_64 0
		.amdhsa_float_denorm_mode_32 3
		.amdhsa_float_denorm_mode_16_64 3
		.amdhsa_dx10_clamp 1
		.amdhsa_ieee_mode 1
		.amdhsa_fp16_overflow 0
		.amdhsa_workgroup_processor_mode 1
		.amdhsa_memory_ordered 1
		.amdhsa_forward_progress 0
		.amdhsa_shared_vgpr_count 0
		.amdhsa_exception_fp_ieee_invalid_op 0
		.amdhsa_exception_fp_denorm_src 0
		.amdhsa_exception_fp_ieee_div_zero 0
		.amdhsa_exception_fp_ieee_overflow 0
		.amdhsa_exception_fp_ieee_underflow 0
		.amdhsa_exception_fp_ieee_inexact 0
		.amdhsa_exception_int_div_zero 0
	.end_amdhsa_kernel
	.section	.text._ZN7rocprim17ROCPRIM_400000_NS6detail17trampoline_kernelINS0_14default_configENS1_22reduce_config_selectorIN6thrust23THRUST_200600_302600_NS5tupleIblNS6_9null_typeES8_S8_S8_S8_S8_S8_S8_EEEEZNS1_11reduce_implILb1ES3_NS6_12zip_iteratorINS7_INS6_11hip_rocprim26transform_input_iterator_tIbNSD_35transform_pair_of_input_iterators_tIbNS6_6detail15normal_iteratorINS6_10device_ptrIKtEEEESL_NS6_8equal_toItEEEENSG_9not_fun_tINSD_8identityEEEEENSD_19counting_iterator_tIlEES8_S8_S8_S8_S8_S8_S8_S8_EEEEPS9_S9_NSD_9__find_if7functorIS9_EEEE10hipError_tPvRmT1_T2_T3_mT4_P12ihipStream_tbEUlT_E1_NS1_11comp_targetILNS1_3genE8ELNS1_11target_archE1030ELNS1_3gpuE2ELNS1_3repE0EEENS1_30default_config_static_selectorELNS0_4arch9wavefront6targetE0EEEvS14_,"axG",@progbits,_ZN7rocprim17ROCPRIM_400000_NS6detail17trampoline_kernelINS0_14default_configENS1_22reduce_config_selectorIN6thrust23THRUST_200600_302600_NS5tupleIblNS6_9null_typeES8_S8_S8_S8_S8_S8_S8_EEEEZNS1_11reduce_implILb1ES3_NS6_12zip_iteratorINS7_INS6_11hip_rocprim26transform_input_iterator_tIbNSD_35transform_pair_of_input_iterators_tIbNS6_6detail15normal_iteratorINS6_10device_ptrIKtEEEESL_NS6_8equal_toItEEEENSG_9not_fun_tINSD_8identityEEEEENSD_19counting_iterator_tIlEES8_S8_S8_S8_S8_S8_S8_S8_EEEEPS9_S9_NSD_9__find_if7functorIS9_EEEE10hipError_tPvRmT1_T2_T3_mT4_P12ihipStream_tbEUlT_E1_NS1_11comp_targetILNS1_3genE8ELNS1_11target_archE1030ELNS1_3gpuE2ELNS1_3repE0EEENS1_30default_config_static_selectorELNS0_4arch9wavefront6targetE0EEEvS14_,comdat
.Lfunc_end847:
	.size	_ZN7rocprim17ROCPRIM_400000_NS6detail17trampoline_kernelINS0_14default_configENS1_22reduce_config_selectorIN6thrust23THRUST_200600_302600_NS5tupleIblNS6_9null_typeES8_S8_S8_S8_S8_S8_S8_EEEEZNS1_11reduce_implILb1ES3_NS6_12zip_iteratorINS7_INS6_11hip_rocprim26transform_input_iterator_tIbNSD_35transform_pair_of_input_iterators_tIbNS6_6detail15normal_iteratorINS6_10device_ptrIKtEEEESL_NS6_8equal_toItEEEENSG_9not_fun_tINSD_8identityEEEEENSD_19counting_iterator_tIlEES8_S8_S8_S8_S8_S8_S8_S8_EEEEPS9_S9_NSD_9__find_if7functorIS9_EEEE10hipError_tPvRmT1_T2_T3_mT4_P12ihipStream_tbEUlT_E1_NS1_11comp_targetILNS1_3genE8ELNS1_11target_archE1030ELNS1_3gpuE2ELNS1_3repE0EEENS1_30default_config_static_selectorELNS0_4arch9wavefront6targetE0EEEvS14_, .Lfunc_end847-_ZN7rocprim17ROCPRIM_400000_NS6detail17trampoline_kernelINS0_14default_configENS1_22reduce_config_selectorIN6thrust23THRUST_200600_302600_NS5tupleIblNS6_9null_typeES8_S8_S8_S8_S8_S8_S8_EEEEZNS1_11reduce_implILb1ES3_NS6_12zip_iteratorINS7_INS6_11hip_rocprim26transform_input_iterator_tIbNSD_35transform_pair_of_input_iterators_tIbNS6_6detail15normal_iteratorINS6_10device_ptrIKtEEEESL_NS6_8equal_toItEEEENSG_9not_fun_tINSD_8identityEEEEENSD_19counting_iterator_tIlEES8_S8_S8_S8_S8_S8_S8_S8_EEEEPS9_S9_NSD_9__find_if7functorIS9_EEEE10hipError_tPvRmT1_T2_T3_mT4_P12ihipStream_tbEUlT_E1_NS1_11comp_targetILNS1_3genE8ELNS1_11target_archE1030ELNS1_3gpuE2ELNS1_3repE0EEENS1_30default_config_static_selectorELNS0_4arch9wavefront6targetE0EEEvS14_
                                        ; -- End function
	.section	.AMDGPU.csdata,"",@progbits
; Kernel info:
; codeLenInByte = 0
; NumSgprs: 0
; NumVgprs: 0
; ScratchSize: 0
; MemoryBound: 0
; FloatMode: 240
; IeeeMode: 1
; LDSByteSize: 0 bytes/workgroup (compile time only)
; SGPRBlocks: 0
; VGPRBlocks: 0
; NumSGPRsForWavesPerEU: 1
; NumVGPRsForWavesPerEU: 1
; Occupancy: 16
; WaveLimiterHint : 0
; COMPUTE_PGM_RSRC2:SCRATCH_EN: 0
; COMPUTE_PGM_RSRC2:USER_SGPR: 15
; COMPUTE_PGM_RSRC2:TRAP_HANDLER: 0
; COMPUTE_PGM_RSRC2:TGID_X_EN: 1
; COMPUTE_PGM_RSRC2:TGID_Y_EN: 0
; COMPUTE_PGM_RSRC2:TGID_Z_EN: 0
; COMPUTE_PGM_RSRC2:TIDIG_COMP_CNT: 0
	.section	.text._ZN6thrust23THRUST_200600_302600_NS11hip_rocprim14__parallel_for6kernelILj256ENS1_11__transform17unary_transform_fINS0_12zip_iteratorINS0_5tupleINS0_6detail15normal_iteratorINS0_10device_ptrIxEEEESC_NS0_9null_typeESD_SD_SD_SD_SD_SD_SD_EEEESF_NS4_14no_stencil_tagENS0_8identityINS7_IxxSD_SD_SD_SD_SD_SD_SD_SD_EEEENS4_21always_true_predicateEEElLj1EEEvT0_T1_SN_,"axG",@progbits,_ZN6thrust23THRUST_200600_302600_NS11hip_rocprim14__parallel_for6kernelILj256ENS1_11__transform17unary_transform_fINS0_12zip_iteratorINS0_5tupleINS0_6detail15normal_iteratorINS0_10device_ptrIxEEEESC_NS0_9null_typeESD_SD_SD_SD_SD_SD_SD_EEEESF_NS4_14no_stencil_tagENS0_8identityINS7_IxxSD_SD_SD_SD_SD_SD_SD_SD_EEEENS4_21always_true_predicateEEElLj1EEEvT0_T1_SN_,comdat
	.protected	_ZN6thrust23THRUST_200600_302600_NS11hip_rocprim14__parallel_for6kernelILj256ENS1_11__transform17unary_transform_fINS0_12zip_iteratorINS0_5tupleINS0_6detail15normal_iteratorINS0_10device_ptrIxEEEESC_NS0_9null_typeESD_SD_SD_SD_SD_SD_SD_EEEESF_NS4_14no_stencil_tagENS0_8identityINS7_IxxSD_SD_SD_SD_SD_SD_SD_SD_EEEENS4_21always_true_predicateEEElLj1EEEvT0_T1_SN_ ; -- Begin function _ZN6thrust23THRUST_200600_302600_NS11hip_rocprim14__parallel_for6kernelILj256ENS1_11__transform17unary_transform_fINS0_12zip_iteratorINS0_5tupleINS0_6detail15normal_iteratorINS0_10device_ptrIxEEEESC_NS0_9null_typeESD_SD_SD_SD_SD_SD_SD_EEEESF_NS4_14no_stencil_tagENS0_8identityINS7_IxxSD_SD_SD_SD_SD_SD_SD_SD_EEEENS4_21always_true_predicateEEElLj1EEEvT0_T1_SN_
	.globl	_ZN6thrust23THRUST_200600_302600_NS11hip_rocprim14__parallel_for6kernelILj256ENS1_11__transform17unary_transform_fINS0_12zip_iteratorINS0_5tupleINS0_6detail15normal_iteratorINS0_10device_ptrIxEEEESC_NS0_9null_typeESD_SD_SD_SD_SD_SD_SD_EEEESF_NS4_14no_stencil_tagENS0_8identityINS7_IxxSD_SD_SD_SD_SD_SD_SD_SD_EEEENS4_21always_true_predicateEEElLj1EEEvT0_T1_SN_
	.p2align	8
	.type	_ZN6thrust23THRUST_200600_302600_NS11hip_rocprim14__parallel_for6kernelILj256ENS1_11__transform17unary_transform_fINS0_12zip_iteratorINS0_5tupleINS0_6detail15normal_iteratorINS0_10device_ptrIxEEEESC_NS0_9null_typeESD_SD_SD_SD_SD_SD_SD_EEEESF_NS4_14no_stencil_tagENS0_8identityINS7_IxxSD_SD_SD_SD_SD_SD_SD_SD_EEEENS4_21always_true_predicateEEElLj1EEEvT0_T1_SN_,@function
_ZN6thrust23THRUST_200600_302600_NS11hip_rocprim14__parallel_for6kernelILj256ENS1_11__transform17unary_transform_fINS0_12zip_iteratorINS0_5tupleINS0_6detail15normal_iteratorINS0_10device_ptrIxEEEESC_NS0_9null_typeESD_SD_SD_SD_SD_SD_SD_EEEESF_NS4_14no_stencil_tagENS0_8identityINS7_IxxSD_SD_SD_SD_SD_SD_SD_SD_EEEENS4_21always_true_predicateEEElLj1EEEvT0_T1_SN_: ; @_ZN6thrust23THRUST_200600_302600_NS11hip_rocprim14__parallel_for6kernelILj256ENS1_11__transform17unary_transform_fINS0_12zip_iteratorINS0_5tupleINS0_6detail15normal_iteratorINS0_10device_ptrIxEEEESC_NS0_9null_typeESD_SD_SD_SD_SD_SD_SD_EEEESF_NS4_14no_stencil_tagENS0_8identityINS7_IxxSD_SD_SD_SD_SD_SD_SD_SD_EEEENS4_21always_true_predicateEEElLj1EEEvT0_T1_SN_
; %bb.0:
	s_clause 0x1
	s_load_b128 s[16:19], s[0:1], 0x28
	s_load_b256 s[0:7], s[0:1], 0x0
	s_lshl_b32 s8, s15, 8
	s_waitcnt lgkmcnt(0)
	s_add_u32 s8, s8, s18
	s_addc_u32 s9, 0, s19
	s_sub_u32 s10, s16, s8
	s_subb_u32 s11, s17, s9
	s_delay_alu instid0(SALU_CYCLE_1) | instskip(NEXT) | instid1(VALU_DEP_1)
	v_cmp_gt_i64_e64 s11, 0x100, s[10:11]
	s_and_b32 s11, s11, exec_lo
	s_cselect_b32 s11, s10, 0x100
	s_mov_b32 s10, -1
	s_cmpk_lg_i32 s11, 0x100
	s_cbranch_scc1 .LBB848_3
; %bb.1:
	s_and_not1_b32 vcc_lo, exec_lo, s10
	s_cbranch_vccz .LBB848_6
.LBB848_2:
	s_nop 0
	s_sendmsg sendmsg(MSG_DEALLOC_VGPRS)
	s_endpgm
.LBB848_3:
	s_mov_b32 s10, exec_lo
	v_cmpx_gt_u32_e64 s11, v0
	s_cbranch_execz .LBB848_5
; %bb.4:
	v_add_co_u32 v1, s11, s8, v0
	s_delay_alu instid0(VALU_DEP_1) | instskip(NEXT) | instid1(VALU_DEP_1)
	v_add_co_ci_u32_e64 v2, null, s9, 0, s11
	v_lshlrev_b64 v[1:2], 3, v[1:2]
	s_delay_alu instid0(VALU_DEP_1) | instskip(NEXT) | instid1(VALU_DEP_2)
	v_add_co_u32 v3, vcc_lo, s0, v1
	v_add_co_ci_u32_e32 v4, vcc_lo, s1, v2, vcc_lo
	v_add_co_u32 v5, vcc_lo, s2, v1
	v_add_co_ci_u32_e32 v6, vcc_lo, s3, v2, vcc_lo
	v_add_co_u32 v7, vcc_lo, s4, v1
	global_load_b64 v[3:4], v[3:4], off
	global_load_b64 v[5:6], v[5:6], off
	v_add_co_ci_u32_e32 v8, vcc_lo, s5, v2, vcc_lo
	v_add_co_u32 v1, vcc_lo, s6, v1
	v_add_co_ci_u32_e32 v2, vcc_lo, s7, v2, vcc_lo
	s_waitcnt vmcnt(1)
	global_store_b64 v[7:8], v[3:4], off
	s_waitcnt vmcnt(0)
	global_store_b64 v[1:2], v[5:6], off
.LBB848_5:
	s_or_b32 exec_lo, exec_lo, s10
	s_cbranch_execnz .LBB848_2
.LBB848_6:
	v_add_co_u32 v0, s8, s8, v0
	s_delay_alu instid0(VALU_DEP_1) | instskip(NEXT) | instid1(VALU_DEP_1)
	v_add_co_ci_u32_e64 v1, null, s9, 0, s8
	v_lshlrev_b64 v[0:1], 3, v[0:1]
	s_delay_alu instid0(VALU_DEP_1) | instskip(NEXT) | instid1(VALU_DEP_2)
	v_add_co_u32 v2, vcc_lo, s0, v0
	v_add_co_ci_u32_e32 v3, vcc_lo, s1, v1, vcc_lo
	v_add_co_u32 v4, vcc_lo, s2, v0
	v_add_co_ci_u32_e32 v5, vcc_lo, s3, v1, vcc_lo
	v_add_co_u32 v6, vcc_lo, s4, v0
	global_load_b64 v[2:3], v[2:3], off
	global_load_b64 v[4:5], v[4:5], off
	v_add_co_ci_u32_e32 v7, vcc_lo, s5, v1, vcc_lo
	v_add_co_u32 v0, vcc_lo, s6, v0
	v_add_co_ci_u32_e32 v1, vcc_lo, s7, v1, vcc_lo
	s_waitcnt vmcnt(1)
	global_store_b64 v[6:7], v[2:3], off
	s_waitcnt vmcnt(0)
	global_store_b64 v[0:1], v[4:5], off
	s_nop 0
	s_sendmsg sendmsg(MSG_DEALLOC_VGPRS)
	s_endpgm
	.section	.rodata,"a",@progbits
	.p2align	6, 0x0
	.amdhsa_kernel _ZN6thrust23THRUST_200600_302600_NS11hip_rocprim14__parallel_for6kernelILj256ENS1_11__transform17unary_transform_fINS0_12zip_iteratorINS0_5tupleINS0_6detail15normal_iteratorINS0_10device_ptrIxEEEESC_NS0_9null_typeESD_SD_SD_SD_SD_SD_SD_EEEESF_NS4_14no_stencil_tagENS0_8identityINS7_IxxSD_SD_SD_SD_SD_SD_SD_SD_EEEENS4_21always_true_predicateEEElLj1EEEvT0_T1_SN_
		.amdhsa_group_segment_fixed_size 0
		.amdhsa_private_segment_fixed_size 0
		.amdhsa_kernarg_size 56
		.amdhsa_user_sgpr_count 15
		.amdhsa_user_sgpr_dispatch_ptr 0
		.amdhsa_user_sgpr_queue_ptr 0
		.amdhsa_user_sgpr_kernarg_segment_ptr 1
		.amdhsa_user_sgpr_dispatch_id 0
		.amdhsa_user_sgpr_private_segment_size 0
		.amdhsa_wavefront_size32 1
		.amdhsa_uses_dynamic_stack 0
		.amdhsa_enable_private_segment 0
		.amdhsa_system_sgpr_workgroup_id_x 1
		.amdhsa_system_sgpr_workgroup_id_y 0
		.amdhsa_system_sgpr_workgroup_id_z 0
		.amdhsa_system_sgpr_workgroup_info 0
		.amdhsa_system_vgpr_workitem_id 0
		.amdhsa_next_free_vgpr 9
		.amdhsa_next_free_sgpr 20
		.amdhsa_reserve_vcc 1
		.amdhsa_float_round_mode_32 0
		.amdhsa_float_round_mode_16_64 0
		.amdhsa_float_denorm_mode_32 3
		.amdhsa_float_denorm_mode_16_64 3
		.amdhsa_dx10_clamp 1
		.amdhsa_ieee_mode 1
		.amdhsa_fp16_overflow 0
		.amdhsa_workgroup_processor_mode 1
		.amdhsa_memory_ordered 1
		.amdhsa_forward_progress 0
		.amdhsa_shared_vgpr_count 0
		.amdhsa_exception_fp_ieee_invalid_op 0
		.amdhsa_exception_fp_denorm_src 0
		.amdhsa_exception_fp_ieee_div_zero 0
		.amdhsa_exception_fp_ieee_overflow 0
		.amdhsa_exception_fp_ieee_underflow 0
		.amdhsa_exception_fp_ieee_inexact 0
		.amdhsa_exception_int_div_zero 0
	.end_amdhsa_kernel
	.section	.text._ZN6thrust23THRUST_200600_302600_NS11hip_rocprim14__parallel_for6kernelILj256ENS1_11__transform17unary_transform_fINS0_12zip_iteratorINS0_5tupleINS0_6detail15normal_iteratorINS0_10device_ptrIxEEEESC_NS0_9null_typeESD_SD_SD_SD_SD_SD_SD_EEEESF_NS4_14no_stencil_tagENS0_8identityINS7_IxxSD_SD_SD_SD_SD_SD_SD_SD_EEEENS4_21always_true_predicateEEElLj1EEEvT0_T1_SN_,"axG",@progbits,_ZN6thrust23THRUST_200600_302600_NS11hip_rocprim14__parallel_for6kernelILj256ENS1_11__transform17unary_transform_fINS0_12zip_iteratorINS0_5tupleINS0_6detail15normal_iteratorINS0_10device_ptrIxEEEESC_NS0_9null_typeESD_SD_SD_SD_SD_SD_SD_EEEESF_NS4_14no_stencil_tagENS0_8identityINS7_IxxSD_SD_SD_SD_SD_SD_SD_SD_EEEENS4_21always_true_predicateEEElLj1EEEvT0_T1_SN_,comdat
.Lfunc_end848:
	.size	_ZN6thrust23THRUST_200600_302600_NS11hip_rocprim14__parallel_for6kernelILj256ENS1_11__transform17unary_transform_fINS0_12zip_iteratorINS0_5tupleINS0_6detail15normal_iteratorINS0_10device_ptrIxEEEESC_NS0_9null_typeESD_SD_SD_SD_SD_SD_SD_EEEESF_NS4_14no_stencil_tagENS0_8identityINS7_IxxSD_SD_SD_SD_SD_SD_SD_SD_EEEENS4_21always_true_predicateEEElLj1EEEvT0_T1_SN_, .Lfunc_end848-_ZN6thrust23THRUST_200600_302600_NS11hip_rocprim14__parallel_for6kernelILj256ENS1_11__transform17unary_transform_fINS0_12zip_iteratorINS0_5tupleINS0_6detail15normal_iteratorINS0_10device_ptrIxEEEESC_NS0_9null_typeESD_SD_SD_SD_SD_SD_SD_EEEESF_NS4_14no_stencil_tagENS0_8identityINS7_IxxSD_SD_SD_SD_SD_SD_SD_SD_EEEENS4_21always_true_predicateEEElLj1EEEvT0_T1_SN_
                                        ; -- End function
	.section	.AMDGPU.csdata,"",@progbits
; Kernel info:
; codeLenInByte = 380
; NumSgprs: 22
; NumVgprs: 9
; ScratchSize: 0
; MemoryBound: 0
; FloatMode: 240
; IeeeMode: 1
; LDSByteSize: 0 bytes/workgroup (compile time only)
; SGPRBlocks: 2
; VGPRBlocks: 1
; NumSGPRsForWavesPerEU: 22
; NumVGPRsForWavesPerEU: 9
; Occupancy: 16
; WaveLimiterHint : 0
; COMPUTE_PGM_RSRC2:SCRATCH_EN: 0
; COMPUTE_PGM_RSRC2:USER_SGPR: 15
; COMPUTE_PGM_RSRC2:TRAP_HANDLER: 0
; COMPUTE_PGM_RSRC2:TGID_X_EN: 1
; COMPUTE_PGM_RSRC2:TGID_Y_EN: 0
; COMPUTE_PGM_RSRC2:TGID_Z_EN: 0
; COMPUTE_PGM_RSRC2:TIDIG_COMP_CNT: 0
	.section	.text._ZN7rocprim17ROCPRIM_400000_NS6detail17trampoline_kernelINS0_14default_configENS1_22reduce_config_selectorIN6thrust23THRUST_200600_302600_NS5tupleIblNS6_9null_typeES8_S8_S8_S8_S8_S8_S8_EEEEZNS1_11reduce_implILb1ES3_NS6_12zip_iteratorINS7_INS6_11hip_rocprim26transform_input_iterator_tIbNSD_35transform_pair_of_input_iterators_tIbNS6_6detail15normal_iteratorINS6_10device_ptrIKxEEEESL_NS6_8equal_toIxEEEENSG_9not_fun_tINSD_8identityEEEEENSD_19counting_iterator_tIlEES8_S8_S8_S8_S8_S8_S8_S8_EEEEPS9_S9_NSD_9__find_if7functorIS9_EEEE10hipError_tPvRmT1_T2_T3_mT4_P12ihipStream_tbEUlT_E0_NS1_11comp_targetILNS1_3genE0ELNS1_11target_archE4294967295ELNS1_3gpuE0ELNS1_3repE0EEENS1_30default_config_static_selectorELNS0_4arch9wavefront6targetE0EEEvS14_,"axG",@progbits,_ZN7rocprim17ROCPRIM_400000_NS6detail17trampoline_kernelINS0_14default_configENS1_22reduce_config_selectorIN6thrust23THRUST_200600_302600_NS5tupleIblNS6_9null_typeES8_S8_S8_S8_S8_S8_S8_EEEEZNS1_11reduce_implILb1ES3_NS6_12zip_iteratorINS7_INS6_11hip_rocprim26transform_input_iterator_tIbNSD_35transform_pair_of_input_iterators_tIbNS6_6detail15normal_iteratorINS6_10device_ptrIKxEEEESL_NS6_8equal_toIxEEEENSG_9not_fun_tINSD_8identityEEEEENSD_19counting_iterator_tIlEES8_S8_S8_S8_S8_S8_S8_S8_EEEEPS9_S9_NSD_9__find_if7functorIS9_EEEE10hipError_tPvRmT1_T2_T3_mT4_P12ihipStream_tbEUlT_E0_NS1_11comp_targetILNS1_3genE0ELNS1_11target_archE4294967295ELNS1_3gpuE0ELNS1_3repE0EEENS1_30default_config_static_selectorELNS0_4arch9wavefront6targetE0EEEvS14_,comdat
	.protected	_ZN7rocprim17ROCPRIM_400000_NS6detail17trampoline_kernelINS0_14default_configENS1_22reduce_config_selectorIN6thrust23THRUST_200600_302600_NS5tupleIblNS6_9null_typeES8_S8_S8_S8_S8_S8_S8_EEEEZNS1_11reduce_implILb1ES3_NS6_12zip_iteratorINS7_INS6_11hip_rocprim26transform_input_iterator_tIbNSD_35transform_pair_of_input_iterators_tIbNS6_6detail15normal_iteratorINS6_10device_ptrIKxEEEESL_NS6_8equal_toIxEEEENSG_9not_fun_tINSD_8identityEEEEENSD_19counting_iterator_tIlEES8_S8_S8_S8_S8_S8_S8_S8_EEEEPS9_S9_NSD_9__find_if7functorIS9_EEEE10hipError_tPvRmT1_T2_T3_mT4_P12ihipStream_tbEUlT_E0_NS1_11comp_targetILNS1_3genE0ELNS1_11target_archE4294967295ELNS1_3gpuE0ELNS1_3repE0EEENS1_30default_config_static_selectorELNS0_4arch9wavefront6targetE0EEEvS14_ ; -- Begin function _ZN7rocprim17ROCPRIM_400000_NS6detail17trampoline_kernelINS0_14default_configENS1_22reduce_config_selectorIN6thrust23THRUST_200600_302600_NS5tupleIblNS6_9null_typeES8_S8_S8_S8_S8_S8_S8_EEEEZNS1_11reduce_implILb1ES3_NS6_12zip_iteratorINS7_INS6_11hip_rocprim26transform_input_iterator_tIbNSD_35transform_pair_of_input_iterators_tIbNS6_6detail15normal_iteratorINS6_10device_ptrIKxEEEESL_NS6_8equal_toIxEEEENSG_9not_fun_tINSD_8identityEEEEENSD_19counting_iterator_tIlEES8_S8_S8_S8_S8_S8_S8_S8_EEEEPS9_S9_NSD_9__find_if7functorIS9_EEEE10hipError_tPvRmT1_T2_T3_mT4_P12ihipStream_tbEUlT_E0_NS1_11comp_targetILNS1_3genE0ELNS1_11target_archE4294967295ELNS1_3gpuE0ELNS1_3repE0EEENS1_30default_config_static_selectorELNS0_4arch9wavefront6targetE0EEEvS14_
	.globl	_ZN7rocprim17ROCPRIM_400000_NS6detail17trampoline_kernelINS0_14default_configENS1_22reduce_config_selectorIN6thrust23THRUST_200600_302600_NS5tupleIblNS6_9null_typeES8_S8_S8_S8_S8_S8_S8_EEEEZNS1_11reduce_implILb1ES3_NS6_12zip_iteratorINS7_INS6_11hip_rocprim26transform_input_iterator_tIbNSD_35transform_pair_of_input_iterators_tIbNS6_6detail15normal_iteratorINS6_10device_ptrIKxEEEESL_NS6_8equal_toIxEEEENSG_9not_fun_tINSD_8identityEEEEENSD_19counting_iterator_tIlEES8_S8_S8_S8_S8_S8_S8_S8_EEEEPS9_S9_NSD_9__find_if7functorIS9_EEEE10hipError_tPvRmT1_T2_T3_mT4_P12ihipStream_tbEUlT_E0_NS1_11comp_targetILNS1_3genE0ELNS1_11target_archE4294967295ELNS1_3gpuE0ELNS1_3repE0EEENS1_30default_config_static_selectorELNS0_4arch9wavefront6targetE0EEEvS14_
	.p2align	8
	.type	_ZN7rocprim17ROCPRIM_400000_NS6detail17trampoline_kernelINS0_14default_configENS1_22reduce_config_selectorIN6thrust23THRUST_200600_302600_NS5tupleIblNS6_9null_typeES8_S8_S8_S8_S8_S8_S8_EEEEZNS1_11reduce_implILb1ES3_NS6_12zip_iteratorINS7_INS6_11hip_rocprim26transform_input_iterator_tIbNSD_35transform_pair_of_input_iterators_tIbNS6_6detail15normal_iteratorINS6_10device_ptrIKxEEEESL_NS6_8equal_toIxEEEENSG_9not_fun_tINSD_8identityEEEEENSD_19counting_iterator_tIlEES8_S8_S8_S8_S8_S8_S8_S8_EEEEPS9_S9_NSD_9__find_if7functorIS9_EEEE10hipError_tPvRmT1_T2_T3_mT4_P12ihipStream_tbEUlT_E0_NS1_11comp_targetILNS1_3genE0ELNS1_11target_archE4294967295ELNS1_3gpuE0ELNS1_3repE0EEENS1_30default_config_static_selectorELNS0_4arch9wavefront6targetE0EEEvS14_,@function
_ZN7rocprim17ROCPRIM_400000_NS6detail17trampoline_kernelINS0_14default_configENS1_22reduce_config_selectorIN6thrust23THRUST_200600_302600_NS5tupleIblNS6_9null_typeES8_S8_S8_S8_S8_S8_S8_EEEEZNS1_11reduce_implILb1ES3_NS6_12zip_iteratorINS7_INS6_11hip_rocprim26transform_input_iterator_tIbNSD_35transform_pair_of_input_iterators_tIbNS6_6detail15normal_iteratorINS6_10device_ptrIKxEEEESL_NS6_8equal_toIxEEEENSG_9not_fun_tINSD_8identityEEEEENSD_19counting_iterator_tIlEES8_S8_S8_S8_S8_S8_S8_S8_EEEEPS9_S9_NSD_9__find_if7functorIS9_EEEE10hipError_tPvRmT1_T2_T3_mT4_P12ihipStream_tbEUlT_E0_NS1_11comp_targetILNS1_3genE0ELNS1_11target_archE4294967295ELNS1_3gpuE0ELNS1_3repE0EEENS1_30default_config_static_selectorELNS0_4arch9wavefront6targetE0EEEvS14_: ; @_ZN7rocprim17ROCPRIM_400000_NS6detail17trampoline_kernelINS0_14default_configENS1_22reduce_config_selectorIN6thrust23THRUST_200600_302600_NS5tupleIblNS6_9null_typeES8_S8_S8_S8_S8_S8_S8_EEEEZNS1_11reduce_implILb1ES3_NS6_12zip_iteratorINS7_INS6_11hip_rocprim26transform_input_iterator_tIbNSD_35transform_pair_of_input_iterators_tIbNS6_6detail15normal_iteratorINS6_10device_ptrIKxEEEESL_NS6_8equal_toIxEEEENSG_9not_fun_tINSD_8identityEEEEENSD_19counting_iterator_tIlEES8_S8_S8_S8_S8_S8_S8_S8_EEEEPS9_S9_NSD_9__find_if7functorIS9_EEEE10hipError_tPvRmT1_T2_T3_mT4_P12ihipStream_tbEUlT_E0_NS1_11comp_targetILNS1_3genE0ELNS1_11target_archE4294967295ELNS1_3gpuE0ELNS1_3repE0EEENS1_30default_config_static_selectorELNS0_4arch9wavefront6targetE0EEEvS14_
; %bb.0:
	.section	.rodata,"a",@progbits
	.p2align	6, 0x0
	.amdhsa_kernel _ZN7rocprim17ROCPRIM_400000_NS6detail17trampoline_kernelINS0_14default_configENS1_22reduce_config_selectorIN6thrust23THRUST_200600_302600_NS5tupleIblNS6_9null_typeES8_S8_S8_S8_S8_S8_S8_EEEEZNS1_11reduce_implILb1ES3_NS6_12zip_iteratorINS7_INS6_11hip_rocprim26transform_input_iterator_tIbNSD_35transform_pair_of_input_iterators_tIbNS6_6detail15normal_iteratorINS6_10device_ptrIKxEEEESL_NS6_8equal_toIxEEEENSG_9not_fun_tINSD_8identityEEEEENSD_19counting_iterator_tIlEES8_S8_S8_S8_S8_S8_S8_S8_EEEEPS9_S9_NSD_9__find_if7functorIS9_EEEE10hipError_tPvRmT1_T2_T3_mT4_P12ihipStream_tbEUlT_E0_NS1_11comp_targetILNS1_3genE0ELNS1_11target_archE4294967295ELNS1_3gpuE0ELNS1_3repE0EEENS1_30default_config_static_selectorELNS0_4arch9wavefront6targetE0EEEvS14_
		.amdhsa_group_segment_fixed_size 0
		.amdhsa_private_segment_fixed_size 0
		.amdhsa_kernarg_size 104
		.amdhsa_user_sgpr_count 15
		.amdhsa_user_sgpr_dispatch_ptr 0
		.amdhsa_user_sgpr_queue_ptr 0
		.amdhsa_user_sgpr_kernarg_segment_ptr 1
		.amdhsa_user_sgpr_dispatch_id 0
		.amdhsa_user_sgpr_private_segment_size 0
		.amdhsa_wavefront_size32 1
		.amdhsa_uses_dynamic_stack 0
		.amdhsa_enable_private_segment 0
		.amdhsa_system_sgpr_workgroup_id_x 1
		.amdhsa_system_sgpr_workgroup_id_y 0
		.amdhsa_system_sgpr_workgroup_id_z 0
		.amdhsa_system_sgpr_workgroup_info 0
		.amdhsa_system_vgpr_workitem_id 0
		.amdhsa_next_free_vgpr 1
		.amdhsa_next_free_sgpr 1
		.amdhsa_reserve_vcc 0
		.amdhsa_float_round_mode_32 0
		.amdhsa_float_round_mode_16_64 0
		.amdhsa_float_denorm_mode_32 3
		.amdhsa_float_denorm_mode_16_64 3
		.amdhsa_dx10_clamp 1
		.amdhsa_ieee_mode 1
		.amdhsa_fp16_overflow 0
		.amdhsa_workgroup_processor_mode 1
		.amdhsa_memory_ordered 1
		.amdhsa_forward_progress 0
		.amdhsa_shared_vgpr_count 0
		.amdhsa_exception_fp_ieee_invalid_op 0
		.amdhsa_exception_fp_denorm_src 0
		.amdhsa_exception_fp_ieee_div_zero 0
		.amdhsa_exception_fp_ieee_overflow 0
		.amdhsa_exception_fp_ieee_underflow 0
		.amdhsa_exception_fp_ieee_inexact 0
		.amdhsa_exception_int_div_zero 0
	.end_amdhsa_kernel
	.section	.text._ZN7rocprim17ROCPRIM_400000_NS6detail17trampoline_kernelINS0_14default_configENS1_22reduce_config_selectorIN6thrust23THRUST_200600_302600_NS5tupleIblNS6_9null_typeES8_S8_S8_S8_S8_S8_S8_EEEEZNS1_11reduce_implILb1ES3_NS6_12zip_iteratorINS7_INS6_11hip_rocprim26transform_input_iterator_tIbNSD_35transform_pair_of_input_iterators_tIbNS6_6detail15normal_iteratorINS6_10device_ptrIKxEEEESL_NS6_8equal_toIxEEEENSG_9not_fun_tINSD_8identityEEEEENSD_19counting_iterator_tIlEES8_S8_S8_S8_S8_S8_S8_S8_EEEEPS9_S9_NSD_9__find_if7functorIS9_EEEE10hipError_tPvRmT1_T2_T3_mT4_P12ihipStream_tbEUlT_E0_NS1_11comp_targetILNS1_3genE0ELNS1_11target_archE4294967295ELNS1_3gpuE0ELNS1_3repE0EEENS1_30default_config_static_selectorELNS0_4arch9wavefront6targetE0EEEvS14_,"axG",@progbits,_ZN7rocprim17ROCPRIM_400000_NS6detail17trampoline_kernelINS0_14default_configENS1_22reduce_config_selectorIN6thrust23THRUST_200600_302600_NS5tupleIblNS6_9null_typeES8_S8_S8_S8_S8_S8_S8_EEEEZNS1_11reduce_implILb1ES3_NS6_12zip_iteratorINS7_INS6_11hip_rocprim26transform_input_iterator_tIbNSD_35transform_pair_of_input_iterators_tIbNS6_6detail15normal_iteratorINS6_10device_ptrIKxEEEESL_NS6_8equal_toIxEEEENSG_9not_fun_tINSD_8identityEEEEENSD_19counting_iterator_tIlEES8_S8_S8_S8_S8_S8_S8_S8_EEEEPS9_S9_NSD_9__find_if7functorIS9_EEEE10hipError_tPvRmT1_T2_T3_mT4_P12ihipStream_tbEUlT_E0_NS1_11comp_targetILNS1_3genE0ELNS1_11target_archE4294967295ELNS1_3gpuE0ELNS1_3repE0EEENS1_30default_config_static_selectorELNS0_4arch9wavefront6targetE0EEEvS14_,comdat
.Lfunc_end849:
	.size	_ZN7rocprim17ROCPRIM_400000_NS6detail17trampoline_kernelINS0_14default_configENS1_22reduce_config_selectorIN6thrust23THRUST_200600_302600_NS5tupleIblNS6_9null_typeES8_S8_S8_S8_S8_S8_S8_EEEEZNS1_11reduce_implILb1ES3_NS6_12zip_iteratorINS7_INS6_11hip_rocprim26transform_input_iterator_tIbNSD_35transform_pair_of_input_iterators_tIbNS6_6detail15normal_iteratorINS6_10device_ptrIKxEEEESL_NS6_8equal_toIxEEEENSG_9not_fun_tINSD_8identityEEEEENSD_19counting_iterator_tIlEES8_S8_S8_S8_S8_S8_S8_S8_EEEEPS9_S9_NSD_9__find_if7functorIS9_EEEE10hipError_tPvRmT1_T2_T3_mT4_P12ihipStream_tbEUlT_E0_NS1_11comp_targetILNS1_3genE0ELNS1_11target_archE4294967295ELNS1_3gpuE0ELNS1_3repE0EEENS1_30default_config_static_selectorELNS0_4arch9wavefront6targetE0EEEvS14_, .Lfunc_end849-_ZN7rocprim17ROCPRIM_400000_NS6detail17trampoline_kernelINS0_14default_configENS1_22reduce_config_selectorIN6thrust23THRUST_200600_302600_NS5tupleIblNS6_9null_typeES8_S8_S8_S8_S8_S8_S8_EEEEZNS1_11reduce_implILb1ES3_NS6_12zip_iteratorINS7_INS6_11hip_rocprim26transform_input_iterator_tIbNSD_35transform_pair_of_input_iterators_tIbNS6_6detail15normal_iteratorINS6_10device_ptrIKxEEEESL_NS6_8equal_toIxEEEENSG_9not_fun_tINSD_8identityEEEEENSD_19counting_iterator_tIlEES8_S8_S8_S8_S8_S8_S8_S8_EEEEPS9_S9_NSD_9__find_if7functorIS9_EEEE10hipError_tPvRmT1_T2_T3_mT4_P12ihipStream_tbEUlT_E0_NS1_11comp_targetILNS1_3genE0ELNS1_11target_archE4294967295ELNS1_3gpuE0ELNS1_3repE0EEENS1_30default_config_static_selectorELNS0_4arch9wavefront6targetE0EEEvS14_
                                        ; -- End function
	.section	.AMDGPU.csdata,"",@progbits
; Kernel info:
; codeLenInByte = 0
; NumSgprs: 0
; NumVgprs: 0
; ScratchSize: 0
; MemoryBound: 0
; FloatMode: 240
; IeeeMode: 1
; LDSByteSize: 0 bytes/workgroup (compile time only)
; SGPRBlocks: 0
; VGPRBlocks: 0
; NumSGPRsForWavesPerEU: 1
; NumVGPRsForWavesPerEU: 1
; Occupancy: 16
; WaveLimiterHint : 0
; COMPUTE_PGM_RSRC2:SCRATCH_EN: 0
; COMPUTE_PGM_RSRC2:USER_SGPR: 15
; COMPUTE_PGM_RSRC2:TRAP_HANDLER: 0
; COMPUTE_PGM_RSRC2:TGID_X_EN: 1
; COMPUTE_PGM_RSRC2:TGID_Y_EN: 0
; COMPUTE_PGM_RSRC2:TGID_Z_EN: 0
; COMPUTE_PGM_RSRC2:TIDIG_COMP_CNT: 0
	.section	.text._ZN7rocprim17ROCPRIM_400000_NS6detail17trampoline_kernelINS0_14default_configENS1_22reduce_config_selectorIN6thrust23THRUST_200600_302600_NS5tupleIblNS6_9null_typeES8_S8_S8_S8_S8_S8_S8_EEEEZNS1_11reduce_implILb1ES3_NS6_12zip_iteratorINS7_INS6_11hip_rocprim26transform_input_iterator_tIbNSD_35transform_pair_of_input_iterators_tIbNS6_6detail15normal_iteratorINS6_10device_ptrIKxEEEESL_NS6_8equal_toIxEEEENSG_9not_fun_tINSD_8identityEEEEENSD_19counting_iterator_tIlEES8_S8_S8_S8_S8_S8_S8_S8_EEEEPS9_S9_NSD_9__find_if7functorIS9_EEEE10hipError_tPvRmT1_T2_T3_mT4_P12ihipStream_tbEUlT_E0_NS1_11comp_targetILNS1_3genE5ELNS1_11target_archE942ELNS1_3gpuE9ELNS1_3repE0EEENS1_30default_config_static_selectorELNS0_4arch9wavefront6targetE0EEEvS14_,"axG",@progbits,_ZN7rocprim17ROCPRIM_400000_NS6detail17trampoline_kernelINS0_14default_configENS1_22reduce_config_selectorIN6thrust23THRUST_200600_302600_NS5tupleIblNS6_9null_typeES8_S8_S8_S8_S8_S8_S8_EEEEZNS1_11reduce_implILb1ES3_NS6_12zip_iteratorINS7_INS6_11hip_rocprim26transform_input_iterator_tIbNSD_35transform_pair_of_input_iterators_tIbNS6_6detail15normal_iteratorINS6_10device_ptrIKxEEEESL_NS6_8equal_toIxEEEENSG_9not_fun_tINSD_8identityEEEEENSD_19counting_iterator_tIlEES8_S8_S8_S8_S8_S8_S8_S8_EEEEPS9_S9_NSD_9__find_if7functorIS9_EEEE10hipError_tPvRmT1_T2_T3_mT4_P12ihipStream_tbEUlT_E0_NS1_11comp_targetILNS1_3genE5ELNS1_11target_archE942ELNS1_3gpuE9ELNS1_3repE0EEENS1_30default_config_static_selectorELNS0_4arch9wavefront6targetE0EEEvS14_,comdat
	.protected	_ZN7rocprim17ROCPRIM_400000_NS6detail17trampoline_kernelINS0_14default_configENS1_22reduce_config_selectorIN6thrust23THRUST_200600_302600_NS5tupleIblNS6_9null_typeES8_S8_S8_S8_S8_S8_S8_EEEEZNS1_11reduce_implILb1ES3_NS6_12zip_iteratorINS7_INS6_11hip_rocprim26transform_input_iterator_tIbNSD_35transform_pair_of_input_iterators_tIbNS6_6detail15normal_iteratorINS6_10device_ptrIKxEEEESL_NS6_8equal_toIxEEEENSG_9not_fun_tINSD_8identityEEEEENSD_19counting_iterator_tIlEES8_S8_S8_S8_S8_S8_S8_S8_EEEEPS9_S9_NSD_9__find_if7functorIS9_EEEE10hipError_tPvRmT1_T2_T3_mT4_P12ihipStream_tbEUlT_E0_NS1_11comp_targetILNS1_3genE5ELNS1_11target_archE942ELNS1_3gpuE9ELNS1_3repE0EEENS1_30default_config_static_selectorELNS0_4arch9wavefront6targetE0EEEvS14_ ; -- Begin function _ZN7rocprim17ROCPRIM_400000_NS6detail17trampoline_kernelINS0_14default_configENS1_22reduce_config_selectorIN6thrust23THRUST_200600_302600_NS5tupleIblNS6_9null_typeES8_S8_S8_S8_S8_S8_S8_EEEEZNS1_11reduce_implILb1ES3_NS6_12zip_iteratorINS7_INS6_11hip_rocprim26transform_input_iterator_tIbNSD_35transform_pair_of_input_iterators_tIbNS6_6detail15normal_iteratorINS6_10device_ptrIKxEEEESL_NS6_8equal_toIxEEEENSG_9not_fun_tINSD_8identityEEEEENSD_19counting_iterator_tIlEES8_S8_S8_S8_S8_S8_S8_S8_EEEEPS9_S9_NSD_9__find_if7functorIS9_EEEE10hipError_tPvRmT1_T2_T3_mT4_P12ihipStream_tbEUlT_E0_NS1_11comp_targetILNS1_3genE5ELNS1_11target_archE942ELNS1_3gpuE9ELNS1_3repE0EEENS1_30default_config_static_selectorELNS0_4arch9wavefront6targetE0EEEvS14_
	.globl	_ZN7rocprim17ROCPRIM_400000_NS6detail17trampoline_kernelINS0_14default_configENS1_22reduce_config_selectorIN6thrust23THRUST_200600_302600_NS5tupleIblNS6_9null_typeES8_S8_S8_S8_S8_S8_S8_EEEEZNS1_11reduce_implILb1ES3_NS6_12zip_iteratorINS7_INS6_11hip_rocprim26transform_input_iterator_tIbNSD_35transform_pair_of_input_iterators_tIbNS6_6detail15normal_iteratorINS6_10device_ptrIKxEEEESL_NS6_8equal_toIxEEEENSG_9not_fun_tINSD_8identityEEEEENSD_19counting_iterator_tIlEES8_S8_S8_S8_S8_S8_S8_S8_EEEEPS9_S9_NSD_9__find_if7functorIS9_EEEE10hipError_tPvRmT1_T2_T3_mT4_P12ihipStream_tbEUlT_E0_NS1_11comp_targetILNS1_3genE5ELNS1_11target_archE942ELNS1_3gpuE9ELNS1_3repE0EEENS1_30default_config_static_selectorELNS0_4arch9wavefront6targetE0EEEvS14_
	.p2align	8
	.type	_ZN7rocprim17ROCPRIM_400000_NS6detail17trampoline_kernelINS0_14default_configENS1_22reduce_config_selectorIN6thrust23THRUST_200600_302600_NS5tupleIblNS6_9null_typeES8_S8_S8_S8_S8_S8_S8_EEEEZNS1_11reduce_implILb1ES3_NS6_12zip_iteratorINS7_INS6_11hip_rocprim26transform_input_iterator_tIbNSD_35transform_pair_of_input_iterators_tIbNS6_6detail15normal_iteratorINS6_10device_ptrIKxEEEESL_NS6_8equal_toIxEEEENSG_9not_fun_tINSD_8identityEEEEENSD_19counting_iterator_tIlEES8_S8_S8_S8_S8_S8_S8_S8_EEEEPS9_S9_NSD_9__find_if7functorIS9_EEEE10hipError_tPvRmT1_T2_T3_mT4_P12ihipStream_tbEUlT_E0_NS1_11comp_targetILNS1_3genE5ELNS1_11target_archE942ELNS1_3gpuE9ELNS1_3repE0EEENS1_30default_config_static_selectorELNS0_4arch9wavefront6targetE0EEEvS14_,@function
_ZN7rocprim17ROCPRIM_400000_NS6detail17trampoline_kernelINS0_14default_configENS1_22reduce_config_selectorIN6thrust23THRUST_200600_302600_NS5tupleIblNS6_9null_typeES8_S8_S8_S8_S8_S8_S8_EEEEZNS1_11reduce_implILb1ES3_NS6_12zip_iteratorINS7_INS6_11hip_rocprim26transform_input_iterator_tIbNSD_35transform_pair_of_input_iterators_tIbNS6_6detail15normal_iteratorINS6_10device_ptrIKxEEEESL_NS6_8equal_toIxEEEENSG_9not_fun_tINSD_8identityEEEEENSD_19counting_iterator_tIlEES8_S8_S8_S8_S8_S8_S8_S8_EEEEPS9_S9_NSD_9__find_if7functorIS9_EEEE10hipError_tPvRmT1_T2_T3_mT4_P12ihipStream_tbEUlT_E0_NS1_11comp_targetILNS1_3genE5ELNS1_11target_archE942ELNS1_3gpuE9ELNS1_3repE0EEENS1_30default_config_static_selectorELNS0_4arch9wavefront6targetE0EEEvS14_: ; @_ZN7rocprim17ROCPRIM_400000_NS6detail17trampoline_kernelINS0_14default_configENS1_22reduce_config_selectorIN6thrust23THRUST_200600_302600_NS5tupleIblNS6_9null_typeES8_S8_S8_S8_S8_S8_S8_EEEEZNS1_11reduce_implILb1ES3_NS6_12zip_iteratorINS7_INS6_11hip_rocprim26transform_input_iterator_tIbNSD_35transform_pair_of_input_iterators_tIbNS6_6detail15normal_iteratorINS6_10device_ptrIKxEEEESL_NS6_8equal_toIxEEEENSG_9not_fun_tINSD_8identityEEEEENSD_19counting_iterator_tIlEES8_S8_S8_S8_S8_S8_S8_S8_EEEEPS9_S9_NSD_9__find_if7functorIS9_EEEE10hipError_tPvRmT1_T2_T3_mT4_P12ihipStream_tbEUlT_E0_NS1_11comp_targetILNS1_3genE5ELNS1_11target_archE942ELNS1_3gpuE9ELNS1_3repE0EEENS1_30default_config_static_selectorELNS0_4arch9wavefront6targetE0EEEvS14_
; %bb.0:
	.section	.rodata,"a",@progbits
	.p2align	6, 0x0
	.amdhsa_kernel _ZN7rocprim17ROCPRIM_400000_NS6detail17trampoline_kernelINS0_14default_configENS1_22reduce_config_selectorIN6thrust23THRUST_200600_302600_NS5tupleIblNS6_9null_typeES8_S8_S8_S8_S8_S8_S8_EEEEZNS1_11reduce_implILb1ES3_NS6_12zip_iteratorINS7_INS6_11hip_rocprim26transform_input_iterator_tIbNSD_35transform_pair_of_input_iterators_tIbNS6_6detail15normal_iteratorINS6_10device_ptrIKxEEEESL_NS6_8equal_toIxEEEENSG_9not_fun_tINSD_8identityEEEEENSD_19counting_iterator_tIlEES8_S8_S8_S8_S8_S8_S8_S8_EEEEPS9_S9_NSD_9__find_if7functorIS9_EEEE10hipError_tPvRmT1_T2_T3_mT4_P12ihipStream_tbEUlT_E0_NS1_11comp_targetILNS1_3genE5ELNS1_11target_archE942ELNS1_3gpuE9ELNS1_3repE0EEENS1_30default_config_static_selectorELNS0_4arch9wavefront6targetE0EEEvS14_
		.amdhsa_group_segment_fixed_size 0
		.amdhsa_private_segment_fixed_size 0
		.amdhsa_kernarg_size 104
		.amdhsa_user_sgpr_count 15
		.amdhsa_user_sgpr_dispatch_ptr 0
		.amdhsa_user_sgpr_queue_ptr 0
		.amdhsa_user_sgpr_kernarg_segment_ptr 1
		.amdhsa_user_sgpr_dispatch_id 0
		.amdhsa_user_sgpr_private_segment_size 0
		.amdhsa_wavefront_size32 1
		.amdhsa_uses_dynamic_stack 0
		.amdhsa_enable_private_segment 0
		.amdhsa_system_sgpr_workgroup_id_x 1
		.amdhsa_system_sgpr_workgroup_id_y 0
		.amdhsa_system_sgpr_workgroup_id_z 0
		.amdhsa_system_sgpr_workgroup_info 0
		.amdhsa_system_vgpr_workitem_id 0
		.amdhsa_next_free_vgpr 1
		.amdhsa_next_free_sgpr 1
		.amdhsa_reserve_vcc 0
		.amdhsa_float_round_mode_32 0
		.amdhsa_float_round_mode_16_64 0
		.amdhsa_float_denorm_mode_32 3
		.amdhsa_float_denorm_mode_16_64 3
		.amdhsa_dx10_clamp 1
		.amdhsa_ieee_mode 1
		.amdhsa_fp16_overflow 0
		.amdhsa_workgroup_processor_mode 1
		.amdhsa_memory_ordered 1
		.amdhsa_forward_progress 0
		.amdhsa_shared_vgpr_count 0
		.amdhsa_exception_fp_ieee_invalid_op 0
		.amdhsa_exception_fp_denorm_src 0
		.amdhsa_exception_fp_ieee_div_zero 0
		.amdhsa_exception_fp_ieee_overflow 0
		.amdhsa_exception_fp_ieee_underflow 0
		.amdhsa_exception_fp_ieee_inexact 0
		.amdhsa_exception_int_div_zero 0
	.end_amdhsa_kernel
	.section	.text._ZN7rocprim17ROCPRIM_400000_NS6detail17trampoline_kernelINS0_14default_configENS1_22reduce_config_selectorIN6thrust23THRUST_200600_302600_NS5tupleIblNS6_9null_typeES8_S8_S8_S8_S8_S8_S8_EEEEZNS1_11reduce_implILb1ES3_NS6_12zip_iteratorINS7_INS6_11hip_rocprim26transform_input_iterator_tIbNSD_35transform_pair_of_input_iterators_tIbNS6_6detail15normal_iteratorINS6_10device_ptrIKxEEEESL_NS6_8equal_toIxEEEENSG_9not_fun_tINSD_8identityEEEEENSD_19counting_iterator_tIlEES8_S8_S8_S8_S8_S8_S8_S8_EEEEPS9_S9_NSD_9__find_if7functorIS9_EEEE10hipError_tPvRmT1_T2_T3_mT4_P12ihipStream_tbEUlT_E0_NS1_11comp_targetILNS1_3genE5ELNS1_11target_archE942ELNS1_3gpuE9ELNS1_3repE0EEENS1_30default_config_static_selectorELNS0_4arch9wavefront6targetE0EEEvS14_,"axG",@progbits,_ZN7rocprim17ROCPRIM_400000_NS6detail17trampoline_kernelINS0_14default_configENS1_22reduce_config_selectorIN6thrust23THRUST_200600_302600_NS5tupleIblNS6_9null_typeES8_S8_S8_S8_S8_S8_S8_EEEEZNS1_11reduce_implILb1ES3_NS6_12zip_iteratorINS7_INS6_11hip_rocprim26transform_input_iterator_tIbNSD_35transform_pair_of_input_iterators_tIbNS6_6detail15normal_iteratorINS6_10device_ptrIKxEEEESL_NS6_8equal_toIxEEEENSG_9not_fun_tINSD_8identityEEEEENSD_19counting_iterator_tIlEES8_S8_S8_S8_S8_S8_S8_S8_EEEEPS9_S9_NSD_9__find_if7functorIS9_EEEE10hipError_tPvRmT1_T2_T3_mT4_P12ihipStream_tbEUlT_E0_NS1_11comp_targetILNS1_3genE5ELNS1_11target_archE942ELNS1_3gpuE9ELNS1_3repE0EEENS1_30default_config_static_selectorELNS0_4arch9wavefront6targetE0EEEvS14_,comdat
.Lfunc_end850:
	.size	_ZN7rocprim17ROCPRIM_400000_NS6detail17trampoline_kernelINS0_14default_configENS1_22reduce_config_selectorIN6thrust23THRUST_200600_302600_NS5tupleIblNS6_9null_typeES8_S8_S8_S8_S8_S8_S8_EEEEZNS1_11reduce_implILb1ES3_NS6_12zip_iteratorINS7_INS6_11hip_rocprim26transform_input_iterator_tIbNSD_35transform_pair_of_input_iterators_tIbNS6_6detail15normal_iteratorINS6_10device_ptrIKxEEEESL_NS6_8equal_toIxEEEENSG_9not_fun_tINSD_8identityEEEEENSD_19counting_iterator_tIlEES8_S8_S8_S8_S8_S8_S8_S8_EEEEPS9_S9_NSD_9__find_if7functorIS9_EEEE10hipError_tPvRmT1_T2_T3_mT4_P12ihipStream_tbEUlT_E0_NS1_11comp_targetILNS1_3genE5ELNS1_11target_archE942ELNS1_3gpuE9ELNS1_3repE0EEENS1_30default_config_static_selectorELNS0_4arch9wavefront6targetE0EEEvS14_, .Lfunc_end850-_ZN7rocprim17ROCPRIM_400000_NS6detail17trampoline_kernelINS0_14default_configENS1_22reduce_config_selectorIN6thrust23THRUST_200600_302600_NS5tupleIblNS6_9null_typeES8_S8_S8_S8_S8_S8_S8_EEEEZNS1_11reduce_implILb1ES3_NS6_12zip_iteratorINS7_INS6_11hip_rocprim26transform_input_iterator_tIbNSD_35transform_pair_of_input_iterators_tIbNS6_6detail15normal_iteratorINS6_10device_ptrIKxEEEESL_NS6_8equal_toIxEEEENSG_9not_fun_tINSD_8identityEEEEENSD_19counting_iterator_tIlEES8_S8_S8_S8_S8_S8_S8_S8_EEEEPS9_S9_NSD_9__find_if7functorIS9_EEEE10hipError_tPvRmT1_T2_T3_mT4_P12ihipStream_tbEUlT_E0_NS1_11comp_targetILNS1_3genE5ELNS1_11target_archE942ELNS1_3gpuE9ELNS1_3repE0EEENS1_30default_config_static_selectorELNS0_4arch9wavefront6targetE0EEEvS14_
                                        ; -- End function
	.section	.AMDGPU.csdata,"",@progbits
; Kernel info:
; codeLenInByte = 0
; NumSgprs: 0
; NumVgprs: 0
; ScratchSize: 0
; MemoryBound: 0
; FloatMode: 240
; IeeeMode: 1
; LDSByteSize: 0 bytes/workgroup (compile time only)
; SGPRBlocks: 0
; VGPRBlocks: 0
; NumSGPRsForWavesPerEU: 1
; NumVGPRsForWavesPerEU: 1
; Occupancy: 16
; WaveLimiterHint : 0
; COMPUTE_PGM_RSRC2:SCRATCH_EN: 0
; COMPUTE_PGM_RSRC2:USER_SGPR: 15
; COMPUTE_PGM_RSRC2:TRAP_HANDLER: 0
; COMPUTE_PGM_RSRC2:TGID_X_EN: 1
; COMPUTE_PGM_RSRC2:TGID_Y_EN: 0
; COMPUTE_PGM_RSRC2:TGID_Z_EN: 0
; COMPUTE_PGM_RSRC2:TIDIG_COMP_CNT: 0
	.section	.text._ZN7rocprim17ROCPRIM_400000_NS6detail17trampoline_kernelINS0_14default_configENS1_22reduce_config_selectorIN6thrust23THRUST_200600_302600_NS5tupleIblNS6_9null_typeES8_S8_S8_S8_S8_S8_S8_EEEEZNS1_11reduce_implILb1ES3_NS6_12zip_iteratorINS7_INS6_11hip_rocprim26transform_input_iterator_tIbNSD_35transform_pair_of_input_iterators_tIbNS6_6detail15normal_iteratorINS6_10device_ptrIKxEEEESL_NS6_8equal_toIxEEEENSG_9not_fun_tINSD_8identityEEEEENSD_19counting_iterator_tIlEES8_S8_S8_S8_S8_S8_S8_S8_EEEEPS9_S9_NSD_9__find_if7functorIS9_EEEE10hipError_tPvRmT1_T2_T3_mT4_P12ihipStream_tbEUlT_E0_NS1_11comp_targetILNS1_3genE4ELNS1_11target_archE910ELNS1_3gpuE8ELNS1_3repE0EEENS1_30default_config_static_selectorELNS0_4arch9wavefront6targetE0EEEvS14_,"axG",@progbits,_ZN7rocprim17ROCPRIM_400000_NS6detail17trampoline_kernelINS0_14default_configENS1_22reduce_config_selectorIN6thrust23THRUST_200600_302600_NS5tupleIblNS6_9null_typeES8_S8_S8_S8_S8_S8_S8_EEEEZNS1_11reduce_implILb1ES3_NS6_12zip_iteratorINS7_INS6_11hip_rocprim26transform_input_iterator_tIbNSD_35transform_pair_of_input_iterators_tIbNS6_6detail15normal_iteratorINS6_10device_ptrIKxEEEESL_NS6_8equal_toIxEEEENSG_9not_fun_tINSD_8identityEEEEENSD_19counting_iterator_tIlEES8_S8_S8_S8_S8_S8_S8_S8_EEEEPS9_S9_NSD_9__find_if7functorIS9_EEEE10hipError_tPvRmT1_T2_T3_mT4_P12ihipStream_tbEUlT_E0_NS1_11comp_targetILNS1_3genE4ELNS1_11target_archE910ELNS1_3gpuE8ELNS1_3repE0EEENS1_30default_config_static_selectorELNS0_4arch9wavefront6targetE0EEEvS14_,comdat
	.protected	_ZN7rocprim17ROCPRIM_400000_NS6detail17trampoline_kernelINS0_14default_configENS1_22reduce_config_selectorIN6thrust23THRUST_200600_302600_NS5tupleIblNS6_9null_typeES8_S8_S8_S8_S8_S8_S8_EEEEZNS1_11reduce_implILb1ES3_NS6_12zip_iteratorINS7_INS6_11hip_rocprim26transform_input_iterator_tIbNSD_35transform_pair_of_input_iterators_tIbNS6_6detail15normal_iteratorINS6_10device_ptrIKxEEEESL_NS6_8equal_toIxEEEENSG_9not_fun_tINSD_8identityEEEEENSD_19counting_iterator_tIlEES8_S8_S8_S8_S8_S8_S8_S8_EEEEPS9_S9_NSD_9__find_if7functorIS9_EEEE10hipError_tPvRmT1_T2_T3_mT4_P12ihipStream_tbEUlT_E0_NS1_11comp_targetILNS1_3genE4ELNS1_11target_archE910ELNS1_3gpuE8ELNS1_3repE0EEENS1_30default_config_static_selectorELNS0_4arch9wavefront6targetE0EEEvS14_ ; -- Begin function _ZN7rocprim17ROCPRIM_400000_NS6detail17trampoline_kernelINS0_14default_configENS1_22reduce_config_selectorIN6thrust23THRUST_200600_302600_NS5tupleIblNS6_9null_typeES8_S8_S8_S8_S8_S8_S8_EEEEZNS1_11reduce_implILb1ES3_NS6_12zip_iteratorINS7_INS6_11hip_rocprim26transform_input_iterator_tIbNSD_35transform_pair_of_input_iterators_tIbNS6_6detail15normal_iteratorINS6_10device_ptrIKxEEEESL_NS6_8equal_toIxEEEENSG_9not_fun_tINSD_8identityEEEEENSD_19counting_iterator_tIlEES8_S8_S8_S8_S8_S8_S8_S8_EEEEPS9_S9_NSD_9__find_if7functorIS9_EEEE10hipError_tPvRmT1_T2_T3_mT4_P12ihipStream_tbEUlT_E0_NS1_11comp_targetILNS1_3genE4ELNS1_11target_archE910ELNS1_3gpuE8ELNS1_3repE0EEENS1_30default_config_static_selectorELNS0_4arch9wavefront6targetE0EEEvS14_
	.globl	_ZN7rocprim17ROCPRIM_400000_NS6detail17trampoline_kernelINS0_14default_configENS1_22reduce_config_selectorIN6thrust23THRUST_200600_302600_NS5tupleIblNS6_9null_typeES8_S8_S8_S8_S8_S8_S8_EEEEZNS1_11reduce_implILb1ES3_NS6_12zip_iteratorINS7_INS6_11hip_rocprim26transform_input_iterator_tIbNSD_35transform_pair_of_input_iterators_tIbNS6_6detail15normal_iteratorINS6_10device_ptrIKxEEEESL_NS6_8equal_toIxEEEENSG_9not_fun_tINSD_8identityEEEEENSD_19counting_iterator_tIlEES8_S8_S8_S8_S8_S8_S8_S8_EEEEPS9_S9_NSD_9__find_if7functorIS9_EEEE10hipError_tPvRmT1_T2_T3_mT4_P12ihipStream_tbEUlT_E0_NS1_11comp_targetILNS1_3genE4ELNS1_11target_archE910ELNS1_3gpuE8ELNS1_3repE0EEENS1_30default_config_static_selectorELNS0_4arch9wavefront6targetE0EEEvS14_
	.p2align	8
	.type	_ZN7rocprim17ROCPRIM_400000_NS6detail17trampoline_kernelINS0_14default_configENS1_22reduce_config_selectorIN6thrust23THRUST_200600_302600_NS5tupleIblNS6_9null_typeES8_S8_S8_S8_S8_S8_S8_EEEEZNS1_11reduce_implILb1ES3_NS6_12zip_iteratorINS7_INS6_11hip_rocprim26transform_input_iterator_tIbNSD_35transform_pair_of_input_iterators_tIbNS6_6detail15normal_iteratorINS6_10device_ptrIKxEEEESL_NS6_8equal_toIxEEEENSG_9not_fun_tINSD_8identityEEEEENSD_19counting_iterator_tIlEES8_S8_S8_S8_S8_S8_S8_S8_EEEEPS9_S9_NSD_9__find_if7functorIS9_EEEE10hipError_tPvRmT1_T2_T3_mT4_P12ihipStream_tbEUlT_E0_NS1_11comp_targetILNS1_3genE4ELNS1_11target_archE910ELNS1_3gpuE8ELNS1_3repE0EEENS1_30default_config_static_selectorELNS0_4arch9wavefront6targetE0EEEvS14_,@function
_ZN7rocprim17ROCPRIM_400000_NS6detail17trampoline_kernelINS0_14default_configENS1_22reduce_config_selectorIN6thrust23THRUST_200600_302600_NS5tupleIblNS6_9null_typeES8_S8_S8_S8_S8_S8_S8_EEEEZNS1_11reduce_implILb1ES3_NS6_12zip_iteratorINS7_INS6_11hip_rocprim26transform_input_iterator_tIbNSD_35transform_pair_of_input_iterators_tIbNS6_6detail15normal_iteratorINS6_10device_ptrIKxEEEESL_NS6_8equal_toIxEEEENSG_9not_fun_tINSD_8identityEEEEENSD_19counting_iterator_tIlEES8_S8_S8_S8_S8_S8_S8_S8_EEEEPS9_S9_NSD_9__find_if7functorIS9_EEEE10hipError_tPvRmT1_T2_T3_mT4_P12ihipStream_tbEUlT_E0_NS1_11comp_targetILNS1_3genE4ELNS1_11target_archE910ELNS1_3gpuE8ELNS1_3repE0EEENS1_30default_config_static_selectorELNS0_4arch9wavefront6targetE0EEEvS14_: ; @_ZN7rocprim17ROCPRIM_400000_NS6detail17trampoline_kernelINS0_14default_configENS1_22reduce_config_selectorIN6thrust23THRUST_200600_302600_NS5tupleIblNS6_9null_typeES8_S8_S8_S8_S8_S8_S8_EEEEZNS1_11reduce_implILb1ES3_NS6_12zip_iteratorINS7_INS6_11hip_rocprim26transform_input_iterator_tIbNSD_35transform_pair_of_input_iterators_tIbNS6_6detail15normal_iteratorINS6_10device_ptrIKxEEEESL_NS6_8equal_toIxEEEENSG_9not_fun_tINSD_8identityEEEEENSD_19counting_iterator_tIlEES8_S8_S8_S8_S8_S8_S8_S8_EEEEPS9_S9_NSD_9__find_if7functorIS9_EEEE10hipError_tPvRmT1_T2_T3_mT4_P12ihipStream_tbEUlT_E0_NS1_11comp_targetILNS1_3genE4ELNS1_11target_archE910ELNS1_3gpuE8ELNS1_3repE0EEENS1_30default_config_static_selectorELNS0_4arch9wavefront6targetE0EEEvS14_
; %bb.0:
	.section	.rodata,"a",@progbits
	.p2align	6, 0x0
	.amdhsa_kernel _ZN7rocprim17ROCPRIM_400000_NS6detail17trampoline_kernelINS0_14default_configENS1_22reduce_config_selectorIN6thrust23THRUST_200600_302600_NS5tupleIblNS6_9null_typeES8_S8_S8_S8_S8_S8_S8_EEEEZNS1_11reduce_implILb1ES3_NS6_12zip_iteratorINS7_INS6_11hip_rocprim26transform_input_iterator_tIbNSD_35transform_pair_of_input_iterators_tIbNS6_6detail15normal_iteratorINS6_10device_ptrIKxEEEESL_NS6_8equal_toIxEEEENSG_9not_fun_tINSD_8identityEEEEENSD_19counting_iterator_tIlEES8_S8_S8_S8_S8_S8_S8_S8_EEEEPS9_S9_NSD_9__find_if7functorIS9_EEEE10hipError_tPvRmT1_T2_T3_mT4_P12ihipStream_tbEUlT_E0_NS1_11comp_targetILNS1_3genE4ELNS1_11target_archE910ELNS1_3gpuE8ELNS1_3repE0EEENS1_30default_config_static_selectorELNS0_4arch9wavefront6targetE0EEEvS14_
		.amdhsa_group_segment_fixed_size 0
		.amdhsa_private_segment_fixed_size 0
		.amdhsa_kernarg_size 104
		.amdhsa_user_sgpr_count 15
		.amdhsa_user_sgpr_dispatch_ptr 0
		.amdhsa_user_sgpr_queue_ptr 0
		.amdhsa_user_sgpr_kernarg_segment_ptr 1
		.amdhsa_user_sgpr_dispatch_id 0
		.amdhsa_user_sgpr_private_segment_size 0
		.amdhsa_wavefront_size32 1
		.amdhsa_uses_dynamic_stack 0
		.amdhsa_enable_private_segment 0
		.amdhsa_system_sgpr_workgroup_id_x 1
		.amdhsa_system_sgpr_workgroup_id_y 0
		.amdhsa_system_sgpr_workgroup_id_z 0
		.amdhsa_system_sgpr_workgroup_info 0
		.amdhsa_system_vgpr_workitem_id 0
		.amdhsa_next_free_vgpr 1
		.amdhsa_next_free_sgpr 1
		.amdhsa_reserve_vcc 0
		.amdhsa_float_round_mode_32 0
		.amdhsa_float_round_mode_16_64 0
		.amdhsa_float_denorm_mode_32 3
		.amdhsa_float_denorm_mode_16_64 3
		.amdhsa_dx10_clamp 1
		.amdhsa_ieee_mode 1
		.amdhsa_fp16_overflow 0
		.amdhsa_workgroup_processor_mode 1
		.amdhsa_memory_ordered 1
		.amdhsa_forward_progress 0
		.amdhsa_shared_vgpr_count 0
		.amdhsa_exception_fp_ieee_invalid_op 0
		.amdhsa_exception_fp_denorm_src 0
		.amdhsa_exception_fp_ieee_div_zero 0
		.amdhsa_exception_fp_ieee_overflow 0
		.amdhsa_exception_fp_ieee_underflow 0
		.amdhsa_exception_fp_ieee_inexact 0
		.amdhsa_exception_int_div_zero 0
	.end_amdhsa_kernel
	.section	.text._ZN7rocprim17ROCPRIM_400000_NS6detail17trampoline_kernelINS0_14default_configENS1_22reduce_config_selectorIN6thrust23THRUST_200600_302600_NS5tupleIblNS6_9null_typeES8_S8_S8_S8_S8_S8_S8_EEEEZNS1_11reduce_implILb1ES3_NS6_12zip_iteratorINS7_INS6_11hip_rocprim26transform_input_iterator_tIbNSD_35transform_pair_of_input_iterators_tIbNS6_6detail15normal_iteratorINS6_10device_ptrIKxEEEESL_NS6_8equal_toIxEEEENSG_9not_fun_tINSD_8identityEEEEENSD_19counting_iterator_tIlEES8_S8_S8_S8_S8_S8_S8_S8_EEEEPS9_S9_NSD_9__find_if7functorIS9_EEEE10hipError_tPvRmT1_T2_T3_mT4_P12ihipStream_tbEUlT_E0_NS1_11comp_targetILNS1_3genE4ELNS1_11target_archE910ELNS1_3gpuE8ELNS1_3repE0EEENS1_30default_config_static_selectorELNS0_4arch9wavefront6targetE0EEEvS14_,"axG",@progbits,_ZN7rocprim17ROCPRIM_400000_NS6detail17trampoline_kernelINS0_14default_configENS1_22reduce_config_selectorIN6thrust23THRUST_200600_302600_NS5tupleIblNS6_9null_typeES8_S8_S8_S8_S8_S8_S8_EEEEZNS1_11reduce_implILb1ES3_NS6_12zip_iteratorINS7_INS6_11hip_rocprim26transform_input_iterator_tIbNSD_35transform_pair_of_input_iterators_tIbNS6_6detail15normal_iteratorINS6_10device_ptrIKxEEEESL_NS6_8equal_toIxEEEENSG_9not_fun_tINSD_8identityEEEEENSD_19counting_iterator_tIlEES8_S8_S8_S8_S8_S8_S8_S8_EEEEPS9_S9_NSD_9__find_if7functorIS9_EEEE10hipError_tPvRmT1_T2_T3_mT4_P12ihipStream_tbEUlT_E0_NS1_11comp_targetILNS1_3genE4ELNS1_11target_archE910ELNS1_3gpuE8ELNS1_3repE0EEENS1_30default_config_static_selectorELNS0_4arch9wavefront6targetE0EEEvS14_,comdat
.Lfunc_end851:
	.size	_ZN7rocprim17ROCPRIM_400000_NS6detail17trampoline_kernelINS0_14default_configENS1_22reduce_config_selectorIN6thrust23THRUST_200600_302600_NS5tupleIblNS6_9null_typeES8_S8_S8_S8_S8_S8_S8_EEEEZNS1_11reduce_implILb1ES3_NS6_12zip_iteratorINS7_INS6_11hip_rocprim26transform_input_iterator_tIbNSD_35transform_pair_of_input_iterators_tIbNS6_6detail15normal_iteratorINS6_10device_ptrIKxEEEESL_NS6_8equal_toIxEEEENSG_9not_fun_tINSD_8identityEEEEENSD_19counting_iterator_tIlEES8_S8_S8_S8_S8_S8_S8_S8_EEEEPS9_S9_NSD_9__find_if7functorIS9_EEEE10hipError_tPvRmT1_T2_T3_mT4_P12ihipStream_tbEUlT_E0_NS1_11comp_targetILNS1_3genE4ELNS1_11target_archE910ELNS1_3gpuE8ELNS1_3repE0EEENS1_30default_config_static_selectorELNS0_4arch9wavefront6targetE0EEEvS14_, .Lfunc_end851-_ZN7rocprim17ROCPRIM_400000_NS6detail17trampoline_kernelINS0_14default_configENS1_22reduce_config_selectorIN6thrust23THRUST_200600_302600_NS5tupleIblNS6_9null_typeES8_S8_S8_S8_S8_S8_S8_EEEEZNS1_11reduce_implILb1ES3_NS6_12zip_iteratorINS7_INS6_11hip_rocprim26transform_input_iterator_tIbNSD_35transform_pair_of_input_iterators_tIbNS6_6detail15normal_iteratorINS6_10device_ptrIKxEEEESL_NS6_8equal_toIxEEEENSG_9not_fun_tINSD_8identityEEEEENSD_19counting_iterator_tIlEES8_S8_S8_S8_S8_S8_S8_S8_EEEEPS9_S9_NSD_9__find_if7functorIS9_EEEE10hipError_tPvRmT1_T2_T3_mT4_P12ihipStream_tbEUlT_E0_NS1_11comp_targetILNS1_3genE4ELNS1_11target_archE910ELNS1_3gpuE8ELNS1_3repE0EEENS1_30default_config_static_selectorELNS0_4arch9wavefront6targetE0EEEvS14_
                                        ; -- End function
	.section	.AMDGPU.csdata,"",@progbits
; Kernel info:
; codeLenInByte = 0
; NumSgprs: 0
; NumVgprs: 0
; ScratchSize: 0
; MemoryBound: 0
; FloatMode: 240
; IeeeMode: 1
; LDSByteSize: 0 bytes/workgroup (compile time only)
; SGPRBlocks: 0
; VGPRBlocks: 0
; NumSGPRsForWavesPerEU: 1
; NumVGPRsForWavesPerEU: 1
; Occupancy: 16
; WaveLimiterHint : 0
; COMPUTE_PGM_RSRC2:SCRATCH_EN: 0
; COMPUTE_PGM_RSRC2:USER_SGPR: 15
; COMPUTE_PGM_RSRC2:TRAP_HANDLER: 0
; COMPUTE_PGM_RSRC2:TGID_X_EN: 1
; COMPUTE_PGM_RSRC2:TGID_Y_EN: 0
; COMPUTE_PGM_RSRC2:TGID_Z_EN: 0
; COMPUTE_PGM_RSRC2:TIDIG_COMP_CNT: 0
	.section	.text._ZN7rocprim17ROCPRIM_400000_NS6detail17trampoline_kernelINS0_14default_configENS1_22reduce_config_selectorIN6thrust23THRUST_200600_302600_NS5tupleIblNS6_9null_typeES8_S8_S8_S8_S8_S8_S8_EEEEZNS1_11reduce_implILb1ES3_NS6_12zip_iteratorINS7_INS6_11hip_rocprim26transform_input_iterator_tIbNSD_35transform_pair_of_input_iterators_tIbNS6_6detail15normal_iteratorINS6_10device_ptrIKxEEEESL_NS6_8equal_toIxEEEENSG_9not_fun_tINSD_8identityEEEEENSD_19counting_iterator_tIlEES8_S8_S8_S8_S8_S8_S8_S8_EEEEPS9_S9_NSD_9__find_if7functorIS9_EEEE10hipError_tPvRmT1_T2_T3_mT4_P12ihipStream_tbEUlT_E0_NS1_11comp_targetILNS1_3genE3ELNS1_11target_archE908ELNS1_3gpuE7ELNS1_3repE0EEENS1_30default_config_static_selectorELNS0_4arch9wavefront6targetE0EEEvS14_,"axG",@progbits,_ZN7rocprim17ROCPRIM_400000_NS6detail17trampoline_kernelINS0_14default_configENS1_22reduce_config_selectorIN6thrust23THRUST_200600_302600_NS5tupleIblNS6_9null_typeES8_S8_S8_S8_S8_S8_S8_EEEEZNS1_11reduce_implILb1ES3_NS6_12zip_iteratorINS7_INS6_11hip_rocprim26transform_input_iterator_tIbNSD_35transform_pair_of_input_iterators_tIbNS6_6detail15normal_iteratorINS6_10device_ptrIKxEEEESL_NS6_8equal_toIxEEEENSG_9not_fun_tINSD_8identityEEEEENSD_19counting_iterator_tIlEES8_S8_S8_S8_S8_S8_S8_S8_EEEEPS9_S9_NSD_9__find_if7functorIS9_EEEE10hipError_tPvRmT1_T2_T3_mT4_P12ihipStream_tbEUlT_E0_NS1_11comp_targetILNS1_3genE3ELNS1_11target_archE908ELNS1_3gpuE7ELNS1_3repE0EEENS1_30default_config_static_selectorELNS0_4arch9wavefront6targetE0EEEvS14_,comdat
	.protected	_ZN7rocprim17ROCPRIM_400000_NS6detail17trampoline_kernelINS0_14default_configENS1_22reduce_config_selectorIN6thrust23THRUST_200600_302600_NS5tupleIblNS6_9null_typeES8_S8_S8_S8_S8_S8_S8_EEEEZNS1_11reduce_implILb1ES3_NS6_12zip_iteratorINS7_INS6_11hip_rocprim26transform_input_iterator_tIbNSD_35transform_pair_of_input_iterators_tIbNS6_6detail15normal_iteratorINS6_10device_ptrIKxEEEESL_NS6_8equal_toIxEEEENSG_9not_fun_tINSD_8identityEEEEENSD_19counting_iterator_tIlEES8_S8_S8_S8_S8_S8_S8_S8_EEEEPS9_S9_NSD_9__find_if7functorIS9_EEEE10hipError_tPvRmT1_T2_T3_mT4_P12ihipStream_tbEUlT_E0_NS1_11comp_targetILNS1_3genE3ELNS1_11target_archE908ELNS1_3gpuE7ELNS1_3repE0EEENS1_30default_config_static_selectorELNS0_4arch9wavefront6targetE0EEEvS14_ ; -- Begin function _ZN7rocprim17ROCPRIM_400000_NS6detail17trampoline_kernelINS0_14default_configENS1_22reduce_config_selectorIN6thrust23THRUST_200600_302600_NS5tupleIblNS6_9null_typeES8_S8_S8_S8_S8_S8_S8_EEEEZNS1_11reduce_implILb1ES3_NS6_12zip_iteratorINS7_INS6_11hip_rocprim26transform_input_iterator_tIbNSD_35transform_pair_of_input_iterators_tIbNS6_6detail15normal_iteratorINS6_10device_ptrIKxEEEESL_NS6_8equal_toIxEEEENSG_9not_fun_tINSD_8identityEEEEENSD_19counting_iterator_tIlEES8_S8_S8_S8_S8_S8_S8_S8_EEEEPS9_S9_NSD_9__find_if7functorIS9_EEEE10hipError_tPvRmT1_T2_T3_mT4_P12ihipStream_tbEUlT_E0_NS1_11comp_targetILNS1_3genE3ELNS1_11target_archE908ELNS1_3gpuE7ELNS1_3repE0EEENS1_30default_config_static_selectorELNS0_4arch9wavefront6targetE0EEEvS14_
	.globl	_ZN7rocprim17ROCPRIM_400000_NS6detail17trampoline_kernelINS0_14default_configENS1_22reduce_config_selectorIN6thrust23THRUST_200600_302600_NS5tupleIblNS6_9null_typeES8_S8_S8_S8_S8_S8_S8_EEEEZNS1_11reduce_implILb1ES3_NS6_12zip_iteratorINS7_INS6_11hip_rocprim26transform_input_iterator_tIbNSD_35transform_pair_of_input_iterators_tIbNS6_6detail15normal_iteratorINS6_10device_ptrIKxEEEESL_NS6_8equal_toIxEEEENSG_9not_fun_tINSD_8identityEEEEENSD_19counting_iterator_tIlEES8_S8_S8_S8_S8_S8_S8_S8_EEEEPS9_S9_NSD_9__find_if7functorIS9_EEEE10hipError_tPvRmT1_T2_T3_mT4_P12ihipStream_tbEUlT_E0_NS1_11comp_targetILNS1_3genE3ELNS1_11target_archE908ELNS1_3gpuE7ELNS1_3repE0EEENS1_30default_config_static_selectorELNS0_4arch9wavefront6targetE0EEEvS14_
	.p2align	8
	.type	_ZN7rocprim17ROCPRIM_400000_NS6detail17trampoline_kernelINS0_14default_configENS1_22reduce_config_selectorIN6thrust23THRUST_200600_302600_NS5tupleIblNS6_9null_typeES8_S8_S8_S8_S8_S8_S8_EEEEZNS1_11reduce_implILb1ES3_NS6_12zip_iteratorINS7_INS6_11hip_rocprim26transform_input_iterator_tIbNSD_35transform_pair_of_input_iterators_tIbNS6_6detail15normal_iteratorINS6_10device_ptrIKxEEEESL_NS6_8equal_toIxEEEENSG_9not_fun_tINSD_8identityEEEEENSD_19counting_iterator_tIlEES8_S8_S8_S8_S8_S8_S8_S8_EEEEPS9_S9_NSD_9__find_if7functorIS9_EEEE10hipError_tPvRmT1_T2_T3_mT4_P12ihipStream_tbEUlT_E0_NS1_11comp_targetILNS1_3genE3ELNS1_11target_archE908ELNS1_3gpuE7ELNS1_3repE0EEENS1_30default_config_static_selectorELNS0_4arch9wavefront6targetE0EEEvS14_,@function
_ZN7rocprim17ROCPRIM_400000_NS6detail17trampoline_kernelINS0_14default_configENS1_22reduce_config_selectorIN6thrust23THRUST_200600_302600_NS5tupleIblNS6_9null_typeES8_S8_S8_S8_S8_S8_S8_EEEEZNS1_11reduce_implILb1ES3_NS6_12zip_iteratorINS7_INS6_11hip_rocprim26transform_input_iterator_tIbNSD_35transform_pair_of_input_iterators_tIbNS6_6detail15normal_iteratorINS6_10device_ptrIKxEEEESL_NS6_8equal_toIxEEEENSG_9not_fun_tINSD_8identityEEEEENSD_19counting_iterator_tIlEES8_S8_S8_S8_S8_S8_S8_S8_EEEEPS9_S9_NSD_9__find_if7functorIS9_EEEE10hipError_tPvRmT1_T2_T3_mT4_P12ihipStream_tbEUlT_E0_NS1_11comp_targetILNS1_3genE3ELNS1_11target_archE908ELNS1_3gpuE7ELNS1_3repE0EEENS1_30default_config_static_selectorELNS0_4arch9wavefront6targetE0EEEvS14_: ; @_ZN7rocprim17ROCPRIM_400000_NS6detail17trampoline_kernelINS0_14default_configENS1_22reduce_config_selectorIN6thrust23THRUST_200600_302600_NS5tupleIblNS6_9null_typeES8_S8_S8_S8_S8_S8_S8_EEEEZNS1_11reduce_implILb1ES3_NS6_12zip_iteratorINS7_INS6_11hip_rocprim26transform_input_iterator_tIbNSD_35transform_pair_of_input_iterators_tIbNS6_6detail15normal_iteratorINS6_10device_ptrIKxEEEESL_NS6_8equal_toIxEEEENSG_9not_fun_tINSD_8identityEEEEENSD_19counting_iterator_tIlEES8_S8_S8_S8_S8_S8_S8_S8_EEEEPS9_S9_NSD_9__find_if7functorIS9_EEEE10hipError_tPvRmT1_T2_T3_mT4_P12ihipStream_tbEUlT_E0_NS1_11comp_targetILNS1_3genE3ELNS1_11target_archE908ELNS1_3gpuE7ELNS1_3repE0EEENS1_30default_config_static_selectorELNS0_4arch9wavefront6targetE0EEEvS14_
; %bb.0:
	.section	.rodata,"a",@progbits
	.p2align	6, 0x0
	.amdhsa_kernel _ZN7rocprim17ROCPRIM_400000_NS6detail17trampoline_kernelINS0_14default_configENS1_22reduce_config_selectorIN6thrust23THRUST_200600_302600_NS5tupleIblNS6_9null_typeES8_S8_S8_S8_S8_S8_S8_EEEEZNS1_11reduce_implILb1ES3_NS6_12zip_iteratorINS7_INS6_11hip_rocprim26transform_input_iterator_tIbNSD_35transform_pair_of_input_iterators_tIbNS6_6detail15normal_iteratorINS6_10device_ptrIKxEEEESL_NS6_8equal_toIxEEEENSG_9not_fun_tINSD_8identityEEEEENSD_19counting_iterator_tIlEES8_S8_S8_S8_S8_S8_S8_S8_EEEEPS9_S9_NSD_9__find_if7functorIS9_EEEE10hipError_tPvRmT1_T2_T3_mT4_P12ihipStream_tbEUlT_E0_NS1_11comp_targetILNS1_3genE3ELNS1_11target_archE908ELNS1_3gpuE7ELNS1_3repE0EEENS1_30default_config_static_selectorELNS0_4arch9wavefront6targetE0EEEvS14_
		.amdhsa_group_segment_fixed_size 0
		.amdhsa_private_segment_fixed_size 0
		.amdhsa_kernarg_size 104
		.amdhsa_user_sgpr_count 15
		.amdhsa_user_sgpr_dispatch_ptr 0
		.amdhsa_user_sgpr_queue_ptr 0
		.amdhsa_user_sgpr_kernarg_segment_ptr 1
		.amdhsa_user_sgpr_dispatch_id 0
		.amdhsa_user_sgpr_private_segment_size 0
		.amdhsa_wavefront_size32 1
		.amdhsa_uses_dynamic_stack 0
		.amdhsa_enable_private_segment 0
		.amdhsa_system_sgpr_workgroup_id_x 1
		.amdhsa_system_sgpr_workgroup_id_y 0
		.amdhsa_system_sgpr_workgroup_id_z 0
		.amdhsa_system_sgpr_workgroup_info 0
		.amdhsa_system_vgpr_workitem_id 0
		.amdhsa_next_free_vgpr 1
		.amdhsa_next_free_sgpr 1
		.amdhsa_reserve_vcc 0
		.amdhsa_float_round_mode_32 0
		.amdhsa_float_round_mode_16_64 0
		.amdhsa_float_denorm_mode_32 3
		.amdhsa_float_denorm_mode_16_64 3
		.amdhsa_dx10_clamp 1
		.amdhsa_ieee_mode 1
		.amdhsa_fp16_overflow 0
		.amdhsa_workgroup_processor_mode 1
		.amdhsa_memory_ordered 1
		.amdhsa_forward_progress 0
		.amdhsa_shared_vgpr_count 0
		.amdhsa_exception_fp_ieee_invalid_op 0
		.amdhsa_exception_fp_denorm_src 0
		.amdhsa_exception_fp_ieee_div_zero 0
		.amdhsa_exception_fp_ieee_overflow 0
		.amdhsa_exception_fp_ieee_underflow 0
		.amdhsa_exception_fp_ieee_inexact 0
		.amdhsa_exception_int_div_zero 0
	.end_amdhsa_kernel
	.section	.text._ZN7rocprim17ROCPRIM_400000_NS6detail17trampoline_kernelINS0_14default_configENS1_22reduce_config_selectorIN6thrust23THRUST_200600_302600_NS5tupleIblNS6_9null_typeES8_S8_S8_S8_S8_S8_S8_EEEEZNS1_11reduce_implILb1ES3_NS6_12zip_iteratorINS7_INS6_11hip_rocprim26transform_input_iterator_tIbNSD_35transform_pair_of_input_iterators_tIbNS6_6detail15normal_iteratorINS6_10device_ptrIKxEEEESL_NS6_8equal_toIxEEEENSG_9not_fun_tINSD_8identityEEEEENSD_19counting_iterator_tIlEES8_S8_S8_S8_S8_S8_S8_S8_EEEEPS9_S9_NSD_9__find_if7functorIS9_EEEE10hipError_tPvRmT1_T2_T3_mT4_P12ihipStream_tbEUlT_E0_NS1_11comp_targetILNS1_3genE3ELNS1_11target_archE908ELNS1_3gpuE7ELNS1_3repE0EEENS1_30default_config_static_selectorELNS0_4arch9wavefront6targetE0EEEvS14_,"axG",@progbits,_ZN7rocprim17ROCPRIM_400000_NS6detail17trampoline_kernelINS0_14default_configENS1_22reduce_config_selectorIN6thrust23THRUST_200600_302600_NS5tupleIblNS6_9null_typeES8_S8_S8_S8_S8_S8_S8_EEEEZNS1_11reduce_implILb1ES3_NS6_12zip_iteratorINS7_INS6_11hip_rocprim26transform_input_iterator_tIbNSD_35transform_pair_of_input_iterators_tIbNS6_6detail15normal_iteratorINS6_10device_ptrIKxEEEESL_NS6_8equal_toIxEEEENSG_9not_fun_tINSD_8identityEEEEENSD_19counting_iterator_tIlEES8_S8_S8_S8_S8_S8_S8_S8_EEEEPS9_S9_NSD_9__find_if7functorIS9_EEEE10hipError_tPvRmT1_T2_T3_mT4_P12ihipStream_tbEUlT_E0_NS1_11comp_targetILNS1_3genE3ELNS1_11target_archE908ELNS1_3gpuE7ELNS1_3repE0EEENS1_30default_config_static_selectorELNS0_4arch9wavefront6targetE0EEEvS14_,comdat
.Lfunc_end852:
	.size	_ZN7rocprim17ROCPRIM_400000_NS6detail17trampoline_kernelINS0_14default_configENS1_22reduce_config_selectorIN6thrust23THRUST_200600_302600_NS5tupleIblNS6_9null_typeES8_S8_S8_S8_S8_S8_S8_EEEEZNS1_11reduce_implILb1ES3_NS6_12zip_iteratorINS7_INS6_11hip_rocprim26transform_input_iterator_tIbNSD_35transform_pair_of_input_iterators_tIbNS6_6detail15normal_iteratorINS6_10device_ptrIKxEEEESL_NS6_8equal_toIxEEEENSG_9not_fun_tINSD_8identityEEEEENSD_19counting_iterator_tIlEES8_S8_S8_S8_S8_S8_S8_S8_EEEEPS9_S9_NSD_9__find_if7functorIS9_EEEE10hipError_tPvRmT1_T2_T3_mT4_P12ihipStream_tbEUlT_E0_NS1_11comp_targetILNS1_3genE3ELNS1_11target_archE908ELNS1_3gpuE7ELNS1_3repE0EEENS1_30default_config_static_selectorELNS0_4arch9wavefront6targetE0EEEvS14_, .Lfunc_end852-_ZN7rocprim17ROCPRIM_400000_NS6detail17trampoline_kernelINS0_14default_configENS1_22reduce_config_selectorIN6thrust23THRUST_200600_302600_NS5tupleIblNS6_9null_typeES8_S8_S8_S8_S8_S8_S8_EEEEZNS1_11reduce_implILb1ES3_NS6_12zip_iteratorINS7_INS6_11hip_rocprim26transform_input_iterator_tIbNSD_35transform_pair_of_input_iterators_tIbNS6_6detail15normal_iteratorINS6_10device_ptrIKxEEEESL_NS6_8equal_toIxEEEENSG_9not_fun_tINSD_8identityEEEEENSD_19counting_iterator_tIlEES8_S8_S8_S8_S8_S8_S8_S8_EEEEPS9_S9_NSD_9__find_if7functorIS9_EEEE10hipError_tPvRmT1_T2_T3_mT4_P12ihipStream_tbEUlT_E0_NS1_11comp_targetILNS1_3genE3ELNS1_11target_archE908ELNS1_3gpuE7ELNS1_3repE0EEENS1_30default_config_static_selectorELNS0_4arch9wavefront6targetE0EEEvS14_
                                        ; -- End function
	.section	.AMDGPU.csdata,"",@progbits
; Kernel info:
; codeLenInByte = 0
; NumSgprs: 0
; NumVgprs: 0
; ScratchSize: 0
; MemoryBound: 0
; FloatMode: 240
; IeeeMode: 1
; LDSByteSize: 0 bytes/workgroup (compile time only)
; SGPRBlocks: 0
; VGPRBlocks: 0
; NumSGPRsForWavesPerEU: 1
; NumVGPRsForWavesPerEU: 1
; Occupancy: 16
; WaveLimiterHint : 0
; COMPUTE_PGM_RSRC2:SCRATCH_EN: 0
; COMPUTE_PGM_RSRC2:USER_SGPR: 15
; COMPUTE_PGM_RSRC2:TRAP_HANDLER: 0
; COMPUTE_PGM_RSRC2:TGID_X_EN: 1
; COMPUTE_PGM_RSRC2:TGID_Y_EN: 0
; COMPUTE_PGM_RSRC2:TGID_Z_EN: 0
; COMPUTE_PGM_RSRC2:TIDIG_COMP_CNT: 0
	.section	.text._ZN7rocprim17ROCPRIM_400000_NS6detail17trampoline_kernelINS0_14default_configENS1_22reduce_config_selectorIN6thrust23THRUST_200600_302600_NS5tupleIblNS6_9null_typeES8_S8_S8_S8_S8_S8_S8_EEEEZNS1_11reduce_implILb1ES3_NS6_12zip_iteratorINS7_INS6_11hip_rocprim26transform_input_iterator_tIbNSD_35transform_pair_of_input_iterators_tIbNS6_6detail15normal_iteratorINS6_10device_ptrIKxEEEESL_NS6_8equal_toIxEEEENSG_9not_fun_tINSD_8identityEEEEENSD_19counting_iterator_tIlEES8_S8_S8_S8_S8_S8_S8_S8_EEEEPS9_S9_NSD_9__find_if7functorIS9_EEEE10hipError_tPvRmT1_T2_T3_mT4_P12ihipStream_tbEUlT_E0_NS1_11comp_targetILNS1_3genE2ELNS1_11target_archE906ELNS1_3gpuE6ELNS1_3repE0EEENS1_30default_config_static_selectorELNS0_4arch9wavefront6targetE0EEEvS14_,"axG",@progbits,_ZN7rocprim17ROCPRIM_400000_NS6detail17trampoline_kernelINS0_14default_configENS1_22reduce_config_selectorIN6thrust23THRUST_200600_302600_NS5tupleIblNS6_9null_typeES8_S8_S8_S8_S8_S8_S8_EEEEZNS1_11reduce_implILb1ES3_NS6_12zip_iteratorINS7_INS6_11hip_rocprim26transform_input_iterator_tIbNSD_35transform_pair_of_input_iterators_tIbNS6_6detail15normal_iteratorINS6_10device_ptrIKxEEEESL_NS6_8equal_toIxEEEENSG_9not_fun_tINSD_8identityEEEEENSD_19counting_iterator_tIlEES8_S8_S8_S8_S8_S8_S8_S8_EEEEPS9_S9_NSD_9__find_if7functorIS9_EEEE10hipError_tPvRmT1_T2_T3_mT4_P12ihipStream_tbEUlT_E0_NS1_11comp_targetILNS1_3genE2ELNS1_11target_archE906ELNS1_3gpuE6ELNS1_3repE0EEENS1_30default_config_static_selectorELNS0_4arch9wavefront6targetE0EEEvS14_,comdat
	.protected	_ZN7rocprim17ROCPRIM_400000_NS6detail17trampoline_kernelINS0_14default_configENS1_22reduce_config_selectorIN6thrust23THRUST_200600_302600_NS5tupleIblNS6_9null_typeES8_S8_S8_S8_S8_S8_S8_EEEEZNS1_11reduce_implILb1ES3_NS6_12zip_iteratorINS7_INS6_11hip_rocprim26transform_input_iterator_tIbNSD_35transform_pair_of_input_iterators_tIbNS6_6detail15normal_iteratorINS6_10device_ptrIKxEEEESL_NS6_8equal_toIxEEEENSG_9not_fun_tINSD_8identityEEEEENSD_19counting_iterator_tIlEES8_S8_S8_S8_S8_S8_S8_S8_EEEEPS9_S9_NSD_9__find_if7functorIS9_EEEE10hipError_tPvRmT1_T2_T3_mT4_P12ihipStream_tbEUlT_E0_NS1_11comp_targetILNS1_3genE2ELNS1_11target_archE906ELNS1_3gpuE6ELNS1_3repE0EEENS1_30default_config_static_selectorELNS0_4arch9wavefront6targetE0EEEvS14_ ; -- Begin function _ZN7rocprim17ROCPRIM_400000_NS6detail17trampoline_kernelINS0_14default_configENS1_22reduce_config_selectorIN6thrust23THRUST_200600_302600_NS5tupleIblNS6_9null_typeES8_S8_S8_S8_S8_S8_S8_EEEEZNS1_11reduce_implILb1ES3_NS6_12zip_iteratorINS7_INS6_11hip_rocprim26transform_input_iterator_tIbNSD_35transform_pair_of_input_iterators_tIbNS6_6detail15normal_iteratorINS6_10device_ptrIKxEEEESL_NS6_8equal_toIxEEEENSG_9not_fun_tINSD_8identityEEEEENSD_19counting_iterator_tIlEES8_S8_S8_S8_S8_S8_S8_S8_EEEEPS9_S9_NSD_9__find_if7functorIS9_EEEE10hipError_tPvRmT1_T2_T3_mT4_P12ihipStream_tbEUlT_E0_NS1_11comp_targetILNS1_3genE2ELNS1_11target_archE906ELNS1_3gpuE6ELNS1_3repE0EEENS1_30default_config_static_selectorELNS0_4arch9wavefront6targetE0EEEvS14_
	.globl	_ZN7rocprim17ROCPRIM_400000_NS6detail17trampoline_kernelINS0_14default_configENS1_22reduce_config_selectorIN6thrust23THRUST_200600_302600_NS5tupleIblNS6_9null_typeES8_S8_S8_S8_S8_S8_S8_EEEEZNS1_11reduce_implILb1ES3_NS6_12zip_iteratorINS7_INS6_11hip_rocprim26transform_input_iterator_tIbNSD_35transform_pair_of_input_iterators_tIbNS6_6detail15normal_iteratorINS6_10device_ptrIKxEEEESL_NS6_8equal_toIxEEEENSG_9not_fun_tINSD_8identityEEEEENSD_19counting_iterator_tIlEES8_S8_S8_S8_S8_S8_S8_S8_EEEEPS9_S9_NSD_9__find_if7functorIS9_EEEE10hipError_tPvRmT1_T2_T3_mT4_P12ihipStream_tbEUlT_E0_NS1_11comp_targetILNS1_3genE2ELNS1_11target_archE906ELNS1_3gpuE6ELNS1_3repE0EEENS1_30default_config_static_selectorELNS0_4arch9wavefront6targetE0EEEvS14_
	.p2align	8
	.type	_ZN7rocprim17ROCPRIM_400000_NS6detail17trampoline_kernelINS0_14default_configENS1_22reduce_config_selectorIN6thrust23THRUST_200600_302600_NS5tupleIblNS6_9null_typeES8_S8_S8_S8_S8_S8_S8_EEEEZNS1_11reduce_implILb1ES3_NS6_12zip_iteratorINS7_INS6_11hip_rocprim26transform_input_iterator_tIbNSD_35transform_pair_of_input_iterators_tIbNS6_6detail15normal_iteratorINS6_10device_ptrIKxEEEESL_NS6_8equal_toIxEEEENSG_9not_fun_tINSD_8identityEEEEENSD_19counting_iterator_tIlEES8_S8_S8_S8_S8_S8_S8_S8_EEEEPS9_S9_NSD_9__find_if7functorIS9_EEEE10hipError_tPvRmT1_T2_T3_mT4_P12ihipStream_tbEUlT_E0_NS1_11comp_targetILNS1_3genE2ELNS1_11target_archE906ELNS1_3gpuE6ELNS1_3repE0EEENS1_30default_config_static_selectorELNS0_4arch9wavefront6targetE0EEEvS14_,@function
_ZN7rocprim17ROCPRIM_400000_NS6detail17trampoline_kernelINS0_14default_configENS1_22reduce_config_selectorIN6thrust23THRUST_200600_302600_NS5tupleIblNS6_9null_typeES8_S8_S8_S8_S8_S8_S8_EEEEZNS1_11reduce_implILb1ES3_NS6_12zip_iteratorINS7_INS6_11hip_rocprim26transform_input_iterator_tIbNSD_35transform_pair_of_input_iterators_tIbNS6_6detail15normal_iteratorINS6_10device_ptrIKxEEEESL_NS6_8equal_toIxEEEENSG_9not_fun_tINSD_8identityEEEEENSD_19counting_iterator_tIlEES8_S8_S8_S8_S8_S8_S8_S8_EEEEPS9_S9_NSD_9__find_if7functorIS9_EEEE10hipError_tPvRmT1_T2_T3_mT4_P12ihipStream_tbEUlT_E0_NS1_11comp_targetILNS1_3genE2ELNS1_11target_archE906ELNS1_3gpuE6ELNS1_3repE0EEENS1_30default_config_static_selectorELNS0_4arch9wavefront6targetE0EEEvS14_: ; @_ZN7rocprim17ROCPRIM_400000_NS6detail17trampoline_kernelINS0_14default_configENS1_22reduce_config_selectorIN6thrust23THRUST_200600_302600_NS5tupleIblNS6_9null_typeES8_S8_S8_S8_S8_S8_S8_EEEEZNS1_11reduce_implILb1ES3_NS6_12zip_iteratorINS7_INS6_11hip_rocprim26transform_input_iterator_tIbNSD_35transform_pair_of_input_iterators_tIbNS6_6detail15normal_iteratorINS6_10device_ptrIKxEEEESL_NS6_8equal_toIxEEEENSG_9not_fun_tINSD_8identityEEEEENSD_19counting_iterator_tIlEES8_S8_S8_S8_S8_S8_S8_S8_EEEEPS9_S9_NSD_9__find_if7functorIS9_EEEE10hipError_tPvRmT1_T2_T3_mT4_P12ihipStream_tbEUlT_E0_NS1_11comp_targetILNS1_3genE2ELNS1_11target_archE906ELNS1_3gpuE6ELNS1_3repE0EEENS1_30default_config_static_selectorELNS0_4arch9wavefront6targetE0EEEvS14_
; %bb.0:
	.section	.rodata,"a",@progbits
	.p2align	6, 0x0
	.amdhsa_kernel _ZN7rocprim17ROCPRIM_400000_NS6detail17trampoline_kernelINS0_14default_configENS1_22reduce_config_selectorIN6thrust23THRUST_200600_302600_NS5tupleIblNS6_9null_typeES8_S8_S8_S8_S8_S8_S8_EEEEZNS1_11reduce_implILb1ES3_NS6_12zip_iteratorINS7_INS6_11hip_rocprim26transform_input_iterator_tIbNSD_35transform_pair_of_input_iterators_tIbNS6_6detail15normal_iteratorINS6_10device_ptrIKxEEEESL_NS6_8equal_toIxEEEENSG_9not_fun_tINSD_8identityEEEEENSD_19counting_iterator_tIlEES8_S8_S8_S8_S8_S8_S8_S8_EEEEPS9_S9_NSD_9__find_if7functorIS9_EEEE10hipError_tPvRmT1_T2_T3_mT4_P12ihipStream_tbEUlT_E0_NS1_11comp_targetILNS1_3genE2ELNS1_11target_archE906ELNS1_3gpuE6ELNS1_3repE0EEENS1_30default_config_static_selectorELNS0_4arch9wavefront6targetE0EEEvS14_
		.amdhsa_group_segment_fixed_size 0
		.amdhsa_private_segment_fixed_size 0
		.amdhsa_kernarg_size 104
		.amdhsa_user_sgpr_count 15
		.amdhsa_user_sgpr_dispatch_ptr 0
		.amdhsa_user_sgpr_queue_ptr 0
		.amdhsa_user_sgpr_kernarg_segment_ptr 1
		.amdhsa_user_sgpr_dispatch_id 0
		.amdhsa_user_sgpr_private_segment_size 0
		.amdhsa_wavefront_size32 1
		.amdhsa_uses_dynamic_stack 0
		.amdhsa_enable_private_segment 0
		.amdhsa_system_sgpr_workgroup_id_x 1
		.amdhsa_system_sgpr_workgroup_id_y 0
		.amdhsa_system_sgpr_workgroup_id_z 0
		.amdhsa_system_sgpr_workgroup_info 0
		.amdhsa_system_vgpr_workitem_id 0
		.amdhsa_next_free_vgpr 1
		.amdhsa_next_free_sgpr 1
		.amdhsa_reserve_vcc 0
		.amdhsa_float_round_mode_32 0
		.amdhsa_float_round_mode_16_64 0
		.amdhsa_float_denorm_mode_32 3
		.amdhsa_float_denorm_mode_16_64 3
		.amdhsa_dx10_clamp 1
		.amdhsa_ieee_mode 1
		.amdhsa_fp16_overflow 0
		.amdhsa_workgroup_processor_mode 1
		.amdhsa_memory_ordered 1
		.amdhsa_forward_progress 0
		.amdhsa_shared_vgpr_count 0
		.amdhsa_exception_fp_ieee_invalid_op 0
		.amdhsa_exception_fp_denorm_src 0
		.amdhsa_exception_fp_ieee_div_zero 0
		.amdhsa_exception_fp_ieee_overflow 0
		.amdhsa_exception_fp_ieee_underflow 0
		.amdhsa_exception_fp_ieee_inexact 0
		.amdhsa_exception_int_div_zero 0
	.end_amdhsa_kernel
	.section	.text._ZN7rocprim17ROCPRIM_400000_NS6detail17trampoline_kernelINS0_14default_configENS1_22reduce_config_selectorIN6thrust23THRUST_200600_302600_NS5tupleIblNS6_9null_typeES8_S8_S8_S8_S8_S8_S8_EEEEZNS1_11reduce_implILb1ES3_NS6_12zip_iteratorINS7_INS6_11hip_rocprim26transform_input_iterator_tIbNSD_35transform_pair_of_input_iterators_tIbNS6_6detail15normal_iteratorINS6_10device_ptrIKxEEEESL_NS6_8equal_toIxEEEENSG_9not_fun_tINSD_8identityEEEEENSD_19counting_iterator_tIlEES8_S8_S8_S8_S8_S8_S8_S8_EEEEPS9_S9_NSD_9__find_if7functorIS9_EEEE10hipError_tPvRmT1_T2_T3_mT4_P12ihipStream_tbEUlT_E0_NS1_11comp_targetILNS1_3genE2ELNS1_11target_archE906ELNS1_3gpuE6ELNS1_3repE0EEENS1_30default_config_static_selectorELNS0_4arch9wavefront6targetE0EEEvS14_,"axG",@progbits,_ZN7rocprim17ROCPRIM_400000_NS6detail17trampoline_kernelINS0_14default_configENS1_22reduce_config_selectorIN6thrust23THRUST_200600_302600_NS5tupleIblNS6_9null_typeES8_S8_S8_S8_S8_S8_S8_EEEEZNS1_11reduce_implILb1ES3_NS6_12zip_iteratorINS7_INS6_11hip_rocprim26transform_input_iterator_tIbNSD_35transform_pair_of_input_iterators_tIbNS6_6detail15normal_iteratorINS6_10device_ptrIKxEEEESL_NS6_8equal_toIxEEEENSG_9not_fun_tINSD_8identityEEEEENSD_19counting_iterator_tIlEES8_S8_S8_S8_S8_S8_S8_S8_EEEEPS9_S9_NSD_9__find_if7functorIS9_EEEE10hipError_tPvRmT1_T2_T3_mT4_P12ihipStream_tbEUlT_E0_NS1_11comp_targetILNS1_3genE2ELNS1_11target_archE906ELNS1_3gpuE6ELNS1_3repE0EEENS1_30default_config_static_selectorELNS0_4arch9wavefront6targetE0EEEvS14_,comdat
.Lfunc_end853:
	.size	_ZN7rocprim17ROCPRIM_400000_NS6detail17trampoline_kernelINS0_14default_configENS1_22reduce_config_selectorIN6thrust23THRUST_200600_302600_NS5tupleIblNS6_9null_typeES8_S8_S8_S8_S8_S8_S8_EEEEZNS1_11reduce_implILb1ES3_NS6_12zip_iteratorINS7_INS6_11hip_rocprim26transform_input_iterator_tIbNSD_35transform_pair_of_input_iterators_tIbNS6_6detail15normal_iteratorINS6_10device_ptrIKxEEEESL_NS6_8equal_toIxEEEENSG_9not_fun_tINSD_8identityEEEEENSD_19counting_iterator_tIlEES8_S8_S8_S8_S8_S8_S8_S8_EEEEPS9_S9_NSD_9__find_if7functorIS9_EEEE10hipError_tPvRmT1_T2_T3_mT4_P12ihipStream_tbEUlT_E0_NS1_11comp_targetILNS1_3genE2ELNS1_11target_archE906ELNS1_3gpuE6ELNS1_3repE0EEENS1_30default_config_static_selectorELNS0_4arch9wavefront6targetE0EEEvS14_, .Lfunc_end853-_ZN7rocprim17ROCPRIM_400000_NS6detail17trampoline_kernelINS0_14default_configENS1_22reduce_config_selectorIN6thrust23THRUST_200600_302600_NS5tupleIblNS6_9null_typeES8_S8_S8_S8_S8_S8_S8_EEEEZNS1_11reduce_implILb1ES3_NS6_12zip_iteratorINS7_INS6_11hip_rocprim26transform_input_iterator_tIbNSD_35transform_pair_of_input_iterators_tIbNS6_6detail15normal_iteratorINS6_10device_ptrIKxEEEESL_NS6_8equal_toIxEEEENSG_9not_fun_tINSD_8identityEEEEENSD_19counting_iterator_tIlEES8_S8_S8_S8_S8_S8_S8_S8_EEEEPS9_S9_NSD_9__find_if7functorIS9_EEEE10hipError_tPvRmT1_T2_T3_mT4_P12ihipStream_tbEUlT_E0_NS1_11comp_targetILNS1_3genE2ELNS1_11target_archE906ELNS1_3gpuE6ELNS1_3repE0EEENS1_30default_config_static_selectorELNS0_4arch9wavefront6targetE0EEEvS14_
                                        ; -- End function
	.section	.AMDGPU.csdata,"",@progbits
; Kernel info:
; codeLenInByte = 0
; NumSgprs: 0
; NumVgprs: 0
; ScratchSize: 0
; MemoryBound: 0
; FloatMode: 240
; IeeeMode: 1
; LDSByteSize: 0 bytes/workgroup (compile time only)
; SGPRBlocks: 0
; VGPRBlocks: 0
; NumSGPRsForWavesPerEU: 1
; NumVGPRsForWavesPerEU: 1
; Occupancy: 16
; WaveLimiterHint : 0
; COMPUTE_PGM_RSRC2:SCRATCH_EN: 0
; COMPUTE_PGM_RSRC2:USER_SGPR: 15
; COMPUTE_PGM_RSRC2:TRAP_HANDLER: 0
; COMPUTE_PGM_RSRC2:TGID_X_EN: 1
; COMPUTE_PGM_RSRC2:TGID_Y_EN: 0
; COMPUTE_PGM_RSRC2:TGID_Z_EN: 0
; COMPUTE_PGM_RSRC2:TIDIG_COMP_CNT: 0
	.section	.text._ZN7rocprim17ROCPRIM_400000_NS6detail17trampoline_kernelINS0_14default_configENS1_22reduce_config_selectorIN6thrust23THRUST_200600_302600_NS5tupleIblNS6_9null_typeES8_S8_S8_S8_S8_S8_S8_EEEEZNS1_11reduce_implILb1ES3_NS6_12zip_iteratorINS7_INS6_11hip_rocprim26transform_input_iterator_tIbNSD_35transform_pair_of_input_iterators_tIbNS6_6detail15normal_iteratorINS6_10device_ptrIKxEEEESL_NS6_8equal_toIxEEEENSG_9not_fun_tINSD_8identityEEEEENSD_19counting_iterator_tIlEES8_S8_S8_S8_S8_S8_S8_S8_EEEEPS9_S9_NSD_9__find_if7functorIS9_EEEE10hipError_tPvRmT1_T2_T3_mT4_P12ihipStream_tbEUlT_E0_NS1_11comp_targetILNS1_3genE10ELNS1_11target_archE1201ELNS1_3gpuE5ELNS1_3repE0EEENS1_30default_config_static_selectorELNS0_4arch9wavefront6targetE0EEEvS14_,"axG",@progbits,_ZN7rocprim17ROCPRIM_400000_NS6detail17trampoline_kernelINS0_14default_configENS1_22reduce_config_selectorIN6thrust23THRUST_200600_302600_NS5tupleIblNS6_9null_typeES8_S8_S8_S8_S8_S8_S8_EEEEZNS1_11reduce_implILb1ES3_NS6_12zip_iteratorINS7_INS6_11hip_rocprim26transform_input_iterator_tIbNSD_35transform_pair_of_input_iterators_tIbNS6_6detail15normal_iteratorINS6_10device_ptrIKxEEEESL_NS6_8equal_toIxEEEENSG_9not_fun_tINSD_8identityEEEEENSD_19counting_iterator_tIlEES8_S8_S8_S8_S8_S8_S8_S8_EEEEPS9_S9_NSD_9__find_if7functorIS9_EEEE10hipError_tPvRmT1_T2_T3_mT4_P12ihipStream_tbEUlT_E0_NS1_11comp_targetILNS1_3genE10ELNS1_11target_archE1201ELNS1_3gpuE5ELNS1_3repE0EEENS1_30default_config_static_selectorELNS0_4arch9wavefront6targetE0EEEvS14_,comdat
	.protected	_ZN7rocprim17ROCPRIM_400000_NS6detail17trampoline_kernelINS0_14default_configENS1_22reduce_config_selectorIN6thrust23THRUST_200600_302600_NS5tupleIblNS6_9null_typeES8_S8_S8_S8_S8_S8_S8_EEEEZNS1_11reduce_implILb1ES3_NS6_12zip_iteratorINS7_INS6_11hip_rocprim26transform_input_iterator_tIbNSD_35transform_pair_of_input_iterators_tIbNS6_6detail15normal_iteratorINS6_10device_ptrIKxEEEESL_NS6_8equal_toIxEEEENSG_9not_fun_tINSD_8identityEEEEENSD_19counting_iterator_tIlEES8_S8_S8_S8_S8_S8_S8_S8_EEEEPS9_S9_NSD_9__find_if7functorIS9_EEEE10hipError_tPvRmT1_T2_T3_mT4_P12ihipStream_tbEUlT_E0_NS1_11comp_targetILNS1_3genE10ELNS1_11target_archE1201ELNS1_3gpuE5ELNS1_3repE0EEENS1_30default_config_static_selectorELNS0_4arch9wavefront6targetE0EEEvS14_ ; -- Begin function _ZN7rocprim17ROCPRIM_400000_NS6detail17trampoline_kernelINS0_14default_configENS1_22reduce_config_selectorIN6thrust23THRUST_200600_302600_NS5tupleIblNS6_9null_typeES8_S8_S8_S8_S8_S8_S8_EEEEZNS1_11reduce_implILb1ES3_NS6_12zip_iteratorINS7_INS6_11hip_rocprim26transform_input_iterator_tIbNSD_35transform_pair_of_input_iterators_tIbNS6_6detail15normal_iteratorINS6_10device_ptrIKxEEEESL_NS6_8equal_toIxEEEENSG_9not_fun_tINSD_8identityEEEEENSD_19counting_iterator_tIlEES8_S8_S8_S8_S8_S8_S8_S8_EEEEPS9_S9_NSD_9__find_if7functorIS9_EEEE10hipError_tPvRmT1_T2_T3_mT4_P12ihipStream_tbEUlT_E0_NS1_11comp_targetILNS1_3genE10ELNS1_11target_archE1201ELNS1_3gpuE5ELNS1_3repE0EEENS1_30default_config_static_selectorELNS0_4arch9wavefront6targetE0EEEvS14_
	.globl	_ZN7rocprim17ROCPRIM_400000_NS6detail17trampoline_kernelINS0_14default_configENS1_22reduce_config_selectorIN6thrust23THRUST_200600_302600_NS5tupleIblNS6_9null_typeES8_S8_S8_S8_S8_S8_S8_EEEEZNS1_11reduce_implILb1ES3_NS6_12zip_iteratorINS7_INS6_11hip_rocprim26transform_input_iterator_tIbNSD_35transform_pair_of_input_iterators_tIbNS6_6detail15normal_iteratorINS6_10device_ptrIKxEEEESL_NS6_8equal_toIxEEEENSG_9not_fun_tINSD_8identityEEEEENSD_19counting_iterator_tIlEES8_S8_S8_S8_S8_S8_S8_S8_EEEEPS9_S9_NSD_9__find_if7functorIS9_EEEE10hipError_tPvRmT1_T2_T3_mT4_P12ihipStream_tbEUlT_E0_NS1_11comp_targetILNS1_3genE10ELNS1_11target_archE1201ELNS1_3gpuE5ELNS1_3repE0EEENS1_30default_config_static_selectorELNS0_4arch9wavefront6targetE0EEEvS14_
	.p2align	8
	.type	_ZN7rocprim17ROCPRIM_400000_NS6detail17trampoline_kernelINS0_14default_configENS1_22reduce_config_selectorIN6thrust23THRUST_200600_302600_NS5tupleIblNS6_9null_typeES8_S8_S8_S8_S8_S8_S8_EEEEZNS1_11reduce_implILb1ES3_NS6_12zip_iteratorINS7_INS6_11hip_rocprim26transform_input_iterator_tIbNSD_35transform_pair_of_input_iterators_tIbNS6_6detail15normal_iteratorINS6_10device_ptrIKxEEEESL_NS6_8equal_toIxEEEENSG_9not_fun_tINSD_8identityEEEEENSD_19counting_iterator_tIlEES8_S8_S8_S8_S8_S8_S8_S8_EEEEPS9_S9_NSD_9__find_if7functorIS9_EEEE10hipError_tPvRmT1_T2_T3_mT4_P12ihipStream_tbEUlT_E0_NS1_11comp_targetILNS1_3genE10ELNS1_11target_archE1201ELNS1_3gpuE5ELNS1_3repE0EEENS1_30default_config_static_selectorELNS0_4arch9wavefront6targetE0EEEvS14_,@function
_ZN7rocprim17ROCPRIM_400000_NS6detail17trampoline_kernelINS0_14default_configENS1_22reduce_config_selectorIN6thrust23THRUST_200600_302600_NS5tupleIblNS6_9null_typeES8_S8_S8_S8_S8_S8_S8_EEEEZNS1_11reduce_implILb1ES3_NS6_12zip_iteratorINS7_INS6_11hip_rocprim26transform_input_iterator_tIbNSD_35transform_pair_of_input_iterators_tIbNS6_6detail15normal_iteratorINS6_10device_ptrIKxEEEESL_NS6_8equal_toIxEEEENSG_9not_fun_tINSD_8identityEEEEENSD_19counting_iterator_tIlEES8_S8_S8_S8_S8_S8_S8_S8_EEEEPS9_S9_NSD_9__find_if7functorIS9_EEEE10hipError_tPvRmT1_T2_T3_mT4_P12ihipStream_tbEUlT_E0_NS1_11comp_targetILNS1_3genE10ELNS1_11target_archE1201ELNS1_3gpuE5ELNS1_3repE0EEENS1_30default_config_static_selectorELNS0_4arch9wavefront6targetE0EEEvS14_: ; @_ZN7rocprim17ROCPRIM_400000_NS6detail17trampoline_kernelINS0_14default_configENS1_22reduce_config_selectorIN6thrust23THRUST_200600_302600_NS5tupleIblNS6_9null_typeES8_S8_S8_S8_S8_S8_S8_EEEEZNS1_11reduce_implILb1ES3_NS6_12zip_iteratorINS7_INS6_11hip_rocprim26transform_input_iterator_tIbNSD_35transform_pair_of_input_iterators_tIbNS6_6detail15normal_iteratorINS6_10device_ptrIKxEEEESL_NS6_8equal_toIxEEEENSG_9not_fun_tINSD_8identityEEEEENSD_19counting_iterator_tIlEES8_S8_S8_S8_S8_S8_S8_S8_EEEEPS9_S9_NSD_9__find_if7functorIS9_EEEE10hipError_tPvRmT1_T2_T3_mT4_P12ihipStream_tbEUlT_E0_NS1_11comp_targetILNS1_3genE10ELNS1_11target_archE1201ELNS1_3gpuE5ELNS1_3repE0EEENS1_30default_config_static_selectorELNS0_4arch9wavefront6targetE0EEEvS14_
; %bb.0:
	.section	.rodata,"a",@progbits
	.p2align	6, 0x0
	.amdhsa_kernel _ZN7rocprim17ROCPRIM_400000_NS6detail17trampoline_kernelINS0_14default_configENS1_22reduce_config_selectorIN6thrust23THRUST_200600_302600_NS5tupleIblNS6_9null_typeES8_S8_S8_S8_S8_S8_S8_EEEEZNS1_11reduce_implILb1ES3_NS6_12zip_iteratorINS7_INS6_11hip_rocprim26transform_input_iterator_tIbNSD_35transform_pair_of_input_iterators_tIbNS6_6detail15normal_iteratorINS6_10device_ptrIKxEEEESL_NS6_8equal_toIxEEEENSG_9not_fun_tINSD_8identityEEEEENSD_19counting_iterator_tIlEES8_S8_S8_S8_S8_S8_S8_S8_EEEEPS9_S9_NSD_9__find_if7functorIS9_EEEE10hipError_tPvRmT1_T2_T3_mT4_P12ihipStream_tbEUlT_E0_NS1_11comp_targetILNS1_3genE10ELNS1_11target_archE1201ELNS1_3gpuE5ELNS1_3repE0EEENS1_30default_config_static_selectorELNS0_4arch9wavefront6targetE0EEEvS14_
		.amdhsa_group_segment_fixed_size 0
		.amdhsa_private_segment_fixed_size 0
		.amdhsa_kernarg_size 104
		.amdhsa_user_sgpr_count 15
		.amdhsa_user_sgpr_dispatch_ptr 0
		.amdhsa_user_sgpr_queue_ptr 0
		.amdhsa_user_sgpr_kernarg_segment_ptr 1
		.amdhsa_user_sgpr_dispatch_id 0
		.amdhsa_user_sgpr_private_segment_size 0
		.amdhsa_wavefront_size32 1
		.amdhsa_uses_dynamic_stack 0
		.amdhsa_enable_private_segment 0
		.amdhsa_system_sgpr_workgroup_id_x 1
		.amdhsa_system_sgpr_workgroup_id_y 0
		.amdhsa_system_sgpr_workgroup_id_z 0
		.amdhsa_system_sgpr_workgroup_info 0
		.amdhsa_system_vgpr_workitem_id 0
		.amdhsa_next_free_vgpr 1
		.amdhsa_next_free_sgpr 1
		.amdhsa_reserve_vcc 0
		.amdhsa_float_round_mode_32 0
		.amdhsa_float_round_mode_16_64 0
		.amdhsa_float_denorm_mode_32 3
		.amdhsa_float_denorm_mode_16_64 3
		.amdhsa_dx10_clamp 1
		.amdhsa_ieee_mode 1
		.amdhsa_fp16_overflow 0
		.amdhsa_workgroup_processor_mode 1
		.amdhsa_memory_ordered 1
		.amdhsa_forward_progress 0
		.amdhsa_shared_vgpr_count 0
		.amdhsa_exception_fp_ieee_invalid_op 0
		.amdhsa_exception_fp_denorm_src 0
		.amdhsa_exception_fp_ieee_div_zero 0
		.amdhsa_exception_fp_ieee_overflow 0
		.amdhsa_exception_fp_ieee_underflow 0
		.amdhsa_exception_fp_ieee_inexact 0
		.amdhsa_exception_int_div_zero 0
	.end_amdhsa_kernel
	.section	.text._ZN7rocprim17ROCPRIM_400000_NS6detail17trampoline_kernelINS0_14default_configENS1_22reduce_config_selectorIN6thrust23THRUST_200600_302600_NS5tupleIblNS6_9null_typeES8_S8_S8_S8_S8_S8_S8_EEEEZNS1_11reduce_implILb1ES3_NS6_12zip_iteratorINS7_INS6_11hip_rocprim26transform_input_iterator_tIbNSD_35transform_pair_of_input_iterators_tIbNS6_6detail15normal_iteratorINS6_10device_ptrIKxEEEESL_NS6_8equal_toIxEEEENSG_9not_fun_tINSD_8identityEEEEENSD_19counting_iterator_tIlEES8_S8_S8_S8_S8_S8_S8_S8_EEEEPS9_S9_NSD_9__find_if7functorIS9_EEEE10hipError_tPvRmT1_T2_T3_mT4_P12ihipStream_tbEUlT_E0_NS1_11comp_targetILNS1_3genE10ELNS1_11target_archE1201ELNS1_3gpuE5ELNS1_3repE0EEENS1_30default_config_static_selectorELNS0_4arch9wavefront6targetE0EEEvS14_,"axG",@progbits,_ZN7rocprim17ROCPRIM_400000_NS6detail17trampoline_kernelINS0_14default_configENS1_22reduce_config_selectorIN6thrust23THRUST_200600_302600_NS5tupleIblNS6_9null_typeES8_S8_S8_S8_S8_S8_S8_EEEEZNS1_11reduce_implILb1ES3_NS6_12zip_iteratorINS7_INS6_11hip_rocprim26transform_input_iterator_tIbNSD_35transform_pair_of_input_iterators_tIbNS6_6detail15normal_iteratorINS6_10device_ptrIKxEEEESL_NS6_8equal_toIxEEEENSG_9not_fun_tINSD_8identityEEEEENSD_19counting_iterator_tIlEES8_S8_S8_S8_S8_S8_S8_S8_EEEEPS9_S9_NSD_9__find_if7functorIS9_EEEE10hipError_tPvRmT1_T2_T3_mT4_P12ihipStream_tbEUlT_E0_NS1_11comp_targetILNS1_3genE10ELNS1_11target_archE1201ELNS1_3gpuE5ELNS1_3repE0EEENS1_30default_config_static_selectorELNS0_4arch9wavefront6targetE0EEEvS14_,comdat
.Lfunc_end854:
	.size	_ZN7rocprim17ROCPRIM_400000_NS6detail17trampoline_kernelINS0_14default_configENS1_22reduce_config_selectorIN6thrust23THRUST_200600_302600_NS5tupleIblNS6_9null_typeES8_S8_S8_S8_S8_S8_S8_EEEEZNS1_11reduce_implILb1ES3_NS6_12zip_iteratorINS7_INS6_11hip_rocprim26transform_input_iterator_tIbNSD_35transform_pair_of_input_iterators_tIbNS6_6detail15normal_iteratorINS6_10device_ptrIKxEEEESL_NS6_8equal_toIxEEEENSG_9not_fun_tINSD_8identityEEEEENSD_19counting_iterator_tIlEES8_S8_S8_S8_S8_S8_S8_S8_EEEEPS9_S9_NSD_9__find_if7functorIS9_EEEE10hipError_tPvRmT1_T2_T3_mT4_P12ihipStream_tbEUlT_E0_NS1_11comp_targetILNS1_3genE10ELNS1_11target_archE1201ELNS1_3gpuE5ELNS1_3repE0EEENS1_30default_config_static_selectorELNS0_4arch9wavefront6targetE0EEEvS14_, .Lfunc_end854-_ZN7rocprim17ROCPRIM_400000_NS6detail17trampoline_kernelINS0_14default_configENS1_22reduce_config_selectorIN6thrust23THRUST_200600_302600_NS5tupleIblNS6_9null_typeES8_S8_S8_S8_S8_S8_S8_EEEEZNS1_11reduce_implILb1ES3_NS6_12zip_iteratorINS7_INS6_11hip_rocprim26transform_input_iterator_tIbNSD_35transform_pair_of_input_iterators_tIbNS6_6detail15normal_iteratorINS6_10device_ptrIKxEEEESL_NS6_8equal_toIxEEEENSG_9not_fun_tINSD_8identityEEEEENSD_19counting_iterator_tIlEES8_S8_S8_S8_S8_S8_S8_S8_EEEEPS9_S9_NSD_9__find_if7functorIS9_EEEE10hipError_tPvRmT1_T2_T3_mT4_P12ihipStream_tbEUlT_E0_NS1_11comp_targetILNS1_3genE10ELNS1_11target_archE1201ELNS1_3gpuE5ELNS1_3repE0EEENS1_30default_config_static_selectorELNS0_4arch9wavefront6targetE0EEEvS14_
                                        ; -- End function
	.section	.AMDGPU.csdata,"",@progbits
; Kernel info:
; codeLenInByte = 0
; NumSgprs: 0
; NumVgprs: 0
; ScratchSize: 0
; MemoryBound: 0
; FloatMode: 240
; IeeeMode: 1
; LDSByteSize: 0 bytes/workgroup (compile time only)
; SGPRBlocks: 0
; VGPRBlocks: 0
; NumSGPRsForWavesPerEU: 1
; NumVGPRsForWavesPerEU: 1
; Occupancy: 16
; WaveLimiterHint : 0
; COMPUTE_PGM_RSRC2:SCRATCH_EN: 0
; COMPUTE_PGM_RSRC2:USER_SGPR: 15
; COMPUTE_PGM_RSRC2:TRAP_HANDLER: 0
; COMPUTE_PGM_RSRC2:TGID_X_EN: 1
; COMPUTE_PGM_RSRC2:TGID_Y_EN: 0
; COMPUTE_PGM_RSRC2:TGID_Z_EN: 0
; COMPUTE_PGM_RSRC2:TIDIG_COMP_CNT: 0
	.section	.text._ZN7rocprim17ROCPRIM_400000_NS6detail17trampoline_kernelINS0_14default_configENS1_22reduce_config_selectorIN6thrust23THRUST_200600_302600_NS5tupleIblNS6_9null_typeES8_S8_S8_S8_S8_S8_S8_EEEEZNS1_11reduce_implILb1ES3_NS6_12zip_iteratorINS7_INS6_11hip_rocprim26transform_input_iterator_tIbNSD_35transform_pair_of_input_iterators_tIbNS6_6detail15normal_iteratorINS6_10device_ptrIKxEEEESL_NS6_8equal_toIxEEEENSG_9not_fun_tINSD_8identityEEEEENSD_19counting_iterator_tIlEES8_S8_S8_S8_S8_S8_S8_S8_EEEEPS9_S9_NSD_9__find_if7functorIS9_EEEE10hipError_tPvRmT1_T2_T3_mT4_P12ihipStream_tbEUlT_E0_NS1_11comp_targetILNS1_3genE10ELNS1_11target_archE1200ELNS1_3gpuE4ELNS1_3repE0EEENS1_30default_config_static_selectorELNS0_4arch9wavefront6targetE0EEEvS14_,"axG",@progbits,_ZN7rocprim17ROCPRIM_400000_NS6detail17trampoline_kernelINS0_14default_configENS1_22reduce_config_selectorIN6thrust23THRUST_200600_302600_NS5tupleIblNS6_9null_typeES8_S8_S8_S8_S8_S8_S8_EEEEZNS1_11reduce_implILb1ES3_NS6_12zip_iteratorINS7_INS6_11hip_rocprim26transform_input_iterator_tIbNSD_35transform_pair_of_input_iterators_tIbNS6_6detail15normal_iteratorINS6_10device_ptrIKxEEEESL_NS6_8equal_toIxEEEENSG_9not_fun_tINSD_8identityEEEEENSD_19counting_iterator_tIlEES8_S8_S8_S8_S8_S8_S8_S8_EEEEPS9_S9_NSD_9__find_if7functorIS9_EEEE10hipError_tPvRmT1_T2_T3_mT4_P12ihipStream_tbEUlT_E0_NS1_11comp_targetILNS1_3genE10ELNS1_11target_archE1200ELNS1_3gpuE4ELNS1_3repE0EEENS1_30default_config_static_selectorELNS0_4arch9wavefront6targetE0EEEvS14_,comdat
	.protected	_ZN7rocprim17ROCPRIM_400000_NS6detail17trampoline_kernelINS0_14default_configENS1_22reduce_config_selectorIN6thrust23THRUST_200600_302600_NS5tupleIblNS6_9null_typeES8_S8_S8_S8_S8_S8_S8_EEEEZNS1_11reduce_implILb1ES3_NS6_12zip_iteratorINS7_INS6_11hip_rocprim26transform_input_iterator_tIbNSD_35transform_pair_of_input_iterators_tIbNS6_6detail15normal_iteratorINS6_10device_ptrIKxEEEESL_NS6_8equal_toIxEEEENSG_9not_fun_tINSD_8identityEEEEENSD_19counting_iterator_tIlEES8_S8_S8_S8_S8_S8_S8_S8_EEEEPS9_S9_NSD_9__find_if7functorIS9_EEEE10hipError_tPvRmT1_T2_T3_mT4_P12ihipStream_tbEUlT_E0_NS1_11comp_targetILNS1_3genE10ELNS1_11target_archE1200ELNS1_3gpuE4ELNS1_3repE0EEENS1_30default_config_static_selectorELNS0_4arch9wavefront6targetE0EEEvS14_ ; -- Begin function _ZN7rocprim17ROCPRIM_400000_NS6detail17trampoline_kernelINS0_14default_configENS1_22reduce_config_selectorIN6thrust23THRUST_200600_302600_NS5tupleIblNS6_9null_typeES8_S8_S8_S8_S8_S8_S8_EEEEZNS1_11reduce_implILb1ES3_NS6_12zip_iteratorINS7_INS6_11hip_rocprim26transform_input_iterator_tIbNSD_35transform_pair_of_input_iterators_tIbNS6_6detail15normal_iteratorINS6_10device_ptrIKxEEEESL_NS6_8equal_toIxEEEENSG_9not_fun_tINSD_8identityEEEEENSD_19counting_iterator_tIlEES8_S8_S8_S8_S8_S8_S8_S8_EEEEPS9_S9_NSD_9__find_if7functorIS9_EEEE10hipError_tPvRmT1_T2_T3_mT4_P12ihipStream_tbEUlT_E0_NS1_11comp_targetILNS1_3genE10ELNS1_11target_archE1200ELNS1_3gpuE4ELNS1_3repE0EEENS1_30default_config_static_selectorELNS0_4arch9wavefront6targetE0EEEvS14_
	.globl	_ZN7rocprim17ROCPRIM_400000_NS6detail17trampoline_kernelINS0_14default_configENS1_22reduce_config_selectorIN6thrust23THRUST_200600_302600_NS5tupleIblNS6_9null_typeES8_S8_S8_S8_S8_S8_S8_EEEEZNS1_11reduce_implILb1ES3_NS6_12zip_iteratorINS7_INS6_11hip_rocprim26transform_input_iterator_tIbNSD_35transform_pair_of_input_iterators_tIbNS6_6detail15normal_iteratorINS6_10device_ptrIKxEEEESL_NS6_8equal_toIxEEEENSG_9not_fun_tINSD_8identityEEEEENSD_19counting_iterator_tIlEES8_S8_S8_S8_S8_S8_S8_S8_EEEEPS9_S9_NSD_9__find_if7functorIS9_EEEE10hipError_tPvRmT1_T2_T3_mT4_P12ihipStream_tbEUlT_E0_NS1_11comp_targetILNS1_3genE10ELNS1_11target_archE1200ELNS1_3gpuE4ELNS1_3repE0EEENS1_30default_config_static_selectorELNS0_4arch9wavefront6targetE0EEEvS14_
	.p2align	8
	.type	_ZN7rocprim17ROCPRIM_400000_NS6detail17trampoline_kernelINS0_14default_configENS1_22reduce_config_selectorIN6thrust23THRUST_200600_302600_NS5tupleIblNS6_9null_typeES8_S8_S8_S8_S8_S8_S8_EEEEZNS1_11reduce_implILb1ES3_NS6_12zip_iteratorINS7_INS6_11hip_rocprim26transform_input_iterator_tIbNSD_35transform_pair_of_input_iterators_tIbNS6_6detail15normal_iteratorINS6_10device_ptrIKxEEEESL_NS6_8equal_toIxEEEENSG_9not_fun_tINSD_8identityEEEEENSD_19counting_iterator_tIlEES8_S8_S8_S8_S8_S8_S8_S8_EEEEPS9_S9_NSD_9__find_if7functorIS9_EEEE10hipError_tPvRmT1_T2_T3_mT4_P12ihipStream_tbEUlT_E0_NS1_11comp_targetILNS1_3genE10ELNS1_11target_archE1200ELNS1_3gpuE4ELNS1_3repE0EEENS1_30default_config_static_selectorELNS0_4arch9wavefront6targetE0EEEvS14_,@function
_ZN7rocprim17ROCPRIM_400000_NS6detail17trampoline_kernelINS0_14default_configENS1_22reduce_config_selectorIN6thrust23THRUST_200600_302600_NS5tupleIblNS6_9null_typeES8_S8_S8_S8_S8_S8_S8_EEEEZNS1_11reduce_implILb1ES3_NS6_12zip_iteratorINS7_INS6_11hip_rocprim26transform_input_iterator_tIbNSD_35transform_pair_of_input_iterators_tIbNS6_6detail15normal_iteratorINS6_10device_ptrIKxEEEESL_NS6_8equal_toIxEEEENSG_9not_fun_tINSD_8identityEEEEENSD_19counting_iterator_tIlEES8_S8_S8_S8_S8_S8_S8_S8_EEEEPS9_S9_NSD_9__find_if7functorIS9_EEEE10hipError_tPvRmT1_T2_T3_mT4_P12ihipStream_tbEUlT_E0_NS1_11comp_targetILNS1_3genE10ELNS1_11target_archE1200ELNS1_3gpuE4ELNS1_3repE0EEENS1_30default_config_static_selectorELNS0_4arch9wavefront6targetE0EEEvS14_: ; @_ZN7rocprim17ROCPRIM_400000_NS6detail17trampoline_kernelINS0_14default_configENS1_22reduce_config_selectorIN6thrust23THRUST_200600_302600_NS5tupleIblNS6_9null_typeES8_S8_S8_S8_S8_S8_S8_EEEEZNS1_11reduce_implILb1ES3_NS6_12zip_iteratorINS7_INS6_11hip_rocprim26transform_input_iterator_tIbNSD_35transform_pair_of_input_iterators_tIbNS6_6detail15normal_iteratorINS6_10device_ptrIKxEEEESL_NS6_8equal_toIxEEEENSG_9not_fun_tINSD_8identityEEEEENSD_19counting_iterator_tIlEES8_S8_S8_S8_S8_S8_S8_S8_EEEEPS9_S9_NSD_9__find_if7functorIS9_EEEE10hipError_tPvRmT1_T2_T3_mT4_P12ihipStream_tbEUlT_E0_NS1_11comp_targetILNS1_3genE10ELNS1_11target_archE1200ELNS1_3gpuE4ELNS1_3repE0EEENS1_30default_config_static_selectorELNS0_4arch9wavefront6targetE0EEEvS14_
; %bb.0:
	.section	.rodata,"a",@progbits
	.p2align	6, 0x0
	.amdhsa_kernel _ZN7rocprim17ROCPRIM_400000_NS6detail17trampoline_kernelINS0_14default_configENS1_22reduce_config_selectorIN6thrust23THRUST_200600_302600_NS5tupleIblNS6_9null_typeES8_S8_S8_S8_S8_S8_S8_EEEEZNS1_11reduce_implILb1ES3_NS6_12zip_iteratorINS7_INS6_11hip_rocprim26transform_input_iterator_tIbNSD_35transform_pair_of_input_iterators_tIbNS6_6detail15normal_iteratorINS6_10device_ptrIKxEEEESL_NS6_8equal_toIxEEEENSG_9not_fun_tINSD_8identityEEEEENSD_19counting_iterator_tIlEES8_S8_S8_S8_S8_S8_S8_S8_EEEEPS9_S9_NSD_9__find_if7functorIS9_EEEE10hipError_tPvRmT1_T2_T3_mT4_P12ihipStream_tbEUlT_E0_NS1_11comp_targetILNS1_3genE10ELNS1_11target_archE1200ELNS1_3gpuE4ELNS1_3repE0EEENS1_30default_config_static_selectorELNS0_4arch9wavefront6targetE0EEEvS14_
		.amdhsa_group_segment_fixed_size 0
		.amdhsa_private_segment_fixed_size 0
		.amdhsa_kernarg_size 104
		.amdhsa_user_sgpr_count 15
		.amdhsa_user_sgpr_dispatch_ptr 0
		.amdhsa_user_sgpr_queue_ptr 0
		.amdhsa_user_sgpr_kernarg_segment_ptr 1
		.amdhsa_user_sgpr_dispatch_id 0
		.amdhsa_user_sgpr_private_segment_size 0
		.amdhsa_wavefront_size32 1
		.amdhsa_uses_dynamic_stack 0
		.amdhsa_enable_private_segment 0
		.amdhsa_system_sgpr_workgroup_id_x 1
		.amdhsa_system_sgpr_workgroup_id_y 0
		.amdhsa_system_sgpr_workgroup_id_z 0
		.amdhsa_system_sgpr_workgroup_info 0
		.amdhsa_system_vgpr_workitem_id 0
		.amdhsa_next_free_vgpr 1
		.amdhsa_next_free_sgpr 1
		.amdhsa_reserve_vcc 0
		.amdhsa_float_round_mode_32 0
		.amdhsa_float_round_mode_16_64 0
		.amdhsa_float_denorm_mode_32 3
		.amdhsa_float_denorm_mode_16_64 3
		.amdhsa_dx10_clamp 1
		.amdhsa_ieee_mode 1
		.amdhsa_fp16_overflow 0
		.amdhsa_workgroup_processor_mode 1
		.amdhsa_memory_ordered 1
		.amdhsa_forward_progress 0
		.amdhsa_shared_vgpr_count 0
		.amdhsa_exception_fp_ieee_invalid_op 0
		.amdhsa_exception_fp_denorm_src 0
		.amdhsa_exception_fp_ieee_div_zero 0
		.amdhsa_exception_fp_ieee_overflow 0
		.amdhsa_exception_fp_ieee_underflow 0
		.amdhsa_exception_fp_ieee_inexact 0
		.amdhsa_exception_int_div_zero 0
	.end_amdhsa_kernel
	.section	.text._ZN7rocprim17ROCPRIM_400000_NS6detail17trampoline_kernelINS0_14default_configENS1_22reduce_config_selectorIN6thrust23THRUST_200600_302600_NS5tupleIblNS6_9null_typeES8_S8_S8_S8_S8_S8_S8_EEEEZNS1_11reduce_implILb1ES3_NS6_12zip_iteratorINS7_INS6_11hip_rocprim26transform_input_iterator_tIbNSD_35transform_pair_of_input_iterators_tIbNS6_6detail15normal_iteratorINS6_10device_ptrIKxEEEESL_NS6_8equal_toIxEEEENSG_9not_fun_tINSD_8identityEEEEENSD_19counting_iterator_tIlEES8_S8_S8_S8_S8_S8_S8_S8_EEEEPS9_S9_NSD_9__find_if7functorIS9_EEEE10hipError_tPvRmT1_T2_T3_mT4_P12ihipStream_tbEUlT_E0_NS1_11comp_targetILNS1_3genE10ELNS1_11target_archE1200ELNS1_3gpuE4ELNS1_3repE0EEENS1_30default_config_static_selectorELNS0_4arch9wavefront6targetE0EEEvS14_,"axG",@progbits,_ZN7rocprim17ROCPRIM_400000_NS6detail17trampoline_kernelINS0_14default_configENS1_22reduce_config_selectorIN6thrust23THRUST_200600_302600_NS5tupleIblNS6_9null_typeES8_S8_S8_S8_S8_S8_S8_EEEEZNS1_11reduce_implILb1ES3_NS6_12zip_iteratorINS7_INS6_11hip_rocprim26transform_input_iterator_tIbNSD_35transform_pair_of_input_iterators_tIbNS6_6detail15normal_iteratorINS6_10device_ptrIKxEEEESL_NS6_8equal_toIxEEEENSG_9not_fun_tINSD_8identityEEEEENSD_19counting_iterator_tIlEES8_S8_S8_S8_S8_S8_S8_S8_EEEEPS9_S9_NSD_9__find_if7functorIS9_EEEE10hipError_tPvRmT1_T2_T3_mT4_P12ihipStream_tbEUlT_E0_NS1_11comp_targetILNS1_3genE10ELNS1_11target_archE1200ELNS1_3gpuE4ELNS1_3repE0EEENS1_30default_config_static_selectorELNS0_4arch9wavefront6targetE0EEEvS14_,comdat
.Lfunc_end855:
	.size	_ZN7rocprim17ROCPRIM_400000_NS6detail17trampoline_kernelINS0_14default_configENS1_22reduce_config_selectorIN6thrust23THRUST_200600_302600_NS5tupleIblNS6_9null_typeES8_S8_S8_S8_S8_S8_S8_EEEEZNS1_11reduce_implILb1ES3_NS6_12zip_iteratorINS7_INS6_11hip_rocprim26transform_input_iterator_tIbNSD_35transform_pair_of_input_iterators_tIbNS6_6detail15normal_iteratorINS6_10device_ptrIKxEEEESL_NS6_8equal_toIxEEEENSG_9not_fun_tINSD_8identityEEEEENSD_19counting_iterator_tIlEES8_S8_S8_S8_S8_S8_S8_S8_EEEEPS9_S9_NSD_9__find_if7functorIS9_EEEE10hipError_tPvRmT1_T2_T3_mT4_P12ihipStream_tbEUlT_E0_NS1_11comp_targetILNS1_3genE10ELNS1_11target_archE1200ELNS1_3gpuE4ELNS1_3repE0EEENS1_30default_config_static_selectorELNS0_4arch9wavefront6targetE0EEEvS14_, .Lfunc_end855-_ZN7rocprim17ROCPRIM_400000_NS6detail17trampoline_kernelINS0_14default_configENS1_22reduce_config_selectorIN6thrust23THRUST_200600_302600_NS5tupleIblNS6_9null_typeES8_S8_S8_S8_S8_S8_S8_EEEEZNS1_11reduce_implILb1ES3_NS6_12zip_iteratorINS7_INS6_11hip_rocprim26transform_input_iterator_tIbNSD_35transform_pair_of_input_iterators_tIbNS6_6detail15normal_iteratorINS6_10device_ptrIKxEEEESL_NS6_8equal_toIxEEEENSG_9not_fun_tINSD_8identityEEEEENSD_19counting_iterator_tIlEES8_S8_S8_S8_S8_S8_S8_S8_EEEEPS9_S9_NSD_9__find_if7functorIS9_EEEE10hipError_tPvRmT1_T2_T3_mT4_P12ihipStream_tbEUlT_E0_NS1_11comp_targetILNS1_3genE10ELNS1_11target_archE1200ELNS1_3gpuE4ELNS1_3repE0EEENS1_30default_config_static_selectorELNS0_4arch9wavefront6targetE0EEEvS14_
                                        ; -- End function
	.section	.AMDGPU.csdata,"",@progbits
; Kernel info:
; codeLenInByte = 0
; NumSgprs: 0
; NumVgprs: 0
; ScratchSize: 0
; MemoryBound: 0
; FloatMode: 240
; IeeeMode: 1
; LDSByteSize: 0 bytes/workgroup (compile time only)
; SGPRBlocks: 0
; VGPRBlocks: 0
; NumSGPRsForWavesPerEU: 1
; NumVGPRsForWavesPerEU: 1
; Occupancy: 16
; WaveLimiterHint : 0
; COMPUTE_PGM_RSRC2:SCRATCH_EN: 0
; COMPUTE_PGM_RSRC2:USER_SGPR: 15
; COMPUTE_PGM_RSRC2:TRAP_HANDLER: 0
; COMPUTE_PGM_RSRC2:TGID_X_EN: 1
; COMPUTE_PGM_RSRC2:TGID_Y_EN: 0
; COMPUTE_PGM_RSRC2:TGID_Z_EN: 0
; COMPUTE_PGM_RSRC2:TIDIG_COMP_CNT: 0
	.section	.text._ZN7rocprim17ROCPRIM_400000_NS6detail17trampoline_kernelINS0_14default_configENS1_22reduce_config_selectorIN6thrust23THRUST_200600_302600_NS5tupleIblNS6_9null_typeES8_S8_S8_S8_S8_S8_S8_EEEEZNS1_11reduce_implILb1ES3_NS6_12zip_iteratorINS7_INS6_11hip_rocprim26transform_input_iterator_tIbNSD_35transform_pair_of_input_iterators_tIbNS6_6detail15normal_iteratorINS6_10device_ptrIKxEEEESL_NS6_8equal_toIxEEEENSG_9not_fun_tINSD_8identityEEEEENSD_19counting_iterator_tIlEES8_S8_S8_S8_S8_S8_S8_S8_EEEEPS9_S9_NSD_9__find_if7functorIS9_EEEE10hipError_tPvRmT1_T2_T3_mT4_P12ihipStream_tbEUlT_E0_NS1_11comp_targetILNS1_3genE9ELNS1_11target_archE1100ELNS1_3gpuE3ELNS1_3repE0EEENS1_30default_config_static_selectorELNS0_4arch9wavefront6targetE0EEEvS14_,"axG",@progbits,_ZN7rocprim17ROCPRIM_400000_NS6detail17trampoline_kernelINS0_14default_configENS1_22reduce_config_selectorIN6thrust23THRUST_200600_302600_NS5tupleIblNS6_9null_typeES8_S8_S8_S8_S8_S8_S8_EEEEZNS1_11reduce_implILb1ES3_NS6_12zip_iteratorINS7_INS6_11hip_rocprim26transform_input_iterator_tIbNSD_35transform_pair_of_input_iterators_tIbNS6_6detail15normal_iteratorINS6_10device_ptrIKxEEEESL_NS6_8equal_toIxEEEENSG_9not_fun_tINSD_8identityEEEEENSD_19counting_iterator_tIlEES8_S8_S8_S8_S8_S8_S8_S8_EEEEPS9_S9_NSD_9__find_if7functorIS9_EEEE10hipError_tPvRmT1_T2_T3_mT4_P12ihipStream_tbEUlT_E0_NS1_11comp_targetILNS1_3genE9ELNS1_11target_archE1100ELNS1_3gpuE3ELNS1_3repE0EEENS1_30default_config_static_selectorELNS0_4arch9wavefront6targetE0EEEvS14_,comdat
	.protected	_ZN7rocprim17ROCPRIM_400000_NS6detail17trampoline_kernelINS0_14default_configENS1_22reduce_config_selectorIN6thrust23THRUST_200600_302600_NS5tupleIblNS6_9null_typeES8_S8_S8_S8_S8_S8_S8_EEEEZNS1_11reduce_implILb1ES3_NS6_12zip_iteratorINS7_INS6_11hip_rocprim26transform_input_iterator_tIbNSD_35transform_pair_of_input_iterators_tIbNS6_6detail15normal_iteratorINS6_10device_ptrIKxEEEESL_NS6_8equal_toIxEEEENSG_9not_fun_tINSD_8identityEEEEENSD_19counting_iterator_tIlEES8_S8_S8_S8_S8_S8_S8_S8_EEEEPS9_S9_NSD_9__find_if7functorIS9_EEEE10hipError_tPvRmT1_T2_T3_mT4_P12ihipStream_tbEUlT_E0_NS1_11comp_targetILNS1_3genE9ELNS1_11target_archE1100ELNS1_3gpuE3ELNS1_3repE0EEENS1_30default_config_static_selectorELNS0_4arch9wavefront6targetE0EEEvS14_ ; -- Begin function _ZN7rocprim17ROCPRIM_400000_NS6detail17trampoline_kernelINS0_14default_configENS1_22reduce_config_selectorIN6thrust23THRUST_200600_302600_NS5tupleIblNS6_9null_typeES8_S8_S8_S8_S8_S8_S8_EEEEZNS1_11reduce_implILb1ES3_NS6_12zip_iteratorINS7_INS6_11hip_rocprim26transform_input_iterator_tIbNSD_35transform_pair_of_input_iterators_tIbNS6_6detail15normal_iteratorINS6_10device_ptrIKxEEEESL_NS6_8equal_toIxEEEENSG_9not_fun_tINSD_8identityEEEEENSD_19counting_iterator_tIlEES8_S8_S8_S8_S8_S8_S8_S8_EEEEPS9_S9_NSD_9__find_if7functorIS9_EEEE10hipError_tPvRmT1_T2_T3_mT4_P12ihipStream_tbEUlT_E0_NS1_11comp_targetILNS1_3genE9ELNS1_11target_archE1100ELNS1_3gpuE3ELNS1_3repE0EEENS1_30default_config_static_selectorELNS0_4arch9wavefront6targetE0EEEvS14_
	.globl	_ZN7rocprim17ROCPRIM_400000_NS6detail17trampoline_kernelINS0_14default_configENS1_22reduce_config_selectorIN6thrust23THRUST_200600_302600_NS5tupleIblNS6_9null_typeES8_S8_S8_S8_S8_S8_S8_EEEEZNS1_11reduce_implILb1ES3_NS6_12zip_iteratorINS7_INS6_11hip_rocprim26transform_input_iterator_tIbNSD_35transform_pair_of_input_iterators_tIbNS6_6detail15normal_iteratorINS6_10device_ptrIKxEEEESL_NS6_8equal_toIxEEEENSG_9not_fun_tINSD_8identityEEEEENSD_19counting_iterator_tIlEES8_S8_S8_S8_S8_S8_S8_S8_EEEEPS9_S9_NSD_9__find_if7functorIS9_EEEE10hipError_tPvRmT1_T2_T3_mT4_P12ihipStream_tbEUlT_E0_NS1_11comp_targetILNS1_3genE9ELNS1_11target_archE1100ELNS1_3gpuE3ELNS1_3repE0EEENS1_30default_config_static_selectorELNS0_4arch9wavefront6targetE0EEEvS14_
	.p2align	8
	.type	_ZN7rocprim17ROCPRIM_400000_NS6detail17trampoline_kernelINS0_14default_configENS1_22reduce_config_selectorIN6thrust23THRUST_200600_302600_NS5tupleIblNS6_9null_typeES8_S8_S8_S8_S8_S8_S8_EEEEZNS1_11reduce_implILb1ES3_NS6_12zip_iteratorINS7_INS6_11hip_rocprim26transform_input_iterator_tIbNSD_35transform_pair_of_input_iterators_tIbNS6_6detail15normal_iteratorINS6_10device_ptrIKxEEEESL_NS6_8equal_toIxEEEENSG_9not_fun_tINSD_8identityEEEEENSD_19counting_iterator_tIlEES8_S8_S8_S8_S8_S8_S8_S8_EEEEPS9_S9_NSD_9__find_if7functorIS9_EEEE10hipError_tPvRmT1_T2_T3_mT4_P12ihipStream_tbEUlT_E0_NS1_11comp_targetILNS1_3genE9ELNS1_11target_archE1100ELNS1_3gpuE3ELNS1_3repE0EEENS1_30default_config_static_selectorELNS0_4arch9wavefront6targetE0EEEvS14_,@function
_ZN7rocprim17ROCPRIM_400000_NS6detail17trampoline_kernelINS0_14default_configENS1_22reduce_config_selectorIN6thrust23THRUST_200600_302600_NS5tupleIblNS6_9null_typeES8_S8_S8_S8_S8_S8_S8_EEEEZNS1_11reduce_implILb1ES3_NS6_12zip_iteratorINS7_INS6_11hip_rocprim26transform_input_iterator_tIbNSD_35transform_pair_of_input_iterators_tIbNS6_6detail15normal_iteratorINS6_10device_ptrIKxEEEESL_NS6_8equal_toIxEEEENSG_9not_fun_tINSD_8identityEEEEENSD_19counting_iterator_tIlEES8_S8_S8_S8_S8_S8_S8_S8_EEEEPS9_S9_NSD_9__find_if7functorIS9_EEEE10hipError_tPvRmT1_T2_T3_mT4_P12ihipStream_tbEUlT_E0_NS1_11comp_targetILNS1_3genE9ELNS1_11target_archE1100ELNS1_3gpuE3ELNS1_3repE0EEENS1_30default_config_static_selectorELNS0_4arch9wavefront6targetE0EEEvS14_: ; @_ZN7rocprim17ROCPRIM_400000_NS6detail17trampoline_kernelINS0_14default_configENS1_22reduce_config_selectorIN6thrust23THRUST_200600_302600_NS5tupleIblNS6_9null_typeES8_S8_S8_S8_S8_S8_S8_EEEEZNS1_11reduce_implILb1ES3_NS6_12zip_iteratorINS7_INS6_11hip_rocprim26transform_input_iterator_tIbNSD_35transform_pair_of_input_iterators_tIbNS6_6detail15normal_iteratorINS6_10device_ptrIKxEEEESL_NS6_8equal_toIxEEEENSG_9not_fun_tINSD_8identityEEEEENSD_19counting_iterator_tIlEES8_S8_S8_S8_S8_S8_S8_S8_EEEEPS9_S9_NSD_9__find_if7functorIS9_EEEE10hipError_tPvRmT1_T2_T3_mT4_P12ihipStream_tbEUlT_E0_NS1_11comp_targetILNS1_3genE9ELNS1_11target_archE1100ELNS1_3gpuE3ELNS1_3repE0EEENS1_30default_config_static_selectorELNS0_4arch9wavefront6targetE0EEEvS14_
; %bb.0:
	s_clause 0x1
	s_load_b256 s[4:11], s[0:1], 0x20
	s_load_b128 s[24:27], s[0:1], 0x0
	s_mov_b32 s16, s15
	s_load_b128 s[12:15], s[0:1], 0x40
	s_mov_b32 s23, 0
	v_lshlrev_b32_e32 v7, 3, v0
	s_mov_b32 s17, s23
	s_waitcnt lgkmcnt(0)
	s_lshl_b64 s[2:3], s[6:7], 3
	s_delay_alu instid0(SALU_CYCLE_1)
	s_add_u32 s18, s24, s2
	s_addc_u32 s19, s25, s3
	s_add_u32 s20, s26, s2
	s_addc_u32 s21, s27, s3
	s_lshl_b32 s22, s16, 10
	s_lshr_b64 s[24:25], s[8:9], 10
	s_lshl_b64 s[2:3], s[22:23], 3
	s_delay_alu instid0(SALU_CYCLE_1)
	s_add_u32 s18, s18, s2
	s_addc_u32 s19, s19, s3
	s_add_u32 s20, s20, s2
	s_addc_u32 s21, s21, s3
	;; [unrolled: 2-line block ×4, first 2 shown]
	s_cmp_lg_u64 s[24:25], s[16:17]
	s_cbranch_scc0 .LBB856_16
; %bb.1:
	v_add_co_u32 v8, s2, s18, v7
	s_delay_alu instid0(VALU_DEP_1) | instskip(SKIP_1) | instid1(VALU_DEP_1)
	v_add_co_ci_u32_e64 v9, null, s19, 0, s2
	v_add_co_u32 v5, s2, s20, v7
	v_add_co_ci_u32_e64 v6, null, s21, 0, s2
	s_clause 0x1
	global_load_b64 v[1:2], v7, s[20:21] offset:2048
	global_load_b64 v[3:4], v7, s[18:19] offset:2048
	v_add_co_u32 v5, vcc_lo, 0x1000, v5
	v_add_co_ci_u32_e32 v6, vcc_lo, 0, v6, vcc_lo
	v_add_co_u32 v8, vcc_lo, 0x1000, v8
	v_add_co_ci_u32_e32 v9, vcc_lo, 0, v9, vcc_lo
	s_clause 0x1
	global_load_b64 v[10:11], v7, s[20:21]
	global_load_b64 v[12:13], v7, s[18:19]
	global_load_b64 v[14:15], v[5:6], off
	s_clause 0x1
	global_load_b64 v[16:17], v[8:9], off
	global_load_b64 v[8:9], v[8:9], off offset:2048
	global_load_b64 v[5:6], v[5:6], off offset:2048
	v_mov_b32_e32 v18, 0x100
	s_waitcnt vmcnt(6)
	v_cmp_ne_u64_e32 vcc_lo, v[3:4], v[1:2]
	s_waitcnt vmcnt(4)
	v_cmp_ne_u64_e64 s2, v[12:13], v[10:11]
	v_cndmask_b32_e32 v1, 0x200, v18, vcc_lo
	s_waitcnt vmcnt(2)
	v_cmp_ne_u64_e64 s3, v[16:17], v[14:15]
	s_waitcnt vmcnt(0)
	v_cmp_ne_u64_e64 s4, v[8:9], v[5:6]
	v_cndmask_b32_e64 v1, v1, 0, s2
	s_or_b32 s2, s2, vcc_lo
	s_delay_alu instid0(VALU_DEP_3) | instid1(SALU_CYCLE_1)
	s_or_b32 vcc_lo, s2, s3
	v_add_co_u32 v2, s2, s5, v0
	s_delay_alu instid0(VALU_DEP_3) | instskip(SKIP_3) | instid1(VALU_DEP_1)
	s_or_b32 s3, vcc_lo, s4
	v_add_co_ci_u32_e64 v3, null, s23, 0, s2
	v_cndmask_b32_e64 v5, 0, 1, s3
	s_mov_b32 s4, exec_lo
	v_mov_b32_dpp v6, v5 quad_perm:[1,0,3,2] row_mask:0xf bank_mask:0xf
	s_delay_alu instid0(VALU_DEP_1) | instskip(NEXT) | instid1(VALU_DEP_1)
	v_dual_cndmask_b32 v1, 0x300, v1 :: v_dual_and_b32 v8, 1, v6
	v_add_co_u32 v1, vcc_lo, v2, v1
	v_add_co_ci_u32_e32 v2, vcc_lo, 0, v3, vcc_lo
	s_delay_alu instid0(VALU_DEP_2) | instskip(NEXT) | instid1(VALU_DEP_2)
	v_mov_b32_dpp v3, v1 quad_perm:[1,0,3,2] row_mask:0xf bank_mask:0xf
	v_mov_b32_dpp v4, v2 quad_perm:[1,0,3,2] row_mask:0xf bank_mask:0xf
	v_cmpx_eq_u32_e32 1, v8
; %bb.2:
	v_cndmask_b32_e64 v5, v6, 1, s3
	s_delay_alu instid0(VALU_DEP_3) | instskip(NEXT) | instid1(VALU_DEP_2)
	v_cmp_lt_i64_e32 vcc_lo, v[1:2], v[3:4]
	v_and_b32_e32 v6, 1, v5
	v_and_b32_e32 v5, 0xff, v5
	s_and_b32 vcc_lo, s3, vcc_lo
	s_and_not1_b32 s3, s3, exec_lo
	v_dual_cndmask_b32 v2, v4, v2 :: v_dual_cndmask_b32 v1, v3, v1
	v_cmp_eq_u32_e64 s2, 1, v6
	s_delay_alu instid0(VALU_DEP_1) | instskip(NEXT) | instid1(SALU_CYCLE_1)
	s_and_b32 s2, s2, exec_lo
	s_or_b32 s3, s3, s2
; %bb.3:
	s_or_b32 exec_lo, exec_lo, s4
	v_mov_b32_dpp v6, v5 quad_perm:[2,3,0,1] row_mask:0xf bank_mask:0xf
	v_mov_b32_dpp v3, v1 quad_perm:[2,3,0,1] row_mask:0xf bank_mask:0xf
	;; [unrolled: 1-line block ×3, first 2 shown]
	s_mov_b32 s4, exec_lo
	s_delay_alu instid0(VALU_DEP_3) | instskip(NEXT) | instid1(VALU_DEP_1)
	v_and_b32_e32 v8, 1, v6
	v_cmpx_eq_u32_e32 1, v8
; %bb.4:
	v_cndmask_b32_e64 v5, v6, 1, s3
	v_cmp_lt_i64_e32 vcc_lo, v[1:2], v[3:4]
	s_delay_alu instid0(VALU_DEP_2)
	v_and_b32_e32 v6, 1, v5
	v_and_b32_e32 v5, 0xff, v5
	s_and_b32 vcc_lo, s3, vcc_lo
	s_and_not1_b32 s3, s3, exec_lo
	v_dual_cndmask_b32 v2, v4, v2 :: v_dual_cndmask_b32 v1, v3, v1
	v_cmp_eq_u32_e64 s2, 1, v6
	s_delay_alu instid0(VALU_DEP_1) | instskip(NEXT) | instid1(SALU_CYCLE_1)
	s_and_b32 s2, s2, exec_lo
	s_or_b32 s3, s3, s2
; %bb.5:
	s_or_b32 exec_lo, exec_lo, s4
	v_mov_b32_dpp v6, v5 row_ror:4 row_mask:0xf bank_mask:0xf
	v_mov_b32_dpp v3, v1 row_ror:4 row_mask:0xf bank_mask:0xf
	;; [unrolled: 1-line block ×3, first 2 shown]
	s_mov_b32 s4, exec_lo
	s_delay_alu instid0(VALU_DEP_3) | instskip(NEXT) | instid1(VALU_DEP_1)
	v_and_b32_e32 v8, 1, v6
	v_cmpx_eq_u32_e32 1, v8
; %bb.6:
	v_cndmask_b32_e64 v5, v6, 1, s3
	v_cmp_lt_i64_e32 vcc_lo, v[1:2], v[3:4]
	s_delay_alu instid0(VALU_DEP_2)
	v_and_b32_e32 v6, 1, v5
	v_and_b32_e32 v5, 0xff, v5
	s_and_b32 vcc_lo, s3, vcc_lo
	s_and_not1_b32 s3, s3, exec_lo
	v_dual_cndmask_b32 v2, v4, v2 :: v_dual_cndmask_b32 v1, v3, v1
	v_cmp_eq_u32_e64 s2, 1, v6
	s_delay_alu instid0(VALU_DEP_1) | instskip(NEXT) | instid1(SALU_CYCLE_1)
	s_and_b32 s2, s2, exec_lo
	s_or_b32 s3, s3, s2
; %bb.7:
	s_or_b32 exec_lo, exec_lo, s4
	v_mov_b32_dpp v6, v5 row_ror:8 row_mask:0xf bank_mask:0xf
	v_mov_b32_dpp v3, v1 row_ror:8 row_mask:0xf bank_mask:0xf
	v_mov_b32_dpp v4, v2 row_ror:8 row_mask:0xf bank_mask:0xf
	s_mov_b32 s4, exec_lo
	s_delay_alu instid0(VALU_DEP_3) | instskip(NEXT) | instid1(VALU_DEP_1)
	v_and_b32_e32 v8, 1, v6
	v_cmpx_eq_u32_e32 1, v8
; %bb.8:
	v_cndmask_b32_e64 v5, v6, 1, s3
	v_cmp_lt_i64_e32 vcc_lo, v[1:2], v[3:4]
	s_delay_alu instid0(VALU_DEP_2)
	v_and_b32_e32 v6, 1, v5
	v_and_b32_e32 v5, 0xff, v5
	s_and_b32 vcc_lo, s3, vcc_lo
	s_and_not1_b32 s3, s3, exec_lo
	v_dual_cndmask_b32 v2, v4, v2 :: v_dual_cndmask_b32 v1, v3, v1
	v_cmp_eq_u32_e64 s2, 1, v6
	s_delay_alu instid0(VALU_DEP_1) | instskip(NEXT) | instid1(SALU_CYCLE_1)
	s_and_b32 s2, s2, exec_lo
	s_or_b32 s3, s3, s2
; %bb.9:
	s_or_b32 exec_lo, exec_lo, s4
	ds_swizzle_b32 v6, v5 offset:swizzle(BROADCAST,32,15)
	ds_swizzle_b32 v3, v1 offset:swizzle(BROADCAST,32,15)
	;; [unrolled: 1-line block ×3, first 2 shown]
	s_mov_b32 s2, exec_lo
	s_waitcnt lgkmcnt(2)
	v_and_b32_e32 v8, 1, v6
	s_delay_alu instid0(VALU_DEP_1)
	v_cmpx_eq_u32_e32 1, v8
	s_cbranch_execz .LBB856_11
; %bb.10:
	s_waitcnt lgkmcnt(0)
	v_cmp_lt_i64_e32 vcc_lo, v[1:2], v[3:4]
	v_and_b32_e32 v5, 0xff, v6
	s_delay_alu instid0(VALU_DEP_1)
	v_cndmask_b32_e64 v5, v5, 1, s3
	s_and_b32 vcc_lo, s3, vcc_lo
	v_dual_cndmask_b32 v1, v3, v1 :: v_dual_cndmask_b32 v2, v4, v2
.LBB856_11:
	s_or_b32 exec_lo, exec_lo, s2
	s_waitcnt lgkmcnt(1)
	v_mov_b32_e32 v3, 0
	s_mov_b32 s2, exec_lo
	ds_bpermute_b32 v6, v3, v5 offset:124
	ds_bpermute_b32 v1, v3, v1 offset:124
	;; [unrolled: 1-line block ×3, first 2 shown]
	v_mbcnt_lo_u32_b32 v3, -1, 0
	s_delay_alu instid0(VALU_DEP_1)
	v_cmpx_eq_u32_e32 0, v3
	s_cbranch_execz .LBB856_13
; %bb.12:
	s_waitcnt lgkmcnt(3)
	v_lshrrev_b32_e32 v4, 1, v0
	s_delay_alu instid0(VALU_DEP_1)
	v_and_b32_e32 v4, 0x70, v4
	s_waitcnt lgkmcnt(2)
	ds_store_b8 v4, v6
	s_waitcnt lgkmcnt(1)
	ds_store_b64 v4, v[1:2] offset:8
.LBB856_13:
	s_or_b32 exec_lo, exec_lo, s2
	s_delay_alu instid0(SALU_CYCLE_1)
	s_mov_b32 s4, exec_lo
	s_waitcnt lgkmcnt(0)
	s_barrier
	buffer_gl0_inv
	v_cmpx_gt_u32_e32 32, v0
	s_cbranch_execz .LBB856_15
; %bb.14:
	v_and_b32_e32 v6, 7, v3
	s_delay_alu instid0(VALU_DEP_1)
	v_lshlrev_b32_e32 v1, 4, v6
	v_cmp_ne_u32_e32 vcc_lo, 7, v6
	ds_load_u8 v8, v1
	ds_load_b64 v[1:2], v1 offset:8
	v_add_co_ci_u32_e32 v4, vcc_lo, 0, v3, vcc_lo
	v_cmp_gt_u32_e32 vcc_lo, 6, v6
	s_delay_alu instid0(VALU_DEP_2)
	v_lshlrev_b32_e32 v5, 2, v4
	v_cndmask_b32_e64 v11, 0, 1, vcc_lo
	s_waitcnt lgkmcnt(1)
	v_and_b32_e32 v4, 0xff, v8
	v_and_b32_e32 v12, 1, v8
	ds_bpermute_b32 v9, v5, v4
	s_waitcnt lgkmcnt(1)
	ds_bpermute_b32 v4, v5, v1
	ds_bpermute_b32 v5, v5, v2
	v_cmp_eq_u32_e64 s3, 1, v12
	s_waitcnt lgkmcnt(2)
	v_and_b32_e32 v10, 1, v9
	s_waitcnt lgkmcnt(0)
	v_cmp_lt_i64_e64 s2, v[4:5], v[1:2]
	s_delay_alu instid0(VALU_DEP_2) | instskip(SKIP_2) | instid1(VALU_DEP_4)
	v_cmp_eq_u32_e32 vcc_lo, 1, v10
	v_lshlrev_b32_e32 v10, 1, v11
	v_cndmask_b32_e64 v8, v8, 1, vcc_lo
	s_and_b32 vcc_lo, vcc_lo, s2
	v_dual_cndmask_b32 v1, v1, v4 :: v_dual_cndmask_b32 v2, v2, v5
	s_delay_alu instid0(VALU_DEP_2) | instskip(SKIP_2) | instid1(VALU_DEP_4)
	v_cndmask_b32_e64 v8, v9, v8, s3
	v_add_lshl_u32 v9, v10, v3, 2
	v_cmp_gt_u32_e32 vcc_lo, 4, v6
	v_cndmask_b32_e64 v1, v4, v1, s3
	v_cndmask_b32_e64 v2, v5, v2, s3
	v_and_b32_e32 v10, 0xff, v8
	v_and_b32_e32 v11, 1, v8
	v_cndmask_b32_e64 v6, 0, 1, vcc_lo
	ds_bpermute_b32 v4, v9, v1
	ds_bpermute_b32 v5, v9, v2
	;; [unrolled: 1-line block ×3, first 2 shown]
	v_cmp_eq_u32_e64 s3, 1, v11
	v_lshlrev_b32_e32 v6, 2, v6
	s_delay_alu instid0(VALU_DEP_1) | instskip(SKIP_4) | instid1(VALU_DEP_1)
	v_add_lshl_u32 v6, v6, v3, 2
	s_waitcnt lgkmcnt(1)
	v_cmp_lt_i64_e64 s2, v[4:5], v[1:2]
	s_waitcnt lgkmcnt(0)
	v_and_b32_e32 v9, 1, v10
	v_cmp_eq_u32_e32 vcc_lo, 1, v9
	v_cndmask_b32_e64 v8, v8, 1, vcc_lo
	s_delay_alu instid0(VALU_DEP_4) | instskip(SKIP_1) | instid1(VALU_DEP_2)
	s_and_b32 vcc_lo, vcc_lo, s2
	v_dual_cndmask_b32 v2, v2, v5 :: v_dual_cndmask_b32 v1, v1, v4
	v_cndmask_b32_e64 v8, v10, v8, s3
	s_delay_alu instid0(VALU_DEP_2) | instskip(NEXT) | instid1(VALU_DEP_3)
	v_cndmask_b32_e64 v2, v5, v2, s3
	v_cndmask_b32_e64 v1, v4, v1, s3
	s_delay_alu instid0(VALU_DEP_3)
	v_and_b32_e32 v3, 0xff, v8
	ds_bpermute_b32 v4, v6, v2
	ds_bpermute_b32 v5, v6, v3
	;; [unrolled: 1-line block ×3, first 2 shown]
	s_waitcnt lgkmcnt(1)
	v_and_b32_e32 v6, 1, v5
	s_waitcnt lgkmcnt(0)
	v_cmp_lt_i64_e32 vcc_lo, v[3:4], v[1:2]
	s_delay_alu instid0(VALU_DEP_2) | instskip(SKIP_1) | instid1(VALU_DEP_2)
	v_cmp_eq_u32_e64 s2, 1, v6
	v_and_b32_e32 v6, 1, v8
	v_cndmask_b32_e64 v8, v8, 1, s2
	s_and_b32 vcc_lo, s2, vcc_lo
	s_delay_alu instid0(VALU_DEP_2) | instskip(SKIP_1) | instid1(VALU_DEP_2)
	v_cmp_eq_u32_e64 s2, 1, v6
	v_dual_cndmask_b32 v1, v1, v3 :: v_dual_cndmask_b32 v2, v2, v4
	v_cndmask_b32_e64 v5, v5, v8, s2
	s_delay_alu instid0(VALU_DEP_2) | instskip(NEXT) | instid1(VALU_DEP_3)
	v_cndmask_b32_e64 v1, v3, v1, s2
	v_cndmask_b32_e64 v2, v4, v2, s2
	s_delay_alu instid0(VALU_DEP_3)
	v_and_b32_e32 v6, 0xff, v5
.LBB856_15:
	s_or_b32 exec_lo, exec_lo, s4
	s_load_b64 s[6:7], s[0:1], 0x58
	s_branch .LBB856_49
.LBB856_16:
                                        ; implicit-def: $vgpr1_vgpr2
                                        ; implicit-def: $vgpr6
	s_load_b64 s[6:7], s[0:1], 0x58
	s_cbranch_execz .LBB856_49
; %bb.17:
	v_mov_b32_e32 v5, 0
	v_dual_mov_b32 v6, 0 :: v_dual_mov_b32 v11, 0
	s_delay_alu instid0(VALU_DEP_2) | instskip(SKIP_2) | instid1(VALU_DEP_3)
	v_mov_b32_e32 v1, v5
	v_mov_b32_e32 v9, 0
	s_sub_i32 s22, s8, s22
	v_mov_b32_e32 v2, v6
	s_mov_b32 s2, exec_lo
	v_cmpx_gt_u32_e64 s22, v0
	s_cbranch_execz .LBB856_19
; %bb.18:
	s_clause 0x1
	global_load_b64 v[3:4], v7, s[18:19]
	global_load_b64 v[8:9], v7, s[20:21]
	v_add_co_u32 v1, s3, s5, v0
	s_delay_alu instid0(VALU_DEP_1)
	v_add_co_ci_u32_e64 v2, null, s23, 0, s3
	s_waitcnt vmcnt(0)
	v_cmp_ne_u64_e32 vcc_lo, v[3:4], v[8:9]
	v_cndmask_b32_e64 v9, 0, 1, vcc_lo
.LBB856_19:
	s_or_b32 exec_lo, exec_lo, s2
	v_or_b32_e32 v3, 0x100, v0
	s_delay_alu instid0(VALU_DEP_1) | instskip(NEXT) | instid1(VALU_DEP_1)
	v_cmp_gt_u32_e64 s3, s22, v3
	s_and_saveexec_b32 s2, s3
	s_cbranch_execz .LBB856_21
; %bb.20:
	s_clause 0x1
	global_load_b64 v[10:11], v7, s[18:19] offset:2048
	global_load_b64 v[7:8], v7, s[20:21] offset:2048
	v_add_co_u32 v5, s4, s5, v3
	s_delay_alu instid0(VALU_DEP_1)
	v_add_co_ci_u32_e64 v6, null, s23, 0, s4
	s_waitcnt vmcnt(0)
	v_cmp_ne_u64_e32 vcc_lo, v[10:11], v[7:8]
	v_cndmask_b32_e64 v11, 0, 1, vcc_lo
.LBB856_21:
	s_or_b32 exec_lo, exec_lo, s2
	v_dual_mov_b32 v3, 0 :: v_dual_mov_b32 v10, 0
	v_mov_b32_e32 v4, 0
	v_or_b32_e32 v13, 0x200, v0
	v_mov_b32_e32 v12, 0
	s_delay_alu instid0(VALU_DEP_3) | instskip(NEXT) | instid1(VALU_DEP_3)
	v_dual_mov_b32 v8, v4 :: v_dual_mov_b32 v7, v3
	v_cmp_gt_u32_e64 s2, s22, v13
	s_delay_alu instid0(VALU_DEP_1)
	s_and_saveexec_b32 s4, s2
	s_cbranch_execz .LBB856_23
; %bb.22:
	v_lshlrev_b32_e32 v7, 3, v13
	s_clause 0x1
	global_load_b64 v[14:15], v7, s[18:19]
	global_load_b64 v[16:17], v7, s[20:21]
	v_add_co_u32 v7, s24, s5, v13
	s_delay_alu instid0(VALU_DEP_1)
	v_add_co_ci_u32_e64 v8, null, s23, 0, s24
	s_waitcnt vmcnt(0)
	v_cmp_ne_u64_e32 vcc_lo, v[14:15], v[16:17]
	v_cndmask_b32_e64 v12, 0, 1, vcc_lo
.LBB856_23:
	s_or_b32 exec_lo, exec_lo, s4
	v_or_b32_e32 v13, 0x300, v0
	s_delay_alu instid0(VALU_DEP_1)
	v_cmp_gt_u32_e32 vcc_lo, s22, v13
	s_and_saveexec_b32 s24, vcc_lo
	s_cbranch_execnz .LBB856_52
; %bb.24:
	s_or_b32 exec_lo, exec_lo, s24
	s_and_saveexec_b32 s5, s3
	s_cbranch_execnz .LBB856_53
.LBB856_25:
	s_or_b32 exec_lo, exec_lo, s5
	s_and_saveexec_b32 s4, s2
	s_cbranch_execnz .LBB856_54
.LBB856_26:
	s_or_b32 exec_lo, exec_lo, s4
	s_and_saveexec_b32 s3, vcc_lo
.LBB856_27:
	v_and_b32_e32 v5, 1, v10
	v_cmp_lt_i64_e32 vcc_lo, v[3:4], v[1:2]
	s_delay_alu instid0(VALU_DEP_2) | instskip(NEXT) | instid1(VALU_DEP_1)
	v_cmp_eq_u32_e64 s2, 1, v5
	s_and_b32 vcc_lo, s2, vcc_lo
	v_cndmask_b32_e64 v6, v9, 1, s2
	v_dual_cndmask_b32 v2, v2, v4 :: v_dual_and_b32 v5, 1, v9
	v_cndmask_b32_e32 v1, v1, v3, vcc_lo
	s_delay_alu instid0(VALU_DEP_2) | instskip(NEXT) | instid1(VALU_DEP_3)
	v_cmp_eq_u32_e32 vcc_lo, 1, v5
	v_cndmask_b32_e32 v2, v4, v2, vcc_lo
	v_cndmask_b32_e32 v9, v10, v6, vcc_lo
	s_delay_alu instid0(VALU_DEP_4)
	v_cndmask_b32_e32 v1, v3, v1, vcc_lo
.LBB856_28:
	s_or_b32 exec_lo, exec_lo, s3
	v_mbcnt_lo_u32_b32 v5, -1, 0
	v_and_b32_e32 v7, 0xe0, v0
	s_min_u32 s3, s22, 0x100
	v_and_b32_e32 v6, 0xffff, v9
	s_delay_alu instid0(VALU_DEP_3) | instskip(NEXT) | instid1(VALU_DEP_3)
	v_cmp_ne_u32_e32 vcc_lo, 31, v5
	v_sub_nc_u32_e64 v8, s3, v7 clamp
	v_add_nc_u32_e32 v7, 1, v5
	v_add_co_ci_u32_e32 v3, vcc_lo, 0, v5, vcc_lo
	s_delay_alu instid0(VALU_DEP_2) | instskip(NEXT) | instid1(VALU_DEP_2)
	v_cmp_lt_u32_e32 vcc_lo, v7, v8
	v_dual_mov_b32 v7, v6 :: v_dual_lshlrev_b32 v4, 2, v3
	ds_bpermute_b32 v10, v4, v6
	ds_bpermute_b32 v3, v4, v1
	;; [unrolled: 1-line block ×3, first 2 shown]
	s_and_saveexec_b32 s2, vcc_lo
	s_delay_alu instid0(SALU_CYCLE_1)
	s_xor_b32 s4, exec_lo, s2
	s_cbranch_execz .LBB856_30
; %bb.29:
	s_waitcnt lgkmcnt(0)
	v_and_b32_e32 v7, 1, v10
	v_cmp_lt_i64_e32 vcc_lo, v[3:4], v[1:2]
	s_delay_alu instid0(VALU_DEP_2) | instskip(SKIP_1) | instid1(VALU_DEP_2)
	v_cmp_eq_u32_e64 s2, 1, v7
	v_and_b32_e32 v7, 1, v9
	v_cndmask_b32_e64 v6, v6, 1, s2
	s_and_b32 vcc_lo, s2, vcc_lo
	s_delay_alu instid0(VALU_DEP_2) | instskip(SKIP_1) | instid1(VALU_DEP_2)
	v_cmp_eq_u32_e64 s2, 1, v7
	v_dual_cndmask_b32 v2, v2, v4 :: v_dual_cndmask_b32 v1, v1, v3
	v_cndmask_b32_e64 v7, v10, v6, s2
	s_delay_alu instid0(VALU_DEP_2) | instskip(NEXT) | instid1(VALU_DEP_3)
	v_cndmask_b32_e64 v2, v4, v2, s2
	v_cndmask_b32_e64 v1, v3, v1, s2
	s_delay_alu instid0(VALU_DEP_3)
	v_and_b32_e32 v6, 0xff, v7
.LBB856_30:
	s_or_b32 exec_lo, exec_lo, s4
	v_cmp_gt_u32_e32 vcc_lo, 30, v5
	s_waitcnt lgkmcnt(0)
	v_add_nc_u32_e32 v10, 2, v5
	s_mov_b32 s4, exec_lo
	v_cndmask_b32_e64 v3, 0, 1, vcc_lo
	s_delay_alu instid0(VALU_DEP_1) | instskip(NEXT) | instid1(VALU_DEP_1)
	v_lshlrev_b32_e32 v3, 1, v3
	v_add_lshl_u32 v4, v3, v5, 2
	ds_bpermute_b32 v9, v4, v6
	ds_bpermute_b32 v3, v4, v1
	ds_bpermute_b32 v4, v4, v2
	v_cmpx_lt_u32_e64 v10, v8
	s_cbranch_execz .LBB856_32
; %bb.31:
	s_waitcnt lgkmcnt(2)
	v_and_b32_e32 v6, 1, v9
	s_waitcnt lgkmcnt(0)
	v_cmp_lt_i64_e32 vcc_lo, v[3:4], v[1:2]
	s_delay_alu instid0(VALU_DEP_2) | instskip(SKIP_1) | instid1(VALU_DEP_2)
	v_cmp_eq_u32_e64 s2, 1, v6
	v_and_b32_e32 v6, 1, v7
	v_cndmask_b32_e64 v7, v7, 1, s2
	s_and_b32 vcc_lo, s2, vcc_lo
	s_delay_alu instid0(VALU_DEP_2) | instskip(SKIP_1) | instid1(VALU_DEP_2)
	v_cmp_eq_u32_e64 s2, 1, v6
	v_dual_cndmask_b32 v1, v1, v3 :: v_dual_cndmask_b32 v2, v2, v4
	v_cndmask_b32_e64 v7, v9, v7, s2
	s_delay_alu instid0(VALU_DEP_2) | instskip(NEXT) | instid1(VALU_DEP_3)
	v_cndmask_b32_e64 v1, v3, v1, s2
	v_cndmask_b32_e64 v2, v4, v2, s2
	s_delay_alu instid0(VALU_DEP_3)
	v_and_b32_e32 v6, 0xff, v7
.LBB856_32:
	s_or_b32 exec_lo, exec_lo, s4
	v_cmp_gt_u32_e32 vcc_lo, 28, v5
	v_add_nc_u32_e32 v10, 4, v5
	s_mov_b32 s4, exec_lo
	s_waitcnt lgkmcnt(1)
	v_cndmask_b32_e64 v3, 0, 1, vcc_lo
	s_delay_alu instid0(VALU_DEP_1) | instskip(SKIP_1) | instid1(VALU_DEP_1)
	v_lshlrev_b32_e32 v3, 2, v3
	s_waitcnt lgkmcnt(0)
	v_add_lshl_u32 v4, v3, v5, 2
	ds_bpermute_b32 v9, v4, v6
	ds_bpermute_b32 v3, v4, v1
	ds_bpermute_b32 v4, v4, v2
	v_cmpx_lt_u32_e64 v10, v8
	s_cbranch_execz .LBB856_34
; %bb.33:
	s_waitcnt lgkmcnt(2)
	v_and_b32_e32 v6, 1, v9
	s_waitcnt lgkmcnt(0)
	v_cmp_lt_i64_e32 vcc_lo, v[3:4], v[1:2]
	s_delay_alu instid0(VALU_DEP_2) | instskip(SKIP_1) | instid1(VALU_DEP_2)
	v_cmp_eq_u32_e64 s2, 1, v6
	v_and_b32_e32 v6, 1, v7
	v_cndmask_b32_e64 v7, v7, 1, s2
	s_and_b32 vcc_lo, s2, vcc_lo
	s_delay_alu instid0(VALU_DEP_2) | instskip(SKIP_1) | instid1(VALU_DEP_2)
	v_cmp_eq_u32_e64 s2, 1, v6
	v_dual_cndmask_b32 v1, v1, v3 :: v_dual_cndmask_b32 v2, v2, v4
	v_cndmask_b32_e64 v7, v9, v7, s2
	s_delay_alu instid0(VALU_DEP_2) | instskip(NEXT) | instid1(VALU_DEP_3)
	v_cndmask_b32_e64 v1, v3, v1, s2
	v_cndmask_b32_e64 v2, v4, v2, s2
	s_delay_alu instid0(VALU_DEP_3)
	v_and_b32_e32 v6, 0xff, v7
.LBB856_34:
	s_or_b32 exec_lo, exec_lo, s4
	v_cmp_gt_u32_e32 vcc_lo, 24, v5
	v_add_nc_u32_e32 v10, 8, v5
	s_mov_b32 s4, exec_lo
	s_waitcnt lgkmcnt(1)
	v_cndmask_b32_e64 v3, 0, 1, vcc_lo
	s_delay_alu instid0(VALU_DEP_1) | instskip(SKIP_1) | instid1(VALU_DEP_1)
	v_lshlrev_b32_e32 v3, 3, v3
	s_waitcnt lgkmcnt(0)
	;; [unrolled: 35-line block ×3, first 2 shown]
	v_add_lshl_u32 v4, v3, v5, 2
	ds_bpermute_b32 v9, v4, v6
	ds_bpermute_b32 v3, v4, v1
	;; [unrolled: 1-line block ×3, first 2 shown]
	v_cmpx_lt_u32_e64 v10, v8
	s_cbranch_execz .LBB856_38
; %bb.37:
	s_waitcnt lgkmcnt(2)
	v_and_b32_e32 v6, 1, v9
	s_waitcnt lgkmcnt(0)
	v_cmp_lt_i64_e32 vcc_lo, v[3:4], v[1:2]
	s_delay_alu instid0(VALU_DEP_2) | instskip(SKIP_1) | instid1(VALU_DEP_2)
	v_cmp_eq_u32_e64 s2, 1, v6
	v_and_b32_e32 v6, 1, v7
	v_cndmask_b32_e64 v7, v7, 1, s2
	s_and_b32 vcc_lo, s2, vcc_lo
	s_delay_alu instid0(VALU_DEP_2) | instskip(SKIP_1) | instid1(VALU_DEP_2)
	v_cmp_eq_u32_e64 s2, 1, v6
	v_dual_cndmask_b32 v1, v1, v3 :: v_dual_cndmask_b32 v2, v2, v4
	v_cndmask_b32_e64 v7, v9, v7, s2
	s_delay_alu instid0(VALU_DEP_2) | instskip(NEXT) | instid1(VALU_DEP_3)
	v_cndmask_b32_e64 v1, v3, v1, s2
	v_cndmask_b32_e64 v2, v4, v2, s2
	s_delay_alu instid0(VALU_DEP_3)
	v_and_b32_e32 v6, 0xff, v7
.LBB856_38:
	s_or_b32 exec_lo, exec_lo, s4
	s_delay_alu instid0(SALU_CYCLE_1)
	s_mov_b32 s2, exec_lo
	v_cmpx_eq_u32_e32 0, v5
	s_cbranch_execz .LBB856_40
; %bb.39:
	s_waitcnt lgkmcnt(1)
	v_lshrrev_b32_e32 v3, 1, v0
	s_delay_alu instid0(VALU_DEP_1)
	v_and_b32_e32 v3, 0x70, v3
	ds_store_b8 v3, v7 offset:128
	ds_store_b64 v3, v[1:2] offset:136
.LBB856_40:
	s_or_b32 exec_lo, exec_lo, s2
	s_delay_alu instid0(SALU_CYCLE_1)
	s_mov_b32 s4, exec_lo
	s_waitcnt lgkmcnt(0)
	s_barrier
	buffer_gl0_inv
	v_cmpx_gt_u32_e32 8, v0
	s_cbranch_execz .LBB856_48
; %bb.41:
	v_lshlrev_b32_e32 v1, 4, v5
	v_and_b32_e32 v8, 7, v5
	s_add_i32 s3, s3, 31
	s_mov_b32 s5, exec_lo
	s_lshr_b32 s3, s3, 5
	ds_load_u8 v7, v1 offset:128
	ds_load_b64 v[1:2], v1 offset:136
	v_cmp_ne_u32_e32 vcc_lo, 7, v8
	v_add_nc_u32_e32 v10, 1, v8
	v_add_co_ci_u32_e32 v3, vcc_lo, 0, v5, vcc_lo
	s_delay_alu instid0(VALU_DEP_1)
	v_lshlrev_b32_e32 v4, 2, v3
	s_waitcnt lgkmcnt(1)
	v_and_b32_e32 v6, 0xff, v7
	s_waitcnt lgkmcnt(0)
	ds_bpermute_b32 v3, v4, v1
	ds_bpermute_b32 v9, v4, v6
	;; [unrolled: 1-line block ×3, first 2 shown]
	v_cmpx_gt_u32_e64 s3, v10
	s_cbranch_execz .LBB856_43
; %bb.42:
	s_waitcnt lgkmcnt(1)
	v_and_b32_e32 v6, 1, v9
	s_waitcnt lgkmcnt(0)
	v_cmp_lt_i64_e32 vcc_lo, v[3:4], v[1:2]
	s_delay_alu instid0(VALU_DEP_2) | instskip(SKIP_1) | instid1(VALU_DEP_2)
	v_cmp_eq_u32_e64 s2, 1, v6
	v_and_b32_e32 v6, 1, v7
	v_cndmask_b32_e64 v7, v7, 1, s2
	s_and_b32 vcc_lo, s2, vcc_lo
	s_delay_alu instid0(VALU_DEP_2) | instskip(SKIP_1) | instid1(VALU_DEP_2)
	v_cmp_eq_u32_e64 s2, 1, v6
	v_dual_cndmask_b32 v1, v1, v3 :: v_dual_cndmask_b32 v2, v2, v4
	v_cndmask_b32_e64 v7, v9, v7, s2
	s_delay_alu instid0(VALU_DEP_2) | instskip(NEXT) | instid1(VALU_DEP_3)
	v_cndmask_b32_e64 v1, v3, v1, s2
	v_cndmask_b32_e64 v2, v4, v2, s2
	s_delay_alu instid0(VALU_DEP_3)
	v_and_b32_e32 v6, 0xff, v7
.LBB856_43:
	s_or_b32 exec_lo, exec_lo, s5
	v_cmp_gt_u32_e32 vcc_lo, 6, v8
	v_add_nc_u32_e32 v10, 2, v8
	s_mov_b32 s5, exec_lo
	s_waitcnt lgkmcnt(2)
	v_cndmask_b32_e64 v3, 0, 1, vcc_lo
	s_delay_alu instid0(VALU_DEP_1) | instskip(SKIP_1) | instid1(VALU_DEP_1)
	v_lshlrev_b32_e32 v3, 1, v3
	s_waitcnt lgkmcnt(0)
	v_add_lshl_u32 v4, v3, v5, 2
	ds_bpermute_b32 v9, v4, v6
	ds_bpermute_b32 v3, v4, v1
	;; [unrolled: 1-line block ×3, first 2 shown]
	v_cmpx_gt_u32_e64 s3, v10
	s_cbranch_execz .LBB856_45
; %bb.44:
	s_waitcnt lgkmcnt(2)
	v_and_b32_e32 v6, 1, v9
	s_waitcnt lgkmcnt(0)
	v_cmp_lt_i64_e32 vcc_lo, v[3:4], v[1:2]
	s_delay_alu instid0(VALU_DEP_2) | instskip(SKIP_1) | instid1(VALU_DEP_2)
	v_cmp_eq_u32_e64 s2, 1, v6
	v_and_b32_e32 v6, 1, v7
	v_cndmask_b32_e64 v7, v7, 1, s2
	s_and_b32 vcc_lo, s2, vcc_lo
	s_delay_alu instid0(VALU_DEP_2) | instskip(SKIP_1) | instid1(VALU_DEP_2)
	v_cmp_eq_u32_e64 s2, 1, v6
	v_dual_cndmask_b32 v1, v1, v3 :: v_dual_cndmask_b32 v2, v2, v4
	v_cndmask_b32_e64 v7, v9, v7, s2
	s_delay_alu instid0(VALU_DEP_2) | instskip(NEXT) | instid1(VALU_DEP_3)
	v_cndmask_b32_e64 v1, v3, v1, s2
	v_cndmask_b32_e64 v2, v4, v2, s2
	s_delay_alu instid0(VALU_DEP_3)
	v_and_b32_e32 v6, 0xff, v7
.LBB856_45:
	s_or_b32 exec_lo, exec_lo, s5
	v_cmp_gt_u32_e32 vcc_lo, 4, v8
	v_add_nc_u32_e32 v8, 4, v8
	s_waitcnt lgkmcnt(1)
	v_cndmask_b32_e64 v3, 0, 1, vcc_lo
	s_delay_alu instid0(VALU_DEP_2) | instskip(NEXT) | instid1(VALU_DEP_2)
	v_cmp_gt_u32_e32 vcc_lo, s3, v8
	v_lshlrev_b32_e32 v3, 2, v3
	s_waitcnt lgkmcnt(0)
	s_delay_alu instid0(VALU_DEP_1)
	v_add_lshl_u32 v4, v3, v5, 2
	ds_bpermute_b32 v5, v4, v6
	ds_bpermute_b32 v3, v4, v1
	;; [unrolled: 1-line block ×3, first 2 shown]
	s_and_saveexec_b32 s3, vcc_lo
	s_cbranch_execz .LBB856_47
; %bb.46:
	s_waitcnt lgkmcnt(2)
	v_and_b32_e32 v6, 1, v5
	s_waitcnt lgkmcnt(0)
	v_cmp_lt_i64_e32 vcc_lo, v[3:4], v[1:2]
	s_delay_alu instid0(VALU_DEP_2) | instskip(SKIP_1) | instid1(VALU_DEP_2)
	v_cmp_eq_u32_e64 s2, 1, v6
	v_and_b32_e32 v6, 1, v7
	v_cndmask_b32_e64 v7, v7, 1, s2
	s_and_b32 vcc_lo, s2, vcc_lo
	s_delay_alu instid0(VALU_DEP_2) | instskip(SKIP_1) | instid1(VALU_DEP_2)
	v_cmp_eq_u32_e64 s2, 1, v6
	v_dual_cndmask_b32 v1, v1, v3 :: v_dual_cndmask_b32 v2, v2, v4
	v_cndmask_b32_e64 v5, v5, v7, s2
	s_delay_alu instid0(VALU_DEP_2) | instskip(NEXT) | instid1(VALU_DEP_3)
	v_cndmask_b32_e64 v1, v3, v1, s2
	v_cndmask_b32_e64 v2, v4, v2, s2
	s_delay_alu instid0(VALU_DEP_3)
	v_and_b32_e32 v6, 0xff, v5
.LBB856_47:
	s_or_b32 exec_lo, exec_lo, s3
.LBB856_48:
	s_delay_alu instid0(SALU_CYCLE_1)
	s_or_b32 exec_lo, exec_lo, s4
.LBB856_49:
	s_load_b32 s0, s[0:1], 0x50
	s_mov_b32 s1, exec_lo
	v_cmpx_eq_u32_e32 0, v0
	s_cbranch_execz .LBB856_51
; %bb.50:
	s_mul_i32 s1, s14, s13
	s_mul_hi_u32 s2, s14, s12
	s_mul_i32 s3, s15, s12
	s_add_i32 s1, s2, s1
	s_mul_i32 s2, s14, s12
	s_add_i32 s3, s1, s3
	v_mov_b32_e32 v0, 0
	s_lshl_b64 s[2:3], s[2:3], 4
	s_delay_alu instid0(SALU_CYCLE_1)
	s_add_u32 s1, s10, s2
	s_addc_u32 s4, s11, s3
	s_cmp_eq_u64 s[8:9], 0
	s_cselect_b32 s5, -1, 0
	s_lshl_b64 s[2:3], s[16:17], 4
	s_waitcnt lgkmcnt(0)
	v_cndmask_b32_e64 v3, v6, s0, s5
	v_cndmask_b32_e64 v2, v2, s7, s5
	;; [unrolled: 1-line block ×3, first 2 shown]
	s_add_u32 s0, s1, s2
	s_addc_u32 s1, s4, s3
	s_clause 0x1
	global_store_b8 v0, v3, s[0:1]
	global_store_b64 v0, v[1:2], s[0:1] offset:8
.LBB856_51:
	s_nop 0
	s_sendmsg sendmsg(MSG_DEALLOC_VGPRS)
	s_endpgm
.LBB856_52:
	v_lshlrev_b32_e32 v3, 3, v13
	s_clause 0x1
	global_load_b64 v[14:15], v3, s[18:19]
	global_load_b64 v[16:17], v3, s[20:21]
	v_add_co_u32 v3, s4, s5, v13
	s_delay_alu instid0(VALU_DEP_1) | instskip(SKIP_2) | instid1(VALU_DEP_1)
	v_add_co_ci_u32_e64 v4, null, s23, 0, s4
	s_waitcnt vmcnt(0)
	v_cmp_ne_u64_e64 s4, v[14:15], v[16:17]
	v_cndmask_b32_e64 v10, 0, 1, s4
	s_or_b32 exec_lo, exec_lo, s24
	s_and_saveexec_b32 s5, s3
	s_cbranch_execz .LBB856_25
.LBB856_53:
	v_and_b32_e32 v13, 1, v11
	v_cmp_lt_i64_e64 s3, v[5:6], v[1:2]
	s_delay_alu instid0(VALU_DEP_2) | instskip(SKIP_1) | instid1(VALU_DEP_2)
	v_cmp_eq_u32_e64 s4, 1, v13
	v_and_b32_e32 v13, 1, v9
	s_and_b32 s3, s4, s3
	v_cndmask_b32_e64 v9, v9, 1, s4
	v_cndmask_b32_e64 v1, v1, v5, s3
	;; [unrolled: 1-line block ×3, first 2 shown]
	v_cmp_eq_u32_e64 s3, 1, v13
	s_delay_alu instid0(VALU_DEP_1) | instskip(NEXT) | instid1(VALU_DEP_3)
	v_cndmask_b32_e64 v9, v11, v9, s3
	v_cndmask_b32_e64 v2, v6, v2, s3
	;; [unrolled: 1-line block ×3, first 2 shown]
	s_or_b32 exec_lo, exec_lo, s5
	s_and_saveexec_b32 s4, s2
	s_cbranch_execz .LBB856_26
.LBB856_54:
	v_and_b32_e32 v5, 1, v12
	v_cmp_lt_i64_e64 s2, v[7:8], v[1:2]
	s_delay_alu instid0(VALU_DEP_2) | instskip(SKIP_1) | instid1(VALU_DEP_2)
	v_cmp_eq_u32_e64 s3, 1, v5
	v_and_b32_e32 v5, 1, v9
	s_and_b32 s2, s3, s2
	v_cndmask_b32_e64 v6, v9, 1, s3
	v_cndmask_b32_e64 v1, v1, v7, s2
	;; [unrolled: 1-line block ×3, first 2 shown]
	v_cmp_eq_u32_e64 s2, 1, v5
	s_delay_alu instid0(VALU_DEP_1) | instskip(NEXT) | instid1(VALU_DEP_3)
	v_cndmask_b32_e64 v9, v12, v6, s2
	v_cndmask_b32_e64 v2, v8, v2, s2
	;; [unrolled: 1-line block ×3, first 2 shown]
	s_or_b32 exec_lo, exec_lo, s4
	s_and_saveexec_b32 s3, vcc_lo
	s_cbranch_execnz .LBB856_27
	s_branch .LBB856_28
	.section	.rodata,"a",@progbits
	.p2align	6, 0x0
	.amdhsa_kernel _ZN7rocprim17ROCPRIM_400000_NS6detail17trampoline_kernelINS0_14default_configENS1_22reduce_config_selectorIN6thrust23THRUST_200600_302600_NS5tupleIblNS6_9null_typeES8_S8_S8_S8_S8_S8_S8_EEEEZNS1_11reduce_implILb1ES3_NS6_12zip_iteratorINS7_INS6_11hip_rocprim26transform_input_iterator_tIbNSD_35transform_pair_of_input_iterators_tIbNS6_6detail15normal_iteratorINS6_10device_ptrIKxEEEESL_NS6_8equal_toIxEEEENSG_9not_fun_tINSD_8identityEEEEENSD_19counting_iterator_tIlEES8_S8_S8_S8_S8_S8_S8_S8_EEEEPS9_S9_NSD_9__find_if7functorIS9_EEEE10hipError_tPvRmT1_T2_T3_mT4_P12ihipStream_tbEUlT_E0_NS1_11comp_targetILNS1_3genE9ELNS1_11target_archE1100ELNS1_3gpuE3ELNS1_3repE0EEENS1_30default_config_static_selectorELNS0_4arch9wavefront6targetE0EEEvS14_
		.amdhsa_group_segment_fixed_size 256
		.amdhsa_private_segment_fixed_size 0
		.amdhsa_kernarg_size 104
		.amdhsa_user_sgpr_count 15
		.amdhsa_user_sgpr_dispatch_ptr 0
		.amdhsa_user_sgpr_queue_ptr 0
		.amdhsa_user_sgpr_kernarg_segment_ptr 1
		.amdhsa_user_sgpr_dispatch_id 0
		.amdhsa_user_sgpr_private_segment_size 0
		.amdhsa_wavefront_size32 1
		.amdhsa_uses_dynamic_stack 0
		.amdhsa_enable_private_segment 0
		.amdhsa_system_sgpr_workgroup_id_x 1
		.amdhsa_system_sgpr_workgroup_id_y 0
		.amdhsa_system_sgpr_workgroup_id_z 0
		.amdhsa_system_sgpr_workgroup_info 0
		.amdhsa_system_vgpr_workitem_id 0
		.amdhsa_next_free_vgpr 19
		.amdhsa_next_free_sgpr 28
		.amdhsa_reserve_vcc 1
		.amdhsa_float_round_mode_32 0
		.amdhsa_float_round_mode_16_64 0
		.amdhsa_float_denorm_mode_32 3
		.amdhsa_float_denorm_mode_16_64 3
		.amdhsa_dx10_clamp 1
		.amdhsa_ieee_mode 1
		.amdhsa_fp16_overflow 0
		.amdhsa_workgroup_processor_mode 1
		.amdhsa_memory_ordered 1
		.amdhsa_forward_progress 0
		.amdhsa_shared_vgpr_count 0
		.amdhsa_exception_fp_ieee_invalid_op 0
		.amdhsa_exception_fp_denorm_src 0
		.amdhsa_exception_fp_ieee_div_zero 0
		.amdhsa_exception_fp_ieee_overflow 0
		.amdhsa_exception_fp_ieee_underflow 0
		.amdhsa_exception_fp_ieee_inexact 0
		.amdhsa_exception_int_div_zero 0
	.end_amdhsa_kernel
	.section	.text._ZN7rocprim17ROCPRIM_400000_NS6detail17trampoline_kernelINS0_14default_configENS1_22reduce_config_selectorIN6thrust23THRUST_200600_302600_NS5tupleIblNS6_9null_typeES8_S8_S8_S8_S8_S8_S8_EEEEZNS1_11reduce_implILb1ES3_NS6_12zip_iteratorINS7_INS6_11hip_rocprim26transform_input_iterator_tIbNSD_35transform_pair_of_input_iterators_tIbNS6_6detail15normal_iteratorINS6_10device_ptrIKxEEEESL_NS6_8equal_toIxEEEENSG_9not_fun_tINSD_8identityEEEEENSD_19counting_iterator_tIlEES8_S8_S8_S8_S8_S8_S8_S8_EEEEPS9_S9_NSD_9__find_if7functorIS9_EEEE10hipError_tPvRmT1_T2_T3_mT4_P12ihipStream_tbEUlT_E0_NS1_11comp_targetILNS1_3genE9ELNS1_11target_archE1100ELNS1_3gpuE3ELNS1_3repE0EEENS1_30default_config_static_selectorELNS0_4arch9wavefront6targetE0EEEvS14_,"axG",@progbits,_ZN7rocprim17ROCPRIM_400000_NS6detail17trampoline_kernelINS0_14default_configENS1_22reduce_config_selectorIN6thrust23THRUST_200600_302600_NS5tupleIblNS6_9null_typeES8_S8_S8_S8_S8_S8_S8_EEEEZNS1_11reduce_implILb1ES3_NS6_12zip_iteratorINS7_INS6_11hip_rocprim26transform_input_iterator_tIbNSD_35transform_pair_of_input_iterators_tIbNS6_6detail15normal_iteratorINS6_10device_ptrIKxEEEESL_NS6_8equal_toIxEEEENSG_9not_fun_tINSD_8identityEEEEENSD_19counting_iterator_tIlEES8_S8_S8_S8_S8_S8_S8_S8_EEEEPS9_S9_NSD_9__find_if7functorIS9_EEEE10hipError_tPvRmT1_T2_T3_mT4_P12ihipStream_tbEUlT_E0_NS1_11comp_targetILNS1_3genE9ELNS1_11target_archE1100ELNS1_3gpuE3ELNS1_3repE0EEENS1_30default_config_static_selectorELNS0_4arch9wavefront6targetE0EEEvS14_,comdat
.Lfunc_end856:
	.size	_ZN7rocprim17ROCPRIM_400000_NS6detail17trampoline_kernelINS0_14default_configENS1_22reduce_config_selectorIN6thrust23THRUST_200600_302600_NS5tupleIblNS6_9null_typeES8_S8_S8_S8_S8_S8_S8_EEEEZNS1_11reduce_implILb1ES3_NS6_12zip_iteratorINS7_INS6_11hip_rocprim26transform_input_iterator_tIbNSD_35transform_pair_of_input_iterators_tIbNS6_6detail15normal_iteratorINS6_10device_ptrIKxEEEESL_NS6_8equal_toIxEEEENSG_9not_fun_tINSD_8identityEEEEENSD_19counting_iterator_tIlEES8_S8_S8_S8_S8_S8_S8_S8_EEEEPS9_S9_NSD_9__find_if7functorIS9_EEEE10hipError_tPvRmT1_T2_T3_mT4_P12ihipStream_tbEUlT_E0_NS1_11comp_targetILNS1_3genE9ELNS1_11target_archE1100ELNS1_3gpuE3ELNS1_3repE0EEENS1_30default_config_static_selectorELNS0_4arch9wavefront6targetE0EEEvS14_, .Lfunc_end856-_ZN7rocprim17ROCPRIM_400000_NS6detail17trampoline_kernelINS0_14default_configENS1_22reduce_config_selectorIN6thrust23THRUST_200600_302600_NS5tupleIblNS6_9null_typeES8_S8_S8_S8_S8_S8_S8_EEEEZNS1_11reduce_implILb1ES3_NS6_12zip_iteratorINS7_INS6_11hip_rocprim26transform_input_iterator_tIbNSD_35transform_pair_of_input_iterators_tIbNS6_6detail15normal_iteratorINS6_10device_ptrIKxEEEESL_NS6_8equal_toIxEEEENSG_9not_fun_tINSD_8identityEEEEENSD_19counting_iterator_tIlEES8_S8_S8_S8_S8_S8_S8_S8_EEEEPS9_S9_NSD_9__find_if7functorIS9_EEEE10hipError_tPvRmT1_T2_T3_mT4_P12ihipStream_tbEUlT_E0_NS1_11comp_targetILNS1_3genE9ELNS1_11target_archE1100ELNS1_3gpuE3ELNS1_3repE0EEENS1_30default_config_static_selectorELNS0_4arch9wavefront6targetE0EEEvS14_
                                        ; -- End function
	.section	.AMDGPU.csdata,"",@progbits
; Kernel info:
; codeLenInByte = 4108
; NumSgprs: 30
; NumVgprs: 19
; ScratchSize: 0
; MemoryBound: 0
; FloatMode: 240
; IeeeMode: 1
; LDSByteSize: 256 bytes/workgroup (compile time only)
; SGPRBlocks: 3
; VGPRBlocks: 2
; NumSGPRsForWavesPerEU: 30
; NumVGPRsForWavesPerEU: 19
; Occupancy: 16
; WaveLimiterHint : 0
; COMPUTE_PGM_RSRC2:SCRATCH_EN: 0
; COMPUTE_PGM_RSRC2:USER_SGPR: 15
; COMPUTE_PGM_RSRC2:TRAP_HANDLER: 0
; COMPUTE_PGM_RSRC2:TGID_X_EN: 1
; COMPUTE_PGM_RSRC2:TGID_Y_EN: 0
; COMPUTE_PGM_RSRC2:TGID_Z_EN: 0
; COMPUTE_PGM_RSRC2:TIDIG_COMP_CNT: 0
	.section	.text._ZN7rocprim17ROCPRIM_400000_NS6detail17trampoline_kernelINS0_14default_configENS1_22reduce_config_selectorIN6thrust23THRUST_200600_302600_NS5tupleIblNS6_9null_typeES8_S8_S8_S8_S8_S8_S8_EEEEZNS1_11reduce_implILb1ES3_NS6_12zip_iteratorINS7_INS6_11hip_rocprim26transform_input_iterator_tIbNSD_35transform_pair_of_input_iterators_tIbNS6_6detail15normal_iteratorINS6_10device_ptrIKxEEEESL_NS6_8equal_toIxEEEENSG_9not_fun_tINSD_8identityEEEEENSD_19counting_iterator_tIlEES8_S8_S8_S8_S8_S8_S8_S8_EEEEPS9_S9_NSD_9__find_if7functorIS9_EEEE10hipError_tPvRmT1_T2_T3_mT4_P12ihipStream_tbEUlT_E0_NS1_11comp_targetILNS1_3genE8ELNS1_11target_archE1030ELNS1_3gpuE2ELNS1_3repE0EEENS1_30default_config_static_selectorELNS0_4arch9wavefront6targetE0EEEvS14_,"axG",@progbits,_ZN7rocprim17ROCPRIM_400000_NS6detail17trampoline_kernelINS0_14default_configENS1_22reduce_config_selectorIN6thrust23THRUST_200600_302600_NS5tupleIblNS6_9null_typeES8_S8_S8_S8_S8_S8_S8_EEEEZNS1_11reduce_implILb1ES3_NS6_12zip_iteratorINS7_INS6_11hip_rocprim26transform_input_iterator_tIbNSD_35transform_pair_of_input_iterators_tIbNS6_6detail15normal_iteratorINS6_10device_ptrIKxEEEESL_NS6_8equal_toIxEEEENSG_9not_fun_tINSD_8identityEEEEENSD_19counting_iterator_tIlEES8_S8_S8_S8_S8_S8_S8_S8_EEEEPS9_S9_NSD_9__find_if7functorIS9_EEEE10hipError_tPvRmT1_T2_T3_mT4_P12ihipStream_tbEUlT_E0_NS1_11comp_targetILNS1_3genE8ELNS1_11target_archE1030ELNS1_3gpuE2ELNS1_3repE0EEENS1_30default_config_static_selectorELNS0_4arch9wavefront6targetE0EEEvS14_,comdat
	.protected	_ZN7rocprim17ROCPRIM_400000_NS6detail17trampoline_kernelINS0_14default_configENS1_22reduce_config_selectorIN6thrust23THRUST_200600_302600_NS5tupleIblNS6_9null_typeES8_S8_S8_S8_S8_S8_S8_EEEEZNS1_11reduce_implILb1ES3_NS6_12zip_iteratorINS7_INS6_11hip_rocprim26transform_input_iterator_tIbNSD_35transform_pair_of_input_iterators_tIbNS6_6detail15normal_iteratorINS6_10device_ptrIKxEEEESL_NS6_8equal_toIxEEEENSG_9not_fun_tINSD_8identityEEEEENSD_19counting_iterator_tIlEES8_S8_S8_S8_S8_S8_S8_S8_EEEEPS9_S9_NSD_9__find_if7functorIS9_EEEE10hipError_tPvRmT1_T2_T3_mT4_P12ihipStream_tbEUlT_E0_NS1_11comp_targetILNS1_3genE8ELNS1_11target_archE1030ELNS1_3gpuE2ELNS1_3repE0EEENS1_30default_config_static_selectorELNS0_4arch9wavefront6targetE0EEEvS14_ ; -- Begin function _ZN7rocprim17ROCPRIM_400000_NS6detail17trampoline_kernelINS0_14default_configENS1_22reduce_config_selectorIN6thrust23THRUST_200600_302600_NS5tupleIblNS6_9null_typeES8_S8_S8_S8_S8_S8_S8_EEEEZNS1_11reduce_implILb1ES3_NS6_12zip_iteratorINS7_INS6_11hip_rocprim26transform_input_iterator_tIbNSD_35transform_pair_of_input_iterators_tIbNS6_6detail15normal_iteratorINS6_10device_ptrIKxEEEESL_NS6_8equal_toIxEEEENSG_9not_fun_tINSD_8identityEEEEENSD_19counting_iterator_tIlEES8_S8_S8_S8_S8_S8_S8_S8_EEEEPS9_S9_NSD_9__find_if7functorIS9_EEEE10hipError_tPvRmT1_T2_T3_mT4_P12ihipStream_tbEUlT_E0_NS1_11comp_targetILNS1_3genE8ELNS1_11target_archE1030ELNS1_3gpuE2ELNS1_3repE0EEENS1_30default_config_static_selectorELNS0_4arch9wavefront6targetE0EEEvS14_
	.globl	_ZN7rocprim17ROCPRIM_400000_NS6detail17trampoline_kernelINS0_14default_configENS1_22reduce_config_selectorIN6thrust23THRUST_200600_302600_NS5tupleIblNS6_9null_typeES8_S8_S8_S8_S8_S8_S8_EEEEZNS1_11reduce_implILb1ES3_NS6_12zip_iteratorINS7_INS6_11hip_rocprim26transform_input_iterator_tIbNSD_35transform_pair_of_input_iterators_tIbNS6_6detail15normal_iteratorINS6_10device_ptrIKxEEEESL_NS6_8equal_toIxEEEENSG_9not_fun_tINSD_8identityEEEEENSD_19counting_iterator_tIlEES8_S8_S8_S8_S8_S8_S8_S8_EEEEPS9_S9_NSD_9__find_if7functorIS9_EEEE10hipError_tPvRmT1_T2_T3_mT4_P12ihipStream_tbEUlT_E0_NS1_11comp_targetILNS1_3genE8ELNS1_11target_archE1030ELNS1_3gpuE2ELNS1_3repE0EEENS1_30default_config_static_selectorELNS0_4arch9wavefront6targetE0EEEvS14_
	.p2align	8
	.type	_ZN7rocprim17ROCPRIM_400000_NS6detail17trampoline_kernelINS0_14default_configENS1_22reduce_config_selectorIN6thrust23THRUST_200600_302600_NS5tupleIblNS6_9null_typeES8_S8_S8_S8_S8_S8_S8_EEEEZNS1_11reduce_implILb1ES3_NS6_12zip_iteratorINS7_INS6_11hip_rocprim26transform_input_iterator_tIbNSD_35transform_pair_of_input_iterators_tIbNS6_6detail15normal_iteratorINS6_10device_ptrIKxEEEESL_NS6_8equal_toIxEEEENSG_9not_fun_tINSD_8identityEEEEENSD_19counting_iterator_tIlEES8_S8_S8_S8_S8_S8_S8_S8_EEEEPS9_S9_NSD_9__find_if7functorIS9_EEEE10hipError_tPvRmT1_T2_T3_mT4_P12ihipStream_tbEUlT_E0_NS1_11comp_targetILNS1_3genE8ELNS1_11target_archE1030ELNS1_3gpuE2ELNS1_3repE0EEENS1_30default_config_static_selectorELNS0_4arch9wavefront6targetE0EEEvS14_,@function
_ZN7rocprim17ROCPRIM_400000_NS6detail17trampoline_kernelINS0_14default_configENS1_22reduce_config_selectorIN6thrust23THRUST_200600_302600_NS5tupleIblNS6_9null_typeES8_S8_S8_S8_S8_S8_S8_EEEEZNS1_11reduce_implILb1ES3_NS6_12zip_iteratorINS7_INS6_11hip_rocprim26transform_input_iterator_tIbNSD_35transform_pair_of_input_iterators_tIbNS6_6detail15normal_iteratorINS6_10device_ptrIKxEEEESL_NS6_8equal_toIxEEEENSG_9not_fun_tINSD_8identityEEEEENSD_19counting_iterator_tIlEES8_S8_S8_S8_S8_S8_S8_S8_EEEEPS9_S9_NSD_9__find_if7functorIS9_EEEE10hipError_tPvRmT1_T2_T3_mT4_P12ihipStream_tbEUlT_E0_NS1_11comp_targetILNS1_3genE8ELNS1_11target_archE1030ELNS1_3gpuE2ELNS1_3repE0EEENS1_30default_config_static_selectorELNS0_4arch9wavefront6targetE0EEEvS14_: ; @_ZN7rocprim17ROCPRIM_400000_NS6detail17trampoline_kernelINS0_14default_configENS1_22reduce_config_selectorIN6thrust23THRUST_200600_302600_NS5tupleIblNS6_9null_typeES8_S8_S8_S8_S8_S8_S8_EEEEZNS1_11reduce_implILb1ES3_NS6_12zip_iteratorINS7_INS6_11hip_rocprim26transform_input_iterator_tIbNSD_35transform_pair_of_input_iterators_tIbNS6_6detail15normal_iteratorINS6_10device_ptrIKxEEEESL_NS6_8equal_toIxEEEENSG_9not_fun_tINSD_8identityEEEEENSD_19counting_iterator_tIlEES8_S8_S8_S8_S8_S8_S8_S8_EEEEPS9_S9_NSD_9__find_if7functorIS9_EEEE10hipError_tPvRmT1_T2_T3_mT4_P12ihipStream_tbEUlT_E0_NS1_11comp_targetILNS1_3genE8ELNS1_11target_archE1030ELNS1_3gpuE2ELNS1_3repE0EEENS1_30default_config_static_selectorELNS0_4arch9wavefront6targetE0EEEvS14_
; %bb.0:
	.section	.rodata,"a",@progbits
	.p2align	6, 0x0
	.amdhsa_kernel _ZN7rocprim17ROCPRIM_400000_NS6detail17trampoline_kernelINS0_14default_configENS1_22reduce_config_selectorIN6thrust23THRUST_200600_302600_NS5tupleIblNS6_9null_typeES8_S8_S8_S8_S8_S8_S8_EEEEZNS1_11reduce_implILb1ES3_NS6_12zip_iteratorINS7_INS6_11hip_rocprim26transform_input_iterator_tIbNSD_35transform_pair_of_input_iterators_tIbNS6_6detail15normal_iteratorINS6_10device_ptrIKxEEEESL_NS6_8equal_toIxEEEENSG_9not_fun_tINSD_8identityEEEEENSD_19counting_iterator_tIlEES8_S8_S8_S8_S8_S8_S8_S8_EEEEPS9_S9_NSD_9__find_if7functorIS9_EEEE10hipError_tPvRmT1_T2_T3_mT4_P12ihipStream_tbEUlT_E0_NS1_11comp_targetILNS1_3genE8ELNS1_11target_archE1030ELNS1_3gpuE2ELNS1_3repE0EEENS1_30default_config_static_selectorELNS0_4arch9wavefront6targetE0EEEvS14_
		.amdhsa_group_segment_fixed_size 0
		.amdhsa_private_segment_fixed_size 0
		.amdhsa_kernarg_size 104
		.amdhsa_user_sgpr_count 15
		.amdhsa_user_sgpr_dispatch_ptr 0
		.amdhsa_user_sgpr_queue_ptr 0
		.amdhsa_user_sgpr_kernarg_segment_ptr 1
		.amdhsa_user_sgpr_dispatch_id 0
		.amdhsa_user_sgpr_private_segment_size 0
		.amdhsa_wavefront_size32 1
		.amdhsa_uses_dynamic_stack 0
		.amdhsa_enable_private_segment 0
		.amdhsa_system_sgpr_workgroup_id_x 1
		.amdhsa_system_sgpr_workgroup_id_y 0
		.amdhsa_system_sgpr_workgroup_id_z 0
		.amdhsa_system_sgpr_workgroup_info 0
		.amdhsa_system_vgpr_workitem_id 0
		.amdhsa_next_free_vgpr 1
		.amdhsa_next_free_sgpr 1
		.amdhsa_reserve_vcc 0
		.amdhsa_float_round_mode_32 0
		.amdhsa_float_round_mode_16_64 0
		.amdhsa_float_denorm_mode_32 3
		.amdhsa_float_denorm_mode_16_64 3
		.amdhsa_dx10_clamp 1
		.amdhsa_ieee_mode 1
		.amdhsa_fp16_overflow 0
		.amdhsa_workgroup_processor_mode 1
		.amdhsa_memory_ordered 1
		.amdhsa_forward_progress 0
		.amdhsa_shared_vgpr_count 0
		.amdhsa_exception_fp_ieee_invalid_op 0
		.amdhsa_exception_fp_denorm_src 0
		.amdhsa_exception_fp_ieee_div_zero 0
		.amdhsa_exception_fp_ieee_overflow 0
		.amdhsa_exception_fp_ieee_underflow 0
		.amdhsa_exception_fp_ieee_inexact 0
		.amdhsa_exception_int_div_zero 0
	.end_amdhsa_kernel
	.section	.text._ZN7rocprim17ROCPRIM_400000_NS6detail17trampoline_kernelINS0_14default_configENS1_22reduce_config_selectorIN6thrust23THRUST_200600_302600_NS5tupleIblNS6_9null_typeES8_S8_S8_S8_S8_S8_S8_EEEEZNS1_11reduce_implILb1ES3_NS6_12zip_iteratorINS7_INS6_11hip_rocprim26transform_input_iterator_tIbNSD_35transform_pair_of_input_iterators_tIbNS6_6detail15normal_iteratorINS6_10device_ptrIKxEEEESL_NS6_8equal_toIxEEEENSG_9not_fun_tINSD_8identityEEEEENSD_19counting_iterator_tIlEES8_S8_S8_S8_S8_S8_S8_S8_EEEEPS9_S9_NSD_9__find_if7functorIS9_EEEE10hipError_tPvRmT1_T2_T3_mT4_P12ihipStream_tbEUlT_E0_NS1_11comp_targetILNS1_3genE8ELNS1_11target_archE1030ELNS1_3gpuE2ELNS1_3repE0EEENS1_30default_config_static_selectorELNS0_4arch9wavefront6targetE0EEEvS14_,"axG",@progbits,_ZN7rocprim17ROCPRIM_400000_NS6detail17trampoline_kernelINS0_14default_configENS1_22reduce_config_selectorIN6thrust23THRUST_200600_302600_NS5tupleIblNS6_9null_typeES8_S8_S8_S8_S8_S8_S8_EEEEZNS1_11reduce_implILb1ES3_NS6_12zip_iteratorINS7_INS6_11hip_rocprim26transform_input_iterator_tIbNSD_35transform_pair_of_input_iterators_tIbNS6_6detail15normal_iteratorINS6_10device_ptrIKxEEEESL_NS6_8equal_toIxEEEENSG_9not_fun_tINSD_8identityEEEEENSD_19counting_iterator_tIlEES8_S8_S8_S8_S8_S8_S8_S8_EEEEPS9_S9_NSD_9__find_if7functorIS9_EEEE10hipError_tPvRmT1_T2_T3_mT4_P12ihipStream_tbEUlT_E0_NS1_11comp_targetILNS1_3genE8ELNS1_11target_archE1030ELNS1_3gpuE2ELNS1_3repE0EEENS1_30default_config_static_selectorELNS0_4arch9wavefront6targetE0EEEvS14_,comdat
.Lfunc_end857:
	.size	_ZN7rocprim17ROCPRIM_400000_NS6detail17trampoline_kernelINS0_14default_configENS1_22reduce_config_selectorIN6thrust23THRUST_200600_302600_NS5tupleIblNS6_9null_typeES8_S8_S8_S8_S8_S8_S8_EEEEZNS1_11reduce_implILb1ES3_NS6_12zip_iteratorINS7_INS6_11hip_rocprim26transform_input_iterator_tIbNSD_35transform_pair_of_input_iterators_tIbNS6_6detail15normal_iteratorINS6_10device_ptrIKxEEEESL_NS6_8equal_toIxEEEENSG_9not_fun_tINSD_8identityEEEEENSD_19counting_iterator_tIlEES8_S8_S8_S8_S8_S8_S8_S8_EEEEPS9_S9_NSD_9__find_if7functorIS9_EEEE10hipError_tPvRmT1_T2_T3_mT4_P12ihipStream_tbEUlT_E0_NS1_11comp_targetILNS1_3genE8ELNS1_11target_archE1030ELNS1_3gpuE2ELNS1_3repE0EEENS1_30default_config_static_selectorELNS0_4arch9wavefront6targetE0EEEvS14_, .Lfunc_end857-_ZN7rocprim17ROCPRIM_400000_NS6detail17trampoline_kernelINS0_14default_configENS1_22reduce_config_selectorIN6thrust23THRUST_200600_302600_NS5tupleIblNS6_9null_typeES8_S8_S8_S8_S8_S8_S8_EEEEZNS1_11reduce_implILb1ES3_NS6_12zip_iteratorINS7_INS6_11hip_rocprim26transform_input_iterator_tIbNSD_35transform_pair_of_input_iterators_tIbNS6_6detail15normal_iteratorINS6_10device_ptrIKxEEEESL_NS6_8equal_toIxEEEENSG_9not_fun_tINSD_8identityEEEEENSD_19counting_iterator_tIlEES8_S8_S8_S8_S8_S8_S8_S8_EEEEPS9_S9_NSD_9__find_if7functorIS9_EEEE10hipError_tPvRmT1_T2_T3_mT4_P12ihipStream_tbEUlT_E0_NS1_11comp_targetILNS1_3genE8ELNS1_11target_archE1030ELNS1_3gpuE2ELNS1_3repE0EEENS1_30default_config_static_selectorELNS0_4arch9wavefront6targetE0EEEvS14_
                                        ; -- End function
	.section	.AMDGPU.csdata,"",@progbits
; Kernel info:
; codeLenInByte = 0
; NumSgprs: 0
; NumVgprs: 0
; ScratchSize: 0
; MemoryBound: 0
; FloatMode: 240
; IeeeMode: 1
; LDSByteSize: 0 bytes/workgroup (compile time only)
; SGPRBlocks: 0
; VGPRBlocks: 0
; NumSGPRsForWavesPerEU: 1
; NumVGPRsForWavesPerEU: 1
; Occupancy: 16
; WaveLimiterHint : 0
; COMPUTE_PGM_RSRC2:SCRATCH_EN: 0
; COMPUTE_PGM_RSRC2:USER_SGPR: 15
; COMPUTE_PGM_RSRC2:TRAP_HANDLER: 0
; COMPUTE_PGM_RSRC2:TGID_X_EN: 1
; COMPUTE_PGM_RSRC2:TGID_Y_EN: 0
; COMPUTE_PGM_RSRC2:TGID_Z_EN: 0
; COMPUTE_PGM_RSRC2:TIDIG_COMP_CNT: 0
	.section	.text._ZN7rocprim17ROCPRIM_400000_NS6detail17trampoline_kernelINS0_14default_configENS1_22reduce_config_selectorIN6thrust23THRUST_200600_302600_NS5tupleIblNS6_9null_typeES8_S8_S8_S8_S8_S8_S8_EEEEZNS1_11reduce_implILb1ES3_NS6_12zip_iteratorINS7_INS6_11hip_rocprim26transform_input_iterator_tIbNSD_35transform_pair_of_input_iterators_tIbNS6_6detail15normal_iteratorINS6_10device_ptrIKxEEEESL_NS6_8equal_toIxEEEENSG_9not_fun_tINSD_8identityEEEEENSD_19counting_iterator_tIlEES8_S8_S8_S8_S8_S8_S8_S8_EEEEPS9_S9_NSD_9__find_if7functorIS9_EEEE10hipError_tPvRmT1_T2_T3_mT4_P12ihipStream_tbEUlT_E1_NS1_11comp_targetILNS1_3genE0ELNS1_11target_archE4294967295ELNS1_3gpuE0ELNS1_3repE0EEENS1_30default_config_static_selectorELNS0_4arch9wavefront6targetE0EEEvS14_,"axG",@progbits,_ZN7rocprim17ROCPRIM_400000_NS6detail17trampoline_kernelINS0_14default_configENS1_22reduce_config_selectorIN6thrust23THRUST_200600_302600_NS5tupleIblNS6_9null_typeES8_S8_S8_S8_S8_S8_S8_EEEEZNS1_11reduce_implILb1ES3_NS6_12zip_iteratorINS7_INS6_11hip_rocprim26transform_input_iterator_tIbNSD_35transform_pair_of_input_iterators_tIbNS6_6detail15normal_iteratorINS6_10device_ptrIKxEEEESL_NS6_8equal_toIxEEEENSG_9not_fun_tINSD_8identityEEEEENSD_19counting_iterator_tIlEES8_S8_S8_S8_S8_S8_S8_S8_EEEEPS9_S9_NSD_9__find_if7functorIS9_EEEE10hipError_tPvRmT1_T2_T3_mT4_P12ihipStream_tbEUlT_E1_NS1_11comp_targetILNS1_3genE0ELNS1_11target_archE4294967295ELNS1_3gpuE0ELNS1_3repE0EEENS1_30default_config_static_selectorELNS0_4arch9wavefront6targetE0EEEvS14_,comdat
	.protected	_ZN7rocprim17ROCPRIM_400000_NS6detail17trampoline_kernelINS0_14default_configENS1_22reduce_config_selectorIN6thrust23THRUST_200600_302600_NS5tupleIblNS6_9null_typeES8_S8_S8_S8_S8_S8_S8_EEEEZNS1_11reduce_implILb1ES3_NS6_12zip_iteratorINS7_INS6_11hip_rocprim26transform_input_iterator_tIbNSD_35transform_pair_of_input_iterators_tIbNS6_6detail15normal_iteratorINS6_10device_ptrIKxEEEESL_NS6_8equal_toIxEEEENSG_9not_fun_tINSD_8identityEEEEENSD_19counting_iterator_tIlEES8_S8_S8_S8_S8_S8_S8_S8_EEEEPS9_S9_NSD_9__find_if7functorIS9_EEEE10hipError_tPvRmT1_T2_T3_mT4_P12ihipStream_tbEUlT_E1_NS1_11comp_targetILNS1_3genE0ELNS1_11target_archE4294967295ELNS1_3gpuE0ELNS1_3repE0EEENS1_30default_config_static_selectorELNS0_4arch9wavefront6targetE0EEEvS14_ ; -- Begin function _ZN7rocprim17ROCPRIM_400000_NS6detail17trampoline_kernelINS0_14default_configENS1_22reduce_config_selectorIN6thrust23THRUST_200600_302600_NS5tupleIblNS6_9null_typeES8_S8_S8_S8_S8_S8_S8_EEEEZNS1_11reduce_implILb1ES3_NS6_12zip_iteratorINS7_INS6_11hip_rocprim26transform_input_iterator_tIbNSD_35transform_pair_of_input_iterators_tIbNS6_6detail15normal_iteratorINS6_10device_ptrIKxEEEESL_NS6_8equal_toIxEEEENSG_9not_fun_tINSD_8identityEEEEENSD_19counting_iterator_tIlEES8_S8_S8_S8_S8_S8_S8_S8_EEEEPS9_S9_NSD_9__find_if7functorIS9_EEEE10hipError_tPvRmT1_T2_T3_mT4_P12ihipStream_tbEUlT_E1_NS1_11comp_targetILNS1_3genE0ELNS1_11target_archE4294967295ELNS1_3gpuE0ELNS1_3repE0EEENS1_30default_config_static_selectorELNS0_4arch9wavefront6targetE0EEEvS14_
	.globl	_ZN7rocprim17ROCPRIM_400000_NS6detail17trampoline_kernelINS0_14default_configENS1_22reduce_config_selectorIN6thrust23THRUST_200600_302600_NS5tupleIblNS6_9null_typeES8_S8_S8_S8_S8_S8_S8_EEEEZNS1_11reduce_implILb1ES3_NS6_12zip_iteratorINS7_INS6_11hip_rocprim26transform_input_iterator_tIbNSD_35transform_pair_of_input_iterators_tIbNS6_6detail15normal_iteratorINS6_10device_ptrIKxEEEESL_NS6_8equal_toIxEEEENSG_9not_fun_tINSD_8identityEEEEENSD_19counting_iterator_tIlEES8_S8_S8_S8_S8_S8_S8_S8_EEEEPS9_S9_NSD_9__find_if7functorIS9_EEEE10hipError_tPvRmT1_T2_T3_mT4_P12ihipStream_tbEUlT_E1_NS1_11comp_targetILNS1_3genE0ELNS1_11target_archE4294967295ELNS1_3gpuE0ELNS1_3repE0EEENS1_30default_config_static_selectorELNS0_4arch9wavefront6targetE0EEEvS14_
	.p2align	8
	.type	_ZN7rocprim17ROCPRIM_400000_NS6detail17trampoline_kernelINS0_14default_configENS1_22reduce_config_selectorIN6thrust23THRUST_200600_302600_NS5tupleIblNS6_9null_typeES8_S8_S8_S8_S8_S8_S8_EEEEZNS1_11reduce_implILb1ES3_NS6_12zip_iteratorINS7_INS6_11hip_rocprim26transform_input_iterator_tIbNSD_35transform_pair_of_input_iterators_tIbNS6_6detail15normal_iteratorINS6_10device_ptrIKxEEEESL_NS6_8equal_toIxEEEENSG_9not_fun_tINSD_8identityEEEEENSD_19counting_iterator_tIlEES8_S8_S8_S8_S8_S8_S8_S8_EEEEPS9_S9_NSD_9__find_if7functorIS9_EEEE10hipError_tPvRmT1_T2_T3_mT4_P12ihipStream_tbEUlT_E1_NS1_11comp_targetILNS1_3genE0ELNS1_11target_archE4294967295ELNS1_3gpuE0ELNS1_3repE0EEENS1_30default_config_static_selectorELNS0_4arch9wavefront6targetE0EEEvS14_,@function
_ZN7rocprim17ROCPRIM_400000_NS6detail17trampoline_kernelINS0_14default_configENS1_22reduce_config_selectorIN6thrust23THRUST_200600_302600_NS5tupleIblNS6_9null_typeES8_S8_S8_S8_S8_S8_S8_EEEEZNS1_11reduce_implILb1ES3_NS6_12zip_iteratorINS7_INS6_11hip_rocprim26transform_input_iterator_tIbNSD_35transform_pair_of_input_iterators_tIbNS6_6detail15normal_iteratorINS6_10device_ptrIKxEEEESL_NS6_8equal_toIxEEEENSG_9not_fun_tINSD_8identityEEEEENSD_19counting_iterator_tIlEES8_S8_S8_S8_S8_S8_S8_S8_EEEEPS9_S9_NSD_9__find_if7functorIS9_EEEE10hipError_tPvRmT1_T2_T3_mT4_P12ihipStream_tbEUlT_E1_NS1_11comp_targetILNS1_3genE0ELNS1_11target_archE4294967295ELNS1_3gpuE0ELNS1_3repE0EEENS1_30default_config_static_selectorELNS0_4arch9wavefront6targetE0EEEvS14_: ; @_ZN7rocprim17ROCPRIM_400000_NS6detail17trampoline_kernelINS0_14default_configENS1_22reduce_config_selectorIN6thrust23THRUST_200600_302600_NS5tupleIblNS6_9null_typeES8_S8_S8_S8_S8_S8_S8_EEEEZNS1_11reduce_implILb1ES3_NS6_12zip_iteratorINS7_INS6_11hip_rocprim26transform_input_iterator_tIbNSD_35transform_pair_of_input_iterators_tIbNS6_6detail15normal_iteratorINS6_10device_ptrIKxEEEESL_NS6_8equal_toIxEEEENSG_9not_fun_tINSD_8identityEEEEENSD_19counting_iterator_tIlEES8_S8_S8_S8_S8_S8_S8_S8_EEEEPS9_S9_NSD_9__find_if7functorIS9_EEEE10hipError_tPvRmT1_T2_T3_mT4_P12ihipStream_tbEUlT_E1_NS1_11comp_targetILNS1_3genE0ELNS1_11target_archE4294967295ELNS1_3gpuE0ELNS1_3repE0EEENS1_30default_config_static_selectorELNS0_4arch9wavefront6targetE0EEEvS14_
; %bb.0:
	.section	.rodata,"a",@progbits
	.p2align	6, 0x0
	.amdhsa_kernel _ZN7rocprim17ROCPRIM_400000_NS6detail17trampoline_kernelINS0_14default_configENS1_22reduce_config_selectorIN6thrust23THRUST_200600_302600_NS5tupleIblNS6_9null_typeES8_S8_S8_S8_S8_S8_S8_EEEEZNS1_11reduce_implILb1ES3_NS6_12zip_iteratorINS7_INS6_11hip_rocprim26transform_input_iterator_tIbNSD_35transform_pair_of_input_iterators_tIbNS6_6detail15normal_iteratorINS6_10device_ptrIKxEEEESL_NS6_8equal_toIxEEEENSG_9not_fun_tINSD_8identityEEEEENSD_19counting_iterator_tIlEES8_S8_S8_S8_S8_S8_S8_S8_EEEEPS9_S9_NSD_9__find_if7functorIS9_EEEE10hipError_tPvRmT1_T2_T3_mT4_P12ihipStream_tbEUlT_E1_NS1_11comp_targetILNS1_3genE0ELNS1_11target_archE4294967295ELNS1_3gpuE0ELNS1_3repE0EEENS1_30default_config_static_selectorELNS0_4arch9wavefront6targetE0EEEvS14_
		.amdhsa_group_segment_fixed_size 0
		.amdhsa_private_segment_fixed_size 0
		.amdhsa_kernarg_size 88
		.amdhsa_user_sgpr_count 15
		.amdhsa_user_sgpr_dispatch_ptr 0
		.amdhsa_user_sgpr_queue_ptr 0
		.amdhsa_user_sgpr_kernarg_segment_ptr 1
		.amdhsa_user_sgpr_dispatch_id 0
		.amdhsa_user_sgpr_private_segment_size 0
		.amdhsa_wavefront_size32 1
		.amdhsa_uses_dynamic_stack 0
		.amdhsa_enable_private_segment 0
		.amdhsa_system_sgpr_workgroup_id_x 1
		.amdhsa_system_sgpr_workgroup_id_y 0
		.amdhsa_system_sgpr_workgroup_id_z 0
		.amdhsa_system_sgpr_workgroup_info 0
		.amdhsa_system_vgpr_workitem_id 0
		.amdhsa_next_free_vgpr 1
		.amdhsa_next_free_sgpr 1
		.amdhsa_reserve_vcc 0
		.amdhsa_float_round_mode_32 0
		.amdhsa_float_round_mode_16_64 0
		.amdhsa_float_denorm_mode_32 3
		.amdhsa_float_denorm_mode_16_64 3
		.amdhsa_dx10_clamp 1
		.amdhsa_ieee_mode 1
		.amdhsa_fp16_overflow 0
		.amdhsa_workgroup_processor_mode 1
		.amdhsa_memory_ordered 1
		.amdhsa_forward_progress 0
		.amdhsa_shared_vgpr_count 0
		.amdhsa_exception_fp_ieee_invalid_op 0
		.amdhsa_exception_fp_denorm_src 0
		.amdhsa_exception_fp_ieee_div_zero 0
		.amdhsa_exception_fp_ieee_overflow 0
		.amdhsa_exception_fp_ieee_underflow 0
		.amdhsa_exception_fp_ieee_inexact 0
		.amdhsa_exception_int_div_zero 0
	.end_amdhsa_kernel
	.section	.text._ZN7rocprim17ROCPRIM_400000_NS6detail17trampoline_kernelINS0_14default_configENS1_22reduce_config_selectorIN6thrust23THRUST_200600_302600_NS5tupleIblNS6_9null_typeES8_S8_S8_S8_S8_S8_S8_EEEEZNS1_11reduce_implILb1ES3_NS6_12zip_iteratorINS7_INS6_11hip_rocprim26transform_input_iterator_tIbNSD_35transform_pair_of_input_iterators_tIbNS6_6detail15normal_iteratorINS6_10device_ptrIKxEEEESL_NS6_8equal_toIxEEEENSG_9not_fun_tINSD_8identityEEEEENSD_19counting_iterator_tIlEES8_S8_S8_S8_S8_S8_S8_S8_EEEEPS9_S9_NSD_9__find_if7functorIS9_EEEE10hipError_tPvRmT1_T2_T3_mT4_P12ihipStream_tbEUlT_E1_NS1_11comp_targetILNS1_3genE0ELNS1_11target_archE4294967295ELNS1_3gpuE0ELNS1_3repE0EEENS1_30default_config_static_selectorELNS0_4arch9wavefront6targetE0EEEvS14_,"axG",@progbits,_ZN7rocprim17ROCPRIM_400000_NS6detail17trampoline_kernelINS0_14default_configENS1_22reduce_config_selectorIN6thrust23THRUST_200600_302600_NS5tupleIblNS6_9null_typeES8_S8_S8_S8_S8_S8_S8_EEEEZNS1_11reduce_implILb1ES3_NS6_12zip_iteratorINS7_INS6_11hip_rocprim26transform_input_iterator_tIbNSD_35transform_pair_of_input_iterators_tIbNS6_6detail15normal_iteratorINS6_10device_ptrIKxEEEESL_NS6_8equal_toIxEEEENSG_9not_fun_tINSD_8identityEEEEENSD_19counting_iterator_tIlEES8_S8_S8_S8_S8_S8_S8_S8_EEEEPS9_S9_NSD_9__find_if7functorIS9_EEEE10hipError_tPvRmT1_T2_T3_mT4_P12ihipStream_tbEUlT_E1_NS1_11comp_targetILNS1_3genE0ELNS1_11target_archE4294967295ELNS1_3gpuE0ELNS1_3repE0EEENS1_30default_config_static_selectorELNS0_4arch9wavefront6targetE0EEEvS14_,comdat
.Lfunc_end858:
	.size	_ZN7rocprim17ROCPRIM_400000_NS6detail17trampoline_kernelINS0_14default_configENS1_22reduce_config_selectorIN6thrust23THRUST_200600_302600_NS5tupleIblNS6_9null_typeES8_S8_S8_S8_S8_S8_S8_EEEEZNS1_11reduce_implILb1ES3_NS6_12zip_iteratorINS7_INS6_11hip_rocprim26transform_input_iterator_tIbNSD_35transform_pair_of_input_iterators_tIbNS6_6detail15normal_iteratorINS6_10device_ptrIKxEEEESL_NS6_8equal_toIxEEEENSG_9not_fun_tINSD_8identityEEEEENSD_19counting_iterator_tIlEES8_S8_S8_S8_S8_S8_S8_S8_EEEEPS9_S9_NSD_9__find_if7functorIS9_EEEE10hipError_tPvRmT1_T2_T3_mT4_P12ihipStream_tbEUlT_E1_NS1_11comp_targetILNS1_3genE0ELNS1_11target_archE4294967295ELNS1_3gpuE0ELNS1_3repE0EEENS1_30default_config_static_selectorELNS0_4arch9wavefront6targetE0EEEvS14_, .Lfunc_end858-_ZN7rocprim17ROCPRIM_400000_NS6detail17trampoline_kernelINS0_14default_configENS1_22reduce_config_selectorIN6thrust23THRUST_200600_302600_NS5tupleIblNS6_9null_typeES8_S8_S8_S8_S8_S8_S8_EEEEZNS1_11reduce_implILb1ES3_NS6_12zip_iteratorINS7_INS6_11hip_rocprim26transform_input_iterator_tIbNSD_35transform_pair_of_input_iterators_tIbNS6_6detail15normal_iteratorINS6_10device_ptrIKxEEEESL_NS6_8equal_toIxEEEENSG_9not_fun_tINSD_8identityEEEEENSD_19counting_iterator_tIlEES8_S8_S8_S8_S8_S8_S8_S8_EEEEPS9_S9_NSD_9__find_if7functorIS9_EEEE10hipError_tPvRmT1_T2_T3_mT4_P12ihipStream_tbEUlT_E1_NS1_11comp_targetILNS1_3genE0ELNS1_11target_archE4294967295ELNS1_3gpuE0ELNS1_3repE0EEENS1_30default_config_static_selectorELNS0_4arch9wavefront6targetE0EEEvS14_
                                        ; -- End function
	.section	.AMDGPU.csdata,"",@progbits
; Kernel info:
; codeLenInByte = 0
; NumSgprs: 0
; NumVgprs: 0
; ScratchSize: 0
; MemoryBound: 0
; FloatMode: 240
; IeeeMode: 1
; LDSByteSize: 0 bytes/workgroup (compile time only)
; SGPRBlocks: 0
; VGPRBlocks: 0
; NumSGPRsForWavesPerEU: 1
; NumVGPRsForWavesPerEU: 1
; Occupancy: 16
; WaveLimiterHint : 0
; COMPUTE_PGM_RSRC2:SCRATCH_EN: 0
; COMPUTE_PGM_RSRC2:USER_SGPR: 15
; COMPUTE_PGM_RSRC2:TRAP_HANDLER: 0
; COMPUTE_PGM_RSRC2:TGID_X_EN: 1
; COMPUTE_PGM_RSRC2:TGID_Y_EN: 0
; COMPUTE_PGM_RSRC2:TGID_Z_EN: 0
; COMPUTE_PGM_RSRC2:TIDIG_COMP_CNT: 0
	.section	.text._ZN7rocprim17ROCPRIM_400000_NS6detail17trampoline_kernelINS0_14default_configENS1_22reduce_config_selectorIN6thrust23THRUST_200600_302600_NS5tupleIblNS6_9null_typeES8_S8_S8_S8_S8_S8_S8_EEEEZNS1_11reduce_implILb1ES3_NS6_12zip_iteratorINS7_INS6_11hip_rocprim26transform_input_iterator_tIbNSD_35transform_pair_of_input_iterators_tIbNS6_6detail15normal_iteratorINS6_10device_ptrIKxEEEESL_NS6_8equal_toIxEEEENSG_9not_fun_tINSD_8identityEEEEENSD_19counting_iterator_tIlEES8_S8_S8_S8_S8_S8_S8_S8_EEEEPS9_S9_NSD_9__find_if7functorIS9_EEEE10hipError_tPvRmT1_T2_T3_mT4_P12ihipStream_tbEUlT_E1_NS1_11comp_targetILNS1_3genE5ELNS1_11target_archE942ELNS1_3gpuE9ELNS1_3repE0EEENS1_30default_config_static_selectorELNS0_4arch9wavefront6targetE0EEEvS14_,"axG",@progbits,_ZN7rocprim17ROCPRIM_400000_NS6detail17trampoline_kernelINS0_14default_configENS1_22reduce_config_selectorIN6thrust23THRUST_200600_302600_NS5tupleIblNS6_9null_typeES8_S8_S8_S8_S8_S8_S8_EEEEZNS1_11reduce_implILb1ES3_NS6_12zip_iteratorINS7_INS6_11hip_rocprim26transform_input_iterator_tIbNSD_35transform_pair_of_input_iterators_tIbNS6_6detail15normal_iteratorINS6_10device_ptrIKxEEEESL_NS6_8equal_toIxEEEENSG_9not_fun_tINSD_8identityEEEEENSD_19counting_iterator_tIlEES8_S8_S8_S8_S8_S8_S8_S8_EEEEPS9_S9_NSD_9__find_if7functorIS9_EEEE10hipError_tPvRmT1_T2_T3_mT4_P12ihipStream_tbEUlT_E1_NS1_11comp_targetILNS1_3genE5ELNS1_11target_archE942ELNS1_3gpuE9ELNS1_3repE0EEENS1_30default_config_static_selectorELNS0_4arch9wavefront6targetE0EEEvS14_,comdat
	.protected	_ZN7rocprim17ROCPRIM_400000_NS6detail17trampoline_kernelINS0_14default_configENS1_22reduce_config_selectorIN6thrust23THRUST_200600_302600_NS5tupleIblNS6_9null_typeES8_S8_S8_S8_S8_S8_S8_EEEEZNS1_11reduce_implILb1ES3_NS6_12zip_iteratorINS7_INS6_11hip_rocprim26transform_input_iterator_tIbNSD_35transform_pair_of_input_iterators_tIbNS6_6detail15normal_iteratorINS6_10device_ptrIKxEEEESL_NS6_8equal_toIxEEEENSG_9not_fun_tINSD_8identityEEEEENSD_19counting_iterator_tIlEES8_S8_S8_S8_S8_S8_S8_S8_EEEEPS9_S9_NSD_9__find_if7functorIS9_EEEE10hipError_tPvRmT1_T2_T3_mT4_P12ihipStream_tbEUlT_E1_NS1_11comp_targetILNS1_3genE5ELNS1_11target_archE942ELNS1_3gpuE9ELNS1_3repE0EEENS1_30default_config_static_selectorELNS0_4arch9wavefront6targetE0EEEvS14_ ; -- Begin function _ZN7rocprim17ROCPRIM_400000_NS6detail17trampoline_kernelINS0_14default_configENS1_22reduce_config_selectorIN6thrust23THRUST_200600_302600_NS5tupleIblNS6_9null_typeES8_S8_S8_S8_S8_S8_S8_EEEEZNS1_11reduce_implILb1ES3_NS6_12zip_iteratorINS7_INS6_11hip_rocprim26transform_input_iterator_tIbNSD_35transform_pair_of_input_iterators_tIbNS6_6detail15normal_iteratorINS6_10device_ptrIKxEEEESL_NS6_8equal_toIxEEEENSG_9not_fun_tINSD_8identityEEEEENSD_19counting_iterator_tIlEES8_S8_S8_S8_S8_S8_S8_S8_EEEEPS9_S9_NSD_9__find_if7functorIS9_EEEE10hipError_tPvRmT1_T2_T3_mT4_P12ihipStream_tbEUlT_E1_NS1_11comp_targetILNS1_3genE5ELNS1_11target_archE942ELNS1_3gpuE9ELNS1_3repE0EEENS1_30default_config_static_selectorELNS0_4arch9wavefront6targetE0EEEvS14_
	.globl	_ZN7rocprim17ROCPRIM_400000_NS6detail17trampoline_kernelINS0_14default_configENS1_22reduce_config_selectorIN6thrust23THRUST_200600_302600_NS5tupleIblNS6_9null_typeES8_S8_S8_S8_S8_S8_S8_EEEEZNS1_11reduce_implILb1ES3_NS6_12zip_iteratorINS7_INS6_11hip_rocprim26transform_input_iterator_tIbNSD_35transform_pair_of_input_iterators_tIbNS6_6detail15normal_iteratorINS6_10device_ptrIKxEEEESL_NS6_8equal_toIxEEEENSG_9not_fun_tINSD_8identityEEEEENSD_19counting_iterator_tIlEES8_S8_S8_S8_S8_S8_S8_S8_EEEEPS9_S9_NSD_9__find_if7functorIS9_EEEE10hipError_tPvRmT1_T2_T3_mT4_P12ihipStream_tbEUlT_E1_NS1_11comp_targetILNS1_3genE5ELNS1_11target_archE942ELNS1_3gpuE9ELNS1_3repE0EEENS1_30default_config_static_selectorELNS0_4arch9wavefront6targetE0EEEvS14_
	.p2align	8
	.type	_ZN7rocprim17ROCPRIM_400000_NS6detail17trampoline_kernelINS0_14default_configENS1_22reduce_config_selectorIN6thrust23THRUST_200600_302600_NS5tupleIblNS6_9null_typeES8_S8_S8_S8_S8_S8_S8_EEEEZNS1_11reduce_implILb1ES3_NS6_12zip_iteratorINS7_INS6_11hip_rocprim26transform_input_iterator_tIbNSD_35transform_pair_of_input_iterators_tIbNS6_6detail15normal_iteratorINS6_10device_ptrIKxEEEESL_NS6_8equal_toIxEEEENSG_9not_fun_tINSD_8identityEEEEENSD_19counting_iterator_tIlEES8_S8_S8_S8_S8_S8_S8_S8_EEEEPS9_S9_NSD_9__find_if7functorIS9_EEEE10hipError_tPvRmT1_T2_T3_mT4_P12ihipStream_tbEUlT_E1_NS1_11comp_targetILNS1_3genE5ELNS1_11target_archE942ELNS1_3gpuE9ELNS1_3repE0EEENS1_30default_config_static_selectorELNS0_4arch9wavefront6targetE0EEEvS14_,@function
_ZN7rocprim17ROCPRIM_400000_NS6detail17trampoline_kernelINS0_14default_configENS1_22reduce_config_selectorIN6thrust23THRUST_200600_302600_NS5tupleIblNS6_9null_typeES8_S8_S8_S8_S8_S8_S8_EEEEZNS1_11reduce_implILb1ES3_NS6_12zip_iteratorINS7_INS6_11hip_rocprim26transform_input_iterator_tIbNSD_35transform_pair_of_input_iterators_tIbNS6_6detail15normal_iteratorINS6_10device_ptrIKxEEEESL_NS6_8equal_toIxEEEENSG_9not_fun_tINSD_8identityEEEEENSD_19counting_iterator_tIlEES8_S8_S8_S8_S8_S8_S8_S8_EEEEPS9_S9_NSD_9__find_if7functorIS9_EEEE10hipError_tPvRmT1_T2_T3_mT4_P12ihipStream_tbEUlT_E1_NS1_11comp_targetILNS1_3genE5ELNS1_11target_archE942ELNS1_3gpuE9ELNS1_3repE0EEENS1_30default_config_static_selectorELNS0_4arch9wavefront6targetE0EEEvS14_: ; @_ZN7rocprim17ROCPRIM_400000_NS6detail17trampoline_kernelINS0_14default_configENS1_22reduce_config_selectorIN6thrust23THRUST_200600_302600_NS5tupleIblNS6_9null_typeES8_S8_S8_S8_S8_S8_S8_EEEEZNS1_11reduce_implILb1ES3_NS6_12zip_iteratorINS7_INS6_11hip_rocprim26transform_input_iterator_tIbNSD_35transform_pair_of_input_iterators_tIbNS6_6detail15normal_iteratorINS6_10device_ptrIKxEEEESL_NS6_8equal_toIxEEEENSG_9not_fun_tINSD_8identityEEEEENSD_19counting_iterator_tIlEES8_S8_S8_S8_S8_S8_S8_S8_EEEEPS9_S9_NSD_9__find_if7functorIS9_EEEE10hipError_tPvRmT1_T2_T3_mT4_P12ihipStream_tbEUlT_E1_NS1_11comp_targetILNS1_3genE5ELNS1_11target_archE942ELNS1_3gpuE9ELNS1_3repE0EEENS1_30default_config_static_selectorELNS0_4arch9wavefront6targetE0EEEvS14_
; %bb.0:
	.section	.rodata,"a",@progbits
	.p2align	6, 0x0
	.amdhsa_kernel _ZN7rocprim17ROCPRIM_400000_NS6detail17trampoline_kernelINS0_14default_configENS1_22reduce_config_selectorIN6thrust23THRUST_200600_302600_NS5tupleIblNS6_9null_typeES8_S8_S8_S8_S8_S8_S8_EEEEZNS1_11reduce_implILb1ES3_NS6_12zip_iteratorINS7_INS6_11hip_rocprim26transform_input_iterator_tIbNSD_35transform_pair_of_input_iterators_tIbNS6_6detail15normal_iteratorINS6_10device_ptrIKxEEEESL_NS6_8equal_toIxEEEENSG_9not_fun_tINSD_8identityEEEEENSD_19counting_iterator_tIlEES8_S8_S8_S8_S8_S8_S8_S8_EEEEPS9_S9_NSD_9__find_if7functorIS9_EEEE10hipError_tPvRmT1_T2_T3_mT4_P12ihipStream_tbEUlT_E1_NS1_11comp_targetILNS1_3genE5ELNS1_11target_archE942ELNS1_3gpuE9ELNS1_3repE0EEENS1_30default_config_static_selectorELNS0_4arch9wavefront6targetE0EEEvS14_
		.amdhsa_group_segment_fixed_size 0
		.amdhsa_private_segment_fixed_size 0
		.amdhsa_kernarg_size 88
		.amdhsa_user_sgpr_count 15
		.amdhsa_user_sgpr_dispatch_ptr 0
		.amdhsa_user_sgpr_queue_ptr 0
		.amdhsa_user_sgpr_kernarg_segment_ptr 1
		.amdhsa_user_sgpr_dispatch_id 0
		.amdhsa_user_sgpr_private_segment_size 0
		.amdhsa_wavefront_size32 1
		.amdhsa_uses_dynamic_stack 0
		.amdhsa_enable_private_segment 0
		.amdhsa_system_sgpr_workgroup_id_x 1
		.amdhsa_system_sgpr_workgroup_id_y 0
		.amdhsa_system_sgpr_workgroup_id_z 0
		.amdhsa_system_sgpr_workgroup_info 0
		.amdhsa_system_vgpr_workitem_id 0
		.amdhsa_next_free_vgpr 1
		.amdhsa_next_free_sgpr 1
		.amdhsa_reserve_vcc 0
		.amdhsa_float_round_mode_32 0
		.amdhsa_float_round_mode_16_64 0
		.amdhsa_float_denorm_mode_32 3
		.amdhsa_float_denorm_mode_16_64 3
		.amdhsa_dx10_clamp 1
		.amdhsa_ieee_mode 1
		.amdhsa_fp16_overflow 0
		.amdhsa_workgroup_processor_mode 1
		.amdhsa_memory_ordered 1
		.amdhsa_forward_progress 0
		.amdhsa_shared_vgpr_count 0
		.amdhsa_exception_fp_ieee_invalid_op 0
		.amdhsa_exception_fp_denorm_src 0
		.amdhsa_exception_fp_ieee_div_zero 0
		.amdhsa_exception_fp_ieee_overflow 0
		.amdhsa_exception_fp_ieee_underflow 0
		.amdhsa_exception_fp_ieee_inexact 0
		.amdhsa_exception_int_div_zero 0
	.end_amdhsa_kernel
	.section	.text._ZN7rocprim17ROCPRIM_400000_NS6detail17trampoline_kernelINS0_14default_configENS1_22reduce_config_selectorIN6thrust23THRUST_200600_302600_NS5tupleIblNS6_9null_typeES8_S8_S8_S8_S8_S8_S8_EEEEZNS1_11reduce_implILb1ES3_NS6_12zip_iteratorINS7_INS6_11hip_rocprim26transform_input_iterator_tIbNSD_35transform_pair_of_input_iterators_tIbNS6_6detail15normal_iteratorINS6_10device_ptrIKxEEEESL_NS6_8equal_toIxEEEENSG_9not_fun_tINSD_8identityEEEEENSD_19counting_iterator_tIlEES8_S8_S8_S8_S8_S8_S8_S8_EEEEPS9_S9_NSD_9__find_if7functorIS9_EEEE10hipError_tPvRmT1_T2_T3_mT4_P12ihipStream_tbEUlT_E1_NS1_11comp_targetILNS1_3genE5ELNS1_11target_archE942ELNS1_3gpuE9ELNS1_3repE0EEENS1_30default_config_static_selectorELNS0_4arch9wavefront6targetE0EEEvS14_,"axG",@progbits,_ZN7rocprim17ROCPRIM_400000_NS6detail17trampoline_kernelINS0_14default_configENS1_22reduce_config_selectorIN6thrust23THRUST_200600_302600_NS5tupleIblNS6_9null_typeES8_S8_S8_S8_S8_S8_S8_EEEEZNS1_11reduce_implILb1ES3_NS6_12zip_iteratorINS7_INS6_11hip_rocprim26transform_input_iterator_tIbNSD_35transform_pair_of_input_iterators_tIbNS6_6detail15normal_iteratorINS6_10device_ptrIKxEEEESL_NS6_8equal_toIxEEEENSG_9not_fun_tINSD_8identityEEEEENSD_19counting_iterator_tIlEES8_S8_S8_S8_S8_S8_S8_S8_EEEEPS9_S9_NSD_9__find_if7functorIS9_EEEE10hipError_tPvRmT1_T2_T3_mT4_P12ihipStream_tbEUlT_E1_NS1_11comp_targetILNS1_3genE5ELNS1_11target_archE942ELNS1_3gpuE9ELNS1_3repE0EEENS1_30default_config_static_selectorELNS0_4arch9wavefront6targetE0EEEvS14_,comdat
.Lfunc_end859:
	.size	_ZN7rocprim17ROCPRIM_400000_NS6detail17trampoline_kernelINS0_14default_configENS1_22reduce_config_selectorIN6thrust23THRUST_200600_302600_NS5tupleIblNS6_9null_typeES8_S8_S8_S8_S8_S8_S8_EEEEZNS1_11reduce_implILb1ES3_NS6_12zip_iteratorINS7_INS6_11hip_rocprim26transform_input_iterator_tIbNSD_35transform_pair_of_input_iterators_tIbNS6_6detail15normal_iteratorINS6_10device_ptrIKxEEEESL_NS6_8equal_toIxEEEENSG_9not_fun_tINSD_8identityEEEEENSD_19counting_iterator_tIlEES8_S8_S8_S8_S8_S8_S8_S8_EEEEPS9_S9_NSD_9__find_if7functorIS9_EEEE10hipError_tPvRmT1_T2_T3_mT4_P12ihipStream_tbEUlT_E1_NS1_11comp_targetILNS1_3genE5ELNS1_11target_archE942ELNS1_3gpuE9ELNS1_3repE0EEENS1_30default_config_static_selectorELNS0_4arch9wavefront6targetE0EEEvS14_, .Lfunc_end859-_ZN7rocprim17ROCPRIM_400000_NS6detail17trampoline_kernelINS0_14default_configENS1_22reduce_config_selectorIN6thrust23THRUST_200600_302600_NS5tupleIblNS6_9null_typeES8_S8_S8_S8_S8_S8_S8_EEEEZNS1_11reduce_implILb1ES3_NS6_12zip_iteratorINS7_INS6_11hip_rocprim26transform_input_iterator_tIbNSD_35transform_pair_of_input_iterators_tIbNS6_6detail15normal_iteratorINS6_10device_ptrIKxEEEESL_NS6_8equal_toIxEEEENSG_9not_fun_tINSD_8identityEEEEENSD_19counting_iterator_tIlEES8_S8_S8_S8_S8_S8_S8_S8_EEEEPS9_S9_NSD_9__find_if7functorIS9_EEEE10hipError_tPvRmT1_T2_T3_mT4_P12ihipStream_tbEUlT_E1_NS1_11comp_targetILNS1_3genE5ELNS1_11target_archE942ELNS1_3gpuE9ELNS1_3repE0EEENS1_30default_config_static_selectorELNS0_4arch9wavefront6targetE0EEEvS14_
                                        ; -- End function
	.section	.AMDGPU.csdata,"",@progbits
; Kernel info:
; codeLenInByte = 0
; NumSgprs: 0
; NumVgprs: 0
; ScratchSize: 0
; MemoryBound: 0
; FloatMode: 240
; IeeeMode: 1
; LDSByteSize: 0 bytes/workgroup (compile time only)
; SGPRBlocks: 0
; VGPRBlocks: 0
; NumSGPRsForWavesPerEU: 1
; NumVGPRsForWavesPerEU: 1
; Occupancy: 16
; WaveLimiterHint : 0
; COMPUTE_PGM_RSRC2:SCRATCH_EN: 0
; COMPUTE_PGM_RSRC2:USER_SGPR: 15
; COMPUTE_PGM_RSRC2:TRAP_HANDLER: 0
; COMPUTE_PGM_RSRC2:TGID_X_EN: 1
; COMPUTE_PGM_RSRC2:TGID_Y_EN: 0
; COMPUTE_PGM_RSRC2:TGID_Z_EN: 0
; COMPUTE_PGM_RSRC2:TIDIG_COMP_CNT: 0
	.section	.text._ZN7rocprim17ROCPRIM_400000_NS6detail17trampoline_kernelINS0_14default_configENS1_22reduce_config_selectorIN6thrust23THRUST_200600_302600_NS5tupleIblNS6_9null_typeES8_S8_S8_S8_S8_S8_S8_EEEEZNS1_11reduce_implILb1ES3_NS6_12zip_iteratorINS7_INS6_11hip_rocprim26transform_input_iterator_tIbNSD_35transform_pair_of_input_iterators_tIbNS6_6detail15normal_iteratorINS6_10device_ptrIKxEEEESL_NS6_8equal_toIxEEEENSG_9not_fun_tINSD_8identityEEEEENSD_19counting_iterator_tIlEES8_S8_S8_S8_S8_S8_S8_S8_EEEEPS9_S9_NSD_9__find_if7functorIS9_EEEE10hipError_tPvRmT1_T2_T3_mT4_P12ihipStream_tbEUlT_E1_NS1_11comp_targetILNS1_3genE4ELNS1_11target_archE910ELNS1_3gpuE8ELNS1_3repE0EEENS1_30default_config_static_selectorELNS0_4arch9wavefront6targetE0EEEvS14_,"axG",@progbits,_ZN7rocprim17ROCPRIM_400000_NS6detail17trampoline_kernelINS0_14default_configENS1_22reduce_config_selectorIN6thrust23THRUST_200600_302600_NS5tupleIblNS6_9null_typeES8_S8_S8_S8_S8_S8_S8_EEEEZNS1_11reduce_implILb1ES3_NS6_12zip_iteratorINS7_INS6_11hip_rocprim26transform_input_iterator_tIbNSD_35transform_pair_of_input_iterators_tIbNS6_6detail15normal_iteratorINS6_10device_ptrIKxEEEESL_NS6_8equal_toIxEEEENSG_9not_fun_tINSD_8identityEEEEENSD_19counting_iterator_tIlEES8_S8_S8_S8_S8_S8_S8_S8_EEEEPS9_S9_NSD_9__find_if7functorIS9_EEEE10hipError_tPvRmT1_T2_T3_mT4_P12ihipStream_tbEUlT_E1_NS1_11comp_targetILNS1_3genE4ELNS1_11target_archE910ELNS1_3gpuE8ELNS1_3repE0EEENS1_30default_config_static_selectorELNS0_4arch9wavefront6targetE0EEEvS14_,comdat
	.protected	_ZN7rocprim17ROCPRIM_400000_NS6detail17trampoline_kernelINS0_14default_configENS1_22reduce_config_selectorIN6thrust23THRUST_200600_302600_NS5tupleIblNS6_9null_typeES8_S8_S8_S8_S8_S8_S8_EEEEZNS1_11reduce_implILb1ES3_NS6_12zip_iteratorINS7_INS6_11hip_rocprim26transform_input_iterator_tIbNSD_35transform_pair_of_input_iterators_tIbNS6_6detail15normal_iteratorINS6_10device_ptrIKxEEEESL_NS6_8equal_toIxEEEENSG_9not_fun_tINSD_8identityEEEEENSD_19counting_iterator_tIlEES8_S8_S8_S8_S8_S8_S8_S8_EEEEPS9_S9_NSD_9__find_if7functorIS9_EEEE10hipError_tPvRmT1_T2_T3_mT4_P12ihipStream_tbEUlT_E1_NS1_11comp_targetILNS1_3genE4ELNS1_11target_archE910ELNS1_3gpuE8ELNS1_3repE0EEENS1_30default_config_static_selectorELNS0_4arch9wavefront6targetE0EEEvS14_ ; -- Begin function _ZN7rocprim17ROCPRIM_400000_NS6detail17trampoline_kernelINS0_14default_configENS1_22reduce_config_selectorIN6thrust23THRUST_200600_302600_NS5tupleIblNS6_9null_typeES8_S8_S8_S8_S8_S8_S8_EEEEZNS1_11reduce_implILb1ES3_NS6_12zip_iteratorINS7_INS6_11hip_rocprim26transform_input_iterator_tIbNSD_35transform_pair_of_input_iterators_tIbNS6_6detail15normal_iteratorINS6_10device_ptrIKxEEEESL_NS6_8equal_toIxEEEENSG_9not_fun_tINSD_8identityEEEEENSD_19counting_iterator_tIlEES8_S8_S8_S8_S8_S8_S8_S8_EEEEPS9_S9_NSD_9__find_if7functorIS9_EEEE10hipError_tPvRmT1_T2_T3_mT4_P12ihipStream_tbEUlT_E1_NS1_11comp_targetILNS1_3genE4ELNS1_11target_archE910ELNS1_3gpuE8ELNS1_3repE0EEENS1_30default_config_static_selectorELNS0_4arch9wavefront6targetE0EEEvS14_
	.globl	_ZN7rocprim17ROCPRIM_400000_NS6detail17trampoline_kernelINS0_14default_configENS1_22reduce_config_selectorIN6thrust23THRUST_200600_302600_NS5tupleIblNS6_9null_typeES8_S8_S8_S8_S8_S8_S8_EEEEZNS1_11reduce_implILb1ES3_NS6_12zip_iteratorINS7_INS6_11hip_rocprim26transform_input_iterator_tIbNSD_35transform_pair_of_input_iterators_tIbNS6_6detail15normal_iteratorINS6_10device_ptrIKxEEEESL_NS6_8equal_toIxEEEENSG_9not_fun_tINSD_8identityEEEEENSD_19counting_iterator_tIlEES8_S8_S8_S8_S8_S8_S8_S8_EEEEPS9_S9_NSD_9__find_if7functorIS9_EEEE10hipError_tPvRmT1_T2_T3_mT4_P12ihipStream_tbEUlT_E1_NS1_11comp_targetILNS1_3genE4ELNS1_11target_archE910ELNS1_3gpuE8ELNS1_3repE0EEENS1_30default_config_static_selectorELNS0_4arch9wavefront6targetE0EEEvS14_
	.p2align	8
	.type	_ZN7rocprim17ROCPRIM_400000_NS6detail17trampoline_kernelINS0_14default_configENS1_22reduce_config_selectorIN6thrust23THRUST_200600_302600_NS5tupleIblNS6_9null_typeES8_S8_S8_S8_S8_S8_S8_EEEEZNS1_11reduce_implILb1ES3_NS6_12zip_iteratorINS7_INS6_11hip_rocprim26transform_input_iterator_tIbNSD_35transform_pair_of_input_iterators_tIbNS6_6detail15normal_iteratorINS6_10device_ptrIKxEEEESL_NS6_8equal_toIxEEEENSG_9not_fun_tINSD_8identityEEEEENSD_19counting_iterator_tIlEES8_S8_S8_S8_S8_S8_S8_S8_EEEEPS9_S9_NSD_9__find_if7functorIS9_EEEE10hipError_tPvRmT1_T2_T3_mT4_P12ihipStream_tbEUlT_E1_NS1_11comp_targetILNS1_3genE4ELNS1_11target_archE910ELNS1_3gpuE8ELNS1_3repE0EEENS1_30default_config_static_selectorELNS0_4arch9wavefront6targetE0EEEvS14_,@function
_ZN7rocprim17ROCPRIM_400000_NS6detail17trampoline_kernelINS0_14default_configENS1_22reduce_config_selectorIN6thrust23THRUST_200600_302600_NS5tupleIblNS6_9null_typeES8_S8_S8_S8_S8_S8_S8_EEEEZNS1_11reduce_implILb1ES3_NS6_12zip_iteratorINS7_INS6_11hip_rocprim26transform_input_iterator_tIbNSD_35transform_pair_of_input_iterators_tIbNS6_6detail15normal_iteratorINS6_10device_ptrIKxEEEESL_NS6_8equal_toIxEEEENSG_9not_fun_tINSD_8identityEEEEENSD_19counting_iterator_tIlEES8_S8_S8_S8_S8_S8_S8_S8_EEEEPS9_S9_NSD_9__find_if7functorIS9_EEEE10hipError_tPvRmT1_T2_T3_mT4_P12ihipStream_tbEUlT_E1_NS1_11comp_targetILNS1_3genE4ELNS1_11target_archE910ELNS1_3gpuE8ELNS1_3repE0EEENS1_30default_config_static_selectorELNS0_4arch9wavefront6targetE0EEEvS14_: ; @_ZN7rocprim17ROCPRIM_400000_NS6detail17trampoline_kernelINS0_14default_configENS1_22reduce_config_selectorIN6thrust23THRUST_200600_302600_NS5tupleIblNS6_9null_typeES8_S8_S8_S8_S8_S8_S8_EEEEZNS1_11reduce_implILb1ES3_NS6_12zip_iteratorINS7_INS6_11hip_rocprim26transform_input_iterator_tIbNSD_35transform_pair_of_input_iterators_tIbNS6_6detail15normal_iteratorINS6_10device_ptrIKxEEEESL_NS6_8equal_toIxEEEENSG_9not_fun_tINSD_8identityEEEEENSD_19counting_iterator_tIlEES8_S8_S8_S8_S8_S8_S8_S8_EEEEPS9_S9_NSD_9__find_if7functorIS9_EEEE10hipError_tPvRmT1_T2_T3_mT4_P12ihipStream_tbEUlT_E1_NS1_11comp_targetILNS1_3genE4ELNS1_11target_archE910ELNS1_3gpuE8ELNS1_3repE0EEENS1_30default_config_static_selectorELNS0_4arch9wavefront6targetE0EEEvS14_
; %bb.0:
	.section	.rodata,"a",@progbits
	.p2align	6, 0x0
	.amdhsa_kernel _ZN7rocprim17ROCPRIM_400000_NS6detail17trampoline_kernelINS0_14default_configENS1_22reduce_config_selectorIN6thrust23THRUST_200600_302600_NS5tupleIblNS6_9null_typeES8_S8_S8_S8_S8_S8_S8_EEEEZNS1_11reduce_implILb1ES3_NS6_12zip_iteratorINS7_INS6_11hip_rocprim26transform_input_iterator_tIbNSD_35transform_pair_of_input_iterators_tIbNS6_6detail15normal_iteratorINS6_10device_ptrIKxEEEESL_NS6_8equal_toIxEEEENSG_9not_fun_tINSD_8identityEEEEENSD_19counting_iterator_tIlEES8_S8_S8_S8_S8_S8_S8_S8_EEEEPS9_S9_NSD_9__find_if7functorIS9_EEEE10hipError_tPvRmT1_T2_T3_mT4_P12ihipStream_tbEUlT_E1_NS1_11comp_targetILNS1_3genE4ELNS1_11target_archE910ELNS1_3gpuE8ELNS1_3repE0EEENS1_30default_config_static_selectorELNS0_4arch9wavefront6targetE0EEEvS14_
		.amdhsa_group_segment_fixed_size 0
		.amdhsa_private_segment_fixed_size 0
		.amdhsa_kernarg_size 88
		.amdhsa_user_sgpr_count 15
		.amdhsa_user_sgpr_dispatch_ptr 0
		.amdhsa_user_sgpr_queue_ptr 0
		.amdhsa_user_sgpr_kernarg_segment_ptr 1
		.amdhsa_user_sgpr_dispatch_id 0
		.amdhsa_user_sgpr_private_segment_size 0
		.amdhsa_wavefront_size32 1
		.amdhsa_uses_dynamic_stack 0
		.amdhsa_enable_private_segment 0
		.amdhsa_system_sgpr_workgroup_id_x 1
		.amdhsa_system_sgpr_workgroup_id_y 0
		.amdhsa_system_sgpr_workgroup_id_z 0
		.amdhsa_system_sgpr_workgroup_info 0
		.amdhsa_system_vgpr_workitem_id 0
		.amdhsa_next_free_vgpr 1
		.amdhsa_next_free_sgpr 1
		.amdhsa_reserve_vcc 0
		.amdhsa_float_round_mode_32 0
		.amdhsa_float_round_mode_16_64 0
		.amdhsa_float_denorm_mode_32 3
		.amdhsa_float_denorm_mode_16_64 3
		.amdhsa_dx10_clamp 1
		.amdhsa_ieee_mode 1
		.amdhsa_fp16_overflow 0
		.amdhsa_workgroup_processor_mode 1
		.amdhsa_memory_ordered 1
		.amdhsa_forward_progress 0
		.amdhsa_shared_vgpr_count 0
		.amdhsa_exception_fp_ieee_invalid_op 0
		.amdhsa_exception_fp_denorm_src 0
		.amdhsa_exception_fp_ieee_div_zero 0
		.amdhsa_exception_fp_ieee_overflow 0
		.amdhsa_exception_fp_ieee_underflow 0
		.amdhsa_exception_fp_ieee_inexact 0
		.amdhsa_exception_int_div_zero 0
	.end_amdhsa_kernel
	.section	.text._ZN7rocprim17ROCPRIM_400000_NS6detail17trampoline_kernelINS0_14default_configENS1_22reduce_config_selectorIN6thrust23THRUST_200600_302600_NS5tupleIblNS6_9null_typeES8_S8_S8_S8_S8_S8_S8_EEEEZNS1_11reduce_implILb1ES3_NS6_12zip_iteratorINS7_INS6_11hip_rocprim26transform_input_iterator_tIbNSD_35transform_pair_of_input_iterators_tIbNS6_6detail15normal_iteratorINS6_10device_ptrIKxEEEESL_NS6_8equal_toIxEEEENSG_9not_fun_tINSD_8identityEEEEENSD_19counting_iterator_tIlEES8_S8_S8_S8_S8_S8_S8_S8_EEEEPS9_S9_NSD_9__find_if7functorIS9_EEEE10hipError_tPvRmT1_T2_T3_mT4_P12ihipStream_tbEUlT_E1_NS1_11comp_targetILNS1_3genE4ELNS1_11target_archE910ELNS1_3gpuE8ELNS1_3repE0EEENS1_30default_config_static_selectorELNS0_4arch9wavefront6targetE0EEEvS14_,"axG",@progbits,_ZN7rocprim17ROCPRIM_400000_NS6detail17trampoline_kernelINS0_14default_configENS1_22reduce_config_selectorIN6thrust23THRUST_200600_302600_NS5tupleIblNS6_9null_typeES8_S8_S8_S8_S8_S8_S8_EEEEZNS1_11reduce_implILb1ES3_NS6_12zip_iteratorINS7_INS6_11hip_rocprim26transform_input_iterator_tIbNSD_35transform_pair_of_input_iterators_tIbNS6_6detail15normal_iteratorINS6_10device_ptrIKxEEEESL_NS6_8equal_toIxEEEENSG_9not_fun_tINSD_8identityEEEEENSD_19counting_iterator_tIlEES8_S8_S8_S8_S8_S8_S8_S8_EEEEPS9_S9_NSD_9__find_if7functorIS9_EEEE10hipError_tPvRmT1_T2_T3_mT4_P12ihipStream_tbEUlT_E1_NS1_11comp_targetILNS1_3genE4ELNS1_11target_archE910ELNS1_3gpuE8ELNS1_3repE0EEENS1_30default_config_static_selectorELNS0_4arch9wavefront6targetE0EEEvS14_,comdat
.Lfunc_end860:
	.size	_ZN7rocprim17ROCPRIM_400000_NS6detail17trampoline_kernelINS0_14default_configENS1_22reduce_config_selectorIN6thrust23THRUST_200600_302600_NS5tupleIblNS6_9null_typeES8_S8_S8_S8_S8_S8_S8_EEEEZNS1_11reduce_implILb1ES3_NS6_12zip_iteratorINS7_INS6_11hip_rocprim26transform_input_iterator_tIbNSD_35transform_pair_of_input_iterators_tIbNS6_6detail15normal_iteratorINS6_10device_ptrIKxEEEESL_NS6_8equal_toIxEEEENSG_9not_fun_tINSD_8identityEEEEENSD_19counting_iterator_tIlEES8_S8_S8_S8_S8_S8_S8_S8_EEEEPS9_S9_NSD_9__find_if7functorIS9_EEEE10hipError_tPvRmT1_T2_T3_mT4_P12ihipStream_tbEUlT_E1_NS1_11comp_targetILNS1_3genE4ELNS1_11target_archE910ELNS1_3gpuE8ELNS1_3repE0EEENS1_30default_config_static_selectorELNS0_4arch9wavefront6targetE0EEEvS14_, .Lfunc_end860-_ZN7rocprim17ROCPRIM_400000_NS6detail17trampoline_kernelINS0_14default_configENS1_22reduce_config_selectorIN6thrust23THRUST_200600_302600_NS5tupleIblNS6_9null_typeES8_S8_S8_S8_S8_S8_S8_EEEEZNS1_11reduce_implILb1ES3_NS6_12zip_iteratorINS7_INS6_11hip_rocprim26transform_input_iterator_tIbNSD_35transform_pair_of_input_iterators_tIbNS6_6detail15normal_iteratorINS6_10device_ptrIKxEEEESL_NS6_8equal_toIxEEEENSG_9not_fun_tINSD_8identityEEEEENSD_19counting_iterator_tIlEES8_S8_S8_S8_S8_S8_S8_S8_EEEEPS9_S9_NSD_9__find_if7functorIS9_EEEE10hipError_tPvRmT1_T2_T3_mT4_P12ihipStream_tbEUlT_E1_NS1_11comp_targetILNS1_3genE4ELNS1_11target_archE910ELNS1_3gpuE8ELNS1_3repE0EEENS1_30default_config_static_selectorELNS0_4arch9wavefront6targetE0EEEvS14_
                                        ; -- End function
	.section	.AMDGPU.csdata,"",@progbits
; Kernel info:
; codeLenInByte = 0
; NumSgprs: 0
; NumVgprs: 0
; ScratchSize: 0
; MemoryBound: 0
; FloatMode: 240
; IeeeMode: 1
; LDSByteSize: 0 bytes/workgroup (compile time only)
; SGPRBlocks: 0
; VGPRBlocks: 0
; NumSGPRsForWavesPerEU: 1
; NumVGPRsForWavesPerEU: 1
; Occupancy: 16
; WaveLimiterHint : 0
; COMPUTE_PGM_RSRC2:SCRATCH_EN: 0
; COMPUTE_PGM_RSRC2:USER_SGPR: 15
; COMPUTE_PGM_RSRC2:TRAP_HANDLER: 0
; COMPUTE_PGM_RSRC2:TGID_X_EN: 1
; COMPUTE_PGM_RSRC2:TGID_Y_EN: 0
; COMPUTE_PGM_RSRC2:TGID_Z_EN: 0
; COMPUTE_PGM_RSRC2:TIDIG_COMP_CNT: 0
	.section	.text._ZN7rocprim17ROCPRIM_400000_NS6detail17trampoline_kernelINS0_14default_configENS1_22reduce_config_selectorIN6thrust23THRUST_200600_302600_NS5tupleIblNS6_9null_typeES8_S8_S8_S8_S8_S8_S8_EEEEZNS1_11reduce_implILb1ES3_NS6_12zip_iteratorINS7_INS6_11hip_rocprim26transform_input_iterator_tIbNSD_35transform_pair_of_input_iterators_tIbNS6_6detail15normal_iteratorINS6_10device_ptrIKxEEEESL_NS6_8equal_toIxEEEENSG_9not_fun_tINSD_8identityEEEEENSD_19counting_iterator_tIlEES8_S8_S8_S8_S8_S8_S8_S8_EEEEPS9_S9_NSD_9__find_if7functorIS9_EEEE10hipError_tPvRmT1_T2_T3_mT4_P12ihipStream_tbEUlT_E1_NS1_11comp_targetILNS1_3genE3ELNS1_11target_archE908ELNS1_3gpuE7ELNS1_3repE0EEENS1_30default_config_static_selectorELNS0_4arch9wavefront6targetE0EEEvS14_,"axG",@progbits,_ZN7rocprim17ROCPRIM_400000_NS6detail17trampoline_kernelINS0_14default_configENS1_22reduce_config_selectorIN6thrust23THRUST_200600_302600_NS5tupleIblNS6_9null_typeES8_S8_S8_S8_S8_S8_S8_EEEEZNS1_11reduce_implILb1ES3_NS6_12zip_iteratorINS7_INS6_11hip_rocprim26transform_input_iterator_tIbNSD_35transform_pair_of_input_iterators_tIbNS6_6detail15normal_iteratorINS6_10device_ptrIKxEEEESL_NS6_8equal_toIxEEEENSG_9not_fun_tINSD_8identityEEEEENSD_19counting_iterator_tIlEES8_S8_S8_S8_S8_S8_S8_S8_EEEEPS9_S9_NSD_9__find_if7functorIS9_EEEE10hipError_tPvRmT1_T2_T3_mT4_P12ihipStream_tbEUlT_E1_NS1_11comp_targetILNS1_3genE3ELNS1_11target_archE908ELNS1_3gpuE7ELNS1_3repE0EEENS1_30default_config_static_selectorELNS0_4arch9wavefront6targetE0EEEvS14_,comdat
	.protected	_ZN7rocprim17ROCPRIM_400000_NS6detail17trampoline_kernelINS0_14default_configENS1_22reduce_config_selectorIN6thrust23THRUST_200600_302600_NS5tupleIblNS6_9null_typeES8_S8_S8_S8_S8_S8_S8_EEEEZNS1_11reduce_implILb1ES3_NS6_12zip_iteratorINS7_INS6_11hip_rocprim26transform_input_iterator_tIbNSD_35transform_pair_of_input_iterators_tIbNS6_6detail15normal_iteratorINS6_10device_ptrIKxEEEESL_NS6_8equal_toIxEEEENSG_9not_fun_tINSD_8identityEEEEENSD_19counting_iterator_tIlEES8_S8_S8_S8_S8_S8_S8_S8_EEEEPS9_S9_NSD_9__find_if7functorIS9_EEEE10hipError_tPvRmT1_T2_T3_mT4_P12ihipStream_tbEUlT_E1_NS1_11comp_targetILNS1_3genE3ELNS1_11target_archE908ELNS1_3gpuE7ELNS1_3repE0EEENS1_30default_config_static_selectorELNS0_4arch9wavefront6targetE0EEEvS14_ ; -- Begin function _ZN7rocprim17ROCPRIM_400000_NS6detail17trampoline_kernelINS0_14default_configENS1_22reduce_config_selectorIN6thrust23THRUST_200600_302600_NS5tupleIblNS6_9null_typeES8_S8_S8_S8_S8_S8_S8_EEEEZNS1_11reduce_implILb1ES3_NS6_12zip_iteratorINS7_INS6_11hip_rocprim26transform_input_iterator_tIbNSD_35transform_pair_of_input_iterators_tIbNS6_6detail15normal_iteratorINS6_10device_ptrIKxEEEESL_NS6_8equal_toIxEEEENSG_9not_fun_tINSD_8identityEEEEENSD_19counting_iterator_tIlEES8_S8_S8_S8_S8_S8_S8_S8_EEEEPS9_S9_NSD_9__find_if7functorIS9_EEEE10hipError_tPvRmT1_T2_T3_mT4_P12ihipStream_tbEUlT_E1_NS1_11comp_targetILNS1_3genE3ELNS1_11target_archE908ELNS1_3gpuE7ELNS1_3repE0EEENS1_30default_config_static_selectorELNS0_4arch9wavefront6targetE0EEEvS14_
	.globl	_ZN7rocprim17ROCPRIM_400000_NS6detail17trampoline_kernelINS0_14default_configENS1_22reduce_config_selectorIN6thrust23THRUST_200600_302600_NS5tupleIblNS6_9null_typeES8_S8_S8_S8_S8_S8_S8_EEEEZNS1_11reduce_implILb1ES3_NS6_12zip_iteratorINS7_INS6_11hip_rocprim26transform_input_iterator_tIbNSD_35transform_pair_of_input_iterators_tIbNS6_6detail15normal_iteratorINS6_10device_ptrIKxEEEESL_NS6_8equal_toIxEEEENSG_9not_fun_tINSD_8identityEEEEENSD_19counting_iterator_tIlEES8_S8_S8_S8_S8_S8_S8_S8_EEEEPS9_S9_NSD_9__find_if7functorIS9_EEEE10hipError_tPvRmT1_T2_T3_mT4_P12ihipStream_tbEUlT_E1_NS1_11comp_targetILNS1_3genE3ELNS1_11target_archE908ELNS1_3gpuE7ELNS1_3repE0EEENS1_30default_config_static_selectorELNS0_4arch9wavefront6targetE0EEEvS14_
	.p2align	8
	.type	_ZN7rocprim17ROCPRIM_400000_NS6detail17trampoline_kernelINS0_14default_configENS1_22reduce_config_selectorIN6thrust23THRUST_200600_302600_NS5tupleIblNS6_9null_typeES8_S8_S8_S8_S8_S8_S8_EEEEZNS1_11reduce_implILb1ES3_NS6_12zip_iteratorINS7_INS6_11hip_rocprim26transform_input_iterator_tIbNSD_35transform_pair_of_input_iterators_tIbNS6_6detail15normal_iteratorINS6_10device_ptrIKxEEEESL_NS6_8equal_toIxEEEENSG_9not_fun_tINSD_8identityEEEEENSD_19counting_iterator_tIlEES8_S8_S8_S8_S8_S8_S8_S8_EEEEPS9_S9_NSD_9__find_if7functorIS9_EEEE10hipError_tPvRmT1_T2_T3_mT4_P12ihipStream_tbEUlT_E1_NS1_11comp_targetILNS1_3genE3ELNS1_11target_archE908ELNS1_3gpuE7ELNS1_3repE0EEENS1_30default_config_static_selectorELNS0_4arch9wavefront6targetE0EEEvS14_,@function
_ZN7rocprim17ROCPRIM_400000_NS6detail17trampoline_kernelINS0_14default_configENS1_22reduce_config_selectorIN6thrust23THRUST_200600_302600_NS5tupleIblNS6_9null_typeES8_S8_S8_S8_S8_S8_S8_EEEEZNS1_11reduce_implILb1ES3_NS6_12zip_iteratorINS7_INS6_11hip_rocprim26transform_input_iterator_tIbNSD_35transform_pair_of_input_iterators_tIbNS6_6detail15normal_iteratorINS6_10device_ptrIKxEEEESL_NS6_8equal_toIxEEEENSG_9not_fun_tINSD_8identityEEEEENSD_19counting_iterator_tIlEES8_S8_S8_S8_S8_S8_S8_S8_EEEEPS9_S9_NSD_9__find_if7functorIS9_EEEE10hipError_tPvRmT1_T2_T3_mT4_P12ihipStream_tbEUlT_E1_NS1_11comp_targetILNS1_3genE3ELNS1_11target_archE908ELNS1_3gpuE7ELNS1_3repE0EEENS1_30default_config_static_selectorELNS0_4arch9wavefront6targetE0EEEvS14_: ; @_ZN7rocprim17ROCPRIM_400000_NS6detail17trampoline_kernelINS0_14default_configENS1_22reduce_config_selectorIN6thrust23THRUST_200600_302600_NS5tupleIblNS6_9null_typeES8_S8_S8_S8_S8_S8_S8_EEEEZNS1_11reduce_implILb1ES3_NS6_12zip_iteratorINS7_INS6_11hip_rocprim26transform_input_iterator_tIbNSD_35transform_pair_of_input_iterators_tIbNS6_6detail15normal_iteratorINS6_10device_ptrIKxEEEESL_NS6_8equal_toIxEEEENSG_9not_fun_tINSD_8identityEEEEENSD_19counting_iterator_tIlEES8_S8_S8_S8_S8_S8_S8_S8_EEEEPS9_S9_NSD_9__find_if7functorIS9_EEEE10hipError_tPvRmT1_T2_T3_mT4_P12ihipStream_tbEUlT_E1_NS1_11comp_targetILNS1_3genE3ELNS1_11target_archE908ELNS1_3gpuE7ELNS1_3repE0EEENS1_30default_config_static_selectorELNS0_4arch9wavefront6targetE0EEEvS14_
; %bb.0:
	.section	.rodata,"a",@progbits
	.p2align	6, 0x0
	.amdhsa_kernel _ZN7rocprim17ROCPRIM_400000_NS6detail17trampoline_kernelINS0_14default_configENS1_22reduce_config_selectorIN6thrust23THRUST_200600_302600_NS5tupleIblNS6_9null_typeES8_S8_S8_S8_S8_S8_S8_EEEEZNS1_11reduce_implILb1ES3_NS6_12zip_iteratorINS7_INS6_11hip_rocprim26transform_input_iterator_tIbNSD_35transform_pair_of_input_iterators_tIbNS6_6detail15normal_iteratorINS6_10device_ptrIKxEEEESL_NS6_8equal_toIxEEEENSG_9not_fun_tINSD_8identityEEEEENSD_19counting_iterator_tIlEES8_S8_S8_S8_S8_S8_S8_S8_EEEEPS9_S9_NSD_9__find_if7functorIS9_EEEE10hipError_tPvRmT1_T2_T3_mT4_P12ihipStream_tbEUlT_E1_NS1_11comp_targetILNS1_3genE3ELNS1_11target_archE908ELNS1_3gpuE7ELNS1_3repE0EEENS1_30default_config_static_selectorELNS0_4arch9wavefront6targetE0EEEvS14_
		.amdhsa_group_segment_fixed_size 0
		.amdhsa_private_segment_fixed_size 0
		.amdhsa_kernarg_size 88
		.amdhsa_user_sgpr_count 15
		.amdhsa_user_sgpr_dispatch_ptr 0
		.amdhsa_user_sgpr_queue_ptr 0
		.amdhsa_user_sgpr_kernarg_segment_ptr 1
		.amdhsa_user_sgpr_dispatch_id 0
		.amdhsa_user_sgpr_private_segment_size 0
		.amdhsa_wavefront_size32 1
		.amdhsa_uses_dynamic_stack 0
		.amdhsa_enable_private_segment 0
		.amdhsa_system_sgpr_workgroup_id_x 1
		.amdhsa_system_sgpr_workgroup_id_y 0
		.amdhsa_system_sgpr_workgroup_id_z 0
		.amdhsa_system_sgpr_workgroup_info 0
		.amdhsa_system_vgpr_workitem_id 0
		.amdhsa_next_free_vgpr 1
		.amdhsa_next_free_sgpr 1
		.amdhsa_reserve_vcc 0
		.amdhsa_float_round_mode_32 0
		.amdhsa_float_round_mode_16_64 0
		.amdhsa_float_denorm_mode_32 3
		.amdhsa_float_denorm_mode_16_64 3
		.amdhsa_dx10_clamp 1
		.amdhsa_ieee_mode 1
		.amdhsa_fp16_overflow 0
		.amdhsa_workgroup_processor_mode 1
		.amdhsa_memory_ordered 1
		.amdhsa_forward_progress 0
		.amdhsa_shared_vgpr_count 0
		.amdhsa_exception_fp_ieee_invalid_op 0
		.amdhsa_exception_fp_denorm_src 0
		.amdhsa_exception_fp_ieee_div_zero 0
		.amdhsa_exception_fp_ieee_overflow 0
		.amdhsa_exception_fp_ieee_underflow 0
		.amdhsa_exception_fp_ieee_inexact 0
		.amdhsa_exception_int_div_zero 0
	.end_amdhsa_kernel
	.section	.text._ZN7rocprim17ROCPRIM_400000_NS6detail17trampoline_kernelINS0_14default_configENS1_22reduce_config_selectorIN6thrust23THRUST_200600_302600_NS5tupleIblNS6_9null_typeES8_S8_S8_S8_S8_S8_S8_EEEEZNS1_11reduce_implILb1ES3_NS6_12zip_iteratorINS7_INS6_11hip_rocprim26transform_input_iterator_tIbNSD_35transform_pair_of_input_iterators_tIbNS6_6detail15normal_iteratorINS6_10device_ptrIKxEEEESL_NS6_8equal_toIxEEEENSG_9not_fun_tINSD_8identityEEEEENSD_19counting_iterator_tIlEES8_S8_S8_S8_S8_S8_S8_S8_EEEEPS9_S9_NSD_9__find_if7functorIS9_EEEE10hipError_tPvRmT1_T2_T3_mT4_P12ihipStream_tbEUlT_E1_NS1_11comp_targetILNS1_3genE3ELNS1_11target_archE908ELNS1_3gpuE7ELNS1_3repE0EEENS1_30default_config_static_selectorELNS0_4arch9wavefront6targetE0EEEvS14_,"axG",@progbits,_ZN7rocprim17ROCPRIM_400000_NS6detail17trampoline_kernelINS0_14default_configENS1_22reduce_config_selectorIN6thrust23THRUST_200600_302600_NS5tupleIblNS6_9null_typeES8_S8_S8_S8_S8_S8_S8_EEEEZNS1_11reduce_implILb1ES3_NS6_12zip_iteratorINS7_INS6_11hip_rocprim26transform_input_iterator_tIbNSD_35transform_pair_of_input_iterators_tIbNS6_6detail15normal_iteratorINS6_10device_ptrIKxEEEESL_NS6_8equal_toIxEEEENSG_9not_fun_tINSD_8identityEEEEENSD_19counting_iterator_tIlEES8_S8_S8_S8_S8_S8_S8_S8_EEEEPS9_S9_NSD_9__find_if7functorIS9_EEEE10hipError_tPvRmT1_T2_T3_mT4_P12ihipStream_tbEUlT_E1_NS1_11comp_targetILNS1_3genE3ELNS1_11target_archE908ELNS1_3gpuE7ELNS1_3repE0EEENS1_30default_config_static_selectorELNS0_4arch9wavefront6targetE0EEEvS14_,comdat
.Lfunc_end861:
	.size	_ZN7rocprim17ROCPRIM_400000_NS6detail17trampoline_kernelINS0_14default_configENS1_22reduce_config_selectorIN6thrust23THRUST_200600_302600_NS5tupleIblNS6_9null_typeES8_S8_S8_S8_S8_S8_S8_EEEEZNS1_11reduce_implILb1ES3_NS6_12zip_iteratorINS7_INS6_11hip_rocprim26transform_input_iterator_tIbNSD_35transform_pair_of_input_iterators_tIbNS6_6detail15normal_iteratorINS6_10device_ptrIKxEEEESL_NS6_8equal_toIxEEEENSG_9not_fun_tINSD_8identityEEEEENSD_19counting_iterator_tIlEES8_S8_S8_S8_S8_S8_S8_S8_EEEEPS9_S9_NSD_9__find_if7functorIS9_EEEE10hipError_tPvRmT1_T2_T3_mT4_P12ihipStream_tbEUlT_E1_NS1_11comp_targetILNS1_3genE3ELNS1_11target_archE908ELNS1_3gpuE7ELNS1_3repE0EEENS1_30default_config_static_selectorELNS0_4arch9wavefront6targetE0EEEvS14_, .Lfunc_end861-_ZN7rocprim17ROCPRIM_400000_NS6detail17trampoline_kernelINS0_14default_configENS1_22reduce_config_selectorIN6thrust23THRUST_200600_302600_NS5tupleIblNS6_9null_typeES8_S8_S8_S8_S8_S8_S8_EEEEZNS1_11reduce_implILb1ES3_NS6_12zip_iteratorINS7_INS6_11hip_rocprim26transform_input_iterator_tIbNSD_35transform_pair_of_input_iterators_tIbNS6_6detail15normal_iteratorINS6_10device_ptrIKxEEEESL_NS6_8equal_toIxEEEENSG_9not_fun_tINSD_8identityEEEEENSD_19counting_iterator_tIlEES8_S8_S8_S8_S8_S8_S8_S8_EEEEPS9_S9_NSD_9__find_if7functorIS9_EEEE10hipError_tPvRmT1_T2_T3_mT4_P12ihipStream_tbEUlT_E1_NS1_11comp_targetILNS1_3genE3ELNS1_11target_archE908ELNS1_3gpuE7ELNS1_3repE0EEENS1_30default_config_static_selectorELNS0_4arch9wavefront6targetE0EEEvS14_
                                        ; -- End function
	.section	.AMDGPU.csdata,"",@progbits
; Kernel info:
; codeLenInByte = 0
; NumSgprs: 0
; NumVgprs: 0
; ScratchSize: 0
; MemoryBound: 0
; FloatMode: 240
; IeeeMode: 1
; LDSByteSize: 0 bytes/workgroup (compile time only)
; SGPRBlocks: 0
; VGPRBlocks: 0
; NumSGPRsForWavesPerEU: 1
; NumVGPRsForWavesPerEU: 1
; Occupancy: 16
; WaveLimiterHint : 0
; COMPUTE_PGM_RSRC2:SCRATCH_EN: 0
; COMPUTE_PGM_RSRC2:USER_SGPR: 15
; COMPUTE_PGM_RSRC2:TRAP_HANDLER: 0
; COMPUTE_PGM_RSRC2:TGID_X_EN: 1
; COMPUTE_PGM_RSRC2:TGID_Y_EN: 0
; COMPUTE_PGM_RSRC2:TGID_Z_EN: 0
; COMPUTE_PGM_RSRC2:TIDIG_COMP_CNT: 0
	.section	.text._ZN7rocprim17ROCPRIM_400000_NS6detail17trampoline_kernelINS0_14default_configENS1_22reduce_config_selectorIN6thrust23THRUST_200600_302600_NS5tupleIblNS6_9null_typeES8_S8_S8_S8_S8_S8_S8_EEEEZNS1_11reduce_implILb1ES3_NS6_12zip_iteratorINS7_INS6_11hip_rocprim26transform_input_iterator_tIbNSD_35transform_pair_of_input_iterators_tIbNS6_6detail15normal_iteratorINS6_10device_ptrIKxEEEESL_NS6_8equal_toIxEEEENSG_9not_fun_tINSD_8identityEEEEENSD_19counting_iterator_tIlEES8_S8_S8_S8_S8_S8_S8_S8_EEEEPS9_S9_NSD_9__find_if7functorIS9_EEEE10hipError_tPvRmT1_T2_T3_mT4_P12ihipStream_tbEUlT_E1_NS1_11comp_targetILNS1_3genE2ELNS1_11target_archE906ELNS1_3gpuE6ELNS1_3repE0EEENS1_30default_config_static_selectorELNS0_4arch9wavefront6targetE0EEEvS14_,"axG",@progbits,_ZN7rocprim17ROCPRIM_400000_NS6detail17trampoline_kernelINS0_14default_configENS1_22reduce_config_selectorIN6thrust23THRUST_200600_302600_NS5tupleIblNS6_9null_typeES8_S8_S8_S8_S8_S8_S8_EEEEZNS1_11reduce_implILb1ES3_NS6_12zip_iteratorINS7_INS6_11hip_rocprim26transform_input_iterator_tIbNSD_35transform_pair_of_input_iterators_tIbNS6_6detail15normal_iteratorINS6_10device_ptrIKxEEEESL_NS6_8equal_toIxEEEENSG_9not_fun_tINSD_8identityEEEEENSD_19counting_iterator_tIlEES8_S8_S8_S8_S8_S8_S8_S8_EEEEPS9_S9_NSD_9__find_if7functorIS9_EEEE10hipError_tPvRmT1_T2_T3_mT4_P12ihipStream_tbEUlT_E1_NS1_11comp_targetILNS1_3genE2ELNS1_11target_archE906ELNS1_3gpuE6ELNS1_3repE0EEENS1_30default_config_static_selectorELNS0_4arch9wavefront6targetE0EEEvS14_,comdat
	.protected	_ZN7rocprim17ROCPRIM_400000_NS6detail17trampoline_kernelINS0_14default_configENS1_22reduce_config_selectorIN6thrust23THRUST_200600_302600_NS5tupleIblNS6_9null_typeES8_S8_S8_S8_S8_S8_S8_EEEEZNS1_11reduce_implILb1ES3_NS6_12zip_iteratorINS7_INS6_11hip_rocprim26transform_input_iterator_tIbNSD_35transform_pair_of_input_iterators_tIbNS6_6detail15normal_iteratorINS6_10device_ptrIKxEEEESL_NS6_8equal_toIxEEEENSG_9not_fun_tINSD_8identityEEEEENSD_19counting_iterator_tIlEES8_S8_S8_S8_S8_S8_S8_S8_EEEEPS9_S9_NSD_9__find_if7functorIS9_EEEE10hipError_tPvRmT1_T2_T3_mT4_P12ihipStream_tbEUlT_E1_NS1_11comp_targetILNS1_3genE2ELNS1_11target_archE906ELNS1_3gpuE6ELNS1_3repE0EEENS1_30default_config_static_selectorELNS0_4arch9wavefront6targetE0EEEvS14_ ; -- Begin function _ZN7rocprim17ROCPRIM_400000_NS6detail17trampoline_kernelINS0_14default_configENS1_22reduce_config_selectorIN6thrust23THRUST_200600_302600_NS5tupleIblNS6_9null_typeES8_S8_S8_S8_S8_S8_S8_EEEEZNS1_11reduce_implILb1ES3_NS6_12zip_iteratorINS7_INS6_11hip_rocprim26transform_input_iterator_tIbNSD_35transform_pair_of_input_iterators_tIbNS6_6detail15normal_iteratorINS6_10device_ptrIKxEEEESL_NS6_8equal_toIxEEEENSG_9not_fun_tINSD_8identityEEEEENSD_19counting_iterator_tIlEES8_S8_S8_S8_S8_S8_S8_S8_EEEEPS9_S9_NSD_9__find_if7functorIS9_EEEE10hipError_tPvRmT1_T2_T3_mT4_P12ihipStream_tbEUlT_E1_NS1_11comp_targetILNS1_3genE2ELNS1_11target_archE906ELNS1_3gpuE6ELNS1_3repE0EEENS1_30default_config_static_selectorELNS0_4arch9wavefront6targetE0EEEvS14_
	.globl	_ZN7rocprim17ROCPRIM_400000_NS6detail17trampoline_kernelINS0_14default_configENS1_22reduce_config_selectorIN6thrust23THRUST_200600_302600_NS5tupleIblNS6_9null_typeES8_S8_S8_S8_S8_S8_S8_EEEEZNS1_11reduce_implILb1ES3_NS6_12zip_iteratorINS7_INS6_11hip_rocprim26transform_input_iterator_tIbNSD_35transform_pair_of_input_iterators_tIbNS6_6detail15normal_iteratorINS6_10device_ptrIKxEEEESL_NS6_8equal_toIxEEEENSG_9not_fun_tINSD_8identityEEEEENSD_19counting_iterator_tIlEES8_S8_S8_S8_S8_S8_S8_S8_EEEEPS9_S9_NSD_9__find_if7functorIS9_EEEE10hipError_tPvRmT1_T2_T3_mT4_P12ihipStream_tbEUlT_E1_NS1_11comp_targetILNS1_3genE2ELNS1_11target_archE906ELNS1_3gpuE6ELNS1_3repE0EEENS1_30default_config_static_selectorELNS0_4arch9wavefront6targetE0EEEvS14_
	.p2align	8
	.type	_ZN7rocprim17ROCPRIM_400000_NS6detail17trampoline_kernelINS0_14default_configENS1_22reduce_config_selectorIN6thrust23THRUST_200600_302600_NS5tupleIblNS6_9null_typeES8_S8_S8_S8_S8_S8_S8_EEEEZNS1_11reduce_implILb1ES3_NS6_12zip_iteratorINS7_INS6_11hip_rocprim26transform_input_iterator_tIbNSD_35transform_pair_of_input_iterators_tIbNS6_6detail15normal_iteratorINS6_10device_ptrIKxEEEESL_NS6_8equal_toIxEEEENSG_9not_fun_tINSD_8identityEEEEENSD_19counting_iterator_tIlEES8_S8_S8_S8_S8_S8_S8_S8_EEEEPS9_S9_NSD_9__find_if7functorIS9_EEEE10hipError_tPvRmT1_T2_T3_mT4_P12ihipStream_tbEUlT_E1_NS1_11comp_targetILNS1_3genE2ELNS1_11target_archE906ELNS1_3gpuE6ELNS1_3repE0EEENS1_30default_config_static_selectorELNS0_4arch9wavefront6targetE0EEEvS14_,@function
_ZN7rocprim17ROCPRIM_400000_NS6detail17trampoline_kernelINS0_14default_configENS1_22reduce_config_selectorIN6thrust23THRUST_200600_302600_NS5tupleIblNS6_9null_typeES8_S8_S8_S8_S8_S8_S8_EEEEZNS1_11reduce_implILb1ES3_NS6_12zip_iteratorINS7_INS6_11hip_rocprim26transform_input_iterator_tIbNSD_35transform_pair_of_input_iterators_tIbNS6_6detail15normal_iteratorINS6_10device_ptrIKxEEEESL_NS6_8equal_toIxEEEENSG_9not_fun_tINSD_8identityEEEEENSD_19counting_iterator_tIlEES8_S8_S8_S8_S8_S8_S8_S8_EEEEPS9_S9_NSD_9__find_if7functorIS9_EEEE10hipError_tPvRmT1_T2_T3_mT4_P12ihipStream_tbEUlT_E1_NS1_11comp_targetILNS1_3genE2ELNS1_11target_archE906ELNS1_3gpuE6ELNS1_3repE0EEENS1_30default_config_static_selectorELNS0_4arch9wavefront6targetE0EEEvS14_: ; @_ZN7rocprim17ROCPRIM_400000_NS6detail17trampoline_kernelINS0_14default_configENS1_22reduce_config_selectorIN6thrust23THRUST_200600_302600_NS5tupleIblNS6_9null_typeES8_S8_S8_S8_S8_S8_S8_EEEEZNS1_11reduce_implILb1ES3_NS6_12zip_iteratorINS7_INS6_11hip_rocprim26transform_input_iterator_tIbNSD_35transform_pair_of_input_iterators_tIbNS6_6detail15normal_iteratorINS6_10device_ptrIKxEEEESL_NS6_8equal_toIxEEEENSG_9not_fun_tINSD_8identityEEEEENSD_19counting_iterator_tIlEES8_S8_S8_S8_S8_S8_S8_S8_EEEEPS9_S9_NSD_9__find_if7functorIS9_EEEE10hipError_tPvRmT1_T2_T3_mT4_P12ihipStream_tbEUlT_E1_NS1_11comp_targetILNS1_3genE2ELNS1_11target_archE906ELNS1_3gpuE6ELNS1_3repE0EEENS1_30default_config_static_selectorELNS0_4arch9wavefront6targetE0EEEvS14_
; %bb.0:
	.section	.rodata,"a",@progbits
	.p2align	6, 0x0
	.amdhsa_kernel _ZN7rocprim17ROCPRIM_400000_NS6detail17trampoline_kernelINS0_14default_configENS1_22reduce_config_selectorIN6thrust23THRUST_200600_302600_NS5tupleIblNS6_9null_typeES8_S8_S8_S8_S8_S8_S8_EEEEZNS1_11reduce_implILb1ES3_NS6_12zip_iteratorINS7_INS6_11hip_rocprim26transform_input_iterator_tIbNSD_35transform_pair_of_input_iterators_tIbNS6_6detail15normal_iteratorINS6_10device_ptrIKxEEEESL_NS6_8equal_toIxEEEENSG_9not_fun_tINSD_8identityEEEEENSD_19counting_iterator_tIlEES8_S8_S8_S8_S8_S8_S8_S8_EEEEPS9_S9_NSD_9__find_if7functorIS9_EEEE10hipError_tPvRmT1_T2_T3_mT4_P12ihipStream_tbEUlT_E1_NS1_11comp_targetILNS1_3genE2ELNS1_11target_archE906ELNS1_3gpuE6ELNS1_3repE0EEENS1_30default_config_static_selectorELNS0_4arch9wavefront6targetE0EEEvS14_
		.amdhsa_group_segment_fixed_size 0
		.amdhsa_private_segment_fixed_size 0
		.amdhsa_kernarg_size 88
		.amdhsa_user_sgpr_count 15
		.amdhsa_user_sgpr_dispatch_ptr 0
		.amdhsa_user_sgpr_queue_ptr 0
		.amdhsa_user_sgpr_kernarg_segment_ptr 1
		.amdhsa_user_sgpr_dispatch_id 0
		.amdhsa_user_sgpr_private_segment_size 0
		.amdhsa_wavefront_size32 1
		.amdhsa_uses_dynamic_stack 0
		.amdhsa_enable_private_segment 0
		.amdhsa_system_sgpr_workgroup_id_x 1
		.amdhsa_system_sgpr_workgroup_id_y 0
		.amdhsa_system_sgpr_workgroup_id_z 0
		.amdhsa_system_sgpr_workgroup_info 0
		.amdhsa_system_vgpr_workitem_id 0
		.amdhsa_next_free_vgpr 1
		.amdhsa_next_free_sgpr 1
		.amdhsa_reserve_vcc 0
		.amdhsa_float_round_mode_32 0
		.amdhsa_float_round_mode_16_64 0
		.amdhsa_float_denorm_mode_32 3
		.amdhsa_float_denorm_mode_16_64 3
		.amdhsa_dx10_clamp 1
		.amdhsa_ieee_mode 1
		.amdhsa_fp16_overflow 0
		.amdhsa_workgroup_processor_mode 1
		.amdhsa_memory_ordered 1
		.amdhsa_forward_progress 0
		.amdhsa_shared_vgpr_count 0
		.amdhsa_exception_fp_ieee_invalid_op 0
		.amdhsa_exception_fp_denorm_src 0
		.amdhsa_exception_fp_ieee_div_zero 0
		.amdhsa_exception_fp_ieee_overflow 0
		.amdhsa_exception_fp_ieee_underflow 0
		.amdhsa_exception_fp_ieee_inexact 0
		.amdhsa_exception_int_div_zero 0
	.end_amdhsa_kernel
	.section	.text._ZN7rocprim17ROCPRIM_400000_NS6detail17trampoline_kernelINS0_14default_configENS1_22reduce_config_selectorIN6thrust23THRUST_200600_302600_NS5tupleIblNS6_9null_typeES8_S8_S8_S8_S8_S8_S8_EEEEZNS1_11reduce_implILb1ES3_NS6_12zip_iteratorINS7_INS6_11hip_rocprim26transform_input_iterator_tIbNSD_35transform_pair_of_input_iterators_tIbNS6_6detail15normal_iteratorINS6_10device_ptrIKxEEEESL_NS6_8equal_toIxEEEENSG_9not_fun_tINSD_8identityEEEEENSD_19counting_iterator_tIlEES8_S8_S8_S8_S8_S8_S8_S8_EEEEPS9_S9_NSD_9__find_if7functorIS9_EEEE10hipError_tPvRmT1_T2_T3_mT4_P12ihipStream_tbEUlT_E1_NS1_11comp_targetILNS1_3genE2ELNS1_11target_archE906ELNS1_3gpuE6ELNS1_3repE0EEENS1_30default_config_static_selectorELNS0_4arch9wavefront6targetE0EEEvS14_,"axG",@progbits,_ZN7rocprim17ROCPRIM_400000_NS6detail17trampoline_kernelINS0_14default_configENS1_22reduce_config_selectorIN6thrust23THRUST_200600_302600_NS5tupleIblNS6_9null_typeES8_S8_S8_S8_S8_S8_S8_EEEEZNS1_11reduce_implILb1ES3_NS6_12zip_iteratorINS7_INS6_11hip_rocprim26transform_input_iterator_tIbNSD_35transform_pair_of_input_iterators_tIbNS6_6detail15normal_iteratorINS6_10device_ptrIKxEEEESL_NS6_8equal_toIxEEEENSG_9not_fun_tINSD_8identityEEEEENSD_19counting_iterator_tIlEES8_S8_S8_S8_S8_S8_S8_S8_EEEEPS9_S9_NSD_9__find_if7functorIS9_EEEE10hipError_tPvRmT1_T2_T3_mT4_P12ihipStream_tbEUlT_E1_NS1_11comp_targetILNS1_3genE2ELNS1_11target_archE906ELNS1_3gpuE6ELNS1_3repE0EEENS1_30default_config_static_selectorELNS0_4arch9wavefront6targetE0EEEvS14_,comdat
.Lfunc_end862:
	.size	_ZN7rocprim17ROCPRIM_400000_NS6detail17trampoline_kernelINS0_14default_configENS1_22reduce_config_selectorIN6thrust23THRUST_200600_302600_NS5tupleIblNS6_9null_typeES8_S8_S8_S8_S8_S8_S8_EEEEZNS1_11reduce_implILb1ES3_NS6_12zip_iteratorINS7_INS6_11hip_rocprim26transform_input_iterator_tIbNSD_35transform_pair_of_input_iterators_tIbNS6_6detail15normal_iteratorINS6_10device_ptrIKxEEEESL_NS6_8equal_toIxEEEENSG_9not_fun_tINSD_8identityEEEEENSD_19counting_iterator_tIlEES8_S8_S8_S8_S8_S8_S8_S8_EEEEPS9_S9_NSD_9__find_if7functorIS9_EEEE10hipError_tPvRmT1_T2_T3_mT4_P12ihipStream_tbEUlT_E1_NS1_11comp_targetILNS1_3genE2ELNS1_11target_archE906ELNS1_3gpuE6ELNS1_3repE0EEENS1_30default_config_static_selectorELNS0_4arch9wavefront6targetE0EEEvS14_, .Lfunc_end862-_ZN7rocprim17ROCPRIM_400000_NS6detail17trampoline_kernelINS0_14default_configENS1_22reduce_config_selectorIN6thrust23THRUST_200600_302600_NS5tupleIblNS6_9null_typeES8_S8_S8_S8_S8_S8_S8_EEEEZNS1_11reduce_implILb1ES3_NS6_12zip_iteratorINS7_INS6_11hip_rocprim26transform_input_iterator_tIbNSD_35transform_pair_of_input_iterators_tIbNS6_6detail15normal_iteratorINS6_10device_ptrIKxEEEESL_NS6_8equal_toIxEEEENSG_9not_fun_tINSD_8identityEEEEENSD_19counting_iterator_tIlEES8_S8_S8_S8_S8_S8_S8_S8_EEEEPS9_S9_NSD_9__find_if7functorIS9_EEEE10hipError_tPvRmT1_T2_T3_mT4_P12ihipStream_tbEUlT_E1_NS1_11comp_targetILNS1_3genE2ELNS1_11target_archE906ELNS1_3gpuE6ELNS1_3repE0EEENS1_30default_config_static_selectorELNS0_4arch9wavefront6targetE0EEEvS14_
                                        ; -- End function
	.section	.AMDGPU.csdata,"",@progbits
; Kernel info:
; codeLenInByte = 0
; NumSgprs: 0
; NumVgprs: 0
; ScratchSize: 0
; MemoryBound: 0
; FloatMode: 240
; IeeeMode: 1
; LDSByteSize: 0 bytes/workgroup (compile time only)
; SGPRBlocks: 0
; VGPRBlocks: 0
; NumSGPRsForWavesPerEU: 1
; NumVGPRsForWavesPerEU: 1
; Occupancy: 16
; WaveLimiterHint : 0
; COMPUTE_PGM_RSRC2:SCRATCH_EN: 0
; COMPUTE_PGM_RSRC2:USER_SGPR: 15
; COMPUTE_PGM_RSRC2:TRAP_HANDLER: 0
; COMPUTE_PGM_RSRC2:TGID_X_EN: 1
; COMPUTE_PGM_RSRC2:TGID_Y_EN: 0
; COMPUTE_PGM_RSRC2:TGID_Z_EN: 0
; COMPUTE_PGM_RSRC2:TIDIG_COMP_CNT: 0
	.section	.text._ZN7rocprim17ROCPRIM_400000_NS6detail17trampoline_kernelINS0_14default_configENS1_22reduce_config_selectorIN6thrust23THRUST_200600_302600_NS5tupleIblNS6_9null_typeES8_S8_S8_S8_S8_S8_S8_EEEEZNS1_11reduce_implILb1ES3_NS6_12zip_iteratorINS7_INS6_11hip_rocprim26transform_input_iterator_tIbNSD_35transform_pair_of_input_iterators_tIbNS6_6detail15normal_iteratorINS6_10device_ptrIKxEEEESL_NS6_8equal_toIxEEEENSG_9not_fun_tINSD_8identityEEEEENSD_19counting_iterator_tIlEES8_S8_S8_S8_S8_S8_S8_S8_EEEEPS9_S9_NSD_9__find_if7functorIS9_EEEE10hipError_tPvRmT1_T2_T3_mT4_P12ihipStream_tbEUlT_E1_NS1_11comp_targetILNS1_3genE10ELNS1_11target_archE1201ELNS1_3gpuE5ELNS1_3repE0EEENS1_30default_config_static_selectorELNS0_4arch9wavefront6targetE0EEEvS14_,"axG",@progbits,_ZN7rocprim17ROCPRIM_400000_NS6detail17trampoline_kernelINS0_14default_configENS1_22reduce_config_selectorIN6thrust23THRUST_200600_302600_NS5tupleIblNS6_9null_typeES8_S8_S8_S8_S8_S8_S8_EEEEZNS1_11reduce_implILb1ES3_NS6_12zip_iteratorINS7_INS6_11hip_rocprim26transform_input_iterator_tIbNSD_35transform_pair_of_input_iterators_tIbNS6_6detail15normal_iteratorINS6_10device_ptrIKxEEEESL_NS6_8equal_toIxEEEENSG_9not_fun_tINSD_8identityEEEEENSD_19counting_iterator_tIlEES8_S8_S8_S8_S8_S8_S8_S8_EEEEPS9_S9_NSD_9__find_if7functorIS9_EEEE10hipError_tPvRmT1_T2_T3_mT4_P12ihipStream_tbEUlT_E1_NS1_11comp_targetILNS1_3genE10ELNS1_11target_archE1201ELNS1_3gpuE5ELNS1_3repE0EEENS1_30default_config_static_selectorELNS0_4arch9wavefront6targetE0EEEvS14_,comdat
	.protected	_ZN7rocprim17ROCPRIM_400000_NS6detail17trampoline_kernelINS0_14default_configENS1_22reduce_config_selectorIN6thrust23THRUST_200600_302600_NS5tupleIblNS6_9null_typeES8_S8_S8_S8_S8_S8_S8_EEEEZNS1_11reduce_implILb1ES3_NS6_12zip_iteratorINS7_INS6_11hip_rocprim26transform_input_iterator_tIbNSD_35transform_pair_of_input_iterators_tIbNS6_6detail15normal_iteratorINS6_10device_ptrIKxEEEESL_NS6_8equal_toIxEEEENSG_9not_fun_tINSD_8identityEEEEENSD_19counting_iterator_tIlEES8_S8_S8_S8_S8_S8_S8_S8_EEEEPS9_S9_NSD_9__find_if7functorIS9_EEEE10hipError_tPvRmT1_T2_T3_mT4_P12ihipStream_tbEUlT_E1_NS1_11comp_targetILNS1_3genE10ELNS1_11target_archE1201ELNS1_3gpuE5ELNS1_3repE0EEENS1_30default_config_static_selectorELNS0_4arch9wavefront6targetE0EEEvS14_ ; -- Begin function _ZN7rocprim17ROCPRIM_400000_NS6detail17trampoline_kernelINS0_14default_configENS1_22reduce_config_selectorIN6thrust23THRUST_200600_302600_NS5tupleIblNS6_9null_typeES8_S8_S8_S8_S8_S8_S8_EEEEZNS1_11reduce_implILb1ES3_NS6_12zip_iteratorINS7_INS6_11hip_rocprim26transform_input_iterator_tIbNSD_35transform_pair_of_input_iterators_tIbNS6_6detail15normal_iteratorINS6_10device_ptrIKxEEEESL_NS6_8equal_toIxEEEENSG_9not_fun_tINSD_8identityEEEEENSD_19counting_iterator_tIlEES8_S8_S8_S8_S8_S8_S8_S8_EEEEPS9_S9_NSD_9__find_if7functorIS9_EEEE10hipError_tPvRmT1_T2_T3_mT4_P12ihipStream_tbEUlT_E1_NS1_11comp_targetILNS1_3genE10ELNS1_11target_archE1201ELNS1_3gpuE5ELNS1_3repE0EEENS1_30default_config_static_selectorELNS0_4arch9wavefront6targetE0EEEvS14_
	.globl	_ZN7rocprim17ROCPRIM_400000_NS6detail17trampoline_kernelINS0_14default_configENS1_22reduce_config_selectorIN6thrust23THRUST_200600_302600_NS5tupleIblNS6_9null_typeES8_S8_S8_S8_S8_S8_S8_EEEEZNS1_11reduce_implILb1ES3_NS6_12zip_iteratorINS7_INS6_11hip_rocprim26transform_input_iterator_tIbNSD_35transform_pair_of_input_iterators_tIbNS6_6detail15normal_iteratorINS6_10device_ptrIKxEEEESL_NS6_8equal_toIxEEEENSG_9not_fun_tINSD_8identityEEEEENSD_19counting_iterator_tIlEES8_S8_S8_S8_S8_S8_S8_S8_EEEEPS9_S9_NSD_9__find_if7functorIS9_EEEE10hipError_tPvRmT1_T2_T3_mT4_P12ihipStream_tbEUlT_E1_NS1_11comp_targetILNS1_3genE10ELNS1_11target_archE1201ELNS1_3gpuE5ELNS1_3repE0EEENS1_30default_config_static_selectorELNS0_4arch9wavefront6targetE0EEEvS14_
	.p2align	8
	.type	_ZN7rocprim17ROCPRIM_400000_NS6detail17trampoline_kernelINS0_14default_configENS1_22reduce_config_selectorIN6thrust23THRUST_200600_302600_NS5tupleIblNS6_9null_typeES8_S8_S8_S8_S8_S8_S8_EEEEZNS1_11reduce_implILb1ES3_NS6_12zip_iteratorINS7_INS6_11hip_rocprim26transform_input_iterator_tIbNSD_35transform_pair_of_input_iterators_tIbNS6_6detail15normal_iteratorINS6_10device_ptrIKxEEEESL_NS6_8equal_toIxEEEENSG_9not_fun_tINSD_8identityEEEEENSD_19counting_iterator_tIlEES8_S8_S8_S8_S8_S8_S8_S8_EEEEPS9_S9_NSD_9__find_if7functorIS9_EEEE10hipError_tPvRmT1_T2_T3_mT4_P12ihipStream_tbEUlT_E1_NS1_11comp_targetILNS1_3genE10ELNS1_11target_archE1201ELNS1_3gpuE5ELNS1_3repE0EEENS1_30default_config_static_selectorELNS0_4arch9wavefront6targetE0EEEvS14_,@function
_ZN7rocprim17ROCPRIM_400000_NS6detail17trampoline_kernelINS0_14default_configENS1_22reduce_config_selectorIN6thrust23THRUST_200600_302600_NS5tupleIblNS6_9null_typeES8_S8_S8_S8_S8_S8_S8_EEEEZNS1_11reduce_implILb1ES3_NS6_12zip_iteratorINS7_INS6_11hip_rocprim26transform_input_iterator_tIbNSD_35transform_pair_of_input_iterators_tIbNS6_6detail15normal_iteratorINS6_10device_ptrIKxEEEESL_NS6_8equal_toIxEEEENSG_9not_fun_tINSD_8identityEEEEENSD_19counting_iterator_tIlEES8_S8_S8_S8_S8_S8_S8_S8_EEEEPS9_S9_NSD_9__find_if7functorIS9_EEEE10hipError_tPvRmT1_T2_T3_mT4_P12ihipStream_tbEUlT_E1_NS1_11comp_targetILNS1_3genE10ELNS1_11target_archE1201ELNS1_3gpuE5ELNS1_3repE0EEENS1_30default_config_static_selectorELNS0_4arch9wavefront6targetE0EEEvS14_: ; @_ZN7rocprim17ROCPRIM_400000_NS6detail17trampoline_kernelINS0_14default_configENS1_22reduce_config_selectorIN6thrust23THRUST_200600_302600_NS5tupleIblNS6_9null_typeES8_S8_S8_S8_S8_S8_S8_EEEEZNS1_11reduce_implILb1ES3_NS6_12zip_iteratorINS7_INS6_11hip_rocprim26transform_input_iterator_tIbNSD_35transform_pair_of_input_iterators_tIbNS6_6detail15normal_iteratorINS6_10device_ptrIKxEEEESL_NS6_8equal_toIxEEEENSG_9not_fun_tINSD_8identityEEEEENSD_19counting_iterator_tIlEES8_S8_S8_S8_S8_S8_S8_S8_EEEEPS9_S9_NSD_9__find_if7functorIS9_EEEE10hipError_tPvRmT1_T2_T3_mT4_P12ihipStream_tbEUlT_E1_NS1_11comp_targetILNS1_3genE10ELNS1_11target_archE1201ELNS1_3gpuE5ELNS1_3repE0EEENS1_30default_config_static_selectorELNS0_4arch9wavefront6targetE0EEEvS14_
; %bb.0:
	.section	.rodata,"a",@progbits
	.p2align	6, 0x0
	.amdhsa_kernel _ZN7rocprim17ROCPRIM_400000_NS6detail17trampoline_kernelINS0_14default_configENS1_22reduce_config_selectorIN6thrust23THRUST_200600_302600_NS5tupleIblNS6_9null_typeES8_S8_S8_S8_S8_S8_S8_EEEEZNS1_11reduce_implILb1ES3_NS6_12zip_iteratorINS7_INS6_11hip_rocprim26transform_input_iterator_tIbNSD_35transform_pair_of_input_iterators_tIbNS6_6detail15normal_iteratorINS6_10device_ptrIKxEEEESL_NS6_8equal_toIxEEEENSG_9not_fun_tINSD_8identityEEEEENSD_19counting_iterator_tIlEES8_S8_S8_S8_S8_S8_S8_S8_EEEEPS9_S9_NSD_9__find_if7functorIS9_EEEE10hipError_tPvRmT1_T2_T3_mT4_P12ihipStream_tbEUlT_E1_NS1_11comp_targetILNS1_3genE10ELNS1_11target_archE1201ELNS1_3gpuE5ELNS1_3repE0EEENS1_30default_config_static_selectorELNS0_4arch9wavefront6targetE0EEEvS14_
		.amdhsa_group_segment_fixed_size 0
		.amdhsa_private_segment_fixed_size 0
		.amdhsa_kernarg_size 88
		.amdhsa_user_sgpr_count 15
		.amdhsa_user_sgpr_dispatch_ptr 0
		.amdhsa_user_sgpr_queue_ptr 0
		.amdhsa_user_sgpr_kernarg_segment_ptr 1
		.amdhsa_user_sgpr_dispatch_id 0
		.amdhsa_user_sgpr_private_segment_size 0
		.amdhsa_wavefront_size32 1
		.amdhsa_uses_dynamic_stack 0
		.amdhsa_enable_private_segment 0
		.amdhsa_system_sgpr_workgroup_id_x 1
		.amdhsa_system_sgpr_workgroup_id_y 0
		.amdhsa_system_sgpr_workgroup_id_z 0
		.amdhsa_system_sgpr_workgroup_info 0
		.amdhsa_system_vgpr_workitem_id 0
		.amdhsa_next_free_vgpr 1
		.amdhsa_next_free_sgpr 1
		.amdhsa_reserve_vcc 0
		.amdhsa_float_round_mode_32 0
		.amdhsa_float_round_mode_16_64 0
		.amdhsa_float_denorm_mode_32 3
		.amdhsa_float_denorm_mode_16_64 3
		.amdhsa_dx10_clamp 1
		.amdhsa_ieee_mode 1
		.amdhsa_fp16_overflow 0
		.amdhsa_workgroup_processor_mode 1
		.amdhsa_memory_ordered 1
		.amdhsa_forward_progress 0
		.amdhsa_shared_vgpr_count 0
		.amdhsa_exception_fp_ieee_invalid_op 0
		.amdhsa_exception_fp_denorm_src 0
		.amdhsa_exception_fp_ieee_div_zero 0
		.amdhsa_exception_fp_ieee_overflow 0
		.amdhsa_exception_fp_ieee_underflow 0
		.amdhsa_exception_fp_ieee_inexact 0
		.amdhsa_exception_int_div_zero 0
	.end_amdhsa_kernel
	.section	.text._ZN7rocprim17ROCPRIM_400000_NS6detail17trampoline_kernelINS0_14default_configENS1_22reduce_config_selectorIN6thrust23THRUST_200600_302600_NS5tupleIblNS6_9null_typeES8_S8_S8_S8_S8_S8_S8_EEEEZNS1_11reduce_implILb1ES3_NS6_12zip_iteratorINS7_INS6_11hip_rocprim26transform_input_iterator_tIbNSD_35transform_pair_of_input_iterators_tIbNS6_6detail15normal_iteratorINS6_10device_ptrIKxEEEESL_NS6_8equal_toIxEEEENSG_9not_fun_tINSD_8identityEEEEENSD_19counting_iterator_tIlEES8_S8_S8_S8_S8_S8_S8_S8_EEEEPS9_S9_NSD_9__find_if7functorIS9_EEEE10hipError_tPvRmT1_T2_T3_mT4_P12ihipStream_tbEUlT_E1_NS1_11comp_targetILNS1_3genE10ELNS1_11target_archE1201ELNS1_3gpuE5ELNS1_3repE0EEENS1_30default_config_static_selectorELNS0_4arch9wavefront6targetE0EEEvS14_,"axG",@progbits,_ZN7rocprim17ROCPRIM_400000_NS6detail17trampoline_kernelINS0_14default_configENS1_22reduce_config_selectorIN6thrust23THRUST_200600_302600_NS5tupleIblNS6_9null_typeES8_S8_S8_S8_S8_S8_S8_EEEEZNS1_11reduce_implILb1ES3_NS6_12zip_iteratorINS7_INS6_11hip_rocprim26transform_input_iterator_tIbNSD_35transform_pair_of_input_iterators_tIbNS6_6detail15normal_iteratorINS6_10device_ptrIKxEEEESL_NS6_8equal_toIxEEEENSG_9not_fun_tINSD_8identityEEEEENSD_19counting_iterator_tIlEES8_S8_S8_S8_S8_S8_S8_S8_EEEEPS9_S9_NSD_9__find_if7functorIS9_EEEE10hipError_tPvRmT1_T2_T3_mT4_P12ihipStream_tbEUlT_E1_NS1_11comp_targetILNS1_3genE10ELNS1_11target_archE1201ELNS1_3gpuE5ELNS1_3repE0EEENS1_30default_config_static_selectorELNS0_4arch9wavefront6targetE0EEEvS14_,comdat
.Lfunc_end863:
	.size	_ZN7rocprim17ROCPRIM_400000_NS6detail17trampoline_kernelINS0_14default_configENS1_22reduce_config_selectorIN6thrust23THRUST_200600_302600_NS5tupleIblNS6_9null_typeES8_S8_S8_S8_S8_S8_S8_EEEEZNS1_11reduce_implILb1ES3_NS6_12zip_iteratorINS7_INS6_11hip_rocprim26transform_input_iterator_tIbNSD_35transform_pair_of_input_iterators_tIbNS6_6detail15normal_iteratorINS6_10device_ptrIKxEEEESL_NS6_8equal_toIxEEEENSG_9not_fun_tINSD_8identityEEEEENSD_19counting_iterator_tIlEES8_S8_S8_S8_S8_S8_S8_S8_EEEEPS9_S9_NSD_9__find_if7functorIS9_EEEE10hipError_tPvRmT1_T2_T3_mT4_P12ihipStream_tbEUlT_E1_NS1_11comp_targetILNS1_3genE10ELNS1_11target_archE1201ELNS1_3gpuE5ELNS1_3repE0EEENS1_30default_config_static_selectorELNS0_4arch9wavefront6targetE0EEEvS14_, .Lfunc_end863-_ZN7rocprim17ROCPRIM_400000_NS6detail17trampoline_kernelINS0_14default_configENS1_22reduce_config_selectorIN6thrust23THRUST_200600_302600_NS5tupleIblNS6_9null_typeES8_S8_S8_S8_S8_S8_S8_EEEEZNS1_11reduce_implILb1ES3_NS6_12zip_iteratorINS7_INS6_11hip_rocprim26transform_input_iterator_tIbNSD_35transform_pair_of_input_iterators_tIbNS6_6detail15normal_iteratorINS6_10device_ptrIKxEEEESL_NS6_8equal_toIxEEEENSG_9not_fun_tINSD_8identityEEEEENSD_19counting_iterator_tIlEES8_S8_S8_S8_S8_S8_S8_S8_EEEEPS9_S9_NSD_9__find_if7functorIS9_EEEE10hipError_tPvRmT1_T2_T3_mT4_P12ihipStream_tbEUlT_E1_NS1_11comp_targetILNS1_3genE10ELNS1_11target_archE1201ELNS1_3gpuE5ELNS1_3repE0EEENS1_30default_config_static_selectorELNS0_4arch9wavefront6targetE0EEEvS14_
                                        ; -- End function
	.section	.AMDGPU.csdata,"",@progbits
; Kernel info:
; codeLenInByte = 0
; NumSgprs: 0
; NumVgprs: 0
; ScratchSize: 0
; MemoryBound: 0
; FloatMode: 240
; IeeeMode: 1
; LDSByteSize: 0 bytes/workgroup (compile time only)
; SGPRBlocks: 0
; VGPRBlocks: 0
; NumSGPRsForWavesPerEU: 1
; NumVGPRsForWavesPerEU: 1
; Occupancy: 16
; WaveLimiterHint : 0
; COMPUTE_PGM_RSRC2:SCRATCH_EN: 0
; COMPUTE_PGM_RSRC2:USER_SGPR: 15
; COMPUTE_PGM_RSRC2:TRAP_HANDLER: 0
; COMPUTE_PGM_RSRC2:TGID_X_EN: 1
; COMPUTE_PGM_RSRC2:TGID_Y_EN: 0
; COMPUTE_PGM_RSRC2:TGID_Z_EN: 0
; COMPUTE_PGM_RSRC2:TIDIG_COMP_CNT: 0
	.section	.text._ZN7rocprim17ROCPRIM_400000_NS6detail17trampoline_kernelINS0_14default_configENS1_22reduce_config_selectorIN6thrust23THRUST_200600_302600_NS5tupleIblNS6_9null_typeES8_S8_S8_S8_S8_S8_S8_EEEEZNS1_11reduce_implILb1ES3_NS6_12zip_iteratorINS7_INS6_11hip_rocprim26transform_input_iterator_tIbNSD_35transform_pair_of_input_iterators_tIbNS6_6detail15normal_iteratorINS6_10device_ptrIKxEEEESL_NS6_8equal_toIxEEEENSG_9not_fun_tINSD_8identityEEEEENSD_19counting_iterator_tIlEES8_S8_S8_S8_S8_S8_S8_S8_EEEEPS9_S9_NSD_9__find_if7functorIS9_EEEE10hipError_tPvRmT1_T2_T3_mT4_P12ihipStream_tbEUlT_E1_NS1_11comp_targetILNS1_3genE10ELNS1_11target_archE1200ELNS1_3gpuE4ELNS1_3repE0EEENS1_30default_config_static_selectorELNS0_4arch9wavefront6targetE0EEEvS14_,"axG",@progbits,_ZN7rocprim17ROCPRIM_400000_NS6detail17trampoline_kernelINS0_14default_configENS1_22reduce_config_selectorIN6thrust23THRUST_200600_302600_NS5tupleIblNS6_9null_typeES8_S8_S8_S8_S8_S8_S8_EEEEZNS1_11reduce_implILb1ES3_NS6_12zip_iteratorINS7_INS6_11hip_rocprim26transform_input_iterator_tIbNSD_35transform_pair_of_input_iterators_tIbNS6_6detail15normal_iteratorINS6_10device_ptrIKxEEEESL_NS6_8equal_toIxEEEENSG_9not_fun_tINSD_8identityEEEEENSD_19counting_iterator_tIlEES8_S8_S8_S8_S8_S8_S8_S8_EEEEPS9_S9_NSD_9__find_if7functorIS9_EEEE10hipError_tPvRmT1_T2_T3_mT4_P12ihipStream_tbEUlT_E1_NS1_11comp_targetILNS1_3genE10ELNS1_11target_archE1200ELNS1_3gpuE4ELNS1_3repE0EEENS1_30default_config_static_selectorELNS0_4arch9wavefront6targetE0EEEvS14_,comdat
	.protected	_ZN7rocprim17ROCPRIM_400000_NS6detail17trampoline_kernelINS0_14default_configENS1_22reduce_config_selectorIN6thrust23THRUST_200600_302600_NS5tupleIblNS6_9null_typeES8_S8_S8_S8_S8_S8_S8_EEEEZNS1_11reduce_implILb1ES3_NS6_12zip_iteratorINS7_INS6_11hip_rocprim26transform_input_iterator_tIbNSD_35transform_pair_of_input_iterators_tIbNS6_6detail15normal_iteratorINS6_10device_ptrIKxEEEESL_NS6_8equal_toIxEEEENSG_9not_fun_tINSD_8identityEEEEENSD_19counting_iterator_tIlEES8_S8_S8_S8_S8_S8_S8_S8_EEEEPS9_S9_NSD_9__find_if7functorIS9_EEEE10hipError_tPvRmT1_T2_T3_mT4_P12ihipStream_tbEUlT_E1_NS1_11comp_targetILNS1_3genE10ELNS1_11target_archE1200ELNS1_3gpuE4ELNS1_3repE0EEENS1_30default_config_static_selectorELNS0_4arch9wavefront6targetE0EEEvS14_ ; -- Begin function _ZN7rocprim17ROCPRIM_400000_NS6detail17trampoline_kernelINS0_14default_configENS1_22reduce_config_selectorIN6thrust23THRUST_200600_302600_NS5tupleIblNS6_9null_typeES8_S8_S8_S8_S8_S8_S8_EEEEZNS1_11reduce_implILb1ES3_NS6_12zip_iteratorINS7_INS6_11hip_rocprim26transform_input_iterator_tIbNSD_35transform_pair_of_input_iterators_tIbNS6_6detail15normal_iteratorINS6_10device_ptrIKxEEEESL_NS6_8equal_toIxEEEENSG_9not_fun_tINSD_8identityEEEEENSD_19counting_iterator_tIlEES8_S8_S8_S8_S8_S8_S8_S8_EEEEPS9_S9_NSD_9__find_if7functorIS9_EEEE10hipError_tPvRmT1_T2_T3_mT4_P12ihipStream_tbEUlT_E1_NS1_11comp_targetILNS1_3genE10ELNS1_11target_archE1200ELNS1_3gpuE4ELNS1_3repE0EEENS1_30default_config_static_selectorELNS0_4arch9wavefront6targetE0EEEvS14_
	.globl	_ZN7rocprim17ROCPRIM_400000_NS6detail17trampoline_kernelINS0_14default_configENS1_22reduce_config_selectorIN6thrust23THRUST_200600_302600_NS5tupleIblNS6_9null_typeES8_S8_S8_S8_S8_S8_S8_EEEEZNS1_11reduce_implILb1ES3_NS6_12zip_iteratorINS7_INS6_11hip_rocprim26transform_input_iterator_tIbNSD_35transform_pair_of_input_iterators_tIbNS6_6detail15normal_iteratorINS6_10device_ptrIKxEEEESL_NS6_8equal_toIxEEEENSG_9not_fun_tINSD_8identityEEEEENSD_19counting_iterator_tIlEES8_S8_S8_S8_S8_S8_S8_S8_EEEEPS9_S9_NSD_9__find_if7functorIS9_EEEE10hipError_tPvRmT1_T2_T3_mT4_P12ihipStream_tbEUlT_E1_NS1_11comp_targetILNS1_3genE10ELNS1_11target_archE1200ELNS1_3gpuE4ELNS1_3repE0EEENS1_30default_config_static_selectorELNS0_4arch9wavefront6targetE0EEEvS14_
	.p2align	8
	.type	_ZN7rocprim17ROCPRIM_400000_NS6detail17trampoline_kernelINS0_14default_configENS1_22reduce_config_selectorIN6thrust23THRUST_200600_302600_NS5tupleIblNS6_9null_typeES8_S8_S8_S8_S8_S8_S8_EEEEZNS1_11reduce_implILb1ES3_NS6_12zip_iteratorINS7_INS6_11hip_rocprim26transform_input_iterator_tIbNSD_35transform_pair_of_input_iterators_tIbNS6_6detail15normal_iteratorINS6_10device_ptrIKxEEEESL_NS6_8equal_toIxEEEENSG_9not_fun_tINSD_8identityEEEEENSD_19counting_iterator_tIlEES8_S8_S8_S8_S8_S8_S8_S8_EEEEPS9_S9_NSD_9__find_if7functorIS9_EEEE10hipError_tPvRmT1_T2_T3_mT4_P12ihipStream_tbEUlT_E1_NS1_11comp_targetILNS1_3genE10ELNS1_11target_archE1200ELNS1_3gpuE4ELNS1_3repE0EEENS1_30default_config_static_selectorELNS0_4arch9wavefront6targetE0EEEvS14_,@function
_ZN7rocprim17ROCPRIM_400000_NS6detail17trampoline_kernelINS0_14default_configENS1_22reduce_config_selectorIN6thrust23THRUST_200600_302600_NS5tupleIblNS6_9null_typeES8_S8_S8_S8_S8_S8_S8_EEEEZNS1_11reduce_implILb1ES3_NS6_12zip_iteratorINS7_INS6_11hip_rocprim26transform_input_iterator_tIbNSD_35transform_pair_of_input_iterators_tIbNS6_6detail15normal_iteratorINS6_10device_ptrIKxEEEESL_NS6_8equal_toIxEEEENSG_9not_fun_tINSD_8identityEEEEENSD_19counting_iterator_tIlEES8_S8_S8_S8_S8_S8_S8_S8_EEEEPS9_S9_NSD_9__find_if7functorIS9_EEEE10hipError_tPvRmT1_T2_T3_mT4_P12ihipStream_tbEUlT_E1_NS1_11comp_targetILNS1_3genE10ELNS1_11target_archE1200ELNS1_3gpuE4ELNS1_3repE0EEENS1_30default_config_static_selectorELNS0_4arch9wavefront6targetE0EEEvS14_: ; @_ZN7rocprim17ROCPRIM_400000_NS6detail17trampoline_kernelINS0_14default_configENS1_22reduce_config_selectorIN6thrust23THRUST_200600_302600_NS5tupleIblNS6_9null_typeES8_S8_S8_S8_S8_S8_S8_EEEEZNS1_11reduce_implILb1ES3_NS6_12zip_iteratorINS7_INS6_11hip_rocprim26transform_input_iterator_tIbNSD_35transform_pair_of_input_iterators_tIbNS6_6detail15normal_iteratorINS6_10device_ptrIKxEEEESL_NS6_8equal_toIxEEEENSG_9not_fun_tINSD_8identityEEEEENSD_19counting_iterator_tIlEES8_S8_S8_S8_S8_S8_S8_S8_EEEEPS9_S9_NSD_9__find_if7functorIS9_EEEE10hipError_tPvRmT1_T2_T3_mT4_P12ihipStream_tbEUlT_E1_NS1_11comp_targetILNS1_3genE10ELNS1_11target_archE1200ELNS1_3gpuE4ELNS1_3repE0EEENS1_30default_config_static_selectorELNS0_4arch9wavefront6targetE0EEEvS14_
; %bb.0:
	.section	.rodata,"a",@progbits
	.p2align	6, 0x0
	.amdhsa_kernel _ZN7rocprim17ROCPRIM_400000_NS6detail17trampoline_kernelINS0_14default_configENS1_22reduce_config_selectorIN6thrust23THRUST_200600_302600_NS5tupleIblNS6_9null_typeES8_S8_S8_S8_S8_S8_S8_EEEEZNS1_11reduce_implILb1ES3_NS6_12zip_iteratorINS7_INS6_11hip_rocprim26transform_input_iterator_tIbNSD_35transform_pair_of_input_iterators_tIbNS6_6detail15normal_iteratorINS6_10device_ptrIKxEEEESL_NS6_8equal_toIxEEEENSG_9not_fun_tINSD_8identityEEEEENSD_19counting_iterator_tIlEES8_S8_S8_S8_S8_S8_S8_S8_EEEEPS9_S9_NSD_9__find_if7functorIS9_EEEE10hipError_tPvRmT1_T2_T3_mT4_P12ihipStream_tbEUlT_E1_NS1_11comp_targetILNS1_3genE10ELNS1_11target_archE1200ELNS1_3gpuE4ELNS1_3repE0EEENS1_30default_config_static_selectorELNS0_4arch9wavefront6targetE0EEEvS14_
		.amdhsa_group_segment_fixed_size 0
		.amdhsa_private_segment_fixed_size 0
		.amdhsa_kernarg_size 88
		.amdhsa_user_sgpr_count 15
		.amdhsa_user_sgpr_dispatch_ptr 0
		.amdhsa_user_sgpr_queue_ptr 0
		.amdhsa_user_sgpr_kernarg_segment_ptr 1
		.amdhsa_user_sgpr_dispatch_id 0
		.amdhsa_user_sgpr_private_segment_size 0
		.amdhsa_wavefront_size32 1
		.amdhsa_uses_dynamic_stack 0
		.amdhsa_enable_private_segment 0
		.amdhsa_system_sgpr_workgroup_id_x 1
		.amdhsa_system_sgpr_workgroup_id_y 0
		.amdhsa_system_sgpr_workgroup_id_z 0
		.amdhsa_system_sgpr_workgroup_info 0
		.amdhsa_system_vgpr_workitem_id 0
		.amdhsa_next_free_vgpr 1
		.amdhsa_next_free_sgpr 1
		.amdhsa_reserve_vcc 0
		.amdhsa_float_round_mode_32 0
		.amdhsa_float_round_mode_16_64 0
		.amdhsa_float_denorm_mode_32 3
		.amdhsa_float_denorm_mode_16_64 3
		.amdhsa_dx10_clamp 1
		.amdhsa_ieee_mode 1
		.amdhsa_fp16_overflow 0
		.amdhsa_workgroup_processor_mode 1
		.amdhsa_memory_ordered 1
		.amdhsa_forward_progress 0
		.amdhsa_shared_vgpr_count 0
		.amdhsa_exception_fp_ieee_invalid_op 0
		.amdhsa_exception_fp_denorm_src 0
		.amdhsa_exception_fp_ieee_div_zero 0
		.amdhsa_exception_fp_ieee_overflow 0
		.amdhsa_exception_fp_ieee_underflow 0
		.amdhsa_exception_fp_ieee_inexact 0
		.amdhsa_exception_int_div_zero 0
	.end_amdhsa_kernel
	.section	.text._ZN7rocprim17ROCPRIM_400000_NS6detail17trampoline_kernelINS0_14default_configENS1_22reduce_config_selectorIN6thrust23THRUST_200600_302600_NS5tupleIblNS6_9null_typeES8_S8_S8_S8_S8_S8_S8_EEEEZNS1_11reduce_implILb1ES3_NS6_12zip_iteratorINS7_INS6_11hip_rocprim26transform_input_iterator_tIbNSD_35transform_pair_of_input_iterators_tIbNS6_6detail15normal_iteratorINS6_10device_ptrIKxEEEESL_NS6_8equal_toIxEEEENSG_9not_fun_tINSD_8identityEEEEENSD_19counting_iterator_tIlEES8_S8_S8_S8_S8_S8_S8_S8_EEEEPS9_S9_NSD_9__find_if7functorIS9_EEEE10hipError_tPvRmT1_T2_T3_mT4_P12ihipStream_tbEUlT_E1_NS1_11comp_targetILNS1_3genE10ELNS1_11target_archE1200ELNS1_3gpuE4ELNS1_3repE0EEENS1_30default_config_static_selectorELNS0_4arch9wavefront6targetE0EEEvS14_,"axG",@progbits,_ZN7rocprim17ROCPRIM_400000_NS6detail17trampoline_kernelINS0_14default_configENS1_22reduce_config_selectorIN6thrust23THRUST_200600_302600_NS5tupleIblNS6_9null_typeES8_S8_S8_S8_S8_S8_S8_EEEEZNS1_11reduce_implILb1ES3_NS6_12zip_iteratorINS7_INS6_11hip_rocprim26transform_input_iterator_tIbNSD_35transform_pair_of_input_iterators_tIbNS6_6detail15normal_iteratorINS6_10device_ptrIKxEEEESL_NS6_8equal_toIxEEEENSG_9not_fun_tINSD_8identityEEEEENSD_19counting_iterator_tIlEES8_S8_S8_S8_S8_S8_S8_S8_EEEEPS9_S9_NSD_9__find_if7functorIS9_EEEE10hipError_tPvRmT1_T2_T3_mT4_P12ihipStream_tbEUlT_E1_NS1_11comp_targetILNS1_3genE10ELNS1_11target_archE1200ELNS1_3gpuE4ELNS1_3repE0EEENS1_30default_config_static_selectorELNS0_4arch9wavefront6targetE0EEEvS14_,comdat
.Lfunc_end864:
	.size	_ZN7rocprim17ROCPRIM_400000_NS6detail17trampoline_kernelINS0_14default_configENS1_22reduce_config_selectorIN6thrust23THRUST_200600_302600_NS5tupleIblNS6_9null_typeES8_S8_S8_S8_S8_S8_S8_EEEEZNS1_11reduce_implILb1ES3_NS6_12zip_iteratorINS7_INS6_11hip_rocprim26transform_input_iterator_tIbNSD_35transform_pair_of_input_iterators_tIbNS6_6detail15normal_iteratorINS6_10device_ptrIKxEEEESL_NS6_8equal_toIxEEEENSG_9not_fun_tINSD_8identityEEEEENSD_19counting_iterator_tIlEES8_S8_S8_S8_S8_S8_S8_S8_EEEEPS9_S9_NSD_9__find_if7functorIS9_EEEE10hipError_tPvRmT1_T2_T3_mT4_P12ihipStream_tbEUlT_E1_NS1_11comp_targetILNS1_3genE10ELNS1_11target_archE1200ELNS1_3gpuE4ELNS1_3repE0EEENS1_30default_config_static_selectorELNS0_4arch9wavefront6targetE0EEEvS14_, .Lfunc_end864-_ZN7rocprim17ROCPRIM_400000_NS6detail17trampoline_kernelINS0_14default_configENS1_22reduce_config_selectorIN6thrust23THRUST_200600_302600_NS5tupleIblNS6_9null_typeES8_S8_S8_S8_S8_S8_S8_EEEEZNS1_11reduce_implILb1ES3_NS6_12zip_iteratorINS7_INS6_11hip_rocprim26transform_input_iterator_tIbNSD_35transform_pair_of_input_iterators_tIbNS6_6detail15normal_iteratorINS6_10device_ptrIKxEEEESL_NS6_8equal_toIxEEEENSG_9not_fun_tINSD_8identityEEEEENSD_19counting_iterator_tIlEES8_S8_S8_S8_S8_S8_S8_S8_EEEEPS9_S9_NSD_9__find_if7functorIS9_EEEE10hipError_tPvRmT1_T2_T3_mT4_P12ihipStream_tbEUlT_E1_NS1_11comp_targetILNS1_3genE10ELNS1_11target_archE1200ELNS1_3gpuE4ELNS1_3repE0EEENS1_30default_config_static_selectorELNS0_4arch9wavefront6targetE0EEEvS14_
                                        ; -- End function
	.section	.AMDGPU.csdata,"",@progbits
; Kernel info:
; codeLenInByte = 0
; NumSgprs: 0
; NumVgprs: 0
; ScratchSize: 0
; MemoryBound: 0
; FloatMode: 240
; IeeeMode: 1
; LDSByteSize: 0 bytes/workgroup (compile time only)
; SGPRBlocks: 0
; VGPRBlocks: 0
; NumSGPRsForWavesPerEU: 1
; NumVGPRsForWavesPerEU: 1
; Occupancy: 16
; WaveLimiterHint : 0
; COMPUTE_PGM_RSRC2:SCRATCH_EN: 0
; COMPUTE_PGM_RSRC2:USER_SGPR: 15
; COMPUTE_PGM_RSRC2:TRAP_HANDLER: 0
; COMPUTE_PGM_RSRC2:TGID_X_EN: 1
; COMPUTE_PGM_RSRC2:TGID_Y_EN: 0
; COMPUTE_PGM_RSRC2:TGID_Z_EN: 0
; COMPUTE_PGM_RSRC2:TIDIG_COMP_CNT: 0
	.section	.text._ZN7rocprim17ROCPRIM_400000_NS6detail17trampoline_kernelINS0_14default_configENS1_22reduce_config_selectorIN6thrust23THRUST_200600_302600_NS5tupleIblNS6_9null_typeES8_S8_S8_S8_S8_S8_S8_EEEEZNS1_11reduce_implILb1ES3_NS6_12zip_iteratorINS7_INS6_11hip_rocprim26transform_input_iterator_tIbNSD_35transform_pair_of_input_iterators_tIbNS6_6detail15normal_iteratorINS6_10device_ptrIKxEEEESL_NS6_8equal_toIxEEEENSG_9not_fun_tINSD_8identityEEEEENSD_19counting_iterator_tIlEES8_S8_S8_S8_S8_S8_S8_S8_EEEEPS9_S9_NSD_9__find_if7functorIS9_EEEE10hipError_tPvRmT1_T2_T3_mT4_P12ihipStream_tbEUlT_E1_NS1_11comp_targetILNS1_3genE9ELNS1_11target_archE1100ELNS1_3gpuE3ELNS1_3repE0EEENS1_30default_config_static_selectorELNS0_4arch9wavefront6targetE0EEEvS14_,"axG",@progbits,_ZN7rocprim17ROCPRIM_400000_NS6detail17trampoline_kernelINS0_14default_configENS1_22reduce_config_selectorIN6thrust23THRUST_200600_302600_NS5tupleIblNS6_9null_typeES8_S8_S8_S8_S8_S8_S8_EEEEZNS1_11reduce_implILb1ES3_NS6_12zip_iteratorINS7_INS6_11hip_rocprim26transform_input_iterator_tIbNSD_35transform_pair_of_input_iterators_tIbNS6_6detail15normal_iteratorINS6_10device_ptrIKxEEEESL_NS6_8equal_toIxEEEENSG_9not_fun_tINSD_8identityEEEEENSD_19counting_iterator_tIlEES8_S8_S8_S8_S8_S8_S8_S8_EEEEPS9_S9_NSD_9__find_if7functorIS9_EEEE10hipError_tPvRmT1_T2_T3_mT4_P12ihipStream_tbEUlT_E1_NS1_11comp_targetILNS1_3genE9ELNS1_11target_archE1100ELNS1_3gpuE3ELNS1_3repE0EEENS1_30default_config_static_selectorELNS0_4arch9wavefront6targetE0EEEvS14_,comdat
	.protected	_ZN7rocprim17ROCPRIM_400000_NS6detail17trampoline_kernelINS0_14default_configENS1_22reduce_config_selectorIN6thrust23THRUST_200600_302600_NS5tupleIblNS6_9null_typeES8_S8_S8_S8_S8_S8_S8_EEEEZNS1_11reduce_implILb1ES3_NS6_12zip_iteratorINS7_INS6_11hip_rocprim26transform_input_iterator_tIbNSD_35transform_pair_of_input_iterators_tIbNS6_6detail15normal_iteratorINS6_10device_ptrIKxEEEESL_NS6_8equal_toIxEEEENSG_9not_fun_tINSD_8identityEEEEENSD_19counting_iterator_tIlEES8_S8_S8_S8_S8_S8_S8_S8_EEEEPS9_S9_NSD_9__find_if7functorIS9_EEEE10hipError_tPvRmT1_T2_T3_mT4_P12ihipStream_tbEUlT_E1_NS1_11comp_targetILNS1_3genE9ELNS1_11target_archE1100ELNS1_3gpuE3ELNS1_3repE0EEENS1_30default_config_static_selectorELNS0_4arch9wavefront6targetE0EEEvS14_ ; -- Begin function _ZN7rocprim17ROCPRIM_400000_NS6detail17trampoline_kernelINS0_14default_configENS1_22reduce_config_selectorIN6thrust23THRUST_200600_302600_NS5tupleIblNS6_9null_typeES8_S8_S8_S8_S8_S8_S8_EEEEZNS1_11reduce_implILb1ES3_NS6_12zip_iteratorINS7_INS6_11hip_rocprim26transform_input_iterator_tIbNSD_35transform_pair_of_input_iterators_tIbNS6_6detail15normal_iteratorINS6_10device_ptrIKxEEEESL_NS6_8equal_toIxEEEENSG_9not_fun_tINSD_8identityEEEEENSD_19counting_iterator_tIlEES8_S8_S8_S8_S8_S8_S8_S8_EEEEPS9_S9_NSD_9__find_if7functorIS9_EEEE10hipError_tPvRmT1_T2_T3_mT4_P12ihipStream_tbEUlT_E1_NS1_11comp_targetILNS1_3genE9ELNS1_11target_archE1100ELNS1_3gpuE3ELNS1_3repE0EEENS1_30default_config_static_selectorELNS0_4arch9wavefront6targetE0EEEvS14_
	.globl	_ZN7rocprim17ROCPRIM_400000_NS6detail17trampoline_kernelINS0_14default_configENS1_22reduce_config_selectorIN6thrust23THRUST_200600_302600_NS5tupleIblNS6_9null_typeES8_S8_S8_S8_S8_S8_S8_EEEEZNS1_11reduce_implILb1ES3_NS6_12zip_iteratorINS7_INS6_11hip_rocprim26transform_input_iterator_tIbNSD_35transform_pair_of_input_iterators_tIbNS6_6detail15normal_iteratorINS6_10device_ptrIKxEEEESL_NS6_8equal_toIxEEEENSG_9not_fun_tINSD_8identityEEEEENSD_19counting_iterator_tIlEES8_S8_S8_S8_S8_S8_S8_S8_EEEEPS9_S9_NSD_9__find_if7functorIS9_EEEE10hipError_tPvRmT1_T2_T3_mT4_P12ihipStream_tbEUlT_E1_NS1_11comp_targetILNS1_3genE9ELNS1_11target_archE1100ELNS1_3gpuE3ELNS1_3repE0EEENS1_30default_config_static_selectorELNS0_4arch9wavefront6targetE0EEEvS14_
	.p2align	8
	.type	_ZN7rocprim17ROCPRIM_400000_NS6detail17trampoline_kernelINS0_14default_configENS1_22reduce_config_selectorIN6thrust23THRUST_200600_302600_NS5tupleIblNS6_9null_typeES8_S8_S8_S8_S8_S8_S8_EEEEZNS1_11reduce_implILb1ES3_NS6_12zip_iteratorINS7_INS6_11hip_rocprim26transform_input_iterator_tIbNSD_35transform_pair_of_input_iterators_tIbNS6_6detail15normal_iteratorINS6_10device_ptrIKxEEEESL_NS6_8equal_toIxEEEENSG_9not_fun_tINSD_8identityEEEEENSD_19counting_iterator_tIlEES8_S8_S8_S8_S8_S8_S8_S8_EEEEPS9_S9_NSD_9__find_if7functorIS9_EEEE10hipError_tPvRmT1_T2_T3_mT4_P12ihipStream_tbEUlT_E1_NS1_11comp_targetILNS1_3genE9ELNS1_11target_archE1100ELNS1_3gpuE3ELNS1_3repE0EEENS1_30default_config_static_selectorELNS0_4arch9wavefront6targetE0EEEvS14_,@function
_ZN7rocprim17ROCPRIM_400000_NS6detail17trampoline_kernelINS0_14default_configENS1_22reduce_config_selectorIN6thrust23THRUST_200600_302600_NS5tupleIblNS6_9null_typeES8_S8_S8_S8_S8_S8_S8_EEEEZNS1_11reduce_implILb1ES3_NS6_12zip_iteratorINS7_INS6_11hip_rocprim26transform_input_iterator_tIbNSD_35transform_pair_of_input_iterators_tIbNS6_6detail15normal_iteratorINS6_10device_ptrIKxEEEESL_NS6_8equal_toIxEEEENSG_9not_fun_tINSD_8identityEEEEENSD_19counting_iterator_tIlEES8_S8_S8_S8_S8_S8_S8_S8_EEEEPS9_S9_NSD_9__find_if7functorIS9_EEEE10hipError_tPvRmT1_T2_T3_mT4_P12ihipStream_tbEUlT_E1_NS1_11comp_targetILNS1_3genE9ELNS1_11target_archE1100ELNS1_3gpuE3ELNS1_3repE0EEENS1_30default_config_static_selectorELNS0_4arch9wavefront6targetE0EEEvS14_: ; @_ZN7rocprim17ROCPRIM_400000_NS6detail17trampoline_kernelINS0_14default_configENS1_22reduce_config_selectorIN6thrust23THRUST_200600_302600_NS5tupleIblNS6_9null_typeES8_S8_S8_S8_S8_S8_S8_EEEEZNS1_11reduce_implILb1ES3_NS6_12zip_iteratorINS7_INS6_11hip_rocprim26transform_input_iterator_tIbNSD_35transform_pair_of_input_iterators_tIbNS6_6detail15normal_iteratorINS6_10device_ptrIKxEEEESL_NS6_8equal_toIxEEEENSG_9not_fun_tINSD_8identityEEEEENSD_19counting_iterator_tIlEES8_S8_S8_S8_S8_S8_S8_S8_EEEEPS9_S9_NSD_9__find_if7functorIS9_EEEE10hipError_tPvRmT1_T2_T3_mT4_P12ihipStream_tbEUlT_E1_NS1_11comp_targetILNS1_3genE9ELNS1_11target_archE1100ELNS1_3gpuE3ELNS1_3repE0EEENS1_30default_config_static_selectorELNS0_4arch9wavefront6targetE0EEEvS14_
; %bb.0:
	s_mov_b32 s10, s15
	s_clause 0x4
	s_load_b32 s25, s[0:1], 0x4
	s_load_b128 s[16:19], s[0:1], 0x8
	s_load_b128 s[12:15], s[0:1], 0x28
	s_load_b32 s24, s[0:1], 0x40
	s_load_b64 s[20:21], s[0:1], 0x48
	s_waitcnt lgkmcnt(0)
	s_cmp_lt_i32 s25, 4
	s_cbranch_scc1 .LBB865_19
; %bb.1:
	s_cmp_gt_i32 s25, 7
	s_cbranch_scc0 .LBB865_20
; %bb.2:
	s_cmp_eq_u32 s25, 8
	s_mov_b32 s27, 0
	s_cbranch_scc0 .LBB865_21
; %bb.3:
	s_mov_b32 s11, 0
	s_lshl_b32 s6, s10, 11
	s_mov_b32 s7, s11
	s_lshr_b64 s[4:5], s[14:15], 11
	s_lshl_b64 s[2:3], s[6:7], 3
	s_delay_alu instid0(SALU_CYCLE_1)
	s_add_u32 s8, s16, s2
	s_addc_u32 s9, s17, s3
	s_add_u32 s22, s18, s2
	s_addc_u32 s23, s19, s3
	;; [unrolled: 2-line block ×3, first 2 shown]
	s_cmp_lg_u64 s[4:5], s[10:11]
	s_cbranch_scc0 .LBB865_40
; %bb.4:
	v_lshlrev_b32_e32 v7, 3, v0
	v_mov_b32_e32 v33, 0x100
	s_delay_alu instid0(VALU_DEP_2) | instskip(NEXT) | instid1(VALU_DEP_1)
	v_add_co_u32 v27, s2, s8, v7
	v_add_co_ci_u32_e64 v28, null, s9, 0, s2
	v_add_co_u32 v25, s2, s22, v7
	s_delay_alu instid0(VALU_DEP_3) | instskip(NEXT) | instid1(VALU_DEP_3)
	v_add_co_u32 v9, vcc_lo, 0x1000, v27
	v_add_co_ci_u32_e32 v10, vcc_lo, 0, v28, vcc_lo
	v_add_co_ci_u32_e64 v26, null, s23, 0, s2
	v_add_co_u32 v11, vcc_lo, v27, 0x2000
	v_add_co_ci_u32_e32 v12, vcc_lo, 0, v28, vcc_lo
	s_clause 0x3
	global_load_b64 v[1:2], v7, s[8:9]
	global_load_b64 v[3:4], v7, s[22:23] offset:2048
	global_load_b64 v[5:6], v7, s[22:23]
	global_load_b64 v[7:8], v7, s[8:9] offset:2048
	v_add_co_u32 v13, vcc_lo, 0x1000, v25
	v_add_co_ci_u32_e32 v14, vcc_lo, 0, v26, vcc_lo
	v_add_co_u32 v15, vcc_lo, v25, 0x2000
	v_add_co_ci_u32_e32 v16, vcc_lo, 0, v26, vcc_lo
	;; [unrolled: 2-line block ×3, first 2 shown]
	v_add_co_u32 v21, vcc_lo, 0x2000, v25
	global_load_b64 v[9:10], v[9:10], off offset:2048
	global_load_b64 v[13:14], v[13:14], off offset:2048
	v_add_co_ci_u32_e32 v22, vcc_lo, 0, v26, vcc_lo
	v_add_co_u32 v25, vcc_lo, 0x3000, v25
	v_add_co_ci_u32_e32 v26, vcc_lo, 0, v26, vcc_lo
	s_clause 0x1
	global_load_b64 v[19:20], v[11:12], off offset:-4096
	global_load_b64 v[11:12], v[11:12], off
	v_add_co_u32 v27, vcc_lo, 0x3000, v27
	s_clause 0x1
	global_load_b64 v[23:24], v[15:16], off offset:-4096
	global_load_b64 v[15:16], v[15:16], off
	global_load_b64 v[17:18], v[17:18], off offset:2048
	v_add_co_ci_u32_e32 v28, vcc_lo, 0, v28, vcc_lo
	s_clause 0x1
	global_load_b64 v[21:22], v[21:22], off offset:2048
	global_load_b64 v[29:30], v[25:26], off
	s_clause 0x1
	global_load_b64 v[31:32], v[27:28], off
	global_load_b64 v[27:28], v[27:28], off offset:2048
	global_load_b64 v[25:26], v[25:26], off offset:2048
	s_waitcnt vmcnt(13)
	v_cmp_ne_u64_e64 s2, v[1:2], v[5:6]
	v_mov_b32_e32 v2, 0x500
	s_waitcnt vmcnt(12)
	v_cmp_ne_u64_e32 vcc_lo, v[7:8], v[3:4]
	v_mov_b32_e32 v1, 0x300
	v_cndmask_b32_e32 v3, 0x200, v33, vcc_lo
	s_or_b32 s5, s2, vcc_lo
	s_delay_alu instid0(VALU_DEP_1) | instskip(SKIP_2) | instid1(VALU_DEP_1)
	v_cndmask_b32_e64 v3, v3, 0, s2
	s_waitcnt vmcnt(10)
	v_cmp_ne_u64_e64 s2, v[9:10], v[13:14]
	v_cndmask_b32_e64 v1, 0x400, v1, s2
	s_waitcnt vmcnt(7)
	v_cmp_ne_u64_e32 vcc_lo, v[19:20], v[23:24]
	s_waitcnt vmcnt(6)
	v_cmp_ne_u64_e64 s3, v[11:12], v[15:16]
	s_waitcnt vmcnt(4)
	v_cmp_ne_u64_e64 s4, v[17:18], v[21:22]
	s_or_b32 vcc_lo, s5, vcc_lo
	s_waitcnt vmcnt(2)
	v_cmp_ne_u64_e64 s5, v[31:32], v[29:30]
	s_delay_alu instid0(VALU_DEP_2)
	v_cndmask_b32_e64 v2, 0x600, v2, s4
	v_cndmask_b32_e32 v1, v1, v3, vcc_lo
	s_or_b32 s2, vcc_lo, s2
	s_waitcnt vmcnt(0)
	v_cmp_ne_u64_e32 vcc_lo, v[27:28], v[25:26]
	s_or_b32 s2, s2, s3
	s_delay_alu instid0(SALU_CYCLE_1)
	v_cndmask_b32_e64 v1, v2, v1, s2
	s_or_b32 s2, s2, s4
	s_mov_b32 s4, exec_lo
	s_or_b32 s2, s2, s5
	s_delay_alu instid0(VALU_DEP_1) | instid1(SALU_CYCLE_1)
	v_cndmask_b32_e64 v1, 0x700, v1, s2
	s_or_b32 s3, s2, vcc_lo
	v_add_co_u32 v2, s2, s26, v0
	v_cndmask_b32_e64 v5, 0, 1, s3
	v_add_co_ci_u32_e64 v3, null, s28, 0, s2
	s_delay_alu instid0(VALU_DEP_3) | instskip(NEXT) | instid1(VALU_DEP_3)
	v_add_co_u32 v1, vcc_lo, v2, v1
	v_mov_b32_dpp v6, v5 quad_perm:[1,0,3,2] row_mask:0xf bank_mask:0xf
	s_delay_alu instid0(VALU_DEP_3) | instskip(NEXT) | instid1(VALU_DEP_3)
	v_add_co_ci_u32_e32 v2, vcc_lo, 0, v3, vcc_lo
	v_mov_b32_dpp v3, v1 quad_perm:[1,0,3,2] row_mask:0xf bank_mask:0xf
	s_delay_alu instid0(VALU_DEP_3) | instskip(NEXT) | instid1(VALU_DEP_3)
	v_and_b32_e32 v7, 1, v6
	v_mov_b32_dpp v4, v2 quad_perm:[1,0,3,2] row_mask:0xf bank_mask:0xf
	s_delay_alu instid0(VALU_DEP_2)
	v_cmpx_eq_u32_e32 1, v7
; %bb.5:
	v_cndmask_b32_e64 v5, v6, 1, s3
	s_delay_alu instid0(VALU_DEP_3) | instskip(NEXT) | instid1(VALU_DEP_2)
	v_cmp_lt_i64_e32 vcc_lo, v[1:2], v[3:4]
	v_and_b32_e32 v6, 1, v5
	v_and_b32_e32 v5, 0xff, v5
	s_and_b32 vcc_lo, s3, vcc_lo
	s_and_not1_b32 s3, s3, exec_lo
	v_dual_cndmask_b32 v2, v4, v2 :: v_dual_cndmask_b32 v1, v3, v1
	v_cmp_eq_u32_e64 s2, 1, v6
	s_delay_alu instid0(VALU_DEP_1) | instskip(NEXT) | instid1(SALU_CYCLE_1)
	s_and_b32 s2, s2, exec_lo
	s_or_b32 s3, s3, s2
; %bb.6:
	s_or_b32 exec_lo, exec_lo, s4
	v_mov_b32_dpp v6, v5 quad_perm:[2,3,0,1] row_mask:0xf bank_mask:0xf
	v_mov_b32_dpp v3, v1 quad_perm:[2,3,0,1] row_mask:0xf bank_mask:0xf
	;; [unrolled: 1-line block ×3, first 2 shown]
	s_mov_b32 s4, exec_lo
	s_delay_alu instid0(VALU_DEP_3) | instskip(NEXT) | instid1(VALU_DEP_1)
	v_and_b32_e32 v7, 1, v6
	v_cmpx_eq_u32_e32 1, v7
; %bb.7:
	v_cndmask_b32_e64 v5, v6, 1, s3
	v_cmp_lt_i64_e32 vcc_lo, v[1:2], v[3:4]
	s_delay_alu instid0(VALU_DEP_2)
	v_and_b32_e32 v6, 1, v5
	v_and_b32_e32 v5, 0xff, v5
	s_and_b32 vcc_lo, s3, vcc_lo
	s_and_not1_b32 s3, s3, exec_lo
	v_dual_cndmask_b32 v2, v4, v2 :: v_dual_cndmask_b32 v1, v3, v1
	v_cmp_eq_u32_e64 s2, 1, v6
	s_delay_alu instid0(VALU_DEP_1) | instskip(NEXT) | instid1(SALU_CYCLE_1)
	s_and_b32 s2, s2, exec_lo
	s_or_b32 s3, s3, s2
; %bb.8:
	s_or_b32 exec_lo, exec_lo, s4
	v_mov_b32_dpp v6, v5 row_ror:4 row_mask:0xf bank_mask:0xf
	v_mov_b32_dpp v3, v1 row_ror:4 row_mask:0xf bank_mask:0xf
	;; [unrolled: 1-line block ×3, first 2 shown]
	s_mov_b32 s4, exec_lo
	s_delay_alu instid0(VALU_DEP_3) | instskip(NEXT) | instid1(VALU_DEP_1)
	v_and_b32_e32 v7, 1, v6
	v_cmpx_eq_u32_e32 1, v7
; %bb.9:
	v_cndmask_b32_e64 v5, v6, 1, s3
	v_cmp_lt_i64_e32 vcc_lo, v[1:2], v[3:4]
	s_delay_alu instid0(VALU_DEP_2)
	v_and_b32_e32 v6, 1, v5
	v_and_b32_e32 v5, 0xff, v5
	s_and_b32 vcc_lo, s3, vcc_lo
	s_and_not1_b32 s3, s3, exec_lo
	v_dual_cndmask_b32 v2, v4, v2 :: v_dual_cndmask_b32 v1, v3, v1
	v_cmp_eq_u32_e64 s2, 1, v6
	s_delay_alu instid0(VALU_DEP_1) | instskip(NEXT) | instid1(SALU_CYCLE_1)
	s_and_b32 s2, s2, exec_lo
	s_or_b32 s3, s3, s2
; %bb.10:
	s_or_b32 exec_lo, exec_lo, s4
	v_mov_b32_dpp v6, v5 row_ror:8 row_mask:0xf bank_mask:0xf
	v_mov_b32_dpp v3, v1 row_ror:8 row_mask:0xf bank_mask:0xf
	;; [unrolled: 1-line block ×3, first 2 shown]
	s_mov_b32 s4, exec_lo
	s_delay_alu instid0(VALU_DEP_3) | instskip(NEXT) | instid1(VALU_DEP_1)
	v_and_b32_e32 v7, 1, v6
	v_cmpx_eq_u32_e32 1, v7
; %bb.11:
	v_cndmask_b32_e64 v5, v6, 1, s3
	v_cmp_lt_i64_e32 vcc_lo, v[1:2], v[3:4]
	s_delay_alu instid0(VALU_DEP_2)
	v_and_b32_e32 v6, 1, v5
	v_and_b32_e32 v5, 0xff, v5
	s_and_b32 vcc_lo, s3, vcc_lo
	s_and_not1_b32 s3, s3, exec_lo
	v_dual_cndmask_b32 v2, v4, v2 :: v_dual_cndmask_b32 v1, v3, v1
	v_cmp_eq_u32_e64 s2, 1, v6
	s_delay_alu instid0(VALU_DEP_1) | instskip(NEXT) | instid1(SALU_CYCLE_1)
	s_and_b32 s2, s2, exec_lo
	s_or_b32 s3, s3, s2
; %bb.12:
	s_or_b32 exec_lo, exec_lo, s4
	ds_swizzle_b32 v6, v5 offset:swizzle(BROADCAST,32,15)
	ds_swizzle_b32 v3, v1 offset:swizzle(BROADCAST,32,15)
	;; [unrolled: 1-line block ×3, first 2 shown]
	s_mov_b32 s2, exec_lo
	s_waitcnt lgkmcnt(2)
	v_and_b32_e32 v7, 1, v6
	s_delay_alu instid0(VALU_DEP_1)
	v_cmpx_eq_u32_e32 1, v7
	s_cbranch_execz .LBB865_14
; %bb.13:
	s_waitcnt lgkmcnt(0)
	v_cmp_lt_i64_e32 vcc_lo, v[1:2], v[3:4]
	v_and_b32_e32 v5, 0xff, v6
	s_delay_alu instid0(VALU_DEP_1)
	v_cndmask_b32_e64 v5, v5, 1, s3
	s_and_b32 vcc_lo, s3, vcc_lo
	v_dual_cndmask_b32 v1, v3, v1 :: v_dual_cndmask_b32 v2, v4, v2
.LBB865_14:
	s_or_b32 exec_lo, exec_lo, s2
	s_waitcnt lgkmcnt(1)
	v_mov_b32_e32 v3, 0
	s_mov_b32 s2, exec_lo
	ds_bpermute_b32 v6, v3, v5 offset:124
	ds_bpermute_b32 v1, v3, v1 offset:124
	;; [unrolled: 1-line block ×3, first 2 shown]
	v_mbcnt_lo_u32_b32 v3, -1, 0
	s_delay_alu instid0(VALU_DEP_1)
	v_cmpx_eq_u32_e32 0, v3
	s_cbranch_execz .LBB865_16
; %bb.15:
	s_waitcnt lgkmcnt(3)
	v_lshrrev_b32_e32 v4, 1, v0
	s_delay_alu instid0(VALU_DEP_1)
	v_and_b32_e32 v4, 0x70, v4
	s_waitcnt lgkmcnt(2)
	ds_store_b8 v4, v6 offset:384
	s_waitcnt lgkmcnt(1)
	ds_store_b64 v4, v[1:2] offset:392
.LBB865_16:
	s_or_b32 exec_lo, exec_lo, s2
	s_delay_alu instid0(SALU_CYCLE_1)
	s_mov_b32 s4, exec_lo
	s_waitcnt lgkmcnt(0)
	s_barrier
	buffer_gl0_inv
	v_cmpx_gt_u32_e32 32, v0
	s_cbranch_execz .LBB865_18
; %bb.17:
	v_and_b32_e32 v6, 7, v3
	s_delay_alu instid0(VALU_DEP_1)
	v_lshlrev_b32_e32 v1, 4, v6
	v_cmp_ne_u32_e32 vcc_lo, 7, v6
	ds_load_u8 v7, v1 offset:384
	ds_load_b64 v[1:2], v1 offset:392
	v_add_co_ci_u32_e32 v4, vcc_lo, 0, v3, vcc_lo
	v_cmp_gt_u32_e32 vcc_lo, 6, v6
	s_delay_alu instid0(VALU_DEP_2)
	v_lshlrev_b32_e32 v5, 2, v4
	v_cndmask_b32_e64 v10, 0, 1, vcc_lo
	s_waitcnt lgkmcnt(1)
	v_and_b32_e32 v4, 0xff, v7
	v_and_b32_e32 v11, 1, v7
	ds_bpermute_b32 v8, v5, v4
	s_waitcnt lgkmcnt(1)
	ds_bpermute_b32 v4, v5, v1
	ds_bpermute_b32 v5, v5, v2
	v_cmp_eq_u32_e64 s3, 1, v11
	s_waitcnt lgkmcnt(2)
	v_and_b32_e32 v9, 1, v8
	s_waitcnt lgkmcnt(0)
	v_cmp_lt_i64_e64 s2, v[4:5], v[1:2]
	s_delay_alu instid0(VALU_DEP_2) | instskip(SKIP_2) | instid1(VALU_DEP_4)
	v_cmp_eq_u32_e32 vcc_lo, 1, v9
	v_lshlrev_b32_e32 v9, 1, v10
	v_cndmask_b32_e64 v7, v7, 1, vcc_lo
	s_and_b32 vcc_lo, vcc_lo, s2
	v_dual_cndmask_b32 v1, v1, v4 :: v_dual_cndmask_b32 v2, v2, v5
	s_delay_alu instid0(VALU_DEP_2) | instskip(SKIP_2) | instid1(VALU_DEP_4)
	v_cndmask_b32_e64 v7, v8, v7, s3
	v_add_lshl_u32 v8, v9, v3, 2
	v_cmp_gt_u32_e32 vcc_lo, 4, v6
	v_cndmask_b32_e64 v1, v4, v1, s3
	v_cndmask_b32_e64 v2, v5, v2, s3
	v_and_b32_e32 v9, 0xff, v7
	v_and_b32_e32 v10, 1, v7
	v_cndmask_b32_e64 v6, 0, 1, vcc_lo
	ds_bpermute_b32 v4, v8, v1
	ds_bpermute_b32 v5, v8, v2
	;; [unrolled: 1-line block ×3, first 2 shown]
	v_cmp_eq_u32_e64 s3, 1, v10
	s_waitcnt lgkmcnt(1)
	v_cmp_lt_i64_e64 s2, v[4:5], v[1:2]
	s_waitcnt lgkmcnt(0)
	v_and_b32_e32 v8, 1, v9
	s_delay_alu instid0(VALU_DEP_1) | instskip(SKIP_1) | instid1(VALU_DEP_4)
	v_cmp_eq_u32_e32 vcc_lo, 1, v8
	v_cndmask_b32_e64 v7, v7, 1, vcc_lo
	s_and_b32 vcc_lo, vcc_lo, s2
	v_dual_cndmask_b32 v1, v1, v4 :: v_dual_cndmask_b32 v2, v2, v5
	s_delay_alu instid0(VALU_DEP_2) | instskip(NEXT) | instid1(VALU_DEP_2)
	v_cndmask_b32_e64 v7, v9, v7, s3
	v_cndmask_b32_e64 v1, v4, v1, s3
	v_lshlrev_b32_e32 v6, 2, v6
	s_delay_alu instid0(VALU_DEP_4) | instskip(NEXT) | instid1(VALU_DEP_2)
	v_cndmask_b32_e64 v2, v5, v2, s3
	v_add_lshl_u32 v6, v6, v3, 2
	v_and_b32_e32 v3, 0xff, v7
	ds_bpermute_b32 v4, v6, v2
	ds_bpermute_b32 v5, v6, v3
	;; [unrolled: 1-line block ×3, first 2 shown]
	s_waitcnt lgkmcnt(1)
	v_and_b32_e32 v6, 1, v5
	s_waitcnt lgkmcnt(0)
	v_cmp_lt_i64_e32 vcc_lo, v[3:4], v[1:2]
	s_delay_alu instid0(VALU_DEP_2) | instskip(SKIP_1) | instid1(VALU_DEP_2)
	v_cmp_eq_u32_e64 s2, 1, v6
	v_and_b32_e32 v6, 1, v7
	v_cndmask_b32_e64 v7, v7, 1, s2
	s_and_b32 vcc_lo, s2, vcc_lo
	s_delay_alu instid0(VALU_DEP_2) | instskip(SKIP_1) | instid1(VALU_DEP_2)
	v_cmp_eq_u32_e64 s2, 1, v6
	v_dual_cndmask_b32 v1, v1, v3 :: v_dual_cndmask_b32 v2, v2, v4
	v_cndmask_b32_e64 v5, v5, v7, s2
	s_delay_alu instid0(VALU_DEP_2) | instskip(NEXT) | instid1(VALU_DEP_3)
	v_cndmask_b32_e64 v1, v3, v1, s2
	v_cndmask_b32_e64 v2, v4, v2, s2
	s_delay_alu instid0(VALU_DEP_3)
	v_and_b32_e32 v6, 0xff, v5
.LBB865_18:
	s_or_b32 exec_lo, exec_lo, s4
	s_branch .LBB865_85
.LBB865_19:
	s_mov_b32 s26, 0
                                        ; implicit-def: $vgpr3_vgpr4
                                        ; implicit-def: $vgpr5
	s_cbranch_execnz .LBB865_129
	s_branch .LBB865_200
.LBB865_20:
	s_mov_b32 s27, -1
.LBB865_21:
	s_mov_b32 s26, 0
                                        ; implicit-def: $vgpr3_vgpr4
                                        ; implicit-def: $vgpr5
	s_and_b32 vcc_lo, exec_lo, s27
	s_cbranch_vccz .LBB865_90
.LBB865_22:
	s_cmp_eq_u32 s25, 4
	s_cbranch_scc0 .LBB865_39
; %bb.23:
	s_mov_b32 s11, 0
	s_lshl_b32 s22, s10, 10
	s_mov_b32 s23, s11
	s_lshr_b64 s[28:29], s[14:15], 10
	s_lshl_b64 s[2:3], s[22:23], 3
	s_delay_alu instid0(SALU_CYCLE_1)
	s_add_u32 s6, s16, s2
	s_addc_u32 s7, s17, s3
	s_add_u32 s8, s18, s2
	s_addc_u32 s9, s19, s3
	;; [unrolled: 2-line block ×3, first 2 shown]
	s_cmp_lg_u64 s[28:29], s[10:11]
	s_cbranch_scc0 .LBB865_91
; %bb.24:
	v_lshlrev_b32_e32 v11, 3, v0
	v_mov_b32_e32 v17, 0x100
	global_load_b64 v[1:2], v11, s[8:9] offset:2048
	s_waitcnt lgkmcnt(0)
	global_load_b64 v[3:4], v11, s[6:7] offset:2048
	v_add_co_u32 v7, s2, s6, v11
	s_delay_alu instid0(VALU_DEP_1) | instskip(SKIP_1) | instid1(VALU_DEP_1)
	v_add_co_ci_u32_e64 v8, null, s7, 0, s2
	v_add_co_u32 v5, s2, s8, v11
	v_add_co_ci_u32_e64 v6, null, s9, 0, s2
	s_delay_alu instid0(VALU_DEP_2) | instskip(NEXT) | instid1(VALU_DEP_2)
	v_add_co_u32 v5, vcc_lo, 0x1000, v5
	v_add_co_ci_u32_e32 v6, vcc_lo, 0, v6, vcc_lo
	v_add_co_u32 v7, vcc_lo, 0x1000, v7
	v_add_co_ci_u32_e32 v8, vcc_lo, 0, v8, vcc_lo
	s_clause 0x1
	global_load_b64 v[9:10], v11, s[8:9]
	global_load_b64 v[11:12], v11, s[6:7]
	global_load_b64 v[13:14], v[5:6], off
	s_clause 0x1
	global_load_b64 v[15:16], v[7:8], off
	global_load_b64 v[7:8], v[7:8], off offset:2048
	global_load_b64 v[5:6], v[5:6], off offset:2048
	s_waitcnt vmcnt(6)
	v_cmp_ne_u64_e32 vcc_lo, v[3:4], v[1:2]
	v_cndmask_b32_e32 v1, 0x200, v17, vcc_lo
	s_waitcnt vmcnt(4)
	v_cmp_ne_u64_e64 s2, v[11:12], v[9:10]
	s_waitcnt vmcnt(2)
	v_cmp_ne_u64_e64 s3, v[15:16], v[13:14]
	;; [unrolled: 2-line block ×3, first 2 shown]
	s_delay_alu instid0(VALU_DEP_3)
	v_cndmask_b32_e64 v1, v1, 0, s2
	s_or_b32 s2, s2, vcc_lo
	s_delay_alu instid0(VALU_DEP_3) | instid1(SALU_CYCLE_1)
	s_or_b32 vcc_lo, s2, s3
	v_add_co_u32 v2, s2, s5, v0
	s_delay_alu instid0(VALU_DEP_2) | instskip(SKIP_3) | instid1(VALU_DEP_3)
	v_cndmask_b32_e32 v1, 0x300, v1, vcc_lo
	s_or_b32 s3, vcc_lo, s4
	v_add_co_ci_u32_e64 v3, null, s23, 0, s2
	v_cndmask_b32_e64 v5, 0, 1, s3
	v_add_co_u32 v1, vcc_lo, v2, v1
	s_delay_alu instid0(VALU_DEP_3) | instskip(NEXT) | instid1(VALU_DEP_3)
	v_add_co_ci_u32_e32 v2, vcc_lo, 0, v3, vcc_lo
	v_mov_b32_dpp v6, v5 quad_perm:[1,0,3,2] row_mask:0xf bank_mask:0xf
	s_delay_alu instid0(VALU_DEP_3) | instskip(SKIP_1) | instid1(VALU_DEP_3)
	v_mov_b32_dpp v3, v1 quad_perm:[1,0,3,2] row_mask:0xf bank_mask:0xf
	s_mov_b32 s4, exec_lo
	v_mov_b32_dpp v4, v2 quad_perm:[1,0,3,2] row_mask:0xf bank_mask:0xf
	s_delay_alu instid0(VALU_DEP_3) | instskip(NEXT) | instid1(VALU_DEP_1)
	v_and_b32_e32 v7, 1, v6
	v_cmpx_eq_u32_e32 1, v7
; %bb.25:
	v_cndmask_b32_e64 v5, v6, 1, s3
	s_delay_alu instid0(VALU_DEP_4) | instskip(NEXT) | instid1(VALU_DEP_2)
	v_cmp_lt_i64_e32 vcc_lo, v[1:2], v[3:4]
	v_and_b32_e32 v6, 1, v5
	v_and_b32_e32 v5, 0xff, v5
	s_and_b32 vcc_lo, s3, vcc_lo
	s_and_not1_b32 s3, s3, exec_lo
	v_dual_cndmask_b32 v2, v4, v2 :: v_dual_cndmask_b32 v1, v3, v1
	v_cmp_eq_u32_e64 s2, 1, v6
	s_delay_alu instid0(VALU_DEP_1) | instskip(NEXT) | instid1(SALU_CYCLE_1)
	s_and_b32 s2, s2, exec_lo
	s_or_b32 s3, s3, s2
; %bb.26:
	s_or_b32 exec_lo, exec_lo, s4
	v_mov_b32_dpp v6, v5 quad_perm:[2,3,0,1] row_mask:0xf bank_mask:0xf
	v_mov_b32_dpp v3, v1 quad_perm:[2,3,0,1] row_mask:0xf bank_mask:0xf
	;; [unrolled: 1-line block ×3, first 2 shown]
	s_mov_b32 s4, exec_lo
	s_delay_alu instid0(VALU_DEP_3) | instskip(NEXT) | instid1(VALU_DEP_1)
	v_and_b32_e32 v7, 1, v6
	v_cmpx_eq_u32_e32 1, v7
; %bb.27:
	v_cndmask_b32_e64 v5, v6, 1, s3
	v_cmp_lt_i64_e32 vcc_lo, v[1:2], v[3:4]
	s_delay_alu instid0(VALU_DEP_2)
	v_and_b32_e32 v6, 1, v5
	v_and_b32_e32 v5, 0xff, v5
	s_and_b32 vcc_lo, s3, vcc_lo
	s_and_not1_b32 s3, s3, exec_lo
	v_dual_cndmask_b32 v2, v4, v2 :: v_dual_cndmask_b32 v1, v3, v1
	v_cmp_eq_u32_e64 s2, 1, v6
	s_delay_alu instid0(VALU_DEP_1) | instskip(NEXT) | instid1(SALU_CYCLE_1)
	s_and_b32 s2, s2, exec_lo
	s_or_b32 s3, s3, s2
; %bb.28:
	s_or_b32 exec_lo, exec_lo, s4
	v_mov_b32_dpp v6, v5 row_ror:4 row_mask:0xf bank_mask:0xf
	v_mov_b32_dpp v3, v1 row_ror:4 row_mask:0xf bank_mask:0xf
	v_mov_b32_dpp v4, v2 row_ror:4 row_mask:0xf bank_mask:0xf
	s_mov_b32 s4, exec_lo
	s_delay_alu instid0(VALU_DEP_3) | instskip(NEXT) | instid1(VALU_DEP_1)
	v_and_b32_e32 v7, 1, v6
	v_cmpx_eq_u32_e32 1, v7
; %bb.29:
	v_cndmask_b32_e64 v5, v6, 1, s3
	v_cmp_lt_i64_e32 vcc_lo, v[1:2], v[3:4]
	s_delay_alu instid0(VALU_DEP_2)
	v_and_b32_e32 v6, 1, v5
	v_and_b32_e32 v5, 0xff, v5
	s_and_b32 vcc_lo, s3, vcc_lo
	s_and_not1_b32 s3, s3, exec_lo
	v_dual_cndmask_b32 v2, v4, v2 :: v_dual_cndmask_b32 v1, v3, v1
	v_cmp_eq_u32_e64 s2, 1, v6
	s_delay_alu instid0(VALU_DEP_1) | instskip(NEXT) | instid1(SALU_CYCLE_1)
	s_and_b32 s2, s2, exec_lo
	s_or_b32 s3, s3, s2
; %bb.30:
	s_or_b32 exec_lo, exec_lo, s4
	v_mov_b32_dpp v6, v5 row_ror:8 row_mask:0xf bank_mask:0xf
	v_mov_b32_dpp v3, v1 row_ror:8 row_mask:0xf bank_mask:0xf
	;; [unrolled: 1-line block ×3, first 2 shown]
	s_mov_b32 s4, exec_lo
	s_delay_alu instid0(VALU_DEP_3) | instskip(NEXT) | instid1(VALU_DEP_1)
	v_and_b32_e32 v7, 1, v6
	v_cmpx_eq_u32_e32 1, v7
; %bb.31:
	v_cndmask_b32_e64 v5, v6, 1, s3
	v_cmp_lt_i64_e32 vcc_lo, v[1:2], v[3:4]
	s_delay_alu instid0(VALU_DEP_2)
	v_and_b32_e32 v6, 1, v5
	v_and_b32_e32 v5, 0xff, v5
	s_and_b32 vcc_lo, s3, vcc_lo
	s_and_not1_b32 s3, s3, exec_lo
	v_dual_cndmask_b32 v2, v4, v2 :: v_dual_cndmask_b32 v1, v3, v1
	v_cmp_eq_u32_e64 s2, 1, v6
	s_delay_alu instid0(VALU_DEP_1) | instskip(NEXT) | instid1(SALU_CYCLE_1)
	s_and_b32 s2, s2, exec_lo
	s_or_b32 s3, s3, s2
; %bb.32:
	s_or_b32 exec_lo, exec_lo, s4
	ds_swizzle_b32 v6, v5 offset:swizzle(BROADCAST,32,15)
	ds_swizzle_b32 v3, v1 offset:swizzle(BROADCAST,32,15)
	;; [unrolled: 1-line block ×3, first 2 shown]
	s_mov_b32 s2, exec_lo
	s_waitcnt lgkmcnt(2)
	v_and_b32_e32 v7, 1, v6
	s_delay_alu instid0(VALU_DEP_1)
	v_cmpx_eq_u32_e32 1, v7
	s_cbranch_execz .LBB865_34
; %bb.33:
	s_waitcnt lgkmcnt(0)
	v_cmp_lt_i64_e32 vcc_lo, v[1:2], v[3:4]
	v_and_b32_e32 v5, 0xff, v6
	s_delay_alu instid0(VALU_DEP_1)
	v_cndmask_b32_e64 v5, v5, 1, s3
	s_and_b32 vcc_lo, s3, vcc_lo
	v_dual_cndmask_b32 v1, v3, v1 :: v_dual_cndmask_b32 v2, v4, v2
.LBB865_34:
	s_or_b32 exec_lo, exec_lo, s2
	s_waitcnt lgkmcnt(1)
	v_mov_b32_e32 v3, 0
	s_mov_b32 s2, exec_lo
	ds_bpermute_b32 v6, v3, v5 offset:124
	ds_bpermute_b32 v1, v3, v1 offset:124
	;; [unrolled: 1-line block ×3, first 2 shown]
	v_mbcnt_lo_u32_b32 v3, -1, 0
	s_delay_alu instid0(VALU_DEP_1)
	v_cmpx_eq_u32_e32 0, v3
	s_cbranch_execz .LBB865_36
; %bb.35:
	s_waitcnt lgkmcnt(3)
	v_lshrrev_b32_e32 v4, 1, v0
	s_delay_alu instid0(VALU_DEP_1)
	v_and_b32_e32 v4, 0x70, v4
	s_waitcnt lgkmcnt(2)
	ds_store_b8 v4, v6 offset:256
	s_waitcnt lgkmcnt(1)
	ds_store_b64 v4, v[1:2] offset:264
.LBB865_36:
	s_or_b32 exec_lo, exec_lo, s2
	s_delay_alu instid0(SALU_CYCLE_1)
	s_mov_b32 s4, exec_lo
	s_waitcnt lgkmcnt(0)
	s_barrier
	buffer_gl0_inv
	v_cmpx_gt_u32_e32 32, v0
	s_cbranch_execz .LBB865_38
; %bb.37:
	v_and_b32_e32 v6, 7, v3
	s_delay_alu instid0(VALU_DEP_1)
	v_lshlrev_b32_e32 v1, 4, v6
	v_cmp_ne_u32_e32 vcc_lo, 7, v6
	ds_load_u8 v7, v1 offset:256
	ds_load_b64 v[1:2], v1 offset:264
	v_add_co_ci_u32_e32 v4, vcc_lo, 0, v3, vcc_lo
	v_cmp_gt_u32_e32 vcc_lo, 6, v6
	s_delay_alu instid0(VALU_DEP_2)
	v_lshlrev_b32_e32 v5, 2, v4
	v_cndmask_b32_e64 v10, 0, 1, vcc_lo
	s_waitcnt lgkmcnt(1)
	v_and_b32_e32 v4, 0xff, v7
	v_and_b32_e32 v11, 1, v7
	ds_bpermute_b32 v8, v5, v4
	s_waitcnt lgkmcnt(1)
	ds_bpermute_b32 v4, v5, v1
	ds_bpermute_b32 v5, v5, v2
	v_cmp_eq_u32_e64 s3, 1, v11
	s_waitcnt lgkmcnt(2)
	v_and_b32_e32 v9, 1, v8
	s_waitcnt lgkmcnt(0)
	v_cmp_lt_i64_e64 s2, v[4:5], v[1:2]
	s_delay_alu instid0(VALU_DEP_2) | instskip(SKIP_2) | instid1(VALU_DEP_4)
	v_cmp_eq_u32_e32 vcc_lo, 1, v9
	v_lshlrev_b32_e32 v9, 1, v10
	v_cndmask_b32_e64 v7, v7, 1, vcc_lo
	s_and_b32 vcc_lo, vcc_lo, s2
	v_dual_cndmask_b32 v1, v1, v4 :: v_dual_cndmask_b32 v2, v2, v5
	s_delay_alu instid0(VALU_DEP_2) | instskip(SKIP_2) | instid1(VALU_DEP_4)
	v_cndmask_b32_e64 v7, v8, v7, s3
	v_add_lshl_u32 v8, v9, v3, 2
	v_cmp_gt_u32_e32 vcc_lo, 4, v6
	v_cndmask_b32_e64 v1, v4, v1, s3
	v_cndmask_b32_e64 v2, v5, v2, s3
	v_and_b32_e32 v9, 0xff, v7
	v_and_b32_e32 v10, 1, v7
	v_cndmask_b32_e64 v6, 0, 1, vcc_lo
	ds_bpermute_b32 v4, v8, v1
	ds_bpermute_b32 v5, v8, v2
	;; [unrolled: 1-line block ×3, first 2 shown]
	v_cmp_eq_u32_e64 s3, 1, v10
	s_waitcnt lgkmcnt(1)
	v_cmp_lt_i64_e64 s2, v[4:5], v[1:2]
	s_waitcnt lgkmcnt(0)
	v_and_b32_e32 v8, 1, v9
	s_delay_alu instid0(VALU_DEP_1) | instskip(SKIP_1) | instid1(VALU_DEP_4)
	v_cmp_eq_u32_e32 vcc_lo, 1, v8
	v_cndmask_b32_e64 v7, v7, 1, vcc_lo
	s_and_b32 vcc_lo, vcc_lo, s2
	v_dual_cndmask_b32 v1, v1, v4 :: v_dual_cndmask_b32 v2, v2, v5
	s_delay_alu instid0(VALU_DEP_2) | instskip(NEXT) | instid1(VALU_DEP_2)
	v_cndmask_b32_e64 v7, v9, v7, s3
	v_cndmask_b32_e64 v1, v4, v1, s3
	v_lshlrev_b32_e32 v6, 2, v6
	s_delay_alu instid0(VALU_DEP_4) | instskip(NEXT) | instid1(VALU_DEP_2)
	v_cndmask_b32_e64 v2, v5, v2, s3
	v_add_lshl_u32 v6, v6, v3, 2
	v_and_b32_e32 v3, 0xff, v7
	ds_bpermute_b32 v4, v6, v2
	ds_bpermute_b32 v5, v6, v3
	;; [unrolled: 1-line block ×3, first 2 shown]
	s_waitcnt lgkmcnt(1)
	v_and_b32_e32 v6, 1, v5
	s_waitcnt lgkmcnt(0)
	v_cmp_lt_i64_e32 vcc_lo, v[3:4], v[1:2]
	s_delay_alu instid0(VALU_DEP_2) | instskip(SKIP_1) | instid1(VALU_DEP_2)
	v_cmp_eq_u32_e64 s2, 1, v6
	v_and_b32_e32 v6, 1, v7
	v_cndmask_b32_e64 v7, v7, 1, s2
	s_and_b32 vcc_lo, s2, vcc_lo
	s_delay_alu instid0(VALU_DEP_2) | instskip(SKIP_1) | instid1(VALU_DEP_2)
	v_cmp_eq_u32_e64 s2, 1, v6
	v_dual_cndmask_b32 v1, v1, v3 :: v_dual_cndmask_b32 v2, v2, v4
	v_cndmask_b32_e64 v5, v5, v7, s2
	s_delay_alu instid0(VALU_DEP_2) | instskip(NEXT) | instid1(VALU_DEP_3)
	v_cndmask_b32_e64 v1, v3, v1, s2
	v_cndmask_b32_e64 v2, v4, v2, s2
	s_delay_alu instid0(VALU_DEP_3)
	v_and_b32_e32 v6, 0xff, v5
.LBB865_38:
	s_or_b32 exec_lo, exec_lo, s4
	s_branch .LBB865_124
.LBB865_39:
                                        ; implicit-def: $vgpr3_vgpr4
                                        ; implicit-def: $vgpr5
	s_branch .LBB865_200
.LBB865_40:
                                        ; implicit-def: $vgpr1_vgpr2
                                        ; implicit-def: $vgpr6
	s_cbranch_execz .LBB865_85
; %bb.41:
	v_mov_b32_e32 v9, 0
	v_dual_mov_b32 v10, 0 :: v_dual_mov_b32 v21, 0
	s_delay_alu instid0(VALU_DEP_2) | instskip(SKIP_2) | instid1(VALU_DEP_3)
	v_mov_b32_e32 v1, v9
	v_mov_b32_e32 v17, 0
	s_sub_i32 s29, s14, s6
	v_mov_b32_e32 v2, v10
	s_mov_b32 s2, exec_lo
	v_cmpx_gt_u32_e64 s29, v0
	s_cbranch_execz .LBB865_43
; %bb.42:
	v_lshlrev_b32_e32 v1, 3, v0
	s_clause 0x1
	global_load_b64 v[3:4], v1, s[8:9]
	global_load_b64 v[5:6], v1, s[22:23]
	v_add_co_u32 v1, s3, s26, v0
	s_delay_alu instid0(VALU_DEP_1)
	v_add_co_ci_u32_e64 v2, null, s28, 0, s3
	s_waitcnt vmcnt(0)
	v_cmp_ne_u64_e32 vcc_lo, v[3:4], v[5:6]
	v_cndmask_b32_e64 v17, 0, 1, vcc_lo
.LBB865_43:
	s_or_b32 exec_lo, exec_lo, s2
	v_or_b32_e32 v3, 0x100, v0
	s_delay_alu instid0(VALU_DEP_1) | instskip(NEXT) | instid1(VALU_DEP_1)
	v_cmp_gt_u32_e64 s7, s29, v3
	s_and_saveexec_b32 s2, s7
	s_cbranch_execz .LBB865_45
; %bb.44:
	v_lshlrev_b32_e32 v6, 3, v0
	v_add_co_u32 v9, s3, s26, v3
	s_delay_alu instid0(VALU_DEP_1)
	v_add_co_ci_u32_e64 v10, null, s28, 0, s3
	s_clause 0x1
	global_load_b64 v[4:5], v6, s[8:9] offset:2048
	global_load_b64 v[6:7], v6, s[22:23] offset:2048
	s_waitcnt vmcnt(0)
	v_cmp_ne_u64_e32 vcc_lo, v[4:5], v[6:7]
	v_cndmask_b32_e64 v21, 0, 1, vcc_lo
.LBB865_45:
	s_or_b32 exec_lo, exec_lo, s2
	v_dual_mov_b32 v7, 0 :: v_dual_mov_b32 v20, 0
	v_mov_b32_e32 v8, 0
	v_or_b32_e32 v3, 0x200, v0
	v_mov_b32_e32 v24, 0
	s_delay_alu instid0(VALU_DEP_3) | instskip(NEXT) | instid1(VALU_DEP_3)
	v_dual_mov_b32 v16, v8 :: v_dual_mov_b32 v15, v7
	v_cmp_gt_u32_e64 s6, s29, v3
	s_delay_alu instid0(VALU_DEP_1)
	s_and_saveexec_b32 s2, s6
	s_cbranch_execz .LBB865_47
; %bb.46:
	v_lshlrev_b32_e32 v6, 3, v3
	v_add_co_u32 v15, s3, s26, v3
	s_delay_alu instid0(VALU_DEP_1)
	v_add_co_ci_u32_e64 v16, null, s28, 0, s3
	s_clause 0x1
	global_load_b64 v[4:5], v6, s[8:9]
	global_load_b64 v[11:12], v6, s[22:23]
	s_waitcnt vmcnt(0)
	v_cmp_ne_u64_e32 vcc_lo, v[4:5], v[11:12]
	v_cndmask_b32_e64 v24, 0, 1, vcc_lo
.LBB865_47:
	s_or_b32 exec_lo, exec_lo, s2
	v_or_b32_e32 v3, 0x300, v0
	s_delay_alu instid0(VALU_DEP_1) | instskip(NEXT) | instid1(VALU_DEP_1)
	v_cmp_gt_u32_e64 s5, s29, v3
	s_and_saveexec_b32 s2, s5
	s_cbranch_execz .LBB865_49
; %bb.48:
	v_lshlrev_b32_e32 v6, 3, v3
	v_add_co_u32 v7, s3, s26, v3
	s_delay_alu instid0(VALU_DEP_1)
	v_add_co_ci_u32_e64 v8, null, s28, 0, s3
	s_clause 0x1
	global_load_b64 v[4:5], v6, s[8:9]
	global_load_b64 v[11:12], v6, s[22:23]
	s_waitcnt vmcnt(0)
	v_cmp_ne_u64_e32 vcc_lo, v[4:5], v[11:12]
	v_cndmask_b32_e64 v20, 0, 1, vcc_lo
.LBB865_49:
	s_or_b32 exec_lo, exec_lo, s2
	v_mov_b32_e32 v5, 0
	v_dual_mov_b32 v6, 0 :: v_dual_mov_b32 v19, 0
	v_or_b32_e32 v3, 0x400, v0
	s_delay_alu instid0(VALU_DEP_2) | instskip(NEXT) | instid1(VALU_DEP_4)
	v_dual_mov_b32 v23, 0 :: v_dual_mov_b32 v14, v6
	v_mov_b32_e32 v13, v5
	s_delay_alu instid0(VALU_DEP_3) | instskip(NEXT) | instid1(VALU_DEP_1)
	v_cmp_gt_u32_e64 s4, s29, v3
	s_and_saveexec_b32 s2, s4
	s_cbranch_execz .LBB865_51
; %bb.50:
	v_lshlrev_b32_e32 v4, 3, v3
	v_add_co_u32 v13, s3, s26, v3
	s_delay_alu instid0(VALU_DEP_1)
	v_add_co_ci_u32_e64 v14, null, s28, 0, s3
	s_clause 0x1
	global_load_b64 v[11:12], v4, s[8:9]
	global_load_b64 v[22:23], v4, s[22:23]
	s_waitcnt vmcnt(0)
	v_cmp_ne_u64_e32 vcc_lo, v[11:12], v[22:23]
	v_cndmask_b32_e64 v23, 0, 1, vcc_lo
.LBB865_51:
	s_or_b32 exec_lo, exec_lo, s2
	v_or_b32_e32 v3, 0x500, v0
	s_delay_alu instid0(VALU_DEP_1) | instskip(NEXT) | instid1(VALU_DEP_1)
	v_cmp_gt_u32_e64 s3, s29, v3
	s_and_saveexec_b32 s2, s3
	s_cbranch_execz .LBB865_53
; %bb.52:
	v_lshlrev_b32_e32 v4, 3, v3
	v_add_co_u32 v5, s30, s26, v3
	s_delay_alu instid0(VALU_DEP_1)
	v_add_co_ci_u32_e64 v6, null, s28, 0, s30
	s_clause 0x1
	global_load_b64 v[11:12], v4, s[8:9]
	global_load_b64 v[18:19], v4, s[22:23]
	s_waitcnt vmcnt(0)
	v_cmp_ne_u64_e32 vcc_lo, v[11:12], v[18:19]
	v_cndmask_b32_e64 v19, 0, 1, vcc_lo
.LBB865_53:
	s_or_b32 exec_lo, exec_lo, s2
	v_dual_mov_b32 v3, 0 :: v_dual_mov_b32 v18, 0
	v_mov_b32_e32 v4, 0
	v_or_b32_e32 v25, 0x600, v0
	v_mov_b32_e32 v22, 0
	s_delay_alu instid0(VALU_DEP_3) | instskip(NEXT) | instid1(VALU_DEP_3)
	v_dual_mov_b32 v12, v4 :: v_dual_mov_b32 v11, v3
	v_cmp_gt_u32_e64 s2, s29, v25
	s_delay_alu instid0(VALU_DEP_1)
	s_and_saveexec_b32 s30, s2
	s_cbranch_execz .LBB865_55
; %bb.54:
	v_lshlrev_b32_e32 v11, 3, v25
	s_clause 0x1
	global_load_b64 v[26:27], v11, s[8:9]
	global_load_b64 v[28:29], v11, s[22:23]
	v_add_co_u32 v11, s31, s26, v25
	s_delay_alu instid0(VALU_DEP_1)
	v_add_co_ci_u32_e64 v12, null, s28, 0, s31
	s_waitcnt vmcnt(0)
	v_cmp_ne_u64_e32 vcc_lo, v[26:27], v[28:29]
	v_cndmask_b32_e64 v22, 0, 1, vcc_lo
.LBB865_55:
	s_or_b32 exec_lo, exec_lo, s30
	v_or_b32_e32 v25, 0x700, v0
	s_delay_alu instid0(VALU_DEP_1)
	v_cmp_gt_u32_e32 vcc_lo, s29, v25
	s_and_saveexec_b32 s30, vcc_lo
	s_cbranch_execnz .LBB865_232
; %bb.56:
	s_or_b32 exec_lo, exec_lo, s30
	s_and_saveexec_b32 s9, s7
	s_cbranch_execnz .LBB865_233
.LBB865_57:
	s_or_b32 exec_lo, exec_lo, s9
	s_and_saveexec_b32 s8, s6
	s_cbranch_execnz .LBB865_234
.LBB865_58:
	s_or_b32 exec_lo, exec_lo, s8
	s_and_saveexec_b32 s7, s5
	s_cbranch_execnz .LBB865_235
.LBB865_59:
	s_or_b32 exec_lo, exec_lo, s7
	s_and_saveexec_b32 s6, s4
	s_cbranch_execnz .LBB865_236
.LBB865_60:
	s_or_b32 exec_lo, exec_lo, s6
	s_and_saveexec_b32 s5, s3
	s_cbranch_execnz .LBB865_237
.LBB865_61:
	s_or_b32 exec_lo, exec_lo, s5
	s_and_saveexec_b32 s4, s2
	s_cbranch_execnz .LBB865_238
.LBB865_62:
	s_or_b32 exec_lo, exec_lo, s4
	s_and_saveexec_b32 s3, vcc_lo
.LBB865_63:
	v_and_b32_e32 v5, 1, v18
	v_cmp_lt_i64_e32 vcc_lo, v[3:4], v[1:2]
	s_delay_alu instid0(VALU_DEP_2) | instskip(NEXT) | instid1(VALU_DEP_1)
	v_cmp_eq_u32_e64 s2, 1, v5
	s_and_b32 vcc_lo, s2, vcc_lo
	v_cndmask_b32_e64 v6, v17, 1, s2
	v_dual_cndmask_b32 v2, v2, v4 :: v_dual_and_b32 v5, 1, v17
	v_cndmask_b32_e32 v1, v1, v3, vcc_lo
	s_delay_alu instid0(VALU_DEP_2) | instskip(NEXT) | instid1(VALU_DEP_3)
	v_cmp_eq_u32_e32 vcc_lo, 1, v5
	v_cndmask_b32_e32 v2, v4, v2, vcc_lo
	v_cndmask_b32_e32 v17, v18, v6, vcc_lo
	s_delay_alu instid0(VALU_DEP_4)
	v_cndmask_b32_e32 v1, v3, v1, vcc_lo
.LBB865_64:
	s_or_b32 exec_lo, exec_lo, s3
	v_mbcnt_lo_u32_b32 v5, -1, 0
	v_and_b32_e32 v7, 0xe0, v0
	s_min_u32 s3, s29, 0x100
	v_and_b32_e32 v6, 0xffff, v17
	s_delay_alu instid0(VALU_DEP_3) | instskip(NEXT) | instid1(VALU_DEP_3)
	v_cmp_ne_u32_e32 vcc_lo, 31, v5
	v_sub_nc_u32_e64 v8, s3, v7 clamp
	v_add_nc_u32_e32 v7, 1, v5
	v_add_co_ci_u32_e32 v3, vcc_lo, 0, v5, vcc_lo
	s_delay_alu instid0(VALU_DEP_2) | instskip(NEXT) | instid1(VALU_DEP_2)
	v_cmp_lt_u32_e32 vcc_lo, v7, v8
	v_dual_mov_b32 v7, v6 :: v_dual_lshlrev_b32 v4, 2, v3
	ds_bpermute_b32 v9, v4, v6
	ds_bpermute_b32 v3, v4, v1
	;; [unrolled: 1-line block ×3, first 2 shown]
	s_and_saveexec_b32 s2, vcc_lo
	s_delay_alu instid0(SALU_CYCLE_1)
	s_xor_b32 s4, exec_lo, s2
	s_cbranch_execz .LBB865_66
; %bb.65:
	s_waitcnt lgkmcnt(2)
	v_and_b32_e32 v7, 1, v9
	s_waitcnt lgkmcnt(0)
	v_cmp_lt_i64_e32 vcc_lo, v[3:4], v[1:2]
	s_delay_alu instid0(VALU_DEP_2) | instskip(SKIP_1) | instid1(VALU_DEP_2)
	v_cmp_eq_u32_e64 s2, 1, v7
	v_and_b32_e32 v7, 1, v17
	v_cndmask_b32_e64 v6, v6, 1, s2
	s_and_b32 vcc_lo, s2, vcc_lo
	s_delay_alu instid0(VALU_DEP_2) | instskip(SKIP_1) | instid1(VALU_DEP_2)
	v_cmp_eq_u32_e64 s2, 1, v7
	v_dual_cndmask_b32 v2, v2, v4 :: v_dual_cndmask_b32 v1, v1, v3
	v_cndmask_b32_e64 v7, v9, v6, s2
	s_delay_alu instid0(VALU_DEP_2) | instskip(NEXT) | instid1(VALU_DEP_3)
	v_cndmask_b32_e64 v2, v4, v2, s2
	v_cndmask_b32_e64 v1, v3, v1, s2
	s_delay_alu instid0(VALU_DEP_3)
	v_and_b32_e32 v6, 0xff, v7
.LBB865_66:
	s_or_b32 exec_lo, exec_lo, s4
	v_cmp_gt_u32_e32 vcc_lo, 30, v5
	v_add_nc_u32_e32 v10, 2, v5
	s_mov_b32 s4, exec_lo
	s_waitcnt lgkmcnt(1)
	v_cndmask_b32_e64 v3, 0, 1, vcc_lo
	s_delay_alu instid0(VALU_DEP_1) | instskip(SKIP_1) | instid1(VALU_DEP_1)
	v_lshlrev_b32_e32 v3, 1, v3
	s_waitcnt lgkmcnt(0)
	v_add_lshl_u32 v4, v3, v5, 2
	ds_bpermute_b32 v9, v4, v6
	ds_bpermute_b32 v3, v4, v1
	ds_bpermute_b32 v4, v4, v2
	v_cmpx_lt_u32_e64 v10, v8
	s_cbranch_execz .LBB865_68
; %bb.67:
	s_waitcnt lgkmcnt(2)
	v_and_b32_e32 v6, 1, v9
	s_waitcnt lgkmcnt(0)
	v_cmp_lt_i64_e32 vcc_lo, v[3:4], v[1:2]
	s_delay_alu instid0(VALU_DEP_2) | instskip(SKIP_1) | instid1(VALU_DEP_2)
	v_cmp_eq_u32_e64 s2, 1, v6
	v_and_b32_e32 v6, 1, v7
	v_cndmask_b32_e64 v7, v7, 1, s2
	s_and_b32 vcc_lo, s2, vcc_lo
	s_delay_alu instid0(VALU_DEP_2) | instskip(SKIP_1) | instid1(VALU_DEP_2)
	v_cmp_eq_u32_e64 s2, 1, v6
	v_dual_cndmask_b32 v1, v1, v3 :: v_dual_cndmask_b32 v2, v2, v4
	v_cndmask_b32_e64 v7, v9, v7, s2
	s_delay_alu instid0(VALU_DEP_2) | instskip(NEXT) | instid1(VALU_DEP_3)
	v_cndmask_b32_e64 v1, v3, v1, s2
	v_cndmask_b32_e64 v2, v4, v2, s2
	s_delay_alu instid0(VALU_DEP_3)
	v_and_b32_e32 v6, 0xff, v7
.LBB865_68:
	s_or_b32 exec_lo, exec_lo, s4
	v_cmp_gt_u32_e32 vcc_lo, 28, v5
	v_add_nc_u32_e32 v10, 4, v5
	s_mov_b32 s4, exec_lo
	s_waitcnt lgkmcnt(1)
	v_cndmask_b32_e64 v3, 0, 1, vcc_lo
	s_delay_alu instid0(VALU_DEP_1) | instskip(SKIP_1) | instid1(VALU_DEP_1)
	v_lshlrev_b32_e32 v3, 2, v3
	s_waitcnt lgkmcnt(0)
	v_add_lshl_u32 v4, v3, v5, 2
	ds_bpermute_b32 v9, v4, v6
	ds_bpermute_b32 v3, v4, v1
	ds_bpermute_b32 v4, v4, v2
	v_cmpx_lt_u32_e64 v10, v8
	;; [unrolled: 35-line block ×4, first 2 shown]
	s_cbranch_execz .LBB865_74
; %bb.73:
	s_waitcnt lgkmcnt(2)
	v_and_b32_e32 v6, 1, v9
	s_waitcnt lgkmcnt(0)
	v_cmp_lt_i64_e32 vcc_lo, v[3:4], v[1:2]
	s_delay_alu instid0(VALU_DEP_2) | instskip(SKIP_1) | instid1(VALU_DEP_2)
	v_cmp_eq_u32_e64 s2, 1, v6
	v_and_b32_e32 v6, 1, v7
	v_cndmask_b32_e64 v7, v7, 1, s2
	s_and_b32 vcc_lo, s2, vcc_lo
	s_delay_alu instid0(VALU_DEP_2) | instskip(SKIP_1) | instid1(VALU_DEP_2)
	v_cmp_eq_u32_e64 s2, 1, v6
	v_dual_cndmask_b32 v1, v1, v3 :: v_dual_cndmask_b32 v2, v2, v4
	v_cndmask_b32_e64 v7, v9, v7, s2
	s_delay_alu instid0(VALU_DEP_2) | instskip(NEXT) | instid1(VALU_DEP_3)
	v_cndmask_b32_e64 v1, v3, v1, s2
	v_cndmask_b32_e64 v2, v4, v2, s2
	s_delay_alu instid0(VALU_DEP_3)
	v_and_b32_e32 v6, 0xff, v7
.LBB865_74:
	s_or_b32 exec_lo, exec_lo, s4
	s_delay_alu instid0(SALU_CYCLE_1)
	s_mov_b32 s2, exec_lo
	v_cmpx_eq_u32_e32 0, v5
	s_cbranch_execz .LBB865_76
; %bb.75:
	s_waitcnt lgkmcnt(1)
	v_lshrrev_b32_e32 v3, 1, v0
	s_delay_alu instid0(VALU_DEP_1)
	v_and_b32_e32 v3, 0x70, v3
	ds_store_b8 v3, v7 offset:512
	ds_store_b64 v3, v[1:2] offset:520
.LBB865_76:
	s_or_b32 exec_lo, exec_lo, s2
	s_delay_alu instid0(SALU_CYCLE_1)
	s_mov_b32 s4, exec_lo
	s_waitcnt lgkmcnt(0)
	s_barrier
	buffer_gl0_inv
	v_cmpx_gt_u32_e32 8, v0
	s_cbranch_execz .LBB865_84
; %bb.77:
	v_lshlrev_b32_e32 v1, 4, v5
	v_and_b32_e32 v8, 7, v5
	s_add_i32 s3, s3, 31
	s_mov_b32 s5, exec_lo
	s_lshr_b32 s3, s3, 5
	ds_load_u8 v7, v1 offset:512
	ds_load_b64 v[1:2], v1 offset:520
	v_cmp_ne_u32_e32 vcc_lo, 7, v8
	v_add_nc_u32_e32 v10, 1, v8
	v_add_co_ci_u32_e32 v3, vcc_lo, 0, v5, vcc_lo
	s_delay_alu instid0(VALU_DEP_1)
	v_lshlrev_b32_e32 v4, 2, v3
	s_waitcnt lgkmcnt(1)
	v_and_b32_e32 v6, 0xff, v7
	s_waitcnt lgkmcnt(0)
	ds_bpermute_b32 v3, v4, v1
	ds_bpermute_b32 v9, v4, v6
	;; [unrolled: 1-line block ×3, first 2 shown]
	v_cmpx_gt_u32_e64 s3, v10
	s_cbranch_execz .LBB865_79
; %bb.78:
	s_waitcnt lgkmcnt(1)
	v_and_b32_e32 v6, 1, v9
	s_waitcnt lgkmcnt(0)
	v_cmp_lt_i64_e32 vcc_lo, v[3:4], v[1:2]
	s_delay_alu instid0(VALU_DEP_2) | instskip(SKIP_1) | instid1(VALU_DEP_2)
	v_cmp_eq_u32_e64 s2, 1, v6
	v_and_b32_e32 v6, 1, v7
	v_cndmask_b32_e64 v7, v7, 1, s2
	s_and_b32 vcc_lo, s2, vcc_lo
	s_delay_alu instid0(VALU_DEP_2) | instskip(SKIP_1) | instid1(VALU_DEP_2)
	v_cmp_eq_u32_e64 s2, 1, v6
	v_dual_cndmask_b32 v1, v1, v3 :: v_dual_cndmask_b32 v2, v2, v4
	v_cndmask_b32_e64 v7, v9, v7, s2
	s_delay_alu instid0(VALU_DEP_2) | instskip(NEXT) | instid1(VALU_DEP_3)
	v_cndmask_b32_e64 v1, v3, v1, s2
	v_cndmask_b32_e64 v2, v4, v2, s2
	s_delay_alu instid0(VALU_DEP_3)
	v_and_b32_e32 v6, 0xff, v7
.LBB865_79:
	s_or_b32 exec_lo, exec_lo, s5
	v_cmp_gt_u32_e32 vcc_lo, 6, v8
	v_add_nc_u32_e32 v10, 2, v8
	s_mov_b32 s5, exec_lo
	s_waitcnt lgkmcnt(2)
	v_cndmask_b32_e64 v3, 0, 1, vcc_lo
	s_delay_alu instid0(VALU_DEP_1) | instskip(SKIP_1) | instid1(VALU_DEP_1)
	v_lshlrev_b32_e32 v3, 1, v3
	s_waitcnt lgkmcnt(0)
	v_add_lshl_u32 v4, v3, v5, 2
	ds_bpermute_b32 v9, v4, v6
	ds_bpermute_b32 v3, v4, v1
	;; [unrolled: 1-line block ×3, first 2 shown]
	v_cmpx_gt_u32_e64 s3, v10
	s_cbranch_execz .LBB865_81
; %bb.80:
	s_waitcnt lgkmcnt(2)
	v_and_b32_e32 v6, 1, v9
	s_waitcnt lgkmcnt(0)
	v_cmp_lt_i64_e32 vcc_lo, v[3:4], v[1:2]
	s_delay_alu instid0(VALU_DEP_2) | instskip(SKIP_1) | instid1(VALU_DEP_2)
	v_cmp_eq_u32_e64 s2, 1, v6
	v_and_b32_e32 v6, 1, v7
	v_cndmask_b32_e64 v7, v7, 1, s2
	s_and_b32 vcc_lo, s2, vcc_lo
	s_delay_alu instid0(VALU_DEP_2) | instskip(SKIP_1) | instid1(VALU_DEP_2)
	v_cmp_eq_u32_e64 s2, 1, v6
	v_dual_cndmask_b32 v1, v1, v3 :: v_dual_cndmask_b32 v2, v2, v4
	v_cndmask_b32_e64 v7, v9, v7, s2
	s_delay_alu instid0(VALU_DEP_2) | instskip(NEXT) | instid1(VALU_DEP_3)
	v_cndmask_b32_e64 v1, v3, v1, s2
	v_cndmask_b32_e64 v2, v4, v2, s2
	s_delay_alu instid0(VALU_DEP_3)
	v_and_b32_e32 v6, 0xff, v7
.LBB865_81:
	s_or_b32 exec_lo, exec_lo, s5
	v_cmp_gt_u32_e32 vcc_lo, 4, v8
	v_add_nc_u32_e32 v8, 4, v8
	s_waitcnt lgkmcnt(1)
	v_cndmask_b32_e64 v3, 0, 1, vcc_lo
	s_delay_alu instid0(VALU_DEP_2) | instskip(NEXT) | instid1(VALU_DEP_2)
	v_cmp_gt_u32_e32 vcc_lo, s3, v8
	v_lshlrev_b32_e32 v3, 2, v3
	s_waitcnt lgkmcnt(0)
	s_delay_alu instid0(VALU_DEP_1)
	v_add_lshl_u32 v4, v3, v5, 2
	ds_bpermute_b32 v5, v4, v6
	ds_bpermute_b32 v3, v4, v1
	;; [unrolled: 1-line block ×3, first 2 shown]
	s_and_saveexec_b32 s3, vcc_lo
	s_cbranch_execz .LBB865_83
; %bb.82:
	s_waitcnt lgkmcnt(2)
	v_and_b32_e32 v6, 1, v5
	s_waitcnt lgkmcnt(0)
	v_cmp_lt_i64_e32 vcc_lo, v[3:4], v[1:2]
	s_delay_alu instid0(VALU_DEP_2) | instskip(SKIP_1) | instid1(VALU_DEP_2)
	v_cmp_eq_u32_e64 s2, 1, v6
	v_and_b32_e32 v6, 1, v7
	v_cndmask_b32_e64 v7, v7, 1, s2
	s_and_b32 vcc_lo, s2, vcc_lo
	s_delay_alu instid0(VALU_DEP_2) | instskip(SKIP_1) | instid1(VALU_DEP_2)
	v_cmp_eq_u32_e64 s2, 1, v6
	v_dual_cndmask_b32 v1, v1, v3 :: v_dual_cndmask_b32 v2, v2, v4
	v_cndmask_b32_e64 v5, v5, v7, s2
	s_delay_alu instid0(VALU_DEP_2) | instskip(NEXT) | instid1(VALU_DEP_3)
	v_cndmask_b32_e64 v1, v3, v1, s2
	v_cndmask_b32_e64 v2, v4, v2, s2
	s_delay_alu instid0(VALU_DEP_3)
	v_and_b32_e32 v6, 0xff, v5
.LBB865_83:
	s_or_b32 exec_lo, exec_lo, s3
.LBB865_84:
	s_delay_alu instid0(SALU_CYCLE_1)
	s_or_b32 exec_lo, exec_lo, s4
.LBB865_85:
	s_mov_b32 s26, 0
                                        ; implicit-def: $vgpr3_vgpr4
                                        ; implicit-def: $vgpr5
	s_mov_b32 s2, exec_lo
	v_cmpx_eq_u32_e32 0, v0
	s_xor_b32 s4, exec_lo, s2
	s_cbranch_execz .LBB865_89
; %bb.86:
	s_waitcnt lgkmcnt(0)
	v_dual_mov_b32 v3, s20 :: v_dual_mov_b32 v4, s21
	v_mov_b32_e32 v5, s24
	s_cmp_eq_u64 s[14:15], 0
	s_cbranch_scc1 .LBB865_88
; %bb.87:
	v_and_b32_e32 v3, 1, v6
	v_cmp_gt_i64_e32 vcc_lo, s[20:21], v[1:2]
	s_bitcmp1_b32 s24, 0
	s_cselect_b32 s3, -1, 0
	s_delay_alu instid0(VALU_DEP_2) | instskip(NEXT) | instid1(VALU_DEP_1)
	v_cmp_eq_u32_e64 s2, 1, v3
	s_and_b32 vcc_lo, s2, vcc_lo
	v_cndmask_b32_e64 v3, s24, 1, s2
	v_cndmask_b32_e32 v7, s20, v1, vcc_lo
	v_cndmask_b32_e32 v4, s21, v2, vcc_lo
	s_delay_alu instid0(VALU_DEP_3) | instskip(NEXT) | instid1(VALU_DEP_3)
	v_cndmask_b32_e64 v5, v6, v3, s3
	v_cndmask_b32_e64 v3, v1, v7, s3
	s_delay_alu instid0(VALU_DEP_3)
	v_cndmask_b32_e64 v4, v2, v4, s3
.LBB865_88:
	s_mov_b32 s26, exec_lo
.LBB865_89:
	s_or_b32 exec_lo, exec_lo, s4
	s_delay_alu instid0(SALU_CYCLE_1)
	s_and_b32 vcc_lo, exec_lo, s27
	s_cbranch_vccnz .LBB865_22
.LBB865_90:
	s_branch .LBB865_200
.LBB865_91:
                                        ; implicit-def: $vgpr1_vgpr2
                                        ; implicit-def: $vgpr6
	s_cbranch_execz .LBB865_124
; %bb.92:
	s_waitcnt lgkmcnt(2)
	v_mov_b32_e32 v5, 0
	v_dual_mov_b32 v6, 0 :: v_dual_mov_b32 v11, 0
	s_delay_alu instid0(VALU_DEP_2) | instskip(SKIP_2) | instid1(VALU_DEP_3)
	v_mov_b32_e32 v1, v5
	v_mov_b32_e32 v9, 0
	s_sub_i32 s22, s14, s22
	v_mov_b32_e32 v2, v6
	s_mov_b32 s2, exec_lo
	v_cmpx_gt_u32_e64 s22, v0
	s_cbranch_execz .LBB865_94
; %bb.93:
	v_lshlrev_b32_e32 v1, 3, v0
	s_waitcnt lgkmcnt(0)
	s_clause 0x1
	global_load_b64 v[3:4], v1, s[6:7]
	global_load_b64 v[7:8], v1, s[8:9]
	v_add_co_u32 v1, s3, s5, v0
	s_delay_alu instid0(VALU_DEP_1)
	v_add_co_ci_u32_e64 v2, null, s23, 0, s3
	s_waitcnt vmcnt(0)
	v_cmp_ne_u64_e32 vcc_lo, v[3:4], v[7:8]
	v_cndmask_b32_e64 v9, 0, 1, vcc_lo
.LBB865_94:
	s_or_b32 exec_lo, exec_lo, s2
	s_waitcnt lgkmcnt(1)
	v_or_b32_e32 v3, 0x100, v0
	s_delay_alu instid0(VALU_DEP_1) | instskip(NEXT) | instid1(VALU_DEP_1)
	v_cmp_gt_u32_e64 s3, s22, v3
	s_and_saveexec_b32 s2, s3
	s_cbranch_execz .LBB865_96
; %bb.95:
	s_waitcnt lgkmcnt(0)
	v_lshlrev_b32_e32 v4, 3, v0
	v_add_co_u32 v5, s4, s5, v3
	s_delay_alu instid0(VALU_DEP_1)
	v_add_co_ci_u32_e64 v6, null, s23, 0, s4
	s_clause 0x1
	global_load_b64 v[7:8], v4, s[6:7] offset:2048
	global_load_b64 v[10:11], v4, s[8:9] offset:2048
	s_waitcnt vmcnt(0)
	v_cmp_ne_u64_e32 vcc_lo, v[7:8], v[10:11]
	v_cndmask_b32_e64 v11, 0, 1, vcc_lo
.LBB865_96:
	s_or_b32 exec_lo, exec_lo, s2
	s_waitcnt lgkmcnt(0)
	v_dual_mov_b32 v3, 0 :: v_dual_mov_b32 v10, 0
	v_mov_b32_e32 v4, 0
	v_or_b32_e32 v13, 0x200, v0
	v_mov_b32_e32 v12, 0
	s_delay_alu instid0(VALU_DEP_3) | instskip(NEXT) | instid1(VALU_DEP_3)
	v_dual_mov_b32 v8, v4 :: v_dual_mov_b32 v7, v3
	v_cmp_gt_u32_e64 s2, s22, v13
	s_delay_alu instid0(VALU_DEP_1)
	s_and_saveexec_b32 s4, s2
	s_cbranch_execz .LBB865_98
; %bb.97:
	v_lshlrev_b32_e32 v7, 3, v13
	s_clause 0x1
	global_load_b64 v[14:15], v7, s[6:7]
	global_load_b64 v[16:17], v7, s[8:9]
	v_add_co_u32 v7, s27, s5, v13
	s_delay_alu instid0(VALU_DEP_1)
	v_add_co_ci_u32_e64 v8, null, s23, 0, s27
	s_waitcnt vmcnt(0)
	v_cmp_ne_u64_e32 vcc_lo, v[14:15], v[16:17]
	v_cndmask_b32_e64 v12, 0, 1, vcc_lo
.LBB865_98:
	s_or_b32 exec_lo, exec_lo, s4
	v_or_b32_e32 v13, 0x300, v0
	s_delay_alu instid0(VALU_DEP_1)
	v_cmp_gt_u32_e32 vcc_lo, s22, v13
	s_and_saveexec_b32 s27, vcc_lo
	s_cbranch_execnz .LBB865_239
; %bb.99:
	s_or_b32 exec_lo, exec_lo, s27
	s_and_saveexec_b32 s5, s3
	s_cbranch_execnz .LBB865_240
.LBB865_100:
	s_or_b32 exec_lo, exec_lo, s5
	s_and_saveexec_b32 s4, s2
	s_cbranch_execnz .LBB865_241
.LBB865_101:
	s_or_b32 exec_lo, exec_lo, s4
	s_and_saveexec_b32 s3, vcc_lo
.LBB865_102:
	v_and_b32_e32 v5, 1, v10
	v_cmp_lt_i64_e32 vcc_lo, v[3:4], v[1:2]
	s_delay_alu instid0(VALU_DEP_2) | instskip(NEXT) | instid1(VALU_DEP_1)
	v_cmp_eq_u32_e64 s2, 1, v5
	s_and_b32 vcc_lo, s2, vcc_lo
	v_cndmask_b32_e64 v6, v9, 1, s2
	v_dual_cndmask_b32 v2, v2, v4 :: v_dual_and_b32 v5, 1, v9
	v_cndmask_b32_e32 v1, v1, v3, vcc_lo
	s_delay_alu instid0(VALU_DEP_2) | instskip(NEXT) | instid1(VALU_DEP_3)
	v_cmp_eq_u32_e32 vcc_lo, 1, v5
	v_cndmask_b32_e32 v2, v4, v2, vcc_lo
	v_cndmask_b32_e32 v9, v10, v6, vcc_lo
	s_delay_alu instid0(VALU_DEP_4)
	v_cndmask_b32_e32 v1, v3, v1, vcc_lo
.LBB865_103:
	s_or_b32 exec_lo, exec_lo, s3
	v_mbcnt_lo_u32_b32 v5, -1, 0
	v_and_b32_e32 v7, 0xe0, v0
	s_min_u32 s3, s22, 0x100
	v_and_b32_e32 v6, 0xffff, v9
	s_delay_alu instid0(VALU_DEP_3) | instskip(NEXT) | instid1(VALU_DEP_3)
	v_cmp_ne_u32_e32 vcc_lo, 31, v5
	v_sub_nc_u32_e64 v8, s3, v7 clamp
	v_add_nc_u32_e32 v7, 1, v5
	v_add_co_ci_u32_e32 v3, vcc_lo, 0, v5, vcc_lo
	s_delay_alu instid0(VALU_DEP_2) | instskip(NEXT) | instid1(VALU_DEP_2)
	v_cmp_lt_u32_e32 vcc_lo, v7, v8
	v_dual_mov_b32 v7, v6 :: v_dual_lshlrev_b32 v4, 2, v3
	ds_bpermute_b32 v10, v4, v6
	ds_bpermute_b32 v3, v4, v1
	;; [unrolled: 1-line block ×3, first 2 shown]
	s_and_saveexec_b32 s2, vcc_lo
	s_delay_alu instid0(SALU_CYCLE_1)
	s_xor_b32 s4, exec_lo, s2
	s_cbranch_execz .LBB865_105
; %bb.104:
	s_waitcnt lgkmcnt(2)
	v_and_b32_e32 v7, 1, v10
	s_waitcnt lgkmcnt(0)
	v_cmp_lt_i64_e32 vcc_lo, v[3:4], v[1:2]
	s_delay_alu instid0(VALU_DEP_2) | instskip(SKIP_1) | instid1(VALU_DEP_2)
	v_cmp_eq_u32_e64 s2, 1, v7
	v_and_b32_e32 v7, 1, v9
	v_cndmask_b32_e64 v6, v6, 1, s2
	s_and_b32 vcc_lo, s2, vcc_lo
	s_delay_alu instid0(VALU_DEP_2) | instskip(SKIP_1) | instid1(VALU_DEP_2)
	v_cmp_eq_u32_e64 s2, 1, v7
	v_dual_cndmask_b32 v2, v2, v4 :: v_dual_cndmask_b32 v1, v1, v3
	v_cndmask_b32_e64 v7, v10, v6, s2
	s_delay_alu instid0(VALU_DEP_2) | instskip(NEXT) | instid1(VALU_DEP_3)
	v_cndmask_b32_e64 v2, v4, v2, s2
	v_cndmask_b32_e64 v1, v3, v1, s2
	s_delay_alu instid0(VALU_DEP_3)
	v_and_b32_e32 v6, 0xff, v7
.LBB865_105:
	s_or_b32 exec_lo, exec_lo, s4
	v_cmp_gt_u32_e32 vcc_lo, 30, v5
	s_waitcnt lgkmcnt(2)
	v_add_nc_u32_e32 v10, 2, v5
	s_mov_b32 s4, exec_lo
	s_waitcnt lgkmcnt(1)
	v_cndmask_b32_e64 v3, 0, 1, vcc_lo
	s_delay_alu instid0(VALU_DEP_1) | instskip(SKIP_1) | instid1(VALU_DEP_1)
	v_lshlrev_b32_e32 v3, 1, v3
	s_waitcnt lgkmcnt(0)
	v_add_lshl_u32 v4, v3, v5, 2
	ds_bpermute_b32 v9, v4, v6
	ds_bpermute_b32 v3, v4, v1
	ds_bpermute_b32 v4, v4, v2
	v_cmpx_lt_u32_e64 v10, v8
	s_cbranch_execz .LBB865_107
; %bb.106:
	s_waitcnt lgkmcnt(2)
	v_and_b32_e32 v6, 1, v9
	s_waitcnt lgkmcnt(0)
	v_cmp_lt_i64_e32 vcc_lo, v[3:4], v[1:2]
	s_delay_alu instid0(VALU_DEP_2) | instskip(SKIP_1) | instid1(VALU_DEP_2)
	v_cmp_eq_u32_e64 s2, 1, v6
	v_and_b32_e32 v6, 1, v7
	v_cndmask_b32_e64 v7, v7, 1, s2
	s_and_b32 vcc_lo, s2, vcc_lo
	s_delay_alu instid0(VALU_DEP_2) | instskip(SKIP_1) | instid1(VALU_DEP_2)
	v_cmp_eq_u32_e64 s2, 1, v6
	v_dual_cndmask_b32 v1, v1, v3 :: v_dual_cndmask_b32 v2, v2, v4
	v_cndmask_b32_e64 v7, v9, v7, s2
	s_delay_alu instid0(VALU_DEP_2) | instskip(NEXT) | instid1(VALU_DEP_3)
	v_cndmask_b32_e64 v1, v3, v1, s2
	v_cndmask_b32_e64 v2, v4, v2, s2
	s_delay_alu instid0(VALU_DEP_3)
	v_and_b32_e32 v6, 0xff, v7
.LBB865_107:
	s_or_b32 exec_lo, exec_lo, s4
	v_cmp_gt_u32_e32 vcc_lo, 28, v5
	v_add_nc_u32_e32 v10, 4, v5
	s_mov_b32 s4, exec_lo
	s_waitcnt lgkmcnt(1)
	v_cndmask_b32_e64 v3, 0, 1, vcc_lo
	s_delay_alu instid0(VALU_DEP_1) | instskip(SKIP_1) | instid1(VALU_DEP_1)
	v_lshlrev_b32_e32 v3, 2, v3
	s_waitcnt lgkmcnt(0)
	v_add_lshl_u32 v4, v3, v5, 2
	ds_bpermute_b32 v9, v4, v6
	ds_bpermute_b32 v3, v4, v1
	ds_bpermute_b32 v4, v4, v2
	v_cmpx_lt_u32_e64 v10, v8
	s_cbranch_execz .LBB865_109
; %bb.108:
	s_waitcnt lgkmcnt(2)
	v_and_b32_e32 v6, 1, v9
	s_waitcnt lgkmcnt(0)
	v_cmp_lt_i64_e32 vcc_lo, v[3:4], v[1:2]
	s_delay_alu instid0(VALU_DEP_2) | instskip(SKIP_1) | instid1(VALU_DEP_2)
	v_cmp_eq_u32_e64 s2, 1, v6
	v_and_b32_e32 v6, 1, v7
	v_cndmask_b32_e64 v7, v7, 1, s2
	s_and_b32 vcc_lo, s2, vcc_lo
	s_delay_alu instid0(VALU_DEP_2) | instskip(SKIP_1) | instid1(VALU_DEP_2)
	v_cmp_eq_u32_e64 s2, 1, v6
	v_dual_cndmask_b32 v1, v1, v3 :: v_dual_cndmask_b32 v2, v2, v4
	v_cndmask_b32_e64 v7, v9, v7, s2
	s_delay_alu instid0(VALU_DEP_2) | instskip(NEXT) | instid1(VALU_DEP_3)
	v_cndmask_b32_e64 v1, v3, v1, s2
	v_cndmask_b32_e64 v2, v4, v2, s2
	s_delay_alu instid0(VALU_DEP_3)
	v_and_b32_e32 v6, 0xff, v7
.LBB865_109:
	s_or_b32 exec_lo, exec_lo, s4
	v_cmp_gt_u32_e32 vcc_lo, 24, v5
	;; [unrolled: 35-line block ×3, first 2 shown]
	v_add_nc_u32_e32 v10, 16, v5
	s_mov_b32 s4, exec_lo
	s_waitcnt lgkmcnt(1)
	v_cndmask_b32_e64 v3, 0, 1, vcc_lo
	s_delay_alu instid0(VALU_DEP_1) | instskip(SKIP_1) | instid1(VALU_DEP_1)
	v_lshlrev_b32_e32 v3, 4, v3
	s_waitcnt lgkmcnt(0)
	v_add_lshl_u32 v4, v3, v5, 2
	ds_bpermute_b32 v9, v4, v6
	ds_bpermute_b32 v3, v4, v1
	;; [unrolled: 1-line block ×3, first 2 shown]
	v_cmpx_lt_u32_e64 v10, v8
	s_cbranch_execz .LBB865_113
; %bb.112:
	s_waitcnt lgkmcnt(2)
	v_and_b32_e32 v6, 1, v9
	s_waitcnt lgkmcnt(0)
	v_cmp_lt_i64_e32 vcc_lo, v[3:4], v[1:2]
	s_delay_alu instid0(VALU_DEP_2) | instskip(SKIP_1) | instid1(VALU_DEP_2)
	v_cmp_eq_u32_e64 s2, 1, v6
	v_and_b32_e32 v6, 1, v7
	v_cndmask_b32_e64 v7, v7, 1, s2
	s_and_b32 vcc_lo, s2, vcc_lo
	s_delay_alu instid0(VALU_DEP_2) | instskip(SKIP_1) | instid1(VALU_DEP_2)
	v_cmp_eq_u32_e64 s2, 1, v6
	v_dual_cndmask_b32 v1, v1, v3 :: v_dual_cndmask_b32 v2, v2, v4
	v_cndmask_b32_e64 v7, v9, v7, s2
	s_delay_alu instid0(VALU_DEP_2) | instskip(NEXT) | instid1(VALU_DEP_3)
	v_cndmask_b32_e64 v1, v3, v1, s2
	v_cndmask_b32_e64 v2, v4, v2, s2
	s_delay_alu instid0(VALU_DEP_3)
	v_and_b32_e32 v6, 0xff, v7
.LBB865_113:
	s_or_b32 exec_lo, exec_lo, s4
	s_delay_alu instid0(SALU_CYCLE_1)
	s_mov_b32 s2, exec_lo
	v_cmpx_eq_u32_e32 0, v5
	s_cbranch_execz .LBB865_115
; %bb.114:
	s_waitcnt lgkmcnt(1)
	v_lshrrev_b32_e32 v3, 1, v0
	s_delay_alu instid0(VALU_DEP_1)
	v_and_b32_e32 v3, 0x70, v3
	ds_store_b8 v3, v7 offset:512
	ds_store_b64 v3, v[1:2] offset:520
.LBB865_115:
	s_or_b32 exec_lo, exec_lo, s2
	s_delay_alu instid0(SALU_CYCLE_1)
	s_mov_b32 s4, exec_lo
	s_waitcnt lgkmcnt(0)
	s_barrier
	buffer_gl0_inv
	v_cmpx_gt_u32_e32 8, v0
	s_cbranch_execz .LBB865_123
; %bb.116:
	v_lshlrev_b32_e32 v1, 4, v5
	v_and_b32_e32 v8, 7, v5
	s_add_i32 s3, s3, 31
	s_mov_b32 s5, exec_lo
	s_lshr_b32 s3, s3, 5
	ds_load_u8 v7, v1 offset:512
	ds_load_b64 v[1:2], v1 offset:520
	v_cmp_ne_u32_e32 vcc_lo, 7, v8
	v_add_nc_u32_e32 v10, 1, v8
	v_add_co_ci_u32_e32 v3, vcc_lo, 0, v5, vcc_lo
	s_delay_alu instid0(VALU_DEP_1)
	v_lshlrev_b32_e32 v4, 2, v3
	s_waitcnt lgkmcnt(1)
	v_and_b32_e32 v6, 0xff, v7
	s_waitcnt lgkmcnt(0)
	ds_bpermute_b32 v3, v4, v1
	ds_bpermute_b32 v9, v4, v6
	;; [unrolled: 1-line block ×3, first 2 shown]
	v_cmpx_gt_u32_e64 s3, v10
	s_cbranch_execz .LBB865_118
; %bb.117:
	s_waitcnt lgkmcnt(1)
	v_and_b32_e32 v6, 1, v9
	s_waitcnt lgkmcnt(0)
	v_cmp_lt_i64_e32 vcc_lo, v[3:4], v[1:2]
	s_delay_alu instid0(VALU_DEP_2) | instskip(SKIP_1) | instid1(VALU_DEP_2)
	v_cmp_eq_u32_e64 s2, 1, v6
	v_and_b32_e32 v6, 1, v7
	v_cndmask_b32_e64 v7, v7, 1, s2
	s_and_b32 vcc_lo, s2, vcc_lo
	s_delay_alu instid0(VALU_DEP_2) | instskip(SKIP_1) | instid1(VALU_DEP_2)
	v_cmp_eq_u32_e64 s2, 1, v6
	v_dual_cndmask_b32 v1, v1, v3 :: v_dual_cndmask_b32 v2, v2, v4
	v_cndmask_b32_e64 v7, v9, v7, s2
	s_delay_alu instid0(VALU_DEP_2) | instskip(NEXT) | instid1(VALU_DEP_3)
	v_cndmask_b32_e64 v1, v3, v1, s2
	v_cndmask_b32_e64 v2, v4, v2, s2
	s_delay_alu instid0(VALU_DEP_3)
	v_and_b32_e32 v6, 0xff, v7
.LBB865_118:
	s_or_b32 exec_lo, exec_lo, s5
	v_cmp_gt_u32_e32 vcc_lo, 6, v8
	v_add_nc_u32_e32 v10, 2, v8
	s_mov_b32 s5, exec_lo
	s_waitcnt lgkmcnt(2)
	v_cndmask_b32_e64 v3, 0, 1, vcc_lo
	s_delay_alu instid0(VALU_DEP_1) | instskip(SKIP_1) | instid1(VALU_DEP_1)
	v_lshlrev_b32_e32 v3, 1, v3
	s_waitcnt lgkmcnt(0)
	v_add_lshl_u32 v4, v3, v5, 2
	ds_bpermute_b32 v9, v4, v6
	ds_bpermute_b32 v3, v4, v1
	ds_bpermute_b32 v4, v4, v2
	v_cmpx_gt_u32_e64 s3, v10
	s_cbranch_execz .LBB865_120
; %bb.119:
	s_waitcnt lgkmcnt(2)
	v_and_b32_e32 v6, 1, v9
	s_waitcnt lgkmcnt(0)
	v_cmp_lt_i64_e32 vcc_lo, v[3:4], v[1:2]
	s_delay_alu instid0(VALU_DEP_2) | instskip(SKIP_1) | instid1(VALU_DEP_2)
	v_cmp_eq_u32_e64 s2, 1, v6
	v_and_b32_e32 v6, 1, v7
	v_cndmask_b32_e64 v7, v7, 1, s2
	s_and_b32 vcc_lo, s2, vcc_lo
	s_delay_alu instid0(VALU_DEP_2) | instskip(SKIP_1) | instid1(VALU_DEP_2)
	v_cmp_eq_u32_e64 s2, 1, v6
	v_dual_cndmask_b32 v1, v1, v3 :: v_dual_cndmask_b32 v2, v2, v4
	v_cndmask_b32_e64 v7, v9, v7, s2
	s_delay_alu instid0(VALU_DEP_2) | instskip(NEXT) | instid1(VALU_DEP_3)
	v_cndmask_b32_e64 v1, v3, v1, s2
	v_cndmask_b32_e64 v2, v4, v2, s2
	s_delay_alu instid0(VALU_DEP_3)
	v_and_b32_e32 v6, 0xff, v7
.LBB865_120:
	s_or_b32 exec_lo, exec_lo, s5
	v_cmp_gt_u32_e32 vcc_lo, 4, v8
	v_add_nc_u32_e32 v8, 4, v8
	s_waitcnt lgkmcnt(1)
	v_cndmask_b32_e64 v3, 0, 1, vcc_lo
	s_delay_alu instid0(VALU_DEP_2) | instskip(NEXT) | instid1(VALU_DEP_2)
	v_cmp_gt_u32_e32 vcc_lo, s3, v8
	v_lshlrev_b32_e32 v3, 2, v3
	s_waitcnt lgkmcnt(0)
	s_delay_alu instid0(VALU_DEP_1)
	v_add_lshl_u32 v4, v3, v5, 2
	ds_bpermute_b32 v5, v4, v6
	ds_bpermute_b32 v3, v4, v1
	;; [unrolled: 1-line block ×3, first 2 shown]
	s_and_saveexec_b32 s3, vcc_lo
	s_cbranch_execz .LBB865_122
; %bb.121:
	s_waitcnt lgkmcnt(2)
	v_and_b32_e32 v6, 1, v5
	s_waitcnt lgkmcnt(0)
	v_cmp_lt_i64_e32 vcc_lo, v[3:4], v[1:2]
	s_delay_alu instid0(VALU_DEP_2) | instskip(SKIP_1) | instid1(VALU_DEP_2)
	v_cmp_eq_u32_e64 s2, 1, v6
	v_and_b32_e32 v6, 1, v7
	v_cndmask_b32_e64 v7, v7, 1, s2
	s_and_b32 vcc_lo, s2, vcc_lo
	s_delay_alu instid0(VALU_DEP_2) | instskip(SKIP_1) | instid1(VALU_DEP_2)
	v_cmp_eq_u32_e64 s2, 1, v6
	v_dual_cndmask_b32 v1, v1, v3 :: v_dual_cndmask_b32 v2, v2, v4
	v_cndmask_b32_e64 v5, v5, v7, s2
	s_delay_alu instid0(VALU_DEP_2) | instskip(NEXT) | instid1(VALU_DEP_3)
	v_cndmask_b32_e64 v1, v3, v1, s2
	v_cndmask_b32_e64 v2, v4, v2, s2
	s_delay_alu instid0(VALU_DEP_3)
	v_and_b32_e32 v6, 0xff, v5
.LBB865_122:
	s_or_b32 exec_lo, exec_lo, s3
.LBB865_123:
	s_delay_alu instid0(SALU_CYCLE_1)
	s_or_b32 exec_lo, exec_lo, s4
.LBB865_124:
                                        ; implicit-def: $vgpr3_vgpr4
                                        ; implicit-def: $vgpr5
	s_delay_alu instid0(SALU_CYCLE_1)
	s_mov_b32 s2, exec_lo
	v_cmpx_eq_u32_e32 0, v0
	s_xor_b32 s4, exec_lo, s2
	s_cbranch_execz .LBB865_128
; %bb.125:
	s_waitcnt lgkmcnt(0)
	v_dual_mov_b32 v3, s20 :: v_dual_mov_b32 v4, s21
	v_mov_b32_e32 v5, s24
	s_cmp_eq_u64 s[14:15], 0
	s_cbranch_scc1 .LBB865_127
; %bb.126:
	v_and_b32_e32 v3, 1, v6
	v_cmp_gt_i64_e32 vcc_lo, s[20:21], v[1:2]
	s_bitcmp1_b32 s24, 0
	s_cselect_b32 s3, -1, 0
	s_delay_alu instid0(VALU_DEP_2) | instskip(NEXT) | instid1(VALU_DEP_1)
	v_cmp_eq_u32_e64 s2, 1, v3
	s_and_b32 vcc_lo, s2, vcc_lo
	v_cndmask_b32_e64 v3, s24, 1, s2
	v_cndmask_b32_e32 v7, s20, v1, vcc_lo
	v_cndmask_b32_e32 v4, s21, v2, vcc_lo
	s_delay_alu instid0(VALU_DEP_3) | instskip(NEXT) | instid1(VALU_DEP_3)
	v_cndmask_b32_e64 v5, v6, v3, s3
	v_cndmask_b32_e64 v3, v1, v7, s3
	s_delay_alu instid0(VALU_DEP_3)
	v_cndmask_b32_e64 v4, v2, v4, s3
.LBB865_127:
	s_or_b32 s26, s26, exec_lo
.LBB865_128:
	s_or_b32 exec_lo, exec_lo, s4
	s_branch .LBB865_200
.LBB865_129:
	s_cmp_gt_i32 s25, 1
	s_cbranch_scc0 .LBB865_147
; %bb.130:
	s_cmp_eq_u32 s25, 2
	s_cbranch_scc0 .LBB865_148
; %bb.131:
	s_mov_b32 s11, 0
	s_lshl_b32 s8, s10, 9
	s_mov_b32 s9, s11
	s_lshr_b64 s[28:29], s[14:15], 9
	s_lshl_b64 s[2:3], s[8:9], 3
	s_delay_alu instid0(SALU_CYCLE_1)
	s_add_u32 s4, s16, s2
	s_addc_u32 s5, s17, s3
	s_add_u32 s6, s18, s2
	s_addc_u32 s7, s19, s3
	;; [unrolled: 2-line block ×3, first 2 shown]
	s_cmp_lg_u64 s[28:29], s[10:11]
	s_cbranch_scc0 .LBB865_149
; %bb.132:
	v_lshlrev_b32_e32 v7, 3, v0
	v_add_co_u32 v9, s2, s9, v0
	s_delay_alu instid0(VALU_DEP_1)
	v_add_co_ci_u32_e64 v10, null, s22, 0, s2
	global_load_b64 v[1:2], v7, s[6:7] offset:2048
	s_waitcnt lgkmcnt(0)
	s_clause 0x2
	global_load_b64 v[3:4], v7, s[6:7]
	global_load_b64 v[5:6], v7, s[4:5] offset:2048
	global_load_b64 v[7:8], v7, s[4:5]
	v_add_co_u32 v11, vcc_lo, 0x100, v9
	v_add_co_ci_u32_e32 v12, vcc_lo, 0, v10, vcc_lo
	s_mov_b32 s23, exec_lo
	s_waitcnt vmcnt(1)
	v_cmp_ne_u64_e32 vcc_lo, v[5:6], v[1:2]
	s_waitcnt vmcnt(0)
	v_cmp_ne_u64_e64 s2, v[7:8], v[3:4]
	s_delay_alu instid0(VALU_DEP_1) | instskip(SKIP_3) | instid1(VALU_DEP_3)
	s_or_b32 s3, s2, vcc_lo
	v_cndmask_b32_e64 v2, v12, v10, s2
	v_cndmask_b32_e64 v5, 0, 1, s3
	;; [unrolled: 1-line block ×3, first 2 shown]
	v_mov_b32_dpp v4, v2 quad_perm:[1,0,3,2] row_mask:0xf bank_mask:0xf
	s_delay_alu instid0(VALU_DEP_3) | instskip(NEXT) | instid1(VALU_DEP_3)
	v_mov_b32_dpp v6, v5 quad_perm:[1,0,3,2] row_mask:0xf bank_mask:0xf
	v_mov_b32_dpp v3, v1 quad_perm:[1,0,3,2] row_mask:0xf bank_mask:0xf
	s_delay_alu instid0(VALU_DEP_2) | instskip(NEXT) | instid1(VALU_DEP_1)
	v_and_b32_e32 v7, 1, v6
	v_cmpx_eq_u32_e32 1, v7
; %bb.133:
	v_cndmask_b32_e64 v5, v6, 1, s3
	s_delay_alu instid0(VALU_DEP_4) | instskip(NEXT) | instid1(VALU_DEP_2)
	v_cmp_lt_i64_e32 vcc_lo, v[1:2], v[3:4]
	v_and_b32_e32 v6, 1, v5
	v_and_b32_e32 v5, 0xff, v5
	s_and_b32 vcc_lo, s3, vcc_lo
	s_and_not1_b32 s3, s3, exec_lo
	v_dual_cndmask_b32 v2, v4, v2 :: v_dual_cndmask_b32 v1, v3, v1
	v_cmp_eq_u32_e64 s2, 1, v6
	s_delay_alu instid0(VALU_DEP_1) | instskip(NEXT) | instid1(SALU_CYCLE_1)
	s_and_b32 s2, s2, exec_lo
	s_or_b32 s3, s3, s2
; %bb.134:
	s_or_b32 exec_lo, exec_lo, s23
	v_mov_b32_dpp v6, v5 quad_perm:[2,3,0,1] row_mask:0xf bank_mask:0xf
	v_mov_b32_dpp v3, v1 quad_perm:[2,3,0,1] row_mask:0xf bank_mask:0xf
	;; [unrolled: 1-line block ×3, first 2 shown]
	s_mov_b32 s23, exec_lo
	s_delay_alu instid0(VALU_DEP_3) | instskip(NEXT) | instid1(VALU_DEP_1)
	v_and_b32_e32 v7, 1, v6
	v_cmpx_eq_u32_e32 1, v7
; %bb.135:
	v_cndmask_b32_e64 v5, v6, 1, s3
	v_cmp_lt_i64_e32 vcc_lo, v[1:2], v[3:4]
	s_delay_alu instid0(VALU_DEP_2)
	v_and_b32_e32 v6, 1, v5
	v_and_b32_e32 v5, 0xff, v5
	s_and_b32 vcc_lo, s3, vcc_lo
	s_and_not1_b32 s3, s3, exec_lo
	v_dual_cndmask_b32 v2, v4, v2 :: v_dual_cndmask_b32 v1, v3, v1
	v_cmp_eq_u32_e64 s2, 1, v6
	s_delay_alu instid0(VALU_DEP_1) | instskip(NEXT) | instid1(SALU_CYCLE_1)
	s_and_b32 s2, s2, exec_lo
	s_or_b32 s3, s3, s2
; %bb.136:
	s_or_b32 exec_lo, exec_lo, s23
	v_mov_b32_dpp v6, v5 row_ror:4 row_mask:0xf bank_mask:0xf
	v_mov_b32_dpp v3, v1 row_ror:4 row_mask:0xf bank_mask:0xf
	;; [unrolled: 1-line block ×3, first 2 shown]
	s_mov_b32 s23, exec_lo
	s_delay_alu instid0(VALU_DEP_3) | instskip(NEXT) | instid1(VALU_DEP_1)
	v_and_b32_e32 v7, 1, v6
	v_cmpx_eq_u32_e32 1, v7
; %bb.137:
	v_cndmask_b32_e64 v5, v6, 1, s3
	v_cmp_lt_i64_e32 vcc_lo, v[1:2], v[3:4]
	s_delay_alu instid0(VALU_DEP_2)
	v_and_b32_e32 v6, 1, v5
	v_and_b32_e32 v5, 0xff, v5
	s_and_b32 vcc_lo, s3, vcc_lo
	s_and_not1_b32 s3, s3, exec_lo
	v_dual_cndmask_b32 v2, v4, v2 :: v_dual_cndmask_b32 v1, v3, v1
	v_cmp_eq_u32_e64 s2, 1, v6
	s_delay_alu instid0(VALU_DEP_1) | instskip(NEXT) | instid1(SALU_CYCLE_1)
	s_and_b32 s2, s2, exec_lo
	s_or_b32 s3, s3, s2
; %bb.138:
	s_or_b32 exec_lo, exec_lo, s23
	v_mov_b32_dpp v6, v5 row_ror:8 row_mask:0xf bank_mask:0xf
	v_mov_b32_dpp v3, v1 row_ror:8 row_mask:0xf bank_mask:0xf
	;; [unrolled: 1-line block ×3, first 2 shown]
	s_mov_b32 s23, exec_lo
	s_delay_alu instid0(VALU_DEP_3) | instskip(NEXT) | instid1(VALU_DEP_1)
	v_and_b32_e32 v7, 1, v6
	v_cmpx_eq_u32_e32 1, v7
; %bb.139:
	v_cndmask_b32_e64 v5, v6, 1, s3
	v_cmp_lt_i64_e32 vcc_lo, v[1:2], v[3:4]
	s_delay_alu instid0(VALU_DEP_2)
	v_and_b32_e32 v6, 1, v5
	v_and_b32_e32 v5, 0xff, v5
	s_and_b32 vcc_lo, s3, vcc_lo
	s_and_not1_b32 s3, s3, exec_lo
	v_dual_cndmask_b32 v2, v4, v2 :: v_dual_cndmask_b32 v1, v3, v1
	v_cmp_eq_u32_e64 s2, 1, v6
	s_delay_alu instid0(VALU_DEP_1) | instskip(NEXT) | instid1(SALU_CYCLE_1)
	s_and_b32 s2, s2, exec_lo
	s_or_b32 s3, s3, s2
; %bb.140:
	s_or_b32 exec_lo, exec_lo, s23
	ds_swizzle_b32 v6, v5 offset:swizzle(BROADCAST,32,15)
	ds_swizzle_b32 v3, v1 offset:swizzle(BROADCAST,32,15)
	ds_swizzle_b32 v4, v2 offset:swizzle(BROADCAST,32,15)
	s_mov_b32 s2, exec_lo
	s_waitcnt lgkmcnt(2)
	v_and_b32_e32 v7, 1, v6
	s_delay_alu instid0(VALU_DEP_1)
	v_cmpx_eq_u32_e32 1, v7
	s_cbranch_execz .LBB865_142
; %bb.141:
	s_waitcnt lgkmcnt(0)
	v_cmp_lt_i64_e32 vcc_lo, v[1:2], v[3:4]
	v_and_b32_e32 v5, 0xff, v6
	s_delay_alu instid0(VALU_DEP_1)
	v_cndmask_b32_e64 v5, v5, 1, s3
	s_and_b32 vcc_lo, s3, vcc_lo
	v_dual_cndmask_b32 v1, v3, v1 :: v_dual_cndmask_b32 v2, v4, v2
.LBB865_142:
	s_or_b32 exec_lo, exec_lo, s2
	s_waitcnt lgkmcnt(1)
	v_mov_b32_e32 v3, 0
	s_mov_b32 s2, exec_lo
	ds_bpermute_b32 v6, v3, v5 offset:124
	ds_bpermute_b32 v1, v3, v1 offset:124
	;; [unrolled: 1-line block ×3, first 2 shown]
	v_mbcnt_lo_u32_b32 v3, -1, 0
	s_delay_alu instid0(VALU_DEP_1)
	v_cmpx_eq_u32_e32 0, v3
	s_cbranch_execz .LBB865_144
; %bb.143:
	s_waitcnt lgkmcnt(3)
	v_lshrrev_b32_e32 v4, 1, v0
	s_delay_alu instid0(VALU_DEP_1)
	v_and_b32_e32 v4, 0x70, v4
	s_waitcnt lgkmcnt(2)
	ds_store_b8 v4, v6 offset:128
	s_waitcnt lgkmcnt(1)
	ds_store_b64 v4, v[1:2] offset:136
.LBB865_144:
	s_or_b32 exec_lo, exec_lo, s2
	s_delay_alu instid0(SALU_CYCLE_1)
	s_mov_b32 s23, exec_lo
	s_waitcnt lgkmcnt(0)
	s_barrier
	buffer_gl0_inv
	v_cmpx_gt_u32_e32 32, v0
	s_cbranch_execz .LBB865_146
; %bb.145:
	v_and_b32_e32 v6, 7, v3
	s_delay_alu instid0(VALU_DEP_1)
	v_lshlrev_b32_e32 v1, 4, v6
	v_cmp_ne_u32_e32 vcc_lo, 7, v6
	ds_load_u8 v7, v1 offset:128
	ds_load_b64 v[1:2], v1 offset:136
	v_add_co_ci_u32_e32 v4, vcc_lo, 0, v3, vcc_lo
	v_cmp_gt_u32_e32 vcc_lo, 6, v6
	s_delay_alu instid0(VALU_DEP_2)
	v_lshlrev_b32_e32 v5, 2, v4
	v_cndmask_b32_e64 v10, 0, 1, vcc_lo
	s_waitcnt lgkmcnt(1)
	v_and_b32_e32 v4, 0xff, v7
	v_and_b32_e32 v11, 1, v7
	ds_bpermute_b32 v8, v5, v4
	s_waitcnt lgkmcnt(1)
	ds_bpermute_b32 v4, v5, v1
	ds_bpermute_b32 v5, v5, v2
	v_cmp_eq_u32_e64 s3, 1, v11
	s_waitcnt lgkmcnt(2)
	v_and_b32_e32 v9, 1, v8
	s_waitcnt lgkmcnt(0)
	v_cmp_lt_i64_e64 s2, v[4:5], v[1:2]
	s_delay_alu instid0(VALU_DEP_2) | instskip(SKIP_2) | instid1(VALU_DEP_4)
	v_cmp_eq_u32_e32 vcc_lo, 1, v9
	v_lshlrev_b32_e32 v9, 1, v10
	v_cndmask_b32_e64 v7, v7, 1, vcc_lo
	s_and_b32 vcc_lo, vcc_lo, s2
	v_dual_cndmask_b32 v1, v1, v4 :: v_dual_cndmask_b32 v2, v2, v5
	s_delay_alu instid0(VALU_DEP_2) | instskip(SKIP_2) | instid1(VALU_DEP_4)
	v_cndmask_b32_e64 v7, v8, v7, s3
	v_add_lshl_u32 v8, v9, v3, 2
	v_cmp_gt_u32_e32 vcc_lo, 4, v6
	v_cndmask_b32_e64 v1, v4, v1, s3
	v_cndmask_b32_e64 v2, v5, v2, s3
	v_and_b32_e32 v9, 0xff, v7
	v_and_b32_e32 v10, 1, v7
	v_cndmask_b32_e64 v6, 0, 1, vcc_lo
	ds_bpermute_b32 v4, v8, v1
	ds_bpermute_b32 v5, v8, v2
	;; [unrolled: 1-line block ×3, first 2 shown]
	v_cmp_eq_u32_e64 s3, 1, v10
	s_waitcnt lgkmcnt(1)
	v_cmp_lt_i64_e64 s2, v[4:5], v[1:2]
	s_waitcnt lgkmcnt(0)
	v_and_b32_e32 v8, 1, v9
	s_delay_alu instid0(VALU_DEP_1) | instskip(SKIP_1) | instid1(VALU_DEP_4)
	v_cmp_eq_u32_e32 vcc_lo, 1, v8
	v_cndmask_b32_e64 v7, v7, 1, vcc_lo
	s_and_b32 vcc_lo, vcc_lo, s2
	v_dual_cndmask_b32 v1, v1, v4 :: v_dual_cndmask_b32 v2, v2, v5
	s_delay_alu instid0(VALU_DEP_2) | instskip(NEXT) | instid1(VALU_DEP_2)
	v_cndmask_b32_e64 v7, v9, v7, s3
	v_cndmask_b32_e64 v1, v4, v1, s3
	v_lshlrev_b32_e32 v6, 2, v6
	s_delay_alu instid0(VALU_DEP_4) | instskip(NEXT) | instid1(VALU_DEP_2)
	v_cndmask_b32_e64 v2, v5, v2, s3
	v_add_lshl_u32 v6, v6, v3, 2
	v_and_b32_e32 v3, 0xff, v7
	ds_bpermute_b32 v4, v6, v2
	ds_bpermute_b32 v5, v6, v3
	;; [unrolled: 1-line block ×3, first 2 shown]
	s_waitcnt lgkmcnt(1)
	v_and_b32_e32 v6, 1, v5
	s_waitcnt lgkmcnt(0)
	v_cmp_lt_i64_e32 vcc_lo, v[3:4], v[1:2]
	s_delay_alu instid0(VALU_DEP_2) | instskip(SKIP_1) | instid1(VALU_DEP_2)
	v_cmp_eq_u32_e64 s2, 1, v6
	v_and_b32_e32 v6, 1, v7
	v_cndmask_b32_e64 v7, v7, 1, s2
	s_and_b32 vcc_lo, s2, vcc_lo
	s_delay_alu instid0(VALU_DEP_2) | instskip(SKIP_1) | instid1(VALU_DEP_2)
	v_cmp_eq_u32_e64 s2, 1, v6
	v_dual_cndmask_b32 v1, v1, v3 :: v_dual_cndmask_b32 v2, v2, v4
	v_cndmask_b32_e64 v5, v5, v7, s2
	s_delay_alu instid0(VALU_DEP_2) | instskip(NEXT) | instid1(VALU_DEP_3)
	v_cndmask_b32_e64 v1, v3, v1, s2
	v_cndmask_b32_e64 v2, v4, v2, s2
	s_delay_alu instid0(VALU_DEP_3)
	v_and_b32_e32 v6, 0xff, v5
.LBB865_146:
	s_or_b32 exec_lo, exec_lo, s23
	s_branch .LBB865_177
.LBB865_147:
                                        ; implicit-def: $vgpr3_vgpr4
                                        ; implicit-def: $vgpr5
	s_cbranch_execnz .LBB865_182
	s_branch .LBB865_200
.LBB865_148:
                                        ; implicit-def: $vgpr3_vgpr4
                                        ; implicit-def: $vgpr5
	s_branch .LBB865_200
.LBB865_149:
                                        ; implicit-def: $vgpr1_vgpr2
                                        ; implicit-def: $vgpr6
	s_cbranch_execz .LBB865_177
; %bb.150:
	s_waitcnt lgkmcnt(0)
	v_mov_b32_e32 v3, 0
	v_dual_mov_b32 v4, 0 :: v_dual_mov_b32 v5, 0
	s_delay_alu instid0(VALU_DEP_2) | instskip(SKIP_2) | instid1(VALU_DEP_3)
	v_mov_b32_e32 v1, v3
	v_mov_b32_e32 v7, 0
	s_sub_i32 s3, s14, s8
	v_mov_b32_e32 v2, v4
	s_mov_b32 s2, exec_lo
	v_cmpx_gt_u32_e64 s3, v0
	s_cbranch_execz .LBB865_152
; %bb.151:
	v_lshlrev_b32_e32 v1, 3, v0
	s_clause 0x1
	global_load_b64 v[6:7], v1, s[4:5]
	global_load_b64 v[8:9], v1, s[6:7]
	v_add_co_u32 v1, s8, s9, v0
	s_delay_alu instid0(VALU_DEP_1)
	v_add_co_ci_u32_e64 v2, null, s22, 0, s8
	s_waitcnt vmcnt(0)
	v_cmp_ne_u64_e32 vcc_lo, v[6:7], v[8:9]
	v_cndmask_b32_e64 v7, 0, 1, vcc_lo
.LBB865_152:
	s_or_b32 exec_lo, exec_lo, s2
	v_or_b32_e32 v6, 0x100, v0
	s_delay_alu instid0(VALU_DEP_1)
	v_cmp_gt_u32_e32 vcc_lo, s3, v6
	s_and_saveexec_b32 s8, vcc_lo
	s_cbranch_execz .LBB865_154
; %bb.153:
	v_lshlrev_b32_e32 v3, 3, v0
	s_clause 0x1
	global_load_b64 v[8:9], v3, s[4:5] offset:2048
	global_load_b64 v[10:11], v3, s[6:7] offset:2048
	v_add_co_u32 v3, s2, s9, v6
	s_delay_alu instid0(VALU_DEP_1) | instskip(SKIP_2) | instid1(VALU_DEP_1)
	v_add_co_ci_u32_e64 v4, null, s22, 0, s2
	s_waitcnt vmcnt(0)
	v_cmp_ne_u64_e64 s2, v[8:9], v[10:11]
	v_cndmask_b32_e64 v5, 0, 1, s2
.LBB865_154:
	s_or_b32 exec_lo, exec_lo, s8
	s_and_saveexec_b32 s4, vcc_lo
; %bb.155:
	s_delay_alu instid0(VALU_DEP_1) | instskip(SKIP_1) | instid1(VALU_DEP_2)
	v_and_b32_e32 v6, 1, v5
	v_cmp_lt_i64_e32 vcc_lo, v[3:4], v[1:2]
	v_cmp_eq_u32_e64 s2, 1, v6
	s_delay_alu instid0(VALU_DEP_1) | instskip(SKIP_4) | instid1(VALU_DEP_3)
	s_and_b32 vcc_lo, s2, vcc_lo
	v_cndmask_b32_e32 v1, v1, v3, vcc_lo
	v_and_b32_e32 v6, 1, v7
	v_cndmask_b32_e64 v7, v7, 1, s2
	v_cndmask_b32_e32 v2, v2, v4, vcc_lo
	v_cmp_eq_u32_e32 vcc_lo, 1, v6
	s_delay_alu instid0(VALU_DEP_2)
	v_dual_cndmask_b32 v7, v5, v7 :: v_dual_cndmask_b32 v2, v4, v2
	v_cndmask_b32_e32 v1, v3, v1, vcc_lo
; %bb.156:
	s_or_b32 exec_lo, exec_lo, s4
	v_mbcnt_lo_u32_b32 v5, -1, 0
	s_delay_alu instid0(VALU_DEP_3)
	v_and_b32_e32 v6, 0xffff, v7
	v_and_b32_e32 v8, 0xe0, v0
	s_min_u32 s3, s3, 0x100
	s_mov_b32 s4, exec_lo
	v_cmp_ne_u32_e32 vcc_lo, 31, v5
	v_add_nc_u32_e32 v10, 1, v5
	v_sub_nc_u32_e64 v8, s3, v8 clamp
	v_add_co_ci_u32_e32 v3, vcc_lo, 0, v5, vcc_lo
	s_delay_alu instid0(VALU_DEP_1)
	v_lshlrev_b32_e32 v4, 2, v3
	ds_bpermute_b32 v9, v4, v6
	ds_bpermute_b32 v3, v4, v1
	ds_bpermute_b32 v4, v4, v2
	v_cmpx_lt_u32_e64 v10, v8
	s_cbranch_execz .LBB865_158
; %bb.157:
	s_waitcnt lgkmcnt(2)
	v_and_b32_e32 v6, 1, v9
	s_waitcnt lgkmcnt(0)
	v_cmp_lt_i64_e32 vcc_lo, v[3:4], v[1:2]
	s_delay_alu instid0(VALU_DEP_2) | instskip(SKIP_1) | instid1(VALU_DEP_2)
	v_cmp_eq_u32_e64 s2, 1, v6
	v_and_b32_e32 v6, 1, v7
	v_cndmask_b32_e64 v7, v7, 1, s2
	s_and_b32 vcc_lo, s2, vcc_lo
	s_delay_alu instid0(VALU_DEP_2) | instskip(SKIP_1) | instid1(VALU_DEP_2)
	v_cmp_eq_u32_e64 s2, 1, v6
	v_dual_cndmask_b32 v1, v1, v3 :: v_dual_cndmask_b32 v2, v2, v4
	v_cndmask_b32_e64 v7, v9, v7, s2
	s_delay_alu instid0(VALU_DEP_2) | instskip(NEXT) | instid1(VALU_DEP_3)
	v_cndmask_b32_e64 v1, v3, v1, s2
	v_cndmask_b32_e64 v2, v4, v2, s2
	s_delay_alu instid0(VALU_DEP_3)
	v_and_b32_e32 v6, 0xff, v7
.LBB865_158:
	s_or_b32 exec_lo, exec_lo, s4
	v_cmp_gt_u32_e32 vcc_lo, 30, v5
	v_add_nc_u32_e32 v10, 2, v5
	s_mov_b32 s4, exec_lo
	s_waitcnt lgkmcnt(1)
	v_cndmask_b32_e64 v3, 0, 1, vcc_lo
	s_delay_alu instid0(VALU_DEP_1) | instskip(SKIP_1) | instid1(VALU_DEP_1)
	v_lshlrev_b32_e32 v3, 1, v3
	s_waitcnt lgkmcnt(0)
	v_add_lshl_u32 v4, v3, v5, 2
	ds_bpermute_b32 v9, v4, v6
	ds_bpermute_b32 v3, v4, v1
	ds_bpermute_b32 v4, v4, v2
	v_cmpx_lt_u32_e64 v10, v8
	s_cbranch_execz .LBB865_160
; %bb.159:
	s_waitcnt lgkmcnt(2)
	v_and_b32_e32 v6, 1, v9
	s_waitcnt lgkmcnt(0)
	v_cmp_lt_i64_e32 vcc_lo, v[3:4], v[1:2]
	s_delay_alu instid0(VALU_DEP_2) | instskip(SKIP_1) | instid1(VALU_DEP_2)
	v_cmp_eq_u32_e64 s2, 1, v6
	v_and_b32_e32 v6, 1, v7
	v_cndmask_b32_e64 v7, v7, 1, s2
	s_and_b32 vcc_lo, s2, vcc_lo
	s_delay_alu instid0(VALU_DEP_2) | instskip(SKIP_1) | instid1(VALU_DEP_2)
	v_cmp_eq_u32_e64 s2, 1, v6
	v_dual_cndmask_b32 v1, v1, v3 :: v_dual_cndmask_b32 v2, v2, v4
	v_cndmask_b32_e64 v7, v9, v7, s2
	s_delay_alu instid0(VALU_DEP_2) | instskip(NEXT) | instid1(VALU_DEP_3)
	v_cndmask_b32_e64 v1, v3, v1, s2
	v_cndmask_b32_e64 v2, v4, v2, s2
	s_delay_alu instid0(VALU_DEP_3)
	v_and_b32_e32 v6, 0xff, v7
.LBB865_160:
	s_or_b32 exec_lo, exec_lo, s4
	v_cmp_gt_u32_e32 vcc_lo, 28, v5
	v_add_nc_u32_e32 v10, 4, v5
	s_mov_b32 s4, exec_lo
	s_waitcnt lgkmcnt(1)
	v_cndmask_b32_e64 v3, 0, 1, vcc_lo
	s_delay_alu instid0(VALU_DEP_1) | instskip(SKIP_1) | instid1(VALU_DEP_1)
	v_lshlrev_b32_e32 v3, 2, v3
	s_waitcnt lgkmcnt(0)
	v_add_lshl_u32 v4, v3, v5, 2
	;; [unrolled: 35-line block ×4, first 2 shown]
	ds_bpermute_b32 v9, v4, v6
	ds_bpermute_b32 v3, v4, v1
	;; [unrolled: 1-line block ×3, first 2 shown]
	v_cmpx_lt_u32_e64 v10, v8
	s_cbranch_execz .LBB865_166
; %bb.165:
	s_waitcnt lgkmcnt(2)
	v_and_b32_e32 v6, 1, v9
	s_waitcnt lgkmcnt(0)
	v_cmp_lt_i64_e32 vcc_lo, v[3:4], v[1:2]
	s_delay_alu instid0(VALU_DEP_2) | instskip(SKIP_1) | instid1(VALU_DEP_2)
	v_cmp_eq_u32_e64 s2, 1, v6
	v_and_b32_e32 v6, 1, v7
	v_cndmask_b32_e64 v7, v7, 1, s2
	s_and_b32 vcc_lo, s2, vcc_lo
	s_delay_alu instid0(VALU_DEP_2) | instskip(SKIP_1) | instid1(VALU_DEP_2)
	v_cmp_eq_u32_e64 s2, 1, v6
	v_dual_cndmask_b32 v1, v1, v3 :: v_dual_cndmask_b32 v2, v2, v4
	v_cndmask_b32_e64 v7, v9, v7, s2
	s_delay_alu instid0(VALU_DEP_2) | instskip(NEXT) | instid1(VALU_DEP_3)
	v_cndmask_b32_e64 v1, v3, v1, s2
	v_cndmask_b32_e64 v2, v4, v2, s2
	s_delay_alu instid0(VALU_DEP_3)
	v_and_b32_e32 v6, 0xff, v7
.LBB865_166:
	s_or_b32 exec_lo, exec_lo, s4
	s_delay_alu instid0(SALU_CYCLE_1)
	s_mov_b32 s2, exec_lo
	v_cmpx_eq_u32_e32 0, v5
	s_cbranch_execz .LBB865_168
; %bb.167:
	s_waitcnt lgkmcnt(1)
	v_lshrrev_b32_e32 v3, 1, v0
	s_delay_alu instid0(VALU_DEP_1)
	v_and_b32_e32 v3, 0x70, v3
	ds_store_b8 v3, v7 offset:512
	ds_store_b64 v3, v[1:2] offset:520
.LBB865_168:
	s_or_b32 exec_lo, exec_lo, s2
	s_delay_alu instid0(SALU_CYCLE_1)
	s_mov_b32 s4, exec_lo
	s_waitcnt lgkmcnt(0)
	s_barrier
	buffer_gl0_inv
	v_cmpx_gt_u32_e32 8, v0
	s_cbranch_execz .LBB865_176
; %bb.169:
	v_lshlrev_b32_e32 v1, 4, v5
	v_and_b32_e32 v8, 7, v5
	s_add_i32 s3, s3, 31
	s_mov_b32 s5, exec_lo
	s_lshr_b32 s3, s3, 5
	ds_load_u8 v7, v1 offset:512
	ds_load_b64 v[1:2], v1 offset:520
	v_cmp_ne_u32_e32 vcc_lo, 7, v8
	v_add_nc_u32_e32 v10, 1, v8
	v_add_co_ci_u32_e32 v3, vcc_lo, 0, v5, vcc_lo
	s_delay_alu instid0(VALU_DEP_1)
	v_lshlrev_b32_e32 v4, 2, v3
	s_waitcnt lgkmcnt(1)
	v_and_b32_e32 v6, 0xff, v7
	s_waitcnt lgkmcnt(0)
	ds_bpermute_b32 v3, v4, v1
	ds_bpermute_b32 v9, v4, v6
	;; [unrolled: 1-line block ×3, first 2 shown]
	v_cmpx_gt_u32_e64 s3, v10
	s_cbranch_execz .LBB865_171
; %bb.170:
	s_waitcnt lgkmcnt(1)
	v_and_b32_e32 v6, 1, v9
	s_waitcnt lgkmcnt(0)
	v_cmp_lt_i64_e32 vcc_lo, v[3:4], v[1:2]
	s_delay_alu instid0(VALU_DEP_2) | instskip(SKIP_1) | instid1(VALU_DEP_2)
	v_cmp_eq_u32_e64 s2, 1, v6
	v_and_b32_e32 v6, 1, v7
	v_cndmask_b32_e64 v7, v7, 1, s2
	s_and_b32 vcc_lo, s2, vcc_lo
	s_delay_alu instid0(VALU_DEP_2) | instskip(SKIP_1) | instid1(VALU_DEP_2)
	v_cmp_eq_u32_e64 s2, 1, v6
	v_dual_cndmask_b32 v1, v1, v3 :: v_dual_cndmask_b32 v2, v2, v4
	v_cndmask_b32_e64 v7, v9, v7, s2
	s_delay_alu instid0(VALU_DEP_2) | instskip(NEXT) | instid1(VALU_DEP_3)
	v_cndmask_b32_e64 v1, v3, v1, s2
	v_cndmask_b32_e64 v2, v4, v2, s2
	s_delay_alu instid0(VALU_DEP_3)
	v_and_b32_e32 v6, 0xff, v7
.LBB865_171:
	s_or_b32 exec_lo, exec_lo, s5
	v_cmp_gt_u32_e32 vcc_lo, 6, v8
	v_add_nc_u32_e32 v10, 2, v8
	s_mov_b32 s5, exec_lo
	s_waitcnt lgkmcnt(2)
	v_cndmask_b32_e64 v3, 0, 1, vcc_lo
	s_delay_alu instid0(VALU_DEP_1) | instskip(SKIP_1) | instid1(VALU_DEP_1)
	v_lshlrev_b32_e32 v3, 1, v3
	s_waitcnt lgkmcnt(0)
	v_add_lshl_u32 v4, v3, v5, 2
	ds_bpermute_b32 v9, v4, v6
	ds_bpermute_b32 v3, v4, v1
	ds_bpermute_b32 v4, v4, v2
	v_cmpx_gt_u32_e64 s3, v10
	s_cbranch_execz .LBB865_173
; %bb.172:
	s_waitcnt lgkmcnt(2)
	v_and_b32_e32 v6, 1, v9
	s_waitcnt lgkmcnt(0)
	v_cmp_lt_i64_e32 vcc_lo, v[3:4], v[1:2]
	s_delay_alu instid0(VALU_DEP_2) | instskip(SKIP_1) | instid1(VALU_DEP_2)
	v_cmp_eq_u32_e64 s2, 1, v6
	v_and_b32_e32 v6, 1, v7
	v_cndmask_b32_e64 v7, v7, 1, s2
	s_and_b32 vcc_lo, s2, vcc_lo
	s_delay_alu instid0(VALU_DEP_2) | instskip(SKIP_1) | instid1(VALU_DEP_2)
	v_cmp_eq_u32_e64 s2, 1, v6
	v_dual_cndmask_b32 v1, v1, v3 :: v_dual_cndmask_b32 v2, v2, v4
	v_cndmask_b32_e64 v7, v9, v7, s2
	s_delay_alu instid0(VALU_DEP_2) | instskip(NEXT) | instid1(VALU_DEP_3)
	v_cndmask_b32_e64 v1, v3, v1, s2
	v_cndmask_b32_e64 v2, v4, v2, s2
	s_delay_alu instid0(VALU_DEP_3)
	v_and_b32_e32 v6, 0xff, v7
.LBB865_173:
	s_or_b32 exec_lo, exec_lo, s5
	v_cmp_gt_u32_e32 vcc_lo, 4, v8
	v_add_nc_u32_e32 v8, 4, v8
	s_waitcnt lgkmcnt(1)
	v_cndmask_b32_e64 v3, 0, 1, vcc_lo
	s_delay_alu instid0(VALU_DEP_2) | instskip(NEXT) | instid1(VALU_DEP_2)
	v_cmp_gt_u32_e32 vcc_lo, s3, v8
	v_lshlrev_b32_e32 v3, 2, v3
	s_waitcnt lgkmcnt(0)
	s_delay_alu instid0(VALU_DEP_1)
	v_add_lshl_u32 v4, v3, v5, 2
	ds_bpermute_b32 v5, v4, v6
	ds_bpermute_b32 v3, v4, v1
	ds_bpermute_b32 v4, v4, v2
	s_and_saveexec_b32 s3, vcc_lo
	s_cbranch_execz .LBB865_175
; %bb.174:
	s_waitcnt lgkmcnt(2)
	v_and_b32_e32 v6, 1, v5
	s_waitcnt lgkmcnt(0)
	v_cmp_lt_i64_e32 vcc_lo, v[3:4], v[1:2]
	s_delay_alu instid0(VALU_DEP_2) | instskip(SKIP_1) | instid1(VALU_DEP_2)
	v_cmp_eq_u32_e64 s2, 1, v6
	v_and_b32_e32 v6, 1, v7
	v_cndmask_b32_e64 v7, v7, 1, s2
	s_and_b32 vcc_lo, s2, vcc_lo
	s_delay_alu instid0(VALU_DEP_2) | instskip(SKIP_1) | instid1(VALU_DEP_2)
	v_cmp_eq_u32_e64 s2, 1, v6
	v_dual_cndmask_b32 v1, v1, v3 :: v_dual_cndmask_b32 v2, v2, v4
	v_cndmask_b32_e64 v5, v5, v7, s2
	s_delay_alu instid0(VALU_DEP_2) | instskip(NEXT) | instid1(VALU_DEP_3)
	v_cndmask_b32_e64 v1, v3, v1, s2
	v_cndmask_b32_e64 v2, v4, v2, s2
	s_delay_alu instid0(VALU_DEP_3)
	v_and_b32_e32 v6, 0xff, v5
.LBB865_175:
	s_or_b32 exec_lo, exec_lo, s3
.LBB865_176:
	s_delay_alu instid0(SALU_CYCLE_1)
	s_or_b32 exec_lo, exec_lo, s4
.LBB865_177:
                                        ; implicit-def: $vgpr3_vgpr4
                                        ; implicit-def: $vgpr5
	s_delay_alu instid0(SALU_CYCLE_1)
	s_mov_b32 s2, exec_lo
	v_cmpx_eq_u32_e32 0, v0
	s_xor_b32 s4, exec_lo, s2
	s_cbranch_execz .LBB865_181
; %bb.178:
	s_waitcnt lgkmcnt(0)
	v_dual_mov_b32 v3, s20 :: v_dual_mov_b32 v4, s21
	v_mov_b32_e32 v5, s24
	s_cmp_eq_u64 s[14:15], 0
	s_cbranch_scc1 .LBB865_180
; %bb.179:
	v_and_b32_e32 v3, 1, v6
	v_cmp_gt_i64_e32 vcc_lo, s[20:21], v[1:2]
	s_bitcmp1_b32 s24, 0
	s_cselect_b32 s3, -1, 0
	s_delay_alu instid0(VALU_DEP_2) | instskip(NEXT) | instid1(VALU_DEP_1)
	v_cmp_eq_u32_e64 s2, 1, v3
	s_and_b32 vcc_lo, s2, vcc_lo
	v_cndmask_b32_e64 v3, s24, 1, s2
	v_cndmask_b32_e32 v7, s20, v1, vcc_lo
	v_cndmask_b32_e32 v4, s21, v2, vcc_lo
	s_delay_alu instid0(VALU_DEP_3) | instskip(NEXT) | instid1(VALU_DEP_3)
	v_cndmask_b32_e64 v5, v6, v3, s3
	v_cndmask_b32_e64 v3, v1, v7, s3
	s_delay_alu instid0(VALU_DEP_3)
	v_cndmask_b32_e64 v4, v2, v4, s3
.LBB865_180:
	s_or_b32 s26, s26, exec_lo
.LBB865_181:
	s_or_b32 exec_lo, exec_lo, s4
	s_branch .LBB865_200
.LBB865_182:
	s_cmp_eq_u32 s25, 1
	s_cbranch_scc0 .LBB865_199
; %bb.183:
	s_mov_b32 s5, 0
	s_lshr_b64 s[2:3], s[14:15], 8
	s_mov_b32 s11, s5
	s_lshl_b32 s4, s10, 8
	s_cmp_lg_u64 s[2:3], s[10:11]
	s_cbranch_scc0 .LBB865_203
; %bb.184:
	s_lshl_b64 s[2:3], s[4:5], 3
	s_waitcnt lgkmcnt(1)
	v_lshlrev_b32_e32 v3, 3, v0
	s_add_u32 s6, s16, s2
	s_addc_u32 s7, s17, s3
	s_add_u32 s2, s18, s2
	s_addc_u32 s3, s19, s3
	global_load_b64 v[1:2], v3, s[6:7]
	s_waitcnt lgkmcnt(0)
	global_load_b64 v[3:4], v3, s[2:3]
	s_add_u32 s2, s12, s4
	s_addc_u32 s3, s13, 0
	s_waitcnt vmcnt(0)
	v_cmp_ne_u64_e32 vcc_lo, v[1:2], v[3:4]
	v_cndmask_b32_e64 v1, 0, 1, vcc_lo
	v_cndmask_b32_e64 v6, 0, 1, vcc_lo
	s_delay_alu instid0(VALU_DEP_2) | instskip(SKIP_1) | instid1(VALU_DEP_1)
	v_mov_b32_dpp v5, v1 quad_perm:[1,0,3,2] row_mask:0xf bank_mask:0xf
	v_add_co_u32 v1, s2, s2, v0
	v_add_co_ci_u32_e64 v2, null, s3, 0, s2
	s_delay_alu instid0(VALU_DEP_3) | instskip(NEXT) | instid1(VALU_DEP_3)
	v_and_b32_e32 v7, 1, v5
	v_mov_b32_dpp v3, v1 quad_perm:[1,0,3,2] row_mask:0xf bank_mask:0xf
	s_mov_b32 s3, exec_lo
	s_delay_alu instid0(VALU_DEP_3) | instskip(NEXT) | instid1(VALU_DEP_3)
	v_mov_b32_dpp v4, v2 quad_perm:[1,0,3,2] row_mask:0xf bank_mask:0xf
	v_cmpx_eq_u32_e32 1, v7
; %bb.185:
	s_delay_alu instid0(VALU_DEP_2) | instskip(SKIP_1) | instid1(VALU_DEP_2)
	v_cmp_lt_i64_e64 s2, v[1:2], v[3:4]
	v_cndmask_b32_e64 v6, v5, 1, vcc_lo
	s_and_b32 vcc_lo, vcc_lo, s2
	v_dual_cndmask_b32 v2, v4, v2 :: v_dual_cndmask_b32 v1, v3, v1
; %bb.186:
	s_or_b32 exec_lo, exec_lo, s3
	s_delay_alu instid0(VALU_DEP_2) | instskip(SKIP_1) | instid1(VALU_DEP_3)
	v_and_b32_e32 v5, 0xff, v6
	v_and_b32_e32 v6, 1, v6
	v_mov_b32_dpp v3, v1 quad_perm:[2,3,0,1] row_mask:0xf bank_mask:0xf
	v_mov_b32_dpp v4, v2 quad_perm:[2,3,0,1] row_mask:0xf bank_mask:0xf
	s_mov_b32 s6, exec_lo
	v_mov_b32_dpp v7, v5 quad_perm:[2,3,0,1] row_mask:0xf bank_mask:0xf
	v_cmp_eq_u32_e64 s3, 1, v6
	s_delay_alu instid0(VALU_DEP_2) | instskip(NEXT) | instid1(VALU_DEP_1)
	v_and_b32_e32 v8, 1, v7
	v_cmpx_eq_u32_e32 1, v8
; %bb.187:
	s_delay_alu instid0(VALU_DEP_3) | instskip(SKIP_1) | instid1(VALU_DEP_2)
	v_cndmask_b32_e64 v5, v7, 1, s3
	v_cmp_lt_i64_e32 vcc_lo, v[1:2], v[3:4]
	v_and_b32_e32 v6, 1, v5
	v_and_b32_e32 v5, 0xff, v5
	s_and_b32 vcc_lo, s3, vcc_lo
	s_and_not1_b32 s3, s3, exec_lo
	v_dual_cndmask_b32 v2, v4, v2 :: v_dual_cndmask_b32 v1, v3, v1
	v_cmp_eq_u32_e64 s2, 1, v6
	s_delay_alu instid0(VALU_DEP_1) | instskip(NEXT) | instid1(SALU_CYCLE_1)
	s_and_b32 s2, s2, exec_lo
	s_or_b32 s3, s3, s2
; %bb.188:
	s_or_b32 exec_lo, exec_lo, s6
	v_mov_b32_dpp v6, v5 row_ror:4 row_mask:0xf bank_mask:0xf
	v_mov_b32_dpp v3, v1 row_ror:4 row_mask:0xf bank_mask:0xf
	;; [unrolled: 1-line block ×3, first 2 shown]
	s_mov_b32 s6, exec_lo
	s_delay_alu instid0(VALU_DEP_3) | instskip(NEXT) | instid1(VALU_DEP_1)
	v_and_b32_e32 v7, 1, v6
	v_cmpx_eq_u32_e32 1, v7
; %bb.189:
	v_cndmask_b32_e64 v5, v6, 1, s3
	v_cmp_lt_i64_e32 vcc_lo, v[1:2], v[3:4]
	s_delay_alu instid0(VALU_DEP_2)
	v_and_b32_e32 v6, 1, v5
	v_and_b32_e32 v5, 0xff, v5
	s_and_b32 vcc_lo, s3, vcc_lo
	s_and_not1_b32 s3, s3, exec_lo
	v_dual_cndmask_b32 v2, v4, v2 :: v_dual_cndmask_b32 v1, v3, v1
	v_cmp_eq_u32_e64 s2, 1, v6
	s_delay_alu instid0(VALU_DEP_1) | instskip(NEXT) | instid1(SALU_CYCLE_1)
	s_and_b32 s2, s2, exec_lo
	s_or_b32 s3, s3, s2
; %bb.190:
	s_or_b32 exec_lo, exec_lo, s6
	v_mov_b32_dpp v6, v5 row_ror:8 row_mask:0xf bank_mask:0xf
	v_mov_b32_dpp v3, v1 row_ror:8 row_mask:0xf bank_mask:0xf
	;; [unrolled: 1-line block ×3, first 2 shown]
	s_mov_b32 s6, exec_lo
	s_delay_alu instid0(VALU_DEP_3) | instskip(NEXT) | instid1(VALU_DEP_1)
	v_and_b32_e32 v7, 1, v6
	v_cmpx_eq_u32_e32 1, v7
; %bb.191:
	v_cndmask_b32_e64 v5, v6, 1, s3
	v_cmp_lt_i64_e32 vcc_lo, v[1:2], v[3:4]
	s_delay_alu instid0(VALU_DEP_2)
	v_and_b32_e32 v6, 1, v5
	v_and_b32_e32 v5, 0xff, v5
	s_and_b32 vcc_lo, s3, vcc_lo
	s_and_not1_b32 s3, s3, exec_lo
	v_dual_cndmask_b32 v2, v4, v2 :: v_dual_cndmask_b32 v1, v3, v1
	v_cmp_eq_u32_e64 s2, 1, v6
	s_delay_alu instid0(VALU_DEP_1) | instskip(NEXT) | instid1(SALU_CYCLE_1)
	s_and_b32 s2, s2, exec_lo
	s_or_b32 s3, s3, s2
; %bb.192:
	s_or_b32 exec_lo, exec_lo, s6
	ds_swizzle_b32 v6, v5 offset:swizzle(BROADCAST,32,15)
	ds_swizzle_b32 v3, v1 offset:swizzle(BROADCAST,32,15)
	;; [unrolled: 1-line block ×3, first 2 shown]
	s_mov_b32 s2, exec_lo
	s_waitcnt lgkmcnt(2)
	v_and_b32_e32 v7, 1, v6
	s_delay_alu instid0(VALU_DEP_1)
	v_cmpx_eq_u32_e32 1, v7
	s_cbranch_execz .LBB865_194
; %bb.193:
	s_waitcnt lgkmcnt(0)
	v_cmp_lt_i64_e32 vcc_lo, v[1:2], v[3:4]
	v_and_b32_e32 v5, 0xff, v6
	s_delay_alu instid0(VALU_DEP_1)
	v_cndmask_b32_e64 v5, v5, 1, s3
	s_and_b32 vcc_lo, s3, vcc_lo
	v_dual_cndmask_b32 v1, v3, v1 :: v_dual_cndmask_b32 v2, v4, v2
.LBB865_194:
	s_or_b32 exec_lo, exec_lo, s2
	s_waitcnt lgkmcnt(1)
	v_mov_b32_e32 v3, 0
	s_mov_b32 s2, exec_lo
	ds_bpermute_b32 v6, v3, v5 offset:124
	ds_bpermute_b32 v1, v3, v1 offset:124
	;; [unrolled: 1-line block ×3, first 2 shown]
	v_mbcnt_lo_u32_b32 v3, -1, 0
	s_delay_alu instid0(VALU_DEP_1)
	v_cmpx_eq_u32_e32 0, v3
	s_cbranch_execz .LBB865_196
; %bb.195:
	s_waitcnt lgkmcnt(3)
	v_lshrrev_b32_e32 v4, 1, v0
	s_delay_alu instid0(VALU_DEP_1)
	v_and_b32_e32 v4, 0x70, v4
	s_waitcnt lgkmcnt(2)
	ds_store_b8 v4, v6
	s_waitcnt lgkmcnt(1)
	ds_store_b64 v4, v[1:2] offset:8
.LBB865_196:
	s_or_b32 exec_lo, exec_lo, s2
	s_delay_alu instid0(SALU_CYCLE_1)
	s_mov_b32 s6, exec_lo
	s_waitcnt lgkmcnt(0)
	s_barrier
	buffer_gl0_inv
	v_cmpx_gt_u32_e32 32, v0
	s_cbranch_execz .LBB865_198
; %bb.197:
	v_and_b32_e32 v6, 7, v3
	s_delay_alu instid0(VALU_DEP_1)
	v_lshlrev_b32_e32 v1, 4, v6
	v_cmp_ne_u32_e32 vcc_lo, 7, v6
	ds_load_u8 v7, v1
	ds_load_b64 v[1:2], v1 offset:8
	v_add_co_ci_u32_e32 v4, vcc_lo, 0, v3, vcc_lo
	v_cmp_gt_u32_e32 vcc_lo, 6, v6
	s_delay_alu instid0(VALU_DEP_2)
	v_lshlrev_b32_e32 v5, 2, v4
	v_cndmask_b32_e64 v10, 0, 1, vcc_lo
	s_waitcnt lgkmcnt(1)
	v_and_b32_e32 v4, 0xff, v7
	v_and_b32_e32 v11, 1, v7
	ds_bpermute_b32 v8, v5, v4
	s_waitcnt lgkmcnt(1)
	ds_bpermute_b32 v4, v5, v1
	ds_bpermute_b32 v5, v5, v2
	v_cmp_eq_u32_e64 s3, 1, v11
	s_waitcnt lgkmcnt(2)
	v_and_b32_e32 v9, 1, v8
	s_waitcnt lgkmcnt(0)
	v_cmp_lt_i64_e64 s2, v[4:5], v[1:2]
	s_delay_alu instid0(VALU_DEP_2) | instskip(SKIP_2) | instid1(VALU_DEP_4)
	v_cmp_eq_u32_e32 vcc_lo, 1, v9
	v_lshlrev_b32_e32 v9, 1, v10
	v_cndmask_b32_e64 v7, v7, 1, vcc_lo
	s_and_b32 vcc_lo, vcc_lo, s2
	v_dual_cndmask_b32 v1, v1, v4 :: v_dual_cndmask_b32 v2, v2, v5
	s_delay_alu instid0(VALU_DEP_2) | instskip(SKIP_2) | instid1(VALU_DEP_4)
	v_cndmask_b32_e64 v7, v8, v7, s3
	v_add_lshl_u32 v8, v9, v3, 2
	v_cmp_gt_u32_e32 vcc_lo, 4, v6
	v_cndmask_b32_e64 v1, v4, v1, s3
	v_cndmask_b32_e64 v2, v5, v2, s3
	v_and_b32_e32 v9, 0xff, v7
	v_and_b32_e32 v10, 1, v7
	v_cndmask_b32_e64 v6, 0, 1, vcc_lo
	ds_bpermute_b32 v4, v8, v1
	ds_bpermute_b32 v5, v8, v2
	ds_bpermute_b32 v9, v8, v9
	v_cmp_eq_u32_e64 s3, 1, v10
	s_waitcnt lgkmcnt(1)
	v_cmp_lt_i64_e64 s2, v[4:5], v[1:2]
	s_waitcnt lgkmcnt(0)
	v_and_b32_e32 v8, 1, v9
	s_delay_alu instid0(VALU_DEP_1) | instskip(SKIP_1) | instid1(VALU_DEP_4)
	v_cmp_eq_u32_e32 vcc_lo, 1, v8
	v_cndmask_b32_e64 v7, v7, 1, vcc_lo
	s_and_b32 vcc_lo, vcc_lo, s2
	v_dual_cndmask_b32 v1, v1, v4 :: v_dual_cndmask_b32 v2, v2, v5
	s_delay_alu instid0(VALU_DEP_2) | instskip(NEXT) | instid1(VALU_DEP_2)
	v_cndmask_b32_e64 v7, v9, v7, s3
	v_cndmask_b32_e64 v1, v4, v1, s3
	v_lshlrev_b32_e32 v6, 2, v6
	s_delay_alu instid0(VALU_DEP_4) | instskip(NEXT) | instid1(VALU_DEP_2)
	v_cndmask_b32_e64 v2, v5, v2, s3
	v_add_lshl_u32 v6, v6, v3, 2
	v_and_b32_e32 v3, 0xff, v7
	ds_bpermute_b32 v4, v6, v2
	ds_bpermute_b32 v5, v6, v3
	;; [unrolled: 1-line block ×3, first 2 shown]
	s_waitcnt lgkmcnt(1)
	v_and_b32_e32 v6, 1, v5
	s_waitcnt lgkmcnt(0)
	v_cmp_lt_i64_e32 vcc_lo, v[3:4], v[1:2]
	s_delay_alu instid0(VALU_DEP_2) | instskip(SKIP_1) | instid1(VALU_DEP_2)
	v_cmp_eq_u32_e64 s2, 1, v6
	v_and_b32_e32 v6, 1, v7
	v_cndmask_b32_e64 v7, v7, 1, s2
	s_and_b32 vcc_lo, s2, vcc_lo
	s_delay_alu instid0(VALU_DEP_2) | instskip(SKIP_1) | instid1(VALU_DEP_2)
	v_cmp_eq_u32_e64 s2, 1, v6
	v_dual_cndmask_b32 v1, v1, v3 :: v_dual_cndmask_b32 v2, v2, v4
	v_cndmask_b32_e64 v5, v5, v7, s2
	s_delay_alu instid0(VALU_DEP_2) | instskip(NEXT) | instid1(VALU_DEP_3)
	v_cndmask_b32_e64 v1, v3, v1, s2
	v_cndmask_b32_e64 v2, v4, v2, s2
	s_delay_alu instid0(VALU_DEP_3)
	v_and_b32_e32 v6, 0xff, v5
.LBB865_198:
	s_or_b32 exec_lo, exec_lo, s6
	s_branch .LBB865_227
.LBB865_199:
                                        ; implicit-def: $vgpr3_vgpr4
                                        ; implicit-def: $vgpr5
                                        ; implicit-def: $sgpr10_sgpr11
.LBB865_200:
	s_and_saveexec_b32 s2, s26
	s_cbranch_execz .LBB865_202
.LBB865_201:
	s_load_b64 s[0:1], s[0:1], 0x38
	s_lshl_b64 s[2:3], s[10:11], 4
	v_mov_b32_e32 v0, 0
	s_waitcnt lgkmcnt(0)
	s_add_u32 s0, s0, s2
	s_addc_u32 s1, s1, s3
	s_clause 0x1
	global_store_b8 v0, v5, s[0:1]
	global_store_b64 v0, v[3:4], s[0:1] offset:8
.LBB865_202:
	s_nop 0
	s_sendmsg sendmsg(MSG_DEALLOC_VGPRS)
	s_endpgm
.LBB865_203:
                                        ; implicit-def: $vgpr1_vgpr2
                                        ; implicit-def: $vgpr6
	s_cbranch_execz .LBB865_227
; %bb.204:
	v_mov_b32_e32 v1, 0
	v_dual_mov_b32 v2, 0 :: v_dual_mov_b32 v7, 0
	s_sub_i32 s2, s14, s4
	s_mov_b32 s3, exec_lo
	v_cmpx_gt_u32_e64 s2, v0
	s_cbranch_execz .LBB865_206
; %bb.205:
	s_lshl_b64 s[6:7], s[4:5], 3
	v_lshlrev_b32_e32 v1, 3, v0
	s_add_u32 s8, s18, s6
	s_addc_u32 s9, s19, s7
	s_add_u32 s6, s16, s6
	s_addc_u32 s7, s17, s7
	s_add_u32 s4, s12, s4
	s_waitcnt lgkmcnt(0)
	s_clause 0x1
	global_load_b64 v[3:4], v1, s[6:7]
	global_load_b64 v[5:6], v1, s[8:9]
	s_addc_u32 s5, s13, 0
	v_add_co_u32 v1, s4, s4, v0
	s_delay_alu instid0(VALU_DEP_1)
	v_add_co_ci_u32_e64 v2, null, s5, 0, s4
	s_waitcnt vmcnt(0)
	v_cmp_ne_u64_e32 vcc_lo, v[3:4], v[5:6]
	v_cndmask_b32_e64 v7, 0, 1, vcc_lo
.LBB865_206:
	s_or_b32 exec_lo, exec_lo, s3
	s_waitcnt lgkmcnt(2)
	v_mbcnt_lo_u32_b32 v5, -1, 0
	s_delay_alu instid0(VALU_DEP_2)
	v_and_b32_e32 v6, 0xffff, v7
	v_and_b32_e32 v8, 0xe0, v0
	s_min_u32 s3, s2, 0x100
	s_mov_b32 s4, exec_lo
	v_cmp_ne_u32_e32 vcc_lo, 31, v5
	v_add_nc_u32_e32 v10, 1, v5
	v_sub_nc_u32_e64 v8, s3, v8 clamp
	s_waitcnt lgkmcnt(1)
	v_add_co_ci_u32_e32 v3, vcc_lo, 0, v5, vcc_lo
	s_waitcnt lgkmcnt(0)
	s_delay_alu instid0(VALU_DEP_1)
	v_lshlrev_b32_e32 v4, 2, v3
	ds_bpermute_b32 v9, v4, v6
	ds_bpermute_b32 v3, v4, v1
	ds_bpermute_b32 v4, v4, v2
	v_cmpx_lt_u32_e64 v10, v8
	s_cbranch_execz .LBB865_208
; %bb.207:
	s_waitcnt lgkmcnt(2)
	v_and_b32_e32 v6, 1, v9
	s_waitcnt lgkmcnt(0)
	v_cmp_lt_i64_e32 vcc_lo, v[3:4], v[1:2]
	s_delay_alu instid0(VALU_DEP_2) | instskip(SKIP_1) | instid1(VALU_DEP_2)
	v_cmp_eq_u32_e64 s2, 1, v6
	v_and_b32_e32 v6, 1, v7
	v_cndmask_b32_e64 v7, v7, 1, s2
	s_and_b32 vcc_lo, s2, vcc_lo
	s_delay_alu instid0(VALU_DEP_2) | instskip(SKIP_1) | instid1(VALU_DEP_2)
	v_cmp_eq_u32_e64 s2, 1, v6
	v_dual_cndmask_b32 v1, v1, v3 :: v_dual_cndmask_b32 v2, v2, v4
	v_cndmask_b32_e64 v7, v9, v7, s2
	s_delay_alu instid0(VALU_DEP_2) | instskip(NEXT) | instid1(VALU_DEP_3)
	v_cndmask_b32_e64 v1, v3, v1, s2
	v_cndmask_b32_e64 v2, v4, v2, s2
	s_delay_alu instid0(VALU_DEP_3)
	v_and_b32_e32 v6, 0xff, v7
.LBB865_208:
	s_or_b32 exec_lo, exec_lo, s4
	v_cmp_gt_u32_e32 vcc_lo, 30, v5
	v_add_nc_u32_e32 v10, 2, v5
	s_mov_b32 s4, exec_lo
	s_waitcnt lgkmcnt(1)
	v_cndmask_b32_e64 v3, 0, 1, vcc_lo
	s_delay_alu instid0(VALU_DEP_1) | instskip(SKIP_1) | instid1(VALU_DEP_1)
	v_lshlrev_b32_e32 v3, 1, v3
	s_waitcnt lgkmcnt(0)
	v_add_lshl_u32 v4, v3, v5, 2
	ds_bpermute_b32 v9, v4, v6
	ds_bpermute_b32 v3, v4, v1
	ds_bpermute_b32 v4, v4, v2
	v_cmpx_lt_u32_e64 v10, v8
	s_cbranch_execz .LBB865_210
; %bb.209:
	s_waitcnt lgkmcnt(2)
	v_and_b32_e32 v6, 1, v9
	s_waitcnt lgkmcnt(0)
	v_cmp_lt_i64_e32 vcc_lo, v[3:4], v[1:2]
	s_delay_alu instid0(VALU_DEP_2) | instskip(SKIP_1) | instid1(VALU_DEP_2)
	v_cmp_eq_u32_e64 s2, 1, v6
	v_and_b32_e32 v6, 1, v7
	v_cndmask_b32_e64 v7, v7, 1, s2
	s_and_b32 vcc_lo, s2, vcc_lo
	s_delay_alu instid0(VALU_DEP_2) | instskip(SKIP_1) | instid1(VALU_DEP_2)
	v_cmp_eq_u32_e64 s2, 1, v6
	v_dual_cndmask_b32 v1, v1, v3 :: v_dual_cndmask_b32 v2, v2, v4
	v_cndmask_b32_e64 v7, v9, v7, s2
	s_delay_alu instid0(VALU_DEP_2) | instskip(NEXT) | instid1(VALU_DEP_3)
	v_cndmask_b32_e64 v1, v3, v1, s2
	v_cndmask_b32_e64 v2, v4, v2, s2
	s_delay_alu instid0(VALU_DEP_3)
	v_and_b32_e32 v6, 0xff, v7
.LBB865_210:
	s_or_b32 exec_lo, exec_lo, s4
	v_cmp_gt_u32_e32 vcc_lo, 28, v5
	v_add_nc_u32_e32 v10, 4, v5
	s_mov_b32 s4, exec_lo
	s_waitcnt lgkmcnt(1)
	v_cndmask_b32_e64 v3, 0, 1, vcc_lo
	s_delay_alu instid0(VALU_DEP_1) | instskip(SKIP_1) | instid1(VALU_DEP_1)
	v_lshlrev_b32_e32 v3, 2, v3
	s_waitcnt lgkmcnt(0)
	v_add_lshl_u32 v4, v3, v5, 2
	;; [unrolled: 35-line block ×4, first 2 shown]
	ds_bpermute_b32 v9, v4, v6
	ds_bpermute_b32 v3, v4, v1
	;; [unrolled: 1-line block ×3, first 2 shown]
	v_cmpx_lt_u32_e64 v10, v8
	s_cbranch_execz .LBB865_216
; %bb.215:
	s_waitcnt lgkmcnt(2)
	v_and_b32_e32 v6, 1, v9
	s_waitcnt lgkmcnt(0)
	v_cmp_lt_i64_e32 vcc_lo, v[3:4], v[1:2]
	s_delay_alu instid0(VALU_DEP_2) | instskip(SKIP_1) | instid1(VALU_DEP_2)
	v_cmp_eq_u32_e64 s2, 1, v6
	v_and_b32_e32 v6, 1, v7
	v_cndmask_b32_e64 v7, v7, 1, s2
	s_and_b32 vcc_lo, s2, vcc_lo
	s_delay_alu instid0(VALU_DEP_2) | instskip(SKIP_1) | instid1(VALU_DEP_2)
	v_cmp_eq_u32_e64 s2, 1, v6
	v_dual_cndmask_b32 v1, v1, v3 :: v_dual_cndmask_b32 v2, v2, v4
	v_cndmask_b32_e64 v7, v9, v7, s2
	s_delay_alu instid0(VALU_DEP_2) | instskip(NEXT) | instid1(VALU_DEP_3)
	v_cndmask_b32_e64 v1, v3, v1, s2
	v_cndmask_b32_e64 v2, v4, v2, s2
	s_delay_alu instid0(VALU_DEP_3)
	v_and_b32_e32 v6, 0xff, v7
.LBB865_216:
	s_or_b32 exec_lo, exec_lo, s4
	s_delay_alu instid0(SALU_CYCLE_1)
	s_mov_b32 s2, exec_lo
	v_cmpx_eq_u32_e32 0, v5
	s_cbranch_execz .LBB865_218
; %bb.217:
	s_waitcnt lgkmcnt(1)
	v_lshrrev_b32_e32 v3, 1, v0
	s_delay_alu instid0(VALU_DEP_1)
	v_and_b32_e32 v3, 0x70, v3
	ds_store_b8 v3, v7 offset:512
	ds_store_b64 v3, v[1:2] offset:520
.LBB865_218:
	s_or_b32 exec_lo, exec_lo, s2
	s_delay_alu instid0(SALU_CYCLE_1)
	s_mov_b32 s4, exec_lo
	s_waitcnt lgkmcnt(0)
	s_barrier
	buffer_gl0_inv
	v_cmpx_gt_u32_e32 8, v0
	s_cbranch_execz .LBB865_226
; %bb.219:
	v_lshlrev_b32_e32 v1, 4, v5
	v_and_b32_e32 v8, 7, v5
	s_add_i32 s3, s3, 31
	s_mov_b32 s5, exec_lo
	s_lshr_b32 s3, s3, 5
	ds_load_u8 v7, v1 offset:512
	ds_load_b64 v[1:2], v1 offset:520
	v_cmp_ne_u32_e32 vcc_lo, 7, v8
	v_add_nc_u32_e32 v10, 1, v8
	v_add_co_ci_u32_e32 v3, vcc_lo, 0, v5, vcc_lo
	s_delay_alu instid0(VALU_DEP_1)
	v_lshlrev_b32_e32 v4, 2, v3
	s_waitcnt lgkmcnt(1)
	v_and_b32_e32 v6, 0xff, v7
	s_waitcnt lgkmcnt(0)
	ds_bpermute_b32 v3, v4, v1
	ds_bpermute_b32 v9, v4, v6
	;; [unrolled: 1-line block ×3, first 2 shown]
	v_cmpx_gt_u32_e64 s3, v10
	s_cbranch_execz .LBB865_221
; %bb.220:
	s_waitcnt lgkmcnt(1)
	v_and_b32_e32 v6, 1, v9
	s_waitcnt lgkmcnt(0)
	v_cmp_lt_i64_e32 vcc_lo, v[3:4], v[1:2]
	s_delay_alu instid0(VALU_DEP_2) | instskip(SKIP_1) | instid1(VALU_DEP_2)
	v_cmp_eq_u32_e64 s2, 1, v6
	v_and_b32_e32 v6, 1, v7
	v_cndmask_b32_e64 v7, v7, 1, s2
	s_and_b32 vcc_lo, s2, vcc_lo
	s_delay_alu instid0(VALU_DEP_2) | instskip(SKIP_1) | instid1(VALU_DEP_2)
	v_cmp_eq_u32_e64 s2, 1, v6
	v_dual_cndmask_b32 v1, v1, v3 :: v_dual_cndmask_b32 v2, v2, v4
	v_cndmask_b32_e64 v7, v9, v7, s2
	s_delay_alu instid0(VALU_DEP_2) | instskip(NEXT) | instid1(VALU_DEP_3)
	v_cndmask_b32_e64 v1, v3, v1, s2
	v_cndmask_b32_e64 v2, v4, v2, s2
	s_delay_alu instid0(VALU_DEP_3)
	v_and_b32_e32 v6, 0xff, v7
.LBB865_221:
	s_or_b32 exec_lo, exec_lo, s5
	v_cmp_gt_u32_e32 vcc_lo, 6, v8
	v_add_nc_u32_e32 v10, 2, v8
	s_mov_b32 s5, exec_lo
	s_waitcnt lgkmcnt(2)
	v_cndmask_b32_e64 v3, 0, 1, vcc_lo
	s_delay_alu instid0(VALU_DEP_1) | instskip(SKIP_1) | instid1(VALU_DEP_1)
	v_lshlrev_b32_e32 v3, 1, v3
	s_waitcnt lgkmcnt(0)
	v_add_lshl_u32 v4, v3, v5, 2
	ds_bpermute_b32 v9, v4, v6
	ds_bpermute_b32 v3, v4, v1
	;; [unrolled: 1-line block ×3, first 2 shown]
	v_cmpx_gt_u32_e64 s3, v10
	s_cbranch_execz .LBB865_223
; %bb.222:
	s_waitcnt lgkmcnt(2)
	v_and_b32_e32 v6, 1, v9
	s_waitcnt lgkmcnt(0)
	v_cmp_lt_i64_e32 vcc_lo, v[3:4], v[1:2]
	s_delay_alu instid0(VALU_DEP_2) | instskip(SKIP_1) | instid1(VALU_DEP_2)
	v_cmp_eq_u32_e64 s2, 1, v6
	v_and_b32_e32 v6, 1, v7
	v_cndmask_b32_e64 v7, v7, 1, s2
	s_and_b32 vcc_lo, s2, vcc_lo
	s_delay_alu instid0(VALU_DEP_2) | instskip(SKIP_1) | instid1(VALU_DEP_2)
	v_cmp_eq_u32_e64 s2, 1, v6
	v_dual_cndmask_b32 v1, v1, v3 :: v_dual_cndmask_b32 v2, v2, v4
	v_cndmask_b32_e64 v7, v9, v7, s2
	s_delay_alu instid0(VALU_DEP_2) | instskip(NEXT) | instid1(VALU_DEP_3)
	v_cndmask_b32_e64 v1, v3, v1, s2
	v_cndmask_b32_e64 v2, v4, v2, s2
	s_delay_alu instid0(VALU_DEP_3)
	v_and_b32_e32 v6, 0xff, v7
.LBB865_223:
	s_or_b32 exec_lo, exec_lo, s5
	v_cmp_gt_u32_e32 vcc_lo, 4, v8
	v_add_nc_u32_e32 v8, 4, v8
	s_waitcnt lgkmcnt(1)
	v_cndmask_b32_e64 v3, 0, 1, vcc_lo
	s_delay_alu instid0(VALU_DEP_2) | instskip(NEXT) | instid1(VALU_DEP_2)
	v_cmp_gt_u32_e32 vcc_lo, s3, v8
	v_lshlrev_b32_e32 v3, 2, v3
	s_waitcnt lgkmcnt(0)
	s_delay_alu instid0(VALU_DEP_1)
	v_add_lshl_u32 v4, v3, v5, 2
	ds_bpermute_b32 v5, v4, v6
	ds_bpermute_b32 v3, v4, v1
	ds_bpermute_b32 v4, v4, v2
	s_and_saveexec_b32 s3, vcc_lo
	s_cbranch_execz .LBB865_225
; %bb.224:
	s_waitcnt lgkmcnt(2)
	v_and_b32_e32 v6, 1, v5
	s_waitcnt lgkmcnt(0)
	v_cmp_lt_i64_e32 vcc_lo, v[3:4], v[1:2]
	s_delay_alu instid0(VALU_DEP_2) | instskip(SKIP_1) | instid1(VALU_DEP_2)
	v_cmp_eq_u32_e64 s2, 1, v6
	v_and_b32_e32 v6, 1, v7
	v_cndmask_b32_e64 v7, v7, 1, s2
	s_and_b32 vcc_lo, s2, vcc_lo
	s_delay_alu instid0(VALU_DEP_2) | instskip(SKIP_1) | instid1(VALU_DEP_2)
	v_cmp_eq_u32_e64 s2, 1, v6
	v_dual_cndmask_b32 v1, v1, v3 :: v_dual_cndmask_b32 v2, v2, v4
	v_cndmask_b32_e64 v5, v5, v7, s2
	s_delay_alu instid0(VALU_DEP_2) | instskip(NEXT) | instid1(VALU_DEP_3)
	v_cndmask_b32_e64 v1, v3, v1, s2
	v_cndmask_b32_e64 v2, v4, v2, s2
	s_delay_alu instid0(VALU_DEP_3)
	v_and_b32_e32 v6, 0xff, v5
.LBB865_225:
	s_or_b32 exec_lo, exec_lo, s3
.LBB865_226:
	s_delay_alu instid0(SALU_CYCLE_1)
	s_or_b32 exec_lo, exec_lo, s4
.LBB865_227:
	s_delay_alu instid0(SALU_CYCLE_1)
	s_mov_b32 s4, exec_lo
                                        ; implicit-def: $vgpr3_vgpr4
                                        ; implicit-def: $vgpr5
	v_cmpx_eq_u32_e32 0, v0
	s_cbranch_execz .LBB865_231
; %bb.228:
	s_waitcnt lgkmcnt(0)
	v_dual_mov_b32 v3, s20 :: v_dual_mov_b32 v4, s21
	v_mov_b32_e32 v5, s24
	s_cmp_eq_u64 s[14:15], 0
	s_cbranch_scc1 .LBB865_230
; %bb.229:
	v_and_b32_e32 v0, 1, v6
	v_cmp_gt_i64_e32 vcc_lo, s[20:21], v[1:2]
	s_bitcmp1_b32 s24, 0
	s_cselect_b32 s3, -1, 0
	s_delay_alu instid0(VALU_DEP_2) | instskip(NEXT) | instid1(VALU_DEP_1)
	v_cmp_eq_u32_e64 s2, 1, v0
	s_and_b32 vcc_lo, s2, vcc_lo
	v_cndmask_b32_e64 v0, s24, 1, s2
	v_cndmask_b32_e32 v3, s20, v1, vcc_lo
	v_cndmask_b32_e32 v4, s21, v2, vcc_lo
	s_delay_alu instid0(VALU_DEP_3) | instskip(NEXT) | instid1(VALU_DEP_3)
	v_cndmask_b32_e64 v5, v6, v0, s3
	v_cndmask_b32_e64 v3, v1, v3, s3
	s_delay_alu instid0(VALU_DEP_3)
	v_cndmask_b32_e64 v4, v2, v4, s3
.LBB865_230:
	s_or_b32 s26, s26, exec_lo
.LBB865_231:
	s_or_b32 exec_lo, exec_lo, s4
	s_and_saveexec_b32 s2, s26
	s_cbranch_execnz .LBB865_201
	s_branch .LBB865_202
.LBB865_232:
	v_lshlrev_b32_e32 v3, 3, v25
	s_clause 0x1
	global_load_b64 v[26:27], v3, s[8:9]
	global_load_b64 v[28:29], v3, s[22:23]
	v_add_co_u32 v3, s8, s26, v25
	s_delay_alu instid0(VALU_DEP_1) | instskip(SKIP_2) | instid1(VALU_DEP_1)
	v_add_co_ci_u32_e64 v4, null, s28, 0, s8
	s_waitcnt vmcnt(0)
	v_cmp_ne_u64_e64 s8, v[26:27], v[28:29]
	v_cndmask_b32_e64 v18, 0, 1, s8
	s_or_b32 exec_lo, exec_lo, s30
	s_and_saveexec_b32 s9, s7
	s_cbranch_execz .LBB865_57
.LBB865_233:
	v_and_b32_e32 v25, 1, v21
	v_cmp_lt_i64_e64 s7, v[9:10], v[1:2]
	s_delay_alu instid0(VALU_DEP_2) | instskip(SKIP_1) | instid1(VALU_DEP_2)
	v_cmp_eq_u32_e64 s8, 1, v25
	v_and_b32_e32 v25, 1, v17
	s_and_b32 s7, s8, s7
	v_cndmask_b32_e64 v17, v17, 1, s8
	v_cndmask_b32_e64 v1, v1, v9, s7
	;; [unrolled: 1-line block ×3, first 2 shown]
	v_cmp_eq_u32_e64 s7, 1, v25
	s_delay_alu instid0(VALU_DEP_1) | instskip(NEXT) | instid1(VALU_DEP_3)
	v_cndmask_b32_e64 v17, v21, v17, s7
	v_cndmask_b32_e64 v2, v10, v2, s7
	;; [unrolled: 1-line block ×3, first 2 shown]
	s_or_b32 exec_lo, exec_lo, s9
	s_and_saveexec_b32 s8, s6
	s_cbranch_execz .LBB865_58
.LBB865_234:
	v_and_b32_e32 v9, 1, v24
	v_cmp_lt_i64_e64 s6, v[15:16], v[1:2]
	s_delay_alu instid0(VALU_DEP_2) | instskip(SKIP_1) | instid1(VALU_DEP_2)
	v_cmp_eq_u32_e64 s7, 1, v9
	v_and_b32_e32 v9, 1, v17
	s_and_b32 s6, s7, s6
	v_cndmask_b32_e64 v10, v17, 1, s7
	v_cndmask_b32_e64 v1, v1, v15, s6
	;; [unrolled: 1-line block ×3, first 2 shown]
	v_cmp_eq_u32_e64 s6, 1, v9
	s_delay_alu instid0(VALU_DEP_1) | instskip(NEXT) | instid1(VALU_DEP_3)
	v_cndmask_b32_e64 v17, v24, v10, s6
	v_cndmask_b32_e64 v2, v16, v2, s6
	;; [unrolled: 1-line block ×3, first 2 shown]
	s_or_b32 exec_lo, exec_lo, s8
	s_and_saveexec_b32 s7, s5
	s_cbranch_execz .LBB865_59
.LBB865_235:
	v_and_b32_e32 v9, 1, v20
	v_cmp_lt_i64_e64 s5, v[7:8], v[1:2]
	s_delay_alu instid0(VALU_DEP_2) | instskip(SKIP_1) | instid1(VALU_DEP_2)
	v_cmp_eq_u32_e64 s6, 1, v9
	v_and_b32_e32 v9, 1, v17
	s_and_b32 s5, s6, s5
	v_cndmask_b32_e64 v10, v17, 1, s6
	v_cndmask_b32_e64 v1, v1, v7, s5
	;; [unrolled: 1-line block ×3, first 2 shown]
	v_cmp_eq_u32_e64 s5, 1, v9
	s_delay_alu instid0(VALU_DEP_1) | instskip(NEXT) | instid1(VALU_DEP_3)
	v_cndmask_b32_e64 v17, v20, v10, s5
	v_cndmask_b32_e64 v2, v8, v2, s5
	;; [unrolled: 1-line block ×3, first 2 shown]
	s_or_b32 exec_lo, exec_lo, s7
	s_and_saveexec_b32 s6, s4
	s_cbranch_execz .LBB865_60
.LBB865_236:
	v_and_b32_e32 v7, 1, v23
	v_cmp_lt_i64_e64 s4, v[13:14], v[1:2]
	s_delay_alu instid0(VALU_DEP_2) | instskip(SKIP_1) | instid1(VALU_DEP_2)
	v_cmp_eq_u32_e64 s5, 1, v7
	v_and_b32_e32 v7, 1, v17
	s_and_b32 s4, s5, s4
	v_cndmask_b32_e64 v8, v17, 1, s5
	v_cndmask_b32_e64 v1, v1, v13, s4
	;; [unrolled: 1-line block ×3, first 2 shown]
	v_cmp_eq_u32_e64 s4, 1, v7
	s_delay_alu instid0(VALU_DEP_1) | instskip(NEXT) | instid1(VALU_DEP_3)
	v_cndmask_b32_e64 v17, v23, v8, s4
	v_cndmask_b32_e64 v2, v14, v2, s4
	v_cndmask_b32_e64 v1, v13, v1, s4
	s_or_b32 exec_lo, exec_lo, s6
	s_and_saveexec_b32 s5, s3
	s_cbranch_execz .LBB865_61
.LBB865_237:
	v_and_b32_e32 v7, 1, v19
	v_cmp_lt_i64_e64 s3, v[5:6], v[1:2]
	s_delay_alu instid0(VALU_DEP_2) | instskip(SKIP_1) | instid1(VALU_DEP_2)
	v_cmp_eq_u32_e64 s4, 1, v7
	v_and_b32_e32 v7, 1, v17
	s_and_b32 s3, s4, s3
	v_cndmask_b32_e64 v8, v17, 1, s4
	v_cndmask_b32_e64 v1, v1, v5, s3
	;; [unrolled: 1-line block ×3, first 2 shown]
	v_cmp_eq_u32_e64 s3, 1, v7
	s_delay_alu instid0(VALU_DEP_1) | instskip(NEXT) | instid1(VALU_DEP_3)
	v_cndmask_b32_e64 v17, v19, v8, s3
	v_cndmask_b32_e64 v2, v6, v2, s3
	;; [unrolled: 1-line block ×3, first 2 shown]
	s_or_b32 exec_lo, exec_lo, s5
	s_and_saveexec_b32 s4, s2
	s_cbranch_execz .LBB865_62
.LBB865_238:
	v_and_b32_e32 v5, 1, v22
	v_cmp_lt_i64_e64 s2, v[11:12], v[1:2]
	s_delay_alu instid0(VALU_DEP_2) | instskip(SKIP_1) | instid1(VALU_DEP_2)
	v_cmp_eq_u32_e64 s3, 1, v5
	v_and_b32_e32 v5, 1, v17
	s_and_b32 s2, s3, s2
	v_cndmask_b32_e64 v6, v17, 1, s3
	v_cndmask_b32_e64 v1, v1, v11, s2
	;; [unrolled: 1-line block ×3, first 2 shown]
	v_cmp_eq_u32_e64 s2, 1, v5
	s_delay_alu instid0(VALU_DEP_1) | instskip(NEXT) | instid1(VALU_DEP_3)
	v_cndmask_b32_e64 v17, v22, v6, s2
	v_cndmask_b32_e64 v2, v12, v2, s2
	;; [unrolled: 1-line block ×3, first 2 shown]
	s_or_b32 exec_lo, exec_lo, s4
	s_and_saveexec_b32 s3, vcc_lo
	s_cbranch_execnz .LBB865_63
	s_branch .LBB865_64
.LBB865_239:
	v_lshlrev_b32_e32 v3, 3, v13
	s_clause 0x1
	global_load_b64 v[14:15], v3, s[6:7]
	global_load_b64 v[16:17], v3, s[8:9]
	v_add_co_u32 v3, s4, s5, v13
	s_delay_alu instid0(VALU_DEP_1) | instskip(SKIP_2) | instid1(VALU_DEP_1)
	v_add_co_ci_u32_e64 v4, null, s23, 0, s4
	s_waitcnt vmcnt(0)
	v_cmp_ne_u64_e64 s4, v[14:15], v[16:17]
	v_cndmask_b32_e64 v10, 0, 1, s4
	s_or_b32 exec_lo, exec_lo, s27
	s_and_saveexec_b32 s5, s3
	s_cbranch_execz .LBB865_100
.LBB865_240:
	v_and_b32_e32 v13, 1, v11
	v_cmp_lt_i64_e64 s3, v[5:6], v[1:2]
	s_delay_alu instid0(VALU_DEP_2) | instskip(SKIP_1) | instid1(VALU_DEP_2)
	v_cmp_eq_u32_e64 s4, 1, v13
	v_and_b32_e32 v13, 1, v9
	s_and_b32 s3, s4, s3
	v_cndmask_b32_e64 v9, v9, 1, s4
	v_cndmask_b32_e64 v1, v1, v5, s3
	;; [unrolled: 1-line block ×3, first 2 shown]
	v_cmp_eq_u32_e64 s3, 1, v13
	s_delay_alu instid0(VALU_DEP_1) | instskip(NEXT) | instid1(VALU_DEP_3)
	v_cndmask_b32_e64 v9, v11, v9, s3
	v_cndmask_b32_e64 v2, v6, v2, s3
	;; [unrolled: 1-line block ×3, first 2 shown]
	s_or_b32 exec_lo, exec_lo, s5
	s_and_saveexec_b32 s4, s2
	s_cbranch_execz .LBB865_101
.LBB865_241:
	v_and_b32_e32 v5, 1, v12
	v_cmp_lt_i64_e64 s2, v[7:8], v[1:2]
	s_delay_alu instid0(VALU_DEP_2) | instskip(SKIP_1) | instid1(VALU_DEP_2)
	v_cmp_eq_u32_e64 s3, 1, v5
	v_and_b32_e32 v5, 1, v9
	s_and_b32 s2, s3, s2
	v_cndmask_b32_e64 v6, v9, 1, s3
	v_cndmask_b32_e64 v1, v1, v7, s2
	v_cndmask_b32_e64 v2, v2, v8, s2
	v_cmp_eq_u32_e64 s2, 1, v5
	s_delay_alu instid0(VALU_DEP_1) | instskip(NEXT) | instid1(VALU_DEP_3)
	v_cndmask_b32_e64 v9, v12, v6, s2
	v_cndmask_b32_e64 v2, v8, v2, s2
	;; [unrolled: 1-line block ×3, first 2 shown]
	s_or_b32 exec_lo, exec_lo, s4
	s_and_saveexec_b32 s3, vcc_lo
	s_cbranch_execnz .LBB865_102
	s_branch .LBB865_103
	.section	.rodata,"a",@progbits
	.p2align	6, 0x0
	.amdhsa_kernel _ZN7rocprim17ROCPRIM_400000_NS6detail17trampoline_kernelINS0_14default_configENS1_22reduce_config_selectorIN6thrust23THRUST_200600_302600_NS5tupleIblNS6_9null_typeES8_S8_S8_S8_S8_S8_S8_EEEEZNS1_11reduce_implILb1ES3_NS6_12zip_iteratorINS7_INS6_11hip_rocprim26transform_input_iterator_tIbNSD_35transform_pair_of_input_iterators_tIbNS6_6detail15normal_iteratorINS6_10device_ptrIKxEEEESL_NS6_8equal_toIxEEEENSG_9not_fun_tINSD_8identityEEEEENSD_19counting_iterator_tIlEES8_S8_S8_S8_S8_S8_S8_S8_EEEEPS9_S9_NSD_9__find_if7functorIS9_EEEE10hipError_tPvRmT1_T2_T3_mT4_P12ihipStream_tbEUlT_E1_NS1_11comp_targetILNS1_3genE9ELNS1_11target_archE1100ELNS1_3gpuE3ELNS1_3repE0EEENS1_30default_config_static_selectorELNS0_4arch9wavefront6targetE0EEEvS14_
		.amdhsa_group_segment_fixed_size 640
		.amdhsa_private_segment_fixed_size 0
		.amdhsa_kernarg_size 88
		.amdhsa_user_sgpr_count 15
		.amdhsa_user_sgpr_dispatch_ptr 0
		.amdhsa_user_sgpr_queue_ptr 0
		.amdhsa_user_sgpr_kernarg_segment_ptr 1
		.amdhsa_user_sgpr_dispatch_id 0
		.amdhsa_user_sgpr_private_segment_size 0
		.amdhsa_wavefront_size32 1
		.amdhsa_uses_dynamic_stack 0
		.amdhsa_enable_private_segment 0
		.amdhsa_system_sgpr_workgroup_id_x 1
		.amdhsa_system_sgpr_workgroup_id_y 0
		.amdhsa_system_sgpr_workgroup_id_z 0
		.amdhsa_system_sgpr_workgroup_info 0
		.amdhsa_system_vgpr_workitem_id 0
		.amdhsa_next_free_vgpr 34
		.amdhsa_next_free_sgpr 32
		.amdhsa_reserve_vcc 1
		.amdhsa_float_round_mode_32 0
		.amdhsa_float_round_mode_16_64 0
		.amdhsa_float_denorm_mode_32 3
		.amdhsa_float_denorm_mode_16_64 3
		.amdhsa_dx10_clamp 1
		.amdhsa_ieee_mode 1
		.amdhsa_fp16_overflow 0
		.amdhsa_workgroup_processor_mode 1
		.amdhsa_memory_ordered 1
		.amdhsa_forward_progress 0
		.amdhsa_shared_vgpr_count 0
		.amdhsa_exception_fp_ieee_invalid_op 0
		.amdhsa_exception_fp_denorm_src 0
		.amdhsa_exception_fp_ieee_div_zero 0
		.amdhsa_exception_fp_ieee_overflow 0
		.amdhsa_exception_fp_ieee_underflow 0
		.amdhsa_exception_fp_ieee_inexact 0
		.amdhsa_exception_int_div_zero 0
	.end_amdhsa_kernel
	.section	.text._ZN7rocprim17ROCPRIM_400000_NS6detail17trampoline_kernelINS0_14default_configENS1_22reduce_config_selectorIN6thrust23THRUST_200600_302600_NS5tupleIblNS6_9null_typeES8_S8_S8_S8_S8_S8_S8_EEEEZNS1_11reduce_implILb1ES3_NS6_12zip_iteratorINS7_INS6_11hip_rocprim26transform_input_iterator_tIbNSD_35transform_pair_of_input_iterators_tIbNS6_6detail15normal_iteratorINS6_10device_ptrIKxEEEESL_NS6_8equal_toIxEEEENSG_9not_fun_tINSD_8identityEEEEENSD_19counting_iterator_tIlEES8_S8_S8_S8_S8_S8_S8_S8_EEEEPS9_S9_NSD_9__find_if7functorIS9_EEEE10hipError_tPvRmT1_T2_T3_mT4_P12ihipStream_tbEUlT_E1_NS1_11comp_targetILNS1_3genE9ELNS1_11target_archE1100ELNS1_3gpuE3ELNS1_3repE0EEENS1_30default_config_static_selectorELNS0_4arch9wavefront6targetE0EEEvS14_,"axG",@progbits,_ZN7rocprim17ROCPRIM_400000_NS6detail17trampoline_kernelINS0_14default_configENS1_22reduce_config_selectorIN6thrust23THRUST_200600_302600_NS5tupleIblNS6_9null_typeES8_S8_S8_S8_S8_S8_S8_EEEEZNS1_11reduce_implILb1ES3_NS6_12zip_iteratorINS7_INS6_11hip_rocprim26transform_input_iterator_tIbNSD_35transform_pair_of_input_iterators_tIbNS6_6detail15normal_iteratorINS6_10device_ptrIKxEEEESL_NS6_8equal_toIxEEEENSG_9not_fun_tINSD_8identityEEEEENSD_19counting_iterator_tIlEES8_S8_S8_S8_S8_S8_S8_S8_EEEEPS9_S9_NSD_9__find_if7functorIS9_EEEE10hipError_tPvRmT1_T2_T3_mT4_P12ihipStream_tbEUlT_E1_NS1_11comp_targetILNS1_3genE9ELNS1_11target_archE1100ELNS1_3gpuE3ELNS1_3repE0EEENS1_30default_config_static_selectorELNS0_4arch9wavefront6targetE0EEEvS14_,comdat
.Lfunc_end865:
	.size	_ZN7rocprim17ROCPRIM_400000_NS6detail17trampoline_kernelINS0_14default_configENS1_22reduce_config_selectorIN6thrust23THRUST_200600_302600_NS5tupleIblNS6_9null_typeES8_S8_S8_S8_S8_S8_S8_EEEEZNS1_11reduce_implILb1ES3_NS6_12zip_iteratorINS7_INS6_11hip_rocprim26transform_input_iterator_tIbNSD_35transform_pair_of_input_iterators_tIbNS6_6detail15normal_iteratorINS6_10device_ptrIKxEEEESL_NS6_8equal_toIxEEEENSG_9not_fun_tINSD_8identityEEEEENSD_19counting_iterator_tIlEES8_S8_S8_S8_S8_S8_S8_S8_EEEEPS9_S9_NSD_9__find_if7functorIS9_EEEE10hipError_tPvRmT1_T2_T3_mT4_P12ihipStream_tbEUlT_E1_NS1_11comp_targetILNS1_3genE9ELNS1_11target_archE1100ELNS1_3gpuE3ELNS1_3repE0EEENS1_30default_config_static_selectorELNS0_4arch9wavefront6targetE0EEEvS14_, .Lfunc_end865-_ZN7rocprim17ROCPRIM_400000_NS6detail17trampoline_kernelINS0_14default_configENS1_22reduce_config_selectorIN6thrust23THRUST_200600_302600_NS5tupleIblNS6_9null_typeES8_S8_S8_S8_S8_S8_S8_EEEEZNS1_11reduce_implILb1ES3_NS6_12zip_iteratorINS7_INS6_11hip_rocprim26transform_input_iterator_tIbNSD_35transform_pair_of_input_iterators_tIbNS6_6detail15normal_iteratorINS6_10device_ptrIKxEEEESL_NS6_8equal_toIxEEEENSG_9not_fun_tINSD_8identityEEEEENSD_19counting_iterator_tIlEES8_S8_S8_S8_S8_S8_S8_S8_EEEEPS9_S9_NSD_9__find_if7functorIS9_EEEE10hipError_tPvRmT1_T2_T3_mT4_P12ihipStream_tbEUlT_E1_NS1_11comp_targetILNS1_3genE9ELNS1_11target_archE1100ELNS1_3gpuE3ELNS1_3repE0EEENS1_30default_config_static_selectorELNS0_4arch9wavefront6targetE0EEEvS14_
                                        ; -- End function
	.section	.AMDGPU.csdata,"",@progbits
; Kernel info:
; codeLenInByte = 16136
; NumSgprs: 34
; NumVgprs: 34
; ScratchSize: 0
; MemoryBound: 0
; FloatMode: 240
; IeeeMode: 1
; LDSByteSize: 640 bytes/workgroup (compile time only)
; SGPRBlocks: 4
; VGPRBlocks: 4
; NumSGPRsForWavesPerEU: 34
; NumVGPRsForWavesPerEU: 34
; Occupancy: 16
; WaveLimiterHint : 0
; COMPUTE_PGM_RSRC2:SCRATCH_EN: 0
; COMPUTE_PGM_RSRC2:USER_SGPR: 15
; COMPUTE_PGM_RSRC2:TRAP_HANDLER: 0
; COMPUTE_PGM_RSRC2:TGID_X_EN: 1
; COMPUTE_PGM_RSRC2:TGID_Y_EN: 0
; COMPUTE_PGM_RSRC2:TGID_Z_EN: 0
; COMPUTE_PGM_RSRC2:TIDIG_COMP_CNT: 0
	.section	.text._ZN7rocprim17ROCPRIM_400000_NS6detail17trampoline_kernelINS0_14default_configENS1_22reduce_config_selectorIN6thrust23THRUST_200600_302600_NS5tupleIblNS6_9null_typeES8_S8_S8_S8_S8_S8_S8_EEEEZNS1_11reduce_implILb1ES3_NS6_12zip_iteratorINS7_INS6_11hip_rocprim26transform_input_iterator_tIbNSD_35transform_pair_of_input_iterators_tIbNS6_6detail15normal_iteratorINS6_10device_ptrIKxEEEESL_NS6_8equal_toIxEEEENSG_9not_fun_tINSD_8identityEEEEENSD_19counting_iterator_tIlEES8_S8_S8_S8_S8_S8_S8_S8_EEEEPS9_S9_NSD_9__find_if7functorIS9_EEEE10hipError_tPvRmT1_T2_T3_mT4_P12ihipStream_tbEUlT_E1_NS1_11comp_targetILNS1_3genE8ELNS1_11target_archE1030ELNS1_3gpuE2ELNS1_3repE0EEENS1_30default_config_static_selectorELNS0_4arch9wavefront6targetE0EEEvS14_,"axG",@progbits,_ZN7rocprim17ROCPRIM_400000_NS6detail17trampoline_kernelINS0_14default_configENS1_22reduce_config_selectorIN6thrust23THRUST_200600_302600_NS5tupleIblNS6_9null_typeES8_S8_S8_S8_S8_S8_S8_EEEEZNS1_11reduce_implILb1ES3_NS6_12zip_iteratorINS7_INS6_11hip_rocprim26transform_input_iterator_tIbNSD_35transform_pair_of_input_iterators_tIbNS6_6detail15normal_iteratorINS6_10device_ptrIKxEEEESL_NS6_8equal_toIxEEEENSG_9not_fun_tINSD_8identityEEEEENSD_19counting_iterator_tIlEES8_S8_S8_S8_S8_S8_S8_S8_EEEEPS9_S9_NSD_9__find_if7functorIS9_EEEE10hipError_tPvRmT1_T2_T3_mT4_P12ihipStream_tbEUlT_E1_NS1_11comp_targetILNS1_3genE8ELNS1_11target_archE1030ELNS1_3gpuE2ELNS1_3repE0EEENS1_30default_config_static_selectorELNS0_4arch9wavefront6targetE0EEEvS14_,comdat
	.protected	_ZN7rocprim17ROCPRIM_400000_NS6detail17trampoline_kernelINS0_14default_configENS1_22reduce_config_selectorIN6thrust23THRUST_200600_302600_NS5tupleIblNS6_9null_typeES8_S8_S8_S8_S8_S8_S8_EEEEZNS1_11reduce_implILb1ES3_NS6_12zip_iteratorINS7_INS6_11hip_rocprim26transform_input_iterator_tIbNSD_35transform_pair_of_input_iterators_tIbNS6_6detail15normal_iteratorINS6_10device_ptrIKxEEEESL_NS6_8equal_toIxEEEENSG_9not_fun_tINSD_8identityEEEEENSD_19counting_iterator_tIlEES8_S8_S8_S8_S8_S8_S8_S8_EEEEPS9_S9_NSD_9__find_if7functorIS9_EEEE10hipError_tPvRmT1_T2_T3_mT4_P12ihipStream_tbEUlT_E1_NS1_11comp_targetILNS1_3genE8ELNS1_11target_archE1030ELNS1_3gpuE2ELNS1_3repE0EEENS1_30default_config_static_selectorELNS0_4arch9wavefront6targetE0EEEvS14_ ; -- Begin function _ZN7rocprim17ROCPRIM_400000_NS6detail17trampoline_kernelINS0_14default_configENS1_22reduce_config_selectorIN6thrust23THRUST_200600_302600_NS5tupleIblNS6_9null_typeES8_S8_S8_S8_S8_S8_S8_EEEEZNS1_11reduce_implILb1ES3_NS6_12zip_iteratorINS7_INS6_11hip_rocprim26transform_input_iterator_tIbNSD_35transform_pair_of_input_iterators_tIbNS6_6detail15normal_iteratorINS6_10device_ptrIKxEEEESL_NS6_8equal_toIxEEEENSG_9not_fun_tINSD_8identityEEEEENSD_19counting_iterator_tIlEES8_S8_S8_S8_S8_S8_S8_S8_EEEEPS9_S9_NSD_9__find_if7functorIS9_EEEE10hipError_tPvRmT1_T2_T3_mT4_P12ihipStream_tbEUlT_E1_NS1_11comp_targetILNS1_3genE8ELNS1_11target_archE1030ELNS1_3gpuE2ELNS1_3repE0EEENS1_30default_config_static_selectorELNS0_4arch9wavefront6targetE0EEEvS14_
	.globl	_ZN7rocprim17ROCPRIM_400000_NS6detail17trampoline_kernelINS0_14default_configENS1_22reduce_config_selectorIN6thrust23THRUST_200600_302600_NS5tupleIblNS6_9null_typeES8_S8_S8_S8_S8_S8_S8_EEEEZNS1_11reduce_implILb1ES3_NS6_12zip_iteratorINS7_INS6_11hip_rocprim26transform_input_iterator_tIbNSD_35transform_pair_of_input_iterators_tIbNS6_6detail15normal_iteratorINS6_10device_ptrIKxEEEESL_NS6_8equal_toIxEEEENSG_9not_fun_tINSD_8identityEEEEENSD_19counting_iterator_tIlEES8_S8_S8_S8_S8_S8_S8_S8_EEEEPS9_S9_NSD_9__find_if7functorIS9_EEEE10hipError_tPvRmT1_T2_T3_mT4_P12ihipStream_tbEUlT_E1_NS1_11comp_targetILNS1_3genE8ELNS1_11target_archE1030ELNS1_3gpuE2ELNS1_3repE0EEENS1_30default_config_static_selectorELNS0_4arch9wavefront6targetE0EEEvS14_
	.p2align	8
	.type	_ZN7rocprim17ROCPRIM_400000_NS6detail17trampoline_kernelINS0_14default_configENS1_22reduce_config_selectorIN6thrust23THRUST_200600_302600_NS5tupleIblNS6_9null_typeES8_S8_S8_S8_S8_S8_S8_EEEEZNS1_11reduce_implILb1ES3_NS6_12zip_iteratorINS7_INS6_11hip_rocprim26transform_input_iterator_tIbNSD_35transform_pair_of_input_iterators_tIbNS6_6detail15normal_iteratorINS6_10device_ptrIKxEEEESL_NS6_8equal_toIxEEEENSG_9not_fun_tINSD_8identityEEEEENSD_19counting_iterator_tIlEES8_S8_S8_S8_S8_S8_S8_S8_EEEEPS9_S9_NSD_9__find_if7functorIS9_EEEE10hipError_tPvRmT1_T2_T3_mT4_P12ihipStream_tbEUlT_E1_NS1_11comp_targetILNS1_3genE8ELNS1_11target_archE1030ELNS1_3gpuE2ELNS1_3repE0EEENS1_30default_config_static_selectorELNS0_4arch9wavefront6targetE0EEEvS14_,@function
_ZN7rocprim17ROCPRIM_400000_NS6detail17trampoline_kernelINS0_14default_configENS1_22reduce_config_selectorIN6thrust23THRUST_200600_302600_NS5tupleIblNS6_9null_typeES8_S8_S8_S8_S8_S8_S8_EEEEZNS1_11reduce_implILb1ES3_NS6_12zip_iteratorINS7_INS6_11hip_rocprim26transform_input_iterator_tIbNSD_35transform_pair_of_input_iterators_tIbNS6_6detail15normal_iteratorINS6_10device_ptrIKxEEEESL_NS6_8equal_toIxEEEENSG_9not_fun_tINSD_8identityEEEEENSD_19counting_iterator_tIlEES8_S8_S8_S8_S8_S8_S8_S8_EEEEPS9_S9_NSD_9__find_if7functorIS9_EEEE10hipError_tPvRmT1_T2_T3_mT4_P12ihipStream_tbEUlT_E1_NS1_11comp_targetILNS1_3genE8ELNS1_11target_archE1030ELNS1_3gpuE2ELNS1_3repE0EEENS1_30default_config_static_selectorELNS0_4arch9wavefront6targetE0EEEvS14_: ; @_ZN7rocprim17ROCPRIM_400000_NS6detail17trampoline_kernelINS0_14default_configENS1_22reduce_config_selectorIN6thrust23THRUST_200600_302600_NS5tupleIblNS6_9null_typeES8_S8_S8_S8_S8_S8_S8_EEEEZNS1_11reduce_implILb1ES3_NS6_12zip_iteratorINS7_INS6_11hip_rocprim26transform_input_iterator_tIbNSD_35transform_pair_of_input_iterators_tIbNS6_6detail15normal_iteratorINS6_10device_ptrIKxEEEESL_NS6_8equal_toIxEEEENSG_9not_fun_tINSD_8identityEEEEENSD_19counting_iterator_tIlEES8_S8_S8_S8_S8_S8_S8_S8_EEEEPS9_S9_NSD_9__find_if7functorIS9_EEEE10hipError_tPvRmT1_T2_T3_mT4_P12ihipStream_tbEUlT_E1_NS1_11comp_targetILNS1_3genE8ELNS1_11target_archE1030ELNS1_3gpuE2ELNS1_3repE0EEENS1_30default_config_static_selectorELNS0_4arch9wavefront6targetE0EEEvS14_
; %bb.0:
	.section	.rodata,"a",@progbits
	.p2align	6, 0x0
	.amdhsa_kernel _ZN7rocprim17ROCPRIM_400000_NS6detail17trampoline_kernelINS0_14default_configENS1_22reduce_config_selectorIN6thrust23THRUST_200600_302600_NS5tupleIblNS6_9null_typeES8_S8_S8_S8_S8_S8_S8_EEEEZNS1_11reduce_implILb1ES3_NS6_12zip_iteratorINS7_INS6_11hip_rocprim26transform_input_iterator_tIbNSD_35transform_pair_of_input_iterators_tIbNS6_6detail15normal_iteratorINS6_10device_ptrIKxEEEESL_NS6_8equal_toIxEEEENSG_9not_fun_tINSD_8identityEEEEENSD_19counting_iterator_tIlEES8_S8_S8_S8_S8_S8_S8_S8_EEEEPS9_S9_NSD_9__find_if7functorIS9_EEEE10hipError_tPvRmT1_T2_T3_mT4_P12ihipStream_tbEUlT_E1_NS1_11comp_targetILNS1_3genE8ELNS1_11target_archE1030ELNS1_3gpuE2ELNS1_3repE0EEENS1_30default_config_static_selectorELNS0_4arch9wavefront6targetE0EEEvS14_
		.amdhsa_group_segment_fixed_size 0
		.amdhsa_private_segment_fixed_size 0
		.amdhsa_kernarg_size 88
		.amdhsa_user_sgpr_count 15
		.amdhsa_user_sgpr_dispatch_ptr 0
		.amdhsa_user_sgpr_queue_ptr 0
		.amdhsa_user_sgpr_kernarg_segment_ptr 1
		.amdhsa_user_sgpr_dispatch_id 0
		.amdhsa_user_sgpr_private_segment_size 0
		.amdhsa_wavefront_size32 1
		.amdhsa_uses_dynamic_stack 0
		.amdhsa_enable_private_segment 0
		.amdhsa_system_sgpr_workgroup_id_x 1
		.amdhsa_system_sgpr_workgroup_id_y 0
		.amdhsa_system_sgpr_workgroup_id_z 0
		.amdhsa_system_sgpr_workgroup_info 0
		.amdhsa_system_vgpr_workitem_id 0
		.amdhsa_next_free_vgpr 1
		.amdhsa_next_free_sgpr 1
		.amdhsa_reserve_vcc 0
		.amdhsa_float_round_mode_32 0
		.amdhsa_float_round_mode_16_64 0
		.amdhsa_float_denorm_mode_32 3
		.amdhsa_float_denorm_mode_16_64 3
		.amdhsa_dx10_clamp 1
		.amdhsa_ieee_mode 1
		.amdhsa_fp16_overflow 0
		.amdhsa_workgroup_processor_mode 1
		.amdhsa_memory_ordered 1
		.amdhsa_forward_progress 0
		.amdhsa_shared_vgpr_count 0
		.amdhsa_exception_fp_ieee_invalid_op 0
		.amdhsa_exception_fp_denorm_src 0
		.amdhsa_exception_fp_ieee_div_zero 0
		.amdhsa_exception_fp_ieee_overflow 0
		.amdhsa_exception_fp_ieee_underflow 0
		.amdhsa_exception_fp_ieee_inexact 0
		.amdhsa_exception_int_div_zero 0
	.end_amdhsa_kernel
	.section	.text._ZN7rocprim17ROCPRIM_400000_NS6detail17trampoline_kernelINS0_14default_configENS1_22reduce_config_selectorIN6thrust23THRUST_200600_302600_NS5tupleIblNS6_9null_typeES8_S8_S8_S8_S8_S8_S8_EEEEZNS1_11reduce_implILb1ES3_NS6_12zip_iteratorINS7_INS6_11hip_rocprim26transform_input_iterator_tIbNSD_35transform_pair_of_input_iterators_tIbNS6_6detail15normal_iteratorINS6_10device_ptrIKxEEEESL_NS6_8equal_toIxEEEENSG_9not_fun_tINSD_8identityEEEEENSD_19counting_iterator_tIlEES8_S8_S8_S8_S8_S8_S8_S8_EEEEPS9_S9_NSD_9__find_if7functorIS9_EEEE10hipError_tPvRmT1_T2_T3_mT4_P12ihipStream_tbEUlT_E1_NS1_11comp_targetILNS1_3genE8ELNS1_11target_archE1030ELNS1_3gpuE2ELNS1_3repE0EEENS1_30default_config_static_selectorELNS0_4arch9wavefront6targetE0EEEvS14_,"axG",@progbits,_ZN7rocprim17ROCPRIM_400000_NS6detail17trampoline_kernelINS0_14default_configENS1_22reduce_config_selectorIN6thrust23THRUST_200600_302600_NS5tupleIblNS6_9null_typeES8_S8_S8_S8_S8_S8_S8_EEEEZNS1_11reduce_implILb1ES3_NS6_12zip_iteratorINS7_INS6_11hip_rocprim26transform_input_iterator_tIbNSD_35transform_pair_of_input_iterators_tIbNS6_6detail15normal_iteratorINS6_10device_ptrIKxEEEESL_NS6_8equal_toIxEEEENSG_9not_fun_tINSD_8identityEEEEENSD_19counting_iterator_tIlEES8_S8_S8_S8_S8_S8_S8_S8_EEEEPS9_S9_NSD_9__find_if7functorIS9_EEEE10hipError_tPvRmT1_T2_T3_mT4_P12ihipStream_tbEUlT_E1_NS1_11comp_targetILNS1_3genE8ELNS1_11target_archE1030ELNS1_3gpuE2ELNS1_3repE0EEENS1_30default_config_static_selectorELNS0_4arch9wavefront6targetE0EEEvS14_,comdat
.Lfunc_end866:
	.size	_ZN7rocprim17ROCPRIM_400000_NS6detail17trampoline_kernelINS0_14default_configENS1_22reduce_config_selectorIN6thrust23THRUST_200600_302600_NS5tupleIblNS6_9null_typeES8_S8_S8_S8_S8_S8_S8_EEEEZNS1_11reduce_implILb1ES3_NS6_12zip_iteratorINS7_INS6_11hip_rocprim26transform_input_iterator_tIbNSD_35transform_pair_of_input_iterators_tIbNS6_6detail15normal_iteratorINS6_10device_ptrIKxEEEESL_NS6_8equal_toIxEEEENSG_9not_fun_tINSD_8identityEEEEENSD_19counting_iterator_tIlEES8_S8_S8_S8_S8_S8_S8_S8_EEEEPS9_S9_NSD_9__find_if7functorIS9_EEEE10hipError_tPvRmT1_T2_T3_mT4_P12ihipStream_tbEUlT_E1_NS1_11comp_targetILNS1_3genE8ELNS1_11target_archE1030ELNS1_3gpuE2ELNS1_3repE0EEENS1_30default_config_static_selectorELNS0_4arch9wavefront6targetE0EEEvS14_, .Lfunc_end866-_ZN7rocprim17ROCPRIM_400000_NS6detail17trampoline_kernelINS0_14default_configENS1_22reduce_config_selectorIN6thrust23THRUST_200600_302600_NS5tupleIblNS6_9null_typeES8_S8_S8_S8_S8_S8_S8_EEEEZNS1_11reduce_implILb1ES3_NS6_12zip_iteratorINS7_INS6_11hip_rocprim26transform_input_iterator_tIbNSD_35transform_pair_of_input_iterators_tIbNS6_6detail15normal_iteratorINS6_10device_ptrIKxEEEESL_NS6_8equal_toIxEEEENSG_9not_fun_tINSD_8identityEEEEENSD_19counting_iterator_tIlEES8_S8_S8_S8_S8_S8_S8_S8_EEEEPS9_S9_NSD_9__find_if7functorIS9_EEEE10hipError_tPvRmT1_T2_T3_mT4_P12ihipStream_tbEUlT_E1_NS1_11comp_targetILNS1_3genE8ELNS1_11target_archE1030ELNS1_3gpuE2ELNS1_3repE0EEENS1_30default_config_static_selectorELNS0_4arch9wavefront6targetE0EEEvS14_
                                        ; -- End function
	.section	.AMDGPU.csdata,"",@progbits
; Kernel info:
; codeLenInByte = 0
; NumSgprs: 0
; NumVgprs: 0
; ScratchSize: 0
; MemoryBound: 0
; FloatMode: 240
; IeeeMode: 1
; LDSByteSize: 0 bytes/workgroup (compile time only)
; SGPRBlocks: 0
; VGPRBlocks: 0
; NumSGPRsForWavesPerEU: 1
; NumVGPRsForWavesPerEU: 1
; Occupancy: 16
; WaveLimiterHint : 0
; COMPUTE_PGM_RSRC2:SCRATCH_EN: 0
; COMPUTE_PGM_RSRC2:USER_SGPR: 15
; COMPUTE_PGM_RSRC2:TRAP_HANDLER: 0
; COMPUTE_PGM_RSRC2:TGID_X_EN: 1
; COMPUTE_PGM_RSRC2:TGID_Y_EN: 0
; COMPUTE_PGM_RSRC2:TGID_Z_EN: 0
; COMPUTE_PGM_RSRC2:TIDIG_COMP_CNT: 0
	.section	.text._ZN6thrust23THRUST_200600_302600_NS11hip_rocprim14__parallel_for6kernelILj256ENS1_11__transform17unary_transform_fINS0_12zip_iteratorINS0_5tupleINS0_6detail15normal_iteratorINS0_10device_ptrIiEEEESC_NS0_9null_typeESD_SD_SD_SD_SD_SD_SD_EEEESF_NS4_14no_stencil_tagENS0_8identityINS7_IiiSD_SD_SD_SD_SD_SD_SD_SD_EEEENS4_21always_true_predicateEEElLj1EEEvT0_T1_SN_,"axG",@progbits,_ZN6thrust23THRUST_200600_302600_NS11hip_rocprim14__parallel_for6kernelILj256ENS1_11__transform17unary_transform_fINS0_12zip_iteratorINS0_5tupleINS0_6detail15normal_iteratorINS0_10device_ptrIiEEEESC_NS0_9null_typeESD_SD_SD_SD_SD_SD_SD_EEEESF_NS4_14no_stencil_tagENS0_8identityINS7_IiiSD_SD_SD_SD_SD_SD_SD_SD_EEEENS4_21always_true_predicateEEElLj1EEEvT0_T1_SN_,comdat
	.protected	_ZN6thrust23THRUST_200600_302600_NS11hip_rocprim14__parallel_for6kernelILj256ENS1_11__transform17unary_transform_fINS0_12zip_iteratorINS0_5tupleINS0_6detail15normal_iteratorINS0_10device_ptrIiEEEESC_NS0_9null_typeESD_SD_SD_SD_SD_SD_SD_EEEESF_NS4_14no_stencil_tagENS0_8identityINS7_IiiSD_SD_SD_SD_SD_SD_SD_SD_EEEENS4_21always_true_predicateEEElLj1EEEvT0_T1_SN_ ; -- Begin function _ZN6thrust23THRUST_200600_302600_NS11hip_rocprim14__parallel_for6kernelILj256ENS1_11__transform17unary_transform_fINS0_12zip_iteratorINS0_5tupleINS0_6detail15normal_iteratorINS0_10device_ptrIiEEEESC_NS0_9null_typeESD_SD_SD_SD_SD_SD_SD_EEEESF_NS4_14no_stencil_tagENS0_8identityINS7_IiiSD_SD_SD_SD_SD_SD_SD_SD_EEEENS4_21always_true_predicateEEElLj1EEEvT0_T1_SN_
	.globl	_ZN6thrust23THRUST_200600_302600_NS11hip_rocprim14__parallel_for6kernelILj256ENS1_11__transform17unary_transform_fINS0_12zip_iteratorINS0_5tupleINS0_6detail15normal_iteratorINS0_10device_ptrIiEEEESC_NS0_9null_typeESD_SD_SD_SD_SD_SD_SD_EEEESF_NS4_14no_stencil_tagENS0_8identityINS7_IiiSD_SD_SD_SD_SD_SD_SD_SD_EEEENS4_21always_true_predicateEEElLj1EEEvT0_T1_SN_
	.p2align	8
	.type	_ZN6thrust23THRUST_200600_302600_NS11hip_rocprim14__parallel_for6kernelILj256ENS1_11__transform17unary_transform_fINS0_12zip_iteratorINS0_5tupleINS0_6detail15normal_iteratorINS0_10device_ptrIiEEEESC_NS0_9null_typeESD_SD_SD_SD_SD_SD_SD_EEEESF_NS4_14no_stencil_tagENS0_8identityINS7_IiiSD_SD_SD_SD_SD_SD_SD_SD_EEEENS4_21always_true_predicateEEElLj1EEEvT0_T1_SN_,@function
_ZN6thrust23THRUST_200600_302600_NS11hip_rocprim14__parallel_for6kernelILj256ENS1_11__transform17unary_transform_fINS0_12zip_iteratorINS0_5tupleINS0_6detail15normal_iteratorINS0_10device_ptrIiEEEESC_NS0_9null_typeESD_SD_SD_SD_SD_SD_SD_EEEESF_NS4_14no_stencil_tagENS0_8identityINS7_IiiSD_SD_SD_SD_SD_SD_SD_SD_EEEENS4_21always_true_predicateEEElLj1EEEvT0_T1_SN_: ; @_ZN6thrust23THRUST_200600_302600_NS11hip_rocprim14__parallel_for6kernelILj256ENS1_11__transform17unary_transform_fINS0_12zip_iteratorINS0_5tupleINS0_6detail15normal_iteratorINS0_10device_ptrIiEEEESC_NS0_9null_typeESD_SD_SD_SD_SD_SD_SD_EEEESF_NS4_14no_stencil_tagENS0_8identityINS7_IiiSD_SD_SD_SD_SD_SD_SD_SD_EEEENS4_21always_true_predicateEEElLj1EEEvT0_T1_SN_
; %bb.0:
	s_clause 0x1
	s_load_b128 s[16:19], s[0:1], 0x28
	s_load_b256 s[0:7], s[0:1], 0x0
	s_lshl_b32 s8, s15, 8
	s_waitcnt lgkmcnt(0)
	s_add_u32 s8, s8, s18
	s_addc_u32 s9, 0, s19
	s_sub_u32 s10, s16, s8
	s_subb_u32 s11, s17, s9
	s_delay_alu instid0(SALU_CYCLE_1) | instskip(NEXT) | instid1(VALU_DEP_1)
	v_cmp_gt_i64_e64 s11, 0x100, s[10:11]
	s_and_b32 s11, s11, exec_lo
	s_cselect_b32 s11, s10, 0x100
	s_mov_b32 s10, -1
	s_cmpk_lg_i32 s11, 0x100
	s_cbranch_scc1 .LBB867_3
; %bb.1:
	s_and_not1_b32 vcc_lo, exec_lo, s10
	s_cbranch_vccz .LBB867_6
.LBB867_2:
	s_nop 0
	s_sendmsg sendmsg(MSG_DEALLOC_VGPRS)
	s_endpgm
.LBB867_3:
	s_mov_b32 s10, exec_lo
	v_cmpx_gt_u32_e64 s11, v0
	s_cbranch_execz .LBB867_5
; %bb.4:
	v_add_co_u32 v1, s11, s8, v0
	s_delay_alu instid0(VALU_DEP_1) | instskip(NEXT) | instid1(VALU_DEP_1)
	v_add_co_ci_u32_e64 v2, null, s9, 0, s11
	v_lshlrev_b64 v[1:2], 2, v[1:2]
	s_delay_alu instid0(VALU_DEP_1) | instskip(NEXT) | instid1(VALU_DEP_2)
	v_add_co_u32 v3, vcc_lo, s0, v1
	v_add_co_ci_u32_e32 v4, vcc_lo, s1, v2, vcc_lo
	v_add_co_u32 v5, vcc_lo, s2, v1
	v_add_co_ci_u32_e32 v6, vcc_lo, s3, v2, vcc_lo
	global_load_b32 v7, v[3:4], off
	global_load_b32 v5, v[5:6], off
	v_add_co_u32 v3, vcc_lo, s4, v1
	v_add_co_ci_u32_e32 v4, vcc_lo, s5, v2, vcc_lo
	v_add_co_u32 v1, vcc_lo, s6, v1
	v_add_co_ci_u32_e32 v2, vcc_lo, s7, v2, vcc_lo
	s_waitcnt vmcnt(1)
	global_store_b32 v[3:4], v7, off
	s_waitcnt vmcnt(0)
	global_store_b32 v[1:2], v5, off
.LBB867_5:
	s_or_b32 exec_lo, exec_lo, s10
	s_cbranch_execnz .LBB867_2
.LBB867_6:
	v_add_co_u32 v0, s8, s8, v0
	s_delay_alu instid0(VALU_DEP_1) | instskip(NEXT) | instid1(VALU_DEP_1)
	v_add_co_ci_u32_e64 v1, null, s9, 0, s8
	v_lshlrev_b64 v[0:1], 2, v[0:1]
	s_delay_alu instid0(VALU_DEP_1) | instskip(NEXT) | instid1(VALU_DEP_2)
	v_add_co_u32 v2, vcc_lo, s0, v0
	v_add_co_ci_u32_e32 v3, vcc_lo, s1, v1, vcc_lo
	v_add_co_u32 v4, vcc_lo, s2, v0
	v_add_co_ci_u32_e32 v5, vcc_lo, s3, v1, vcc_lo
	global_load_b32 v6, v[2:3], off
	global_load_b32 v4, v[4:5], off
	v_add_co_u32 v2, vcc_lo, s4, v0
	v_add_co_ci_u32_e32 v3, vcc_lo, s5, v1, vcc_lo
	v_add_co_u32 v0, vcc_lo, s6, v0
	v_add_co_ci_u32_e32 v1, vcc_lo, s7, v1, vcc_lo
	s_waitcnt vmcnt(1)
	global_store_b32 v[2:3], v6, off
	s_waitcnt vmcnt(0)
	global_store_b32 v[0:1], v4, off
	s_nop 0
	s_sendmsg sendmsg(MSG_DEALLOC_VGPRS)
	s_endpgm
	.section	.rodata,"a",@progbits
	.p2align	6, 0x0
	.amdhsa_kernel _ZN6thrust23THRUST_200600_302600_NS11hip_rocprim14__parallel_for6kernelILj256ENS1_11__transform17unary_transform_fINS0_12zip_iteratorINS0_5tupleINS0_6detail15normal_iteratorINS0_10device_ptrIiEEEESC_NS0_9null_typeESD_SD_SD_SD_SD_SD_SD_EEEESF_NS4_14no_stencil_tagENS0_8identityINS7_IiiSD_SD_SD_SD_SD_SD_SD_SD_EEEENS4_21always_true_predicateEEElLj1EEEvT0_T1_SN_
		.amdhsa_group_segment_fixed_size 0
		.amdhsa_private_segment_fixed_size 0
		.amdhsa_kernarg_size 56
		.amdhsa_user_sgpr_count 15
		.amdhsa_user_sgpr_dispatch_ptr 0
		.amdhsa_user_sgpr_queue_ptr 0
		.amdhsa_user_sgpr_kernarg_segment_ptr 1
		.amdhsa_user_sgpr_dispatch_id 0
		.amdhsa_user_sgpr_private_segment_size 0
		.amdhsa_wavefront_size32 1
		.amdhsa_uses_dynamic_stack 0
		.amdhsa_enable_private_segment 0
		.amdhsa_system_sgpr_workgroup_id_x 1
		.amdhsa_system_sgpr_workgroup_id_y 0
		.amdhsa_system_sgpr_workgroup_id_z 0
		.amdhsa_system_sgpr_workgroup_info 0
		.amdhsa_system_vgpr_workitem_id 0
		.amdhsa_next_free_vgpr 8
		.amdhsa_next_free_sgpr 20
		.amdhsa_reserve_vcc 1
		.amdhsa_float_round_mode_32 0
		.amdhsa_float_round_mode_16_64 0
		.amdhsa_float_denorm_mode_32 3
		.amdhsa_float_denorm_mode_16_64 3
		.amdhsa_dx10_clamp 1
		.amdhsa_ieee_mode 1
		.amdhsa_fp16_overflow 0
		.amdhsa_workgroup_processor_mode 1
		.amdhsa_memory_ordered 1
		.amdhsa_forward_progress 0
		.amdhsa_shared_vgpr_count 0
		.amdhsa_exception_fp_ieee_invalid_op 0
		.amdhsa_exception_fp_denorm_src 0
		.amdhsa_exception_fp_ieee_div_zero 0
		.amdhsa_exception_fp_ieee_overflow 0
		.amdhsa_exception_fp_ieee_underflow 0
		.amdhsa_exception_fp_ieee_inexact 0
		.amdhsa_exception_int_div_zero 0
	.end_amdhsa_kernel
	.section	.text._ZN6thrust23THRUST_200600_302600_NS11hip_rocprim14__parallel_for6kernelILj256ENS1_11__transform17unary_transform_fINS0_12zip_iteratorINS0_5tupleINS0_6detail15normal_iteratorINS0_10device_ptrIiEEEESC_NS0_9null_typeESD_SD_SD_SD_SD_SD_SD_EEEESF_NS4_14no_stencil_tagENS0_8identityINS7_IiiSD_SD_SD_SD_SD_SD_SD_SD_EEEENS4_21always_true_predicateEEElLj1EEEvT0_T1_SN_,"axG",@progbits,_ZN6thrust23THRUST_200600_302600_NS11hip_rocprim14__parallel_for6kernelILj256ENS1_11__transform17unary_transform_fINS0_12zip_iteratorINS0_5tupleINS0_6detail15normal_iteratorINS0_10device_ptrIiEEEESC_NS0_9null_typeESD_SD_SD_SD_SD_SD_SD_EEEESF_NS4_14no_stencil_tagENS0_8identityINS7_IiiSD_SD_SD_SD_SD_SD_SD_SD_EEEENS4_21always_true_predicateEEElLj1EEEvT0_T1_SN_,comdat
.Lfunc_end867:
	.size	_ZN6thrust23THRUST_200600_302600_NS11hip_rocprim14__parallel_for6kernelILj256ENS1_11__transform17unary_transform_fINS0_12zip_iteratorINS0_5tupleINS0_6detail15normal_iteratorINS0_10device_ptrIiEEEESC_NS0_9null_typeESD_SD_SD_SD_SD_SD_SD_EEEESF_NS4_14no_stencil_tagENS0_8identityINS7_IiiSD_SD_SD_SD_SD_SD_SD_SD_EEEENS4_21always_true_predicateEEElLj1EEEvT0_T1_SN_, .Lfunc_end867-_ZN6thrust23THRUST_200600_302600_NS11hip_rocprim14__parallel_for6kernelILj256ENS1_11__transform17unary_transform_fINS0_12zip_iteratorINS0_5tupleINS0_6detail15normal_iteratorINS0_10device_ptrIiEEEESC_NS0_9null_typeESD_SD_SD_SD_SD_SD_SD_EEEESF_NS4_14no_stencil_tagENS0_8identityINS7_IiiSD_SD_SD_SD_SD_SD_SD_SD_EEEENS4_21always_true_predicateEEElLj1EEEvT0_T1_SN_
                                        ; -- End function
	.section	.AMDGPU.csdata,"",@progbits
; Kernel info:
; codeLenInByte = 380
; NumSgprs: 22
; NumVgprs: 8
; ScratchSize: 0
; MemoryBound: 0
; FloatMode: 240
; IeeeMode: 1
; LDSByteSize: 0 bytes/workgroup (compile time only)
; SGPRBlocks: 2
; VGPRBlocks: 0
; NumSGPRsForWavesPerEU: 22
; NumVGPRsForWavesPerEU: 8
; Occupancy: 16
; WaveLimiterHint : 0
; COMPUTE_PGM_RSRC2:SCRATCH_EN: 0
; COMPUTE_PGM_RSRC2:USER_SGPR: 15
; COMPUTE_PGM_RSRC2:TRAP_HANDLER: 0
; COMPUTE_PGM_RSRC2:TGID_X_EN: 1
; COMPUTE_PGM_RSRC2:TGID_Y_EN: 0
; COMPUTE_PGM_RSRC2:TGID_Z_EN: 0
; COMPUTE_PGM_RSRC2:TIDIG_COMP_CNT: 0
	.section	.text._ZN6thrust23THRUST_200600_302600_NS11hip_rocprim14__parallel_for6kernelILj256ENS1_11__transform17unary_transform_fINS0_12zip_iteratorINS0_5tupleINS0_6detail15normal_iteratorINS0_10device_ptrIsEEEESC_NS0_9null_typeESD_SD_SD_SD_SD_SD_SD_EEEESF_NS4_14no_stencil_tagENS0_8identityINS7_IssSD_SD_SD_SD_SD_SD_SD_SD_EEEENS4_21always_true_predicateEEElLj1EEEvT0_T1_SN_,"axG",@progbits,_ZN6thrust23THRUST_200600_302600_NS11hip_rocprim14__parallel_for6kernelILj256ENS1_11__transform17unary_transform_fINS0_12zip_iteratorINS0_5tupleINS0_6detail15normal_iteratorINS0_10device_ptrIsEEEESC_NS0_9null_typeESD_SD_SD_SD_SD_SD_SD_EEEESF_NS4_14no_stencil_tagENS0_8identityINS7_IssSD_SD_SD_SD_SD_SD_SD_SD_EEEENS4_21always_true_predicateEEElLj1EEEvT0_T1_SN_,comdat
	.protected	_ZN6thrust23THRUST_200600_302600_NS11hip_rocprim14__parallel_for6kernelILj256ENS1_11__transform17unary_transform_fINS0_12zip_iteratorINS0_5tupleINS0_6detail15normal_iteratorINS0_10device_ptrIsEEEESC_NS0_9null_typeESD_SD_SD_SD_SD_SD_SD_EEEESF_NS4_14no_stencil_tagENS0_8identityINS7_IssSD_SD_SD_SD_SD_SD_SD_SD_EEEENS4_21always_true_predicateEEElLj1EEEvT0_T1_SN_ ; -- Begin function _ZN6thrust23THRUST_200600_302600_NS11hip_rocprim14__parallel_for6kernelILj256ENS1_11__transform17unary_transform_fINS0_12zip_iteratorINS0_5tupleINS0_6detail15normal_iteratorINS0_10device_ptrIsEEEESC_NS0_9null_typeESD_SD_SD_SD_SD_SD_SD_EEEESF_NS4_14no_stencil_tagENS0_8identityINS7_IssSD_SD_SD_SD_SD_SD_SD_SD_EEEENS4_21always_true_predicateEEElLj1EEEvT0_T1_SN_
	.globl	_ZN6thrust23THRUST_200600_302600_NS11hip_rocprim14__parallel_for6kernelILj256ENS1_11__transform17unary_transform_fINS0_12zip_iteratorINS0_5tupleINS0_6detail15normal_iteratorINS0_10device_ptrIsEEEESC_NS0_9null_typeESD_SD_SD_SD_SD_SD_SD_EEEESF_NS4_14no_stencil_tagENS0_8identityINS7_IssSD_SD_SD_SD_SD_SD_SD_SD_EEEENS4_21always_true_predicateEEElLj1EEEvT0_T1_SN_
	.p2align	8
	.type	_ZN6thrust23THRUST_200600_302600_NS11hip_rocprim14__parallel_for6kernelILj256ENS1_11__transform17unary_transform_fINS0_12zip_iteratorINS0_5tupleINS0_6detail15normal_iteratorINS0_10device_ptrIsEEEESC_NS0_9null_typeESD_SD_SD_SD_SD_SD_SD_EEEESF_NS4_14no_stencil_tagENS0_8identityINS7_IssSD_SD_SD_SD_SD_SD_SD_SD_EEEENS4_21always_true_predicateEEElLj1EEEvT0_T1_SN_,@function
_ZN6thrust23THRUST_200600_302600_NS11hip_rocprim14__parallel_for6kernelILj256ENS1_11__transform17unary_transform_fINS0_12zip_iteratorINS0_5tupleINS0_6detail15normal_iteratorINS0_10device_ptrIsEEEESC_NS0_9null_typeESD_SD_SD_SD_SD_SD_SD_EEEESF_NS4_14no_stencil_tagENS0_8identityINS7_IssSD_SD_SD_SD_SD_SD_SD_SD_EEEENS4_21always_true_predicateEEElLj1EEEvT0_T1_SN_: ; @_ZN6thrust23THRUST_200600_302600_NS11hip_rocprim14__parallel_for6kernelILj256ENS1_11__transform17unary_transform_fINS0_12zip_iteratorINS0_5tupleINS0_6detail15normal_iteratorINS0_10device_ptrIsEEEESC_NS0_9null_typeESD_SD_SD_SD_SD_SD_SD_EEEESF_NS4_14no_stencil_tagENS0_8identityINS7_IssSD_SD_SD_SD_SD_SD_SD_SD_EEEENS4_21always_true_predicateEEElLj1EEEvT0_T1_SN_
; %bb.0:
	s_clause 0x1
	s_load_b128 s[16:19], s[0:1], 0x28
	s_load_b256 s[0:7], s[0:1], 0x0
	s_lshl_b32 s8, s15, 8
	s_waitcnt lgkmcnt(0)
	s_add_u32 s8, s8, s18
	s_addc_u32 s9, 0, s19
	s_sub_u32 s10, s16, s8
	s_subb_u32 s11, s17, s9
	s_delay_alu instid0(SALU_CYCLE_1) | instskip(NEXT) | instid1(VALU_DEP_1)
	v_cmp_gt_i64_e64 s11, 0x100, s[10:11]
	s_and_b32 s11, s11, exec_lo
	s_cselect_b32 s11, s10, 0x100
	s_mov_b32 s10, -1
	s_cmpk_lg_i32 s11, 0x100
	s_cbranch_scc1 .LBB868_3
; %bb.1:
	s_and_not1_b32 vcc_lo, exec_lo, s10
	s_cbranch_vccz .LBB868_6
.LBB868_2:
	s_nop 0
	s_sendmsg sendmsg(MSG_DEALLOC_VGPRS)
	s_endpgm
.LBB868_3:
	s_mov_b32 s10, exec_lo
	v_cmpx_gt_u32_e64 s11, v0
	s_cbranch_execz .LBB868_5
; %bb.4:
	v_add_co_u32 v1, s11, s8, v0
	s_delay_alu instid0(VALU_DEP_1) | instskip(NEXT) | instid1(VALU_DEP_1)
	v_add_co_ci_u32_e64 v2, null, s9, 0, s11
	v_lshlrev_b64 v[1:2], 1, v[1:2]
	s_delay_alu instid0(VALU_DEP_1) | instskip(NEXT) | instid1(VALU_DEP_2)
	v_add_co_u32 v3, vcc_lo, s0, v1
	v_add_co_ci_u32_e32 v4, vcc_lo, s1, v2, vcc_lo
	v_add_co_u32 v5, vcc_lo, s2, v1
	v_add_co_ci_u32_e32 v6, vcc_lo, s3, v2, vcc_lo
	global_load_u16 v7, v[3:4], off
	global_load_u16 v5, v[5:6], off
	v_add_co_u32 v3, vcc_lo, s4, v1
	v_add_co_ci_u32_e32 v4, vcc_lo, s5, v2, vcc_lo
	v_add_co_u32 v1, vcc_lo, s6, v1
	v_add_co_ci_u32_e32 v2, vcc_lo, s7, v2, vcc_lo
	s_waitcnt vmcnt(1)
	global_store_b16 v[3:4], v7, off
	s_waitcnt vmcnt(0)
	global_store_b16 v[1:2], v5, off
.LBB868_5:
	s_or_b32 exec_lo, exec_lo, s10
	s_cbranch_execnz .LBB868_2
.LBB868_6:
	v_add_co_u32 v0, s8, s8, v0
	s_delay_alu instid0(VALU_DEP_1) | instskip(NEXT) | instid1(VALU_DEP_1)
	v_add_co_ci_u32_e64 v1, null, s9, 0, s8
	v_lshlrev_b64 v[0:1], 1, v[0:1]
	s_delay_alu instid0(VALU_DEP_1) | instskip(NEXT) | instid1(VALU_DEP_2)
	v_add_co_u32 v2, vcc_lo, s0, v0
	v_add_co_ci_u32_e32 v3, vcc_lo, s1, v1, vcc_lo
	v_add_co_u32 v4, vcc_lo, s2, v0
	v_add_co_ci_u32_e32 v5, vcc_lo, s3, v1, vcc_lo
	global_load_u16 v6, v[2:3], off
	global_load_u16 v4, v[4:5], off
	v_add_co_u32 v2, vcc_lo, s4, v0
	v_add_co_ci_u32_e32 v3, vcc_lo, s5, v1, vcc_lo
	v_add_co_u32 v0, vcc_lo, s6, v0
	v_add_co_ci_u32_e32 v1, vcc_lo, s7, v1, vcc_lo
	s_waitcnt vmcnt(1)
	global_store_b16 v[2:3], v6, off
	s_waitcnt vmcnt(0)
	global_store_b16 v[0:1], v4, off
	s_nop 0
	s_sendmsg sendmsg(MSG_DEALLOC_VGPRS)
	s_endpgm
	.section	.rodata,"a",@progbits
	.p2align	6, 0x0
	.amdhsa_kernel _ZN6thrust23THRUST_200600_302600_NS11hip_rocprim14__parallel_for6kernelILj256ENS1_11__transform17unary_transform_fINS0_12zip_iteratorINS0_5tupleINS0_6detail15normal_iteratorINS0_10device_ptrIsEEEESC_NS0_9null_typeESD_SD_SD_SD_SD_SD_SD_EEEESF_NS4_14no_stencil_tagENS0_8identityINS7_IssSD_SD_SD_SD_SD_SD_SD_SD_EEEENS4_21always_true_predicateEEElLj1EEEvT0_T1_SN_
		.amdhsa_group_segment_fixed_size 0
		.amdhsa_private_segment_fixed_size 0
		.amdhsa_kernarg_size 56
		.amdhsa_user_sgpr_count 15
		.amdhsa_user_sgpr_dispatch_ptr 0
		.amdhsa_user_sgpr_queue_ptr 0
		.amdhsa_user_sgpr_kernarg_segment_ptr 1
		.amdhsa_user_sgpr_dispatch_id 0
		.amdhsa_user_sgpr_private_segment_size 0
		.amdhsa_wavefront_size32 1
		.amdhsa_uses_dynamic_stack 0
		.amdhsa_enable_private_segment 0
		.amdhsa_system_sgpr_workgroup_id_x 1
		.amdhsa_system_sgpr_workgroup_id_y 0
		.amdhsa_system_sgpr_workgroup_id_z 0
		.amdhsa_system_sgpr_workgroup_info 0
		.amdhsa_system_vgpr_workitem_id 0
		.amdhsa_next_free_vgpr 8
		.amdhsa_next_free_sgpr 20
		.amdhsa_reserve_vcc 1
		.amdhsa_float_round_mode_32 0
		.amdhsa_float_round_mode_16_64 0
		.amdhsa_float_denorm_mode_32 3
		.amdhsa_float_denorm_mode_16_64 3
		.amdhsa_dx10_clamp 1
		.amdhsa_ieee_mode 1
		.amdhsa_fp16_overflow 0
		.amdhsa_workgroup_processor_mode 1
		.amdhsa_memory_ordered 1
		.amdhsa_forward_progress 0
		.amdhsa_shared_vgpr_count 0
		.amdhsa_exception_fp_ieee_invalid_op 0
		.amdhsa_exception_fp_denorm_src 0
		.amdhsa_exception_fp_ieee_div_zero 0
		.amdhsa_exception_fp_ieee_overflow 0
		.amdhsa_exception_fp_ieee_underflow 0
		.amdhsa_exception_fp_ieee_inexact 0
		.amdhsa_exception_int_div_zero 0
	.end_amdhsa_kernel
	.section	.text._ZN6thrust23THRUST_200600_302600_NS11hip_rocprim14__parallel_for6kernelILj256ENS1_11__transform17unary_transform_fINS0_12zip_iteratorINS0_5tupleINS0_6detail15normal_iteratorINS0_10device_ptrIsEEEESC_NS0_9null_typeESD_SD_SD_SD_SD_SD_SD_EEEESF_NS4_14no_stencil_tagENS0_8identityINS7_IssSD_SD_SD_SD_SD_SD_SD_SD_EEEENS4_21always_true_predicateEEElLj1EEEvT0_T1_SN_,"axG",@progbits,_ZN6thrust23THRUST_200600_302600_NS11hip_rocprim14__parallel_for6kernelILj256ENS1_11__transform17unary_transform_fINS0_12zip_iteratorINS0_5tupleINS0_6detail15normal_iteratorINS0_10device_ptrIsEEEESC_NS0_9null_typeESD_SD_SD_SD_SD_SD_SD_EEEESF_NS4_14no_stencil_tagENS0_8identityINS7_IssSD_SD_SD_SD_SD_SD_SD_SD_EEEENS4_21always_true_predicateEEElLj1EEEvT0_T1_SN_,comdat
.Lfunc_end868:
	.size	_ZN6thrust23THRUST_200600_302600_NS11hip_rocprim14__parallel_for6kernelILj256ENS1_11__transform17unary_transform_fINS0_12zip_iteratorINS0_5tupleINS0_6detail15normal_iteratorINS0_10device_ptrIsEEEESC_NS0_9null_typeESD_SD_SD_SD_SD_SD_SD_EEEESF_NS4_14no_stencil_tagENS0_8identityINS7_IssSD_SD_SD_SD_SD_SD_SD_SD_EEEENS4_21always_true_predicateEEElLj1EEEvT0_T1_SN_, .Lfunc_end868-_ZN6thrust23THRUST_200600_302600_NS11hip_rocprim14__parallel_for6kernelILj256ENS1_11__transform17unary_transform_fINS0_12zip_iteratorINS0_5tupleINS0_6detail15normal_iteratorINS0_10device_ptrIsEEEESC_NS0_9null_typeESD_SD_SD_SD_SD_SD_SD_EEEESF_NS4_14no_stencil_tagENS0_8identityINS7_IssSD_SD_SD_SD_SD_SD_SD_SD_EEEENS4_21always_true_predicateEEElLj1EEEvT0_T1_SN_
                                        ; -- End function
	.section	.AMDGPU.csdata,"",@progbits
; Kernel info:
; codeLenInByte = 380
; NumSgprs: 22
; NumVgprs: 8
; ScratchSize: 0
; MemoryBound: 0
; FloatMode: 240
; IeeeMode: 1
; LDSByteSize: 0 bytes/workgroup (compile time only)
; SGPRBlocks: 2
; VGPRBlocks: 0
; NumSGPRsForWavesPerEU: 22
; NumVGPRsForWavesPerEU: 8
; Occupancy: 16
; WaveLimiterHint : 0
; COMPUTE_PGM_RSRC2:SCRATCH_EN: 0
; COMPUTE_PGM_RSRC2:USER_SGPR: 15
; COMPUTE_PGM_RSRC2:TRAP_HANDLER: 0
; COMPUTE_PGM_RSRC2:TGID_X_EN: 1
; COMPUTE_PGM_RSRC2:TGID_Y_EN: 0
; COMPUTE_PGM_RSRC2:TGID_Z_EN: 0
; COMPUTE_PGM_RSRC2:TIDIG_COMP_CNT: 0
	.section	.text._ZN7rocprim17ROCPRIM_400000_NS6detail17trampoline_kernelINS0_14default_configENS1_22reduce_config_selectorIN6thrust23THRUST_200600_302600_NS5tupleIblNS6_9null_typeES8_S8_S8_S8_S8_S8_S8_EEEEZNS1_11reduce_implILb1ES3_NS6_12zip_iteratorINS7_INS6_11hip_rocprim26transform_input_iterator_tIbNSD_35transform_pair_of_input_iterators_tIbNS6_6detail15normal_iteratorINS6_10device_ptrIKsEEEESL_NS6_8equal_toIsEEEENSG_9not_fun_tINSD_8identityEEEEENSD_19counting_iterator_tIlEES8_S8_S8_S8_S8_S8_S8_S8_EEEEPS9_S9_NSD_9__find_if7functorIS9_EEEE10hipError_tPvRmT1_T2_T3_mT4_P12ihipStream_tbEUlT_E0_NS1_11comp_targetILNS1_3genE0ELNS1_11target_archE4294967295ELNS1_3gpuE0ELNS1_3repE0EEENS1_30default_config_static_selectorELNS0_4arch9wavefront6targetE0EEEvS14_,"axG",@progbits,_ZN7rocprim17ROCPRIM_400000_NS6detail17trampoline_kernelINS0_14default_configENS1_22reduce_config_selectorIN6thrust23THRUST_200600_302600_NS5tupleIblNS6_9null_typeES8_S8_S8_S8_S8_S8_S8_EEEEZNS1_11reduce_implILb1ES3_NS6_12zip_iteratorINS7_INS6_11hip_rocprim26transform_input_iterator_tIbNSD_35transform_pair_of_input_iterators_tIbNS6_6detail15normal_iteratorINS6_10device_ptrIKsEEEESL_NS6_8equal_toIsEEEENSG_9not_fun_tINSD_8identityEEEEENSD_19counting_iterator_tIlEES8_S8_S8_S8_S8_S8_S8_S8_EEEEPS9_S9_NSD_9__find_if7functorIS9_EEEE10hipError_tPvRmT1_T2_T3_mT4_P12ihipStream_tbEUlT_E0_NS1_11comp_targetILNS1_3genE0ELNS1_11target_archE4294967295ELNS1_3gpuE0ELNS1_3repE0EEENS1_30default_config_static_selectorELNS0_4arch9wavefront6targetE0EEEvS14_,comdat
	.protected	_ZN7rocprim17ROCPRIM_400000_NS6detail17trampoline_kernelINS0_14default_configENS1_22reduce_config_selectorIN6thrust23THRUST_200600_302600_NS5tupleIblNS6_9null_typeES8_S8_S8_S8_S8_S8_S8_EEEEZNS1_11reduce_implILb1ES3_NS6_12zip_iteratorINS7_INS6_11hip_rocprim26transform_input_iterator_tIbNSD_35transform_pair_of_input_iterators_tIbNS6_6detail15normal_iteratorINS6_10device_ptrIKsEEEESL_NS6_8equal_toIsEEEENSG_9not_fun_tINSD_8identityEEEEENSD_19counting_iterator_tIlEES8_S8_S8_S8_S8_S8_S8_S8_EEEEPS9_S9_NSD_9__find_if7functorIS9_EEEE10hipError_tPvRmT1_T2_T3_mT4_P12ihipStream_tbEUlT_E0_NS1_11comp_targetILNS1_3genE0ELNS1_11target_archE4294967295ELNS1_3gpuE0ELNS1_3repE0EEENS1_30default_config_static_selectorELNS0_4arch9wavefront6targetE0EEEvS14_ ; -- Begin function _ZN7rocprim17ROCPRIM_400000_NS6detail17trampoline_kernelINS0_14default_configENS1_22reduce_config_selectorIN6thrust23THRUST_200600_302600_NS5tupleIblNS6_9null_typeES8_S8_S8_S8_S8_S8_S8_EEEEZNS1_11reduce_implILb1ES3_NS6_12zip_iteratorINS7_INS6_11hip_rocprim26transform_input_iterator_tIbNSD_35transform_pair_of_input_iterators_tIbNS6_6detail15normal_iteratorINS6_10device_ptrIKsEEEESL_NS6_8equal_toIsEEEENSG_9not_fun_tINSD_8identityEEEEENSD_19counting_iterator_tIlEES8_S8_S8_S8_S8_S8_S8_S8_EEEEPS9_S9_NSD_9__find_if7functorIS9_EEEE10hipError_tPvRmT1_T2_T3_mT4_P12ihipStream_tbEUlT_E0_NS1_11comp_targetILNS1_3genE0ELNS1_11target_archE4294967295ELNS1_3gpuE0ELNS1_3repE0EEENS1_30default_config_static_selectorELNS0_4arch9wavefront6targetE0EEEvS14_
	.globl	_ZN7rocprim17ROCPRIM_400000_NS6detail17trampoline_kernelINS0_14default_configENS1_22reduce_config_selectorIN6thrust23THRUST_200600_302600_NS5tupleIblNS6_9null_typeES8_S8_S8_S8_S8_S8_S8_EEEEZNS1_11reduce_implILb1ES3_NS6_12zip_iteratorINS7_INS6_11hip_rocprim26transform_input_iterator_tIbNSD_35transform_pair_of_input_iterators_tIbNS6_6detail15normal_iteratorINS6_10device_ptrIKsEEEESL_NS6_8equal_toIsEEEENSG_9not_fun_tINSD_8identityEEEEENSD_19counting_iterator_tIlEES8_S8_S8_S8_S8_S8_S8_S8_EEEEPS9_S9_NSD_9__find_if7functorIS9_EEEE10hipError_tPvRmT1_T2_T3_mT4_P12ihipStream_tbEUlT_E0_NS1_11comp_targetILNS1_3genE0ELNS1_11target_archE4294967295ELNS1_3gpuE0ELNS1_3repE0EEENS1_30default_config_static_selectorELNS0_4arch9wavefront6targetE0EEEvS14_
	.p2align	8
	.type	_ZN7rocprim17ROCPRIM_400000_NS6detail17trampoline_kernelINS0_14default_configENS1_22reduce_config_selectorIN6thrust23THRUST_200600_302600_NS5tupleIblNS6_9null_typeES8_S8_S8_S8_S8_S8_S8_EEEEZNS1_11reduce_implILb1ES3_NS6_12zip_iteratorINS7_INS6_11hip_rocprim26transform_input_iterator_tIbNSD_35transform_pair_of_input_iterators_tIbNS6_6detail15normal_iteratorINS6_10device_ptrIKsEEEESL_NS6_8equal_toIsEEEENSG_9not_fun_tINSD_8identityEEEEENSD_19counting_iterator_tIlEES8_S8_S8_S8_S8_S8_S8_S8_EEEEPS9_S9_NSD_9__find_if7functorIS9_EEEE10hipError_tPvRmT1_T2_T3_mT4_P12ihipStream_tbEUlT_E0_NS1_11comp_targetILNS1_3genE0ELNS1_11target_archE4294967295ELNS1_3gpuE0ELNS1_3repE0EEENS1_30default_config_static_selectorELNS0_4arch9wavefront6targetE0EEEvS14_,@function
_ZN7rocprim17ROCPRIM_400000_NS6detail17trampoline_kernelINS0_14default_configENS1_22reduce_config_selectorIN6thrust23THRUST_200600_302600_NS5tupleIblNS6_9null_typeES8_S8_S8_S8_S8_S8_S8_EEEEZNS1_11reduce_implILb1ES3_NS6_12zip_iteratorINS7_INS6_11hip_rocprim26transform_input_iterator_tIbNSD_35transform_pair_of_input_iterators_tIbNS6_6detail15normal_iteratorINS6_10device_ptrIKsEEEESL_NS6_8equal_toIsEEEENSG_9not_fun_tINSD_8identityEEEEENSD_19counting_iterator_tIlEES8_S8_S8_S8_S8_S8_S8_S8_EEEEPS9_S9_NSD_9__find_if7functorIS9_EEEE10hipError_tPvRmT1_T2_T3_mT4_P12ihipStream_tbEUlT_E0_NS1_11comp_targetILNS1_3genE0ELNS1_11target_archE4294967295ELNS1_3gpuE0ELNS1_3repE0EEENS1_30default_config_static_selectorELNS0_4arch9wavefront6targetE0EEEvS14_: ; @_ZN7rocprim17ROCPRIM_400000_NS6detail17trampoline_kernelINS0_14default_configENS1_22reduce_config_selectorIN6thrust23THRUST_200600_302600_NS5tupleIblNS6_9null_typeES8_S8_S8_S8_S8_S8_S8_EEEEZNS1_11reduce_implILb1ES3_NS6_12zip_iteratorINS7_INS6_11hip_rocprim26transform_input_iterator_tIbNSD_35transform_pair_of_input_iterators_tIbNS6_6detail15normal_iteratorINS6_10device_ptrIKsEEEESL_NS6_8equal_toIsEEEENSG_9not_fun_tINSD_8identityEEEEENSD_19counting_iterator_tIlEES8_S8_S8_S8_S8_S8_S8_S8_EEEEPS9_S9_NSD_9__find_if7functorIS9_EEEE10hipError_tPvRmT1_T2_T3_mT4_P12ihipStream_tbEUlT_E0_NS1_11comp_targetILNS1_3genE0ELNS1_11target_archE4294967295ELNS1_3gpuE0ELNS1_3repE0EEENS1_30default_config_static_selectorELNS0_4arch9wavefront6targetE0EEEvS14_
; %bb.0:
	.section	.rodata,"a",@progbits
	.p2align	6, 0x0
	.amdhsa_kernel _ZN7rocprim17ROCPRIM_400000_NS6detail17trampoline_kernelINS0_14default_configENS1_22reduce_config_selectorIN6thrust23THRUST_200600_302600_NS5tupleIblNS6_9null_typeES8_S8_S8_S8_S8_S8_S8_EEEEZNS1_11reduce_implILb1ES3_NS6_12zip_iteratorINS7_INS6_11hip_rocprim26transform_input_iterator_tIbNSD_35transform_pair_of_input_iterators_tIbNS6_6detail15normal_iteratorINS6_10device_ptrIKsEEEESL_NS6_8equal_toIsEEEENSG_9not_fun_tINSD_8identityEEEEENSD_19counting_iterator_tIlEES8_S8_S8_S8_S8_S8_S8_S8_EEEEPS9_S9_NSD_9__find_if7functorIS9_EEEE10hipError_tPvRmT1_T2_T3_mT4_P12ihipStream_tbEUlT_E0_NS1_11comp_targetILNS1_3genE0ELNS1_11target_archE4294967295ELNS1_3gpuE0ELNS1_3repE0EEENS1_30default_config_static_selectorELNS0_4arch9wavefront6targetE0EEEvS14_
		.amdhsa_group_segment_fixed_size 0
		.amdhsa_private_segment_fixed_size 0
		.amdhsa_kernarg_size 104
		.amdhsa_user_sgpr_count 15
		.amdhsa_user_sgpr_dispatch_ptr 0
		.amdhsa_user_sgpr_queue_ptr 0
		.amdhsa_user_sgpr_kernarg_segment_ptr 1
		.amdhsa_user_sgpr_dispatch_id 0
		.amdhsa_user_sgpr_private_segment_size 0
		.amdhsa_wavefront_size32 1
		.amdhsa_uses_dynamic_stack 0
		.amdhsa_enable_private_segment 0
		.amdhsa_system_sgpr_workgroup_id_x 1
		.amdhsa_system_sgpr_workgroup_id_y 0
		.amdhsa_system_sgpr_workgroup_id_z 0
		.amdhsa_system_sgpr_workgroup_info 0
		.amdhsa_system_vgpr_workitem_id 0
		.amdhsa_next_free_vgpr 1
		.amdhsa_next_free_sgpr 1
		.amdhsa_reserve_vcc 0
		.amdhsa_float_round_mode_32 0
		.amdhsa_float_round_mode_16_64 0
		.amdhsa_float_denorm_mode_32 3
		.amdhsa_float_denorm_mode_16_64 3
		.amdhsa_dx10_clamp 1
		.amdhsa_ieee_mode 1
		.amdhsa_fp16_overflow 0
		.amdhsa_workgroup_processor_mode 1
		.amdhsa_memory_ordered 1
		.amdhsa_forward_progress 0
		.amdhsa_shared_vgpr_count 0
		.amdhsa_exception_fp_ieee_invalid_op 0
		.amdhsa_exception_fp_denorm_src 0
		.amdhsa_exception_fp_ieee_div_zero 0
		.amdhsa_exception_fp_ieee_overflow 0
		.amdhsa_exception_fp_ieee_underflow 0
		.amdhsa_exception_fp_ieee_inexact 0
		.amdhsa_exception_int_div_zero 0
	.end_amdhsa_kernel
	.section	.text._ZN7rocprim17ROCPRIM_400000_NS6detail17trampoline_kernelINS0_14default_configENS1_22reduce_config_selectorIN6thrust23THRUST_200600_302600_NS5tupleIblNS6_9null_typeES8_S8_S8_S8_S8_S8_S8_EEEEZNS1_11reduce_implILb1ES3_NS6_12zip_iteratorINS7_INS6_11hip_rocprim26transform_input_iterator_tIbNSD_35transform_pair_of_input_iterators_tIbNS6_6detail15normal_iteratorINS6_10device_ptrIKsEEEESL_NS6_8equal_toIsEEEENSG_9not_fun_tINSD_8identityEEEEENSD_19counting_iterator_tIlEES8_S8_S8_S8_S8_S8_S8_S8_EEEEPS9_S9_NSD_9__find_if7functorIS9_EEEE10hipError_tPvRmT1_T2_T3_mT4_P12ihipStream_tbEUlT_E0_NS1_11comp_targetILNS1_3genE0ELNS1_11target_archE4294967295ELNS1_3gpuE0ELNS1_3repE0EEENS1_30default_config_static_selectorELNS0_4arch9wavefront6targetE0EEEvS14_,"axG",@progbits,_ZN7rocprim17ROCPRIM_400000_NS6detail17trampoline_kernelINS0_14default_configENS1_22reduce_config_selectorIN6thrust23THRUST_200600_302600_NS5tupleIblNS6_9null_typeES8_S8_S8_S8_S8_S8_S8_EEEEZNS1_11reduce_implILb1ES3_NS6_12zip_iteratorINS7_INS6_11hip_rocprim26transform_input_iterator_tIbNSD_35transform_pair_of_input_iterators_tIbNS6_6detail15normal_iteratorINS6_10device_ptrIKsEEEESL_NS6_8equal_toIsEEEENSG_9not_fun_tINSD_8identityEEEEENSD_19counting_iterator_tIlEES8_S8_S8_S8_S8_S8_S8_S8_EEEEPS9_S9_NSD_9__find_if7functorIS9_EEEE10hipError_tPvRmT1_T2_T3_mT4_P12ihipStream_tbEUlT_E0_NS1_11comp_targetILNS1_3genE0ELNS1_11target_archE4294967295ELNS1_3gpuE0ELNS1_3repE0EEENS1_30default_config_static_selectorELNS0_4arch9wavefront6targetE0EEEvS14_,comdat
.Lfunc_end869:
	.size	_ZN7rocprim17ROCPRIM_400000_NS6detail17trampoline_kernelINS0_14default_configENS1_22reduce_config_selectorIN6thrust23THRUST_200600_302600_NS5tupleIblNS6_9null_typeES8_S8_S8_S8_S8_S8_S8_EEEEZNS1_11reduce_implILb1ES3_NS6_12zip_iteratorINS7_INS6_11hip_rocprim26transform_input_iterator_tIbNSD_35transform_pair_of_input_iterators_tIbNS6_6detail15normal_iteratorINS6_10device_ptrIKsEEEESL_NS6_8equal_toIsEEEENSG_9not_fun_tINSD_8identityEEEEENSD_19counting_iterator_tIlEES8_S8_S8_S8_S8_S8_S8_S8_EEEEPS9_S9_NSD_9__find_if7functorIS9_EEEE10hipError_tPvRmT1_T2_T3_mT4_P12ihipStream_tbEUlT_E0_NS1_11comp_targetILNS1_3genE0ELNS1_11target_archE4294967295ELNS1_3gpuE0ELNS1_3repE0EEENS1_30default_config_static_selectorELNS0_4arch9wavefront6targetE0EEEvS14_, .Lfunc_end869-_ZN7rocprim17ROCPRIM_400000_NS6detail17trampoline_kernelINS0_14default_configENS1_22reduce_config_selectorIN6thrust23THRUST_200600_302600_NS5tupleIblNS6_9null_typeES8_S8_S8_S8_S8_S8_S8_EEEEZNS1_11reduce_implILb1ES3_NS6_12zip_iteratorINS7_INS6_11hip_rocprim26transform_input_iterator_tIbNSD_35transform_pair_of_input_iterators_tIbNS6_6detail15normal_iteratorINS6_10device_ptrIKsEEEESL_NS6_8equal_toIsEEEENSG_9not_fun_tINSD_8identityEEEEENSD_19counting_iterator_tIlEES8_S8_S8_S8_S8_S8_S8_S8_EEEEPS9_S9_NSD_9__find_if7functorIS9_EEEE10hipError_tPvRmT1_T2_T3_mT4_P12ihipStream_tbEUlT_E0_NS1_11comp_targetILNS1_3genE0ELNS1_11target_archE4294967295ELNS1_3gpuE0ELNS1_3repE0EEENS1_30default_config_static_selectorELNS0_4arch9wavefront6targetE0EEEvS14_
                                        ; -- End function
	.section	.AMDGPU.csdata,"",@progbits
; Kernel info:
; codeLenInByte = 0
; NumSgprs: 0
; NumVgprs: 0
; ScratchSize: 0
; MemoryBound: 0
; FloatMode: 240
; IeeeMode: 1
; LDSByteSize: 0 bytes/workgroup (compile time only)
; SGPRBlocks: 0
; VGPRBlocks: 0
; NumSGPRsForWavesPerEU: 1
; NumVGPRsForWavesPerEU: 1
; Occupancy: 16
; WaveLimiterHint : 0
; COMPUTE_PGM_RSRC2:SCRATCH_EN: 0
; COMPUTE_PGM_RSRC2:USER_SGPR: 15
; COMPUTE_PGM_RSRC2:TRAP_HANDLER: 0
; COMPUTE_PGM_RSRC2:TGID_X_EN: 1
; COMPUTE_PGM_RSRC2:TGID_Y_EN: 0
; COMPUTE_PGM_RSRC2:TGID_Z_EN: 0
; COMPUTE_PGM_RSRC2:TIDIG_COMP_CNT: 0
	.section	.text._ZN7rocprim17ROCPRIM_400000_NS6detail17trampoline_kernelINS0_14default_configENS1_22reduce_config_selectorIN6thrust23THRUST_200600_302600_NS5tupleIblNS6_9null_typeES8_S8_S8_S8_S8_S8_S8_EEEEZNS1_11reduce_implILb1ES3_NS6_12zip_iteratorINS7_INS6_11hip_rocprim26transform_input_iterator_tIbNSD_35transform_pair_of_input_iterators_tIbNS6_6detail15normal_iteratorINS6_10device_ptrIKsEEEESL_NS6_8equal_toIsEEEENSG_9not_fun_tINSD_8identityEEEEENSD_19counting_iterator_tIlEES8_S8_S8_S8_S8_S8_S8_S8_EEEEPS9_S9_NSD_9__find_if7functorIS9_EEEE10hipError_tPvRmT1_T2_T3_mT4_P12ihipStream_tbEUlT_E0_NS1_11comp_targetILNS1_3genE5ELNS1_11target_archE942ELNS1_3gpuE9ELNS1_3repE0EEENS1_30default_config_static_selectorELNS0_4arch9wavefront6targetE0EEEvS14_,"axG",@progbits,_ZN7rocprim17ROCPRIM_400000_NS6detail17trampoline_kernelINS0_14default_configENS1_22reduce_config_selectorIN6thrust23THRUST_200600_302600_NS5tupleIblNS6_9null_typeES8_S8_S8_S8_S8_S8_S8_EEEEZNS1_11reduce_implILb1ES3_NS6_12zip_iteratorINS7_INS6_11hip_rocprim26transform_input_iterator_tIbNSD_35transform_pair_of_input_iterators_tIbNS6_6detail15normal_iteratorINS6_10device_ptrIKsEEEESL_NS6_8equal_toIsEEEENSG_9not_fun_tINSD_8identityEEEEENSD_19counting_iterator_tIlEES8_S8_S8_S8_S8_S8_S8_S8_EEEEPS9_S9_NSD_9__find_if7functorIS9_EEEE10hipError_tPvRmT1_T2_T3_mT4_P12ihipStream_tbEUlT_E0_NS1_11comp_targetILNS1_3genE5ELNS1_11target_archE942ELNS1_3gpuE9ELNS1_3repE0EEENS1_30default_config_static_selectorELNS0_4arch9wavefront6targetE0EEEvS14_,comdat
	.protected	_ZN7rocprim17ROCPRIM_400000_NS6detail17trampoline_kernelINS0_14default_configENS1_22reduce_config_selectorIN6thrust23THRUST_200600_302600_NS5tupleIblNS6_9null_typeES8_S8_S8_S8_S8_S8_S8_EEEEZNS1_11reduce_implILb1ES3_NS6_12zip_iteratorINS7_INS6_11hip_rocprim26transform_input_iterator_tIbNSD_35transform_pair_of_input_iterators_tIbNS6_6detail15normal_iteratorINS6_10device_ptrIKsEEEESL_NS6_8equal_toIsEEEENSG_9not_fun_tINSD_8identityEEEEENSD_19counting_iterator_tIlEES8_S8_S8_S8_S8_S8_S8_S8_EEEEPS9_S9_NSD_9__find_if7functorIS9_EEEE10hipError_tPvRmT1_T2_T3_mT4_P12ihipStream_tbEUlT_E0_NS1_11comp_targetILNS1_3genE5ELNS1_11target_archE942ELNS1_3gpuE9ELNS1_3repE0EEENS1_30default_config_static_selectorELNS0_4arch9wavefront6targetE0EEEvS14_ ; -- Begin function _ZN7rocprim17ROCPRIM_400000_NS6detail17trampoline_kernelINS0_14default_configENS1_22reduce_config_selectorIN6thrust23THRUST_200600_302600_NS5tupleIblNS6_9null_typeES8_S8_S8_S8_S8_S8_S8_EEEEZNS1_11reduce_implILb1ES3_NS6_12zip_iteratorINS7_INS6_11hip_rocprim26transform_input_iterator_tIbNSD_35transform_pair_of_input_iterators_tIbNS6_6detail15normal_iteratorINS6_10device_ptrIKsEEEESL_NS6_8equal_toIsEEEENSG_9not_fun_tINSD_8identityEEEEENSD_19counting_iterator_tIlEES8_S8_S8_S8_S8_S8_S8_S8_EEEEPS9_S9_NSD_9__find_if7functorIS9_EEEE10hipError_tPvRmT1_T2_T3_mT4_P12ihipStream_tbEUlT_E0_NS1_11comp_targetILNS1_3genE5ELNS1_11target_archE942ELNS1_3gpuE9ELNS1_3repE0EEENS1_30default_config_static_selectorELNS0_4arch9wavefront6targetE0EEEvS14_
	.globl	_ZN7rocprim17ROCPRIM_400000_NS6detail17trampoline_kernelINS0_14default_configENS1_22reduce_config_selectorIN6thrust23THRUST_200600_302600_NS5tupleIblNS6_9null_typeES8_S8_S8_S8_S8_S8_S8_EEEEZNS1_11reduce_implILb1ES3_NS6_12zip_iteratorINS7_INS6_11hip_rocprim26transform_input_iterator_tIbNSD_35transform_pair_of_input_iterators_tIbNS6_6detail15normal_iteratorINS6_10device_ptrIKsEEEESL_NS6_8equal_toIsEEEENSG_9not_fun_tINSD_8identityEEEEENSD_19counting_iterator_tIlEES8_S8_S8_S8_S8_S8_S8_S8_EEEEPS9_S9_NSD_9__find_if7functorIS9_EEEE10hipError_tPvRmT1_T2_T3_mT4_P12ihipStream_tbEUlT_E0_NS1_11comp_targetILNS1_3genE5ELNS1_11target_archE942ELNS1_3gpuE9ELNS1_3repE0EEENS1_30default_config_static_selectorELNS0_4arch9wavefront6targetE0EEEvS14_
	.p2align	8
	.type	_ZN7rocprim17ROCPRIM_400000_NS6detail17trampoline_kernelINS0_14default_configENS1_22reduce_config_selectorIN6thrust23THRUST_200600_302600_NS5tupleIblNS6_9null_typeES8_S8_S8_S8_S8_S8_S8_EEEEZNS1_11reduce_implILb1ES3_NS6_12zip_iteratorINS7_INS6_11hip_rocprim26transform_input_iterator_tIbNSD_35transform_pair_of_input_iterators_tIbNS6_6detail15normal_iteratorINS6_10device_ptrIKsEEEESL_NS6_8equal_toIsEEEENSG_9not_fun_tINSD_8identityEEEEENSD_19counting_iterator_tIlEES8_S8_S8_S8_S8_S8_S8_S8_EEEEPS9_S9_NSD_9__find_if7functorIS9_EEEE10hipError_tPvRmT1_T2_T3_mT4_P12ihipStream_tbEUlT_E0_NS1_11comp_targetILNS1_3genE5ELNS1_11target_archE942ELNS1_3gpuE9ELNS1_3repE0EEENS1_30default_config_static_selectorELNS0_4arch9wavefront6targetE0EEEvS14_,@function
_ZN7rocprim17ROCPRIM_400000_NS6detail17trampoline_kernelINS0_14default_configENS1_22reduce_config_selectorIN6thrust23THRUST_200600_302600_NS5tupleIblNS6_9null_typeES8_S8_S8_S8_S8_S8_S8_EEEEZNS1_11reduce_implILb1ES3_NS6_12zip_iteratorINS7_INS6_11hip_rocprim26transform_input_iterator_tIbNSD_35transform_pair_of_input_iterators_tIbNS6_6detail15normal_iteratorINS6_10device_ptrIKsEEEESL_NS6_8equal_toIsEEEENSG_9not_fun_tINSD_8identityEEEEENSD_19counting_iterator_tIlEES8_S8_S8_S8_S8_S8_S8_S8_EEEEPS9_S9_NSD_9__find_if7functorIS9_EEEE10hipError_tPvRmT1_T2_T3_mT4_P12ihipStream_tbEUlT_E0_NS1_11comp_targetILNS1_3genE5ELNS1_11target_archE942ELNS1_3gpuE9ELNS1_3repE0EEENS1_30default_config_static_selectorELNS0_4arch9wavefront6targetE0EEEvS14_: ; @_ZN7rocprim17ROCPRIM_400000_NS6detail17trampoline_kernelINS0_14default_configENS1_22reduce_config_selectorIN6thrust23THRUST_200600_302600_NS5tupleIblNS6_9null_typeES8_S8_S8_S8_S8_S8_S8_EEEEZNS1_11reduce_implILb1ES3_NS6_12zip_iteratorINS7_INS6_11hip_rocprim26transform_input_iterator_tIbNSD_35transform_pair_of_input_iterators_tIbNS6_6detail15normal_iteratorINS6_10device_ptrIKsEEEESL_NS6_8equal_toIsEEEENSG_9not_fun_tINSD_8identityEEEEENSD_19counting_iterator_tIlEES8_S8_S8_S8_S8_S8_S8_S8_EEEEPS9_S9_NSD_9__find_if7functorIS9_EEEE10hipError_tPvRmT1_T2_T3_mT4_P12ihipStream_tbEUlT_E0_NS1_11comp_targetILNS1_3genE5ELNS1_11target_archE942ELNS1_3gpuE9ELNS1_3repE0EEENS1_30default_config_static_selectorELNS0_4arch9wavefront6targetE0EEEvS14_
; %bb.0:
	.section	.rodata,"a",@progbits
	.p2align	6, 0x0
	.amdhsa_kernel _ZN7rocprim17ROCPRIM_400000_NS6detail17trampoline_kernelINS0_14default_configENS1_22reduce_config_selectorIN6thrust23THRUST_200600_302600_NS5tupleIblNS6_9null_typeES8_S8_S8_S8_S8_S8_S8_EEEEZNS1_11reduce_implILb1ES3_NS6_12zip_iteratorINS7_INS6_11hip_rocprim26transform_input_iterator_tIbNSD_35transform_pair_of_input_iterators_tIbNS6_6detail15normal_iteratorINS6_10device_ptrIKsEEEESL_NS6_8equal_toIsEEEENSG_9not_fun_tINSD_8identityEEEEENSD_19counting_iterator_tIlEES8_S8_S8_S8_S8_S8_S8_S8_EEEEPS9_S9_NSD_9__find_if7functorIS9_EEEE10hipError_tPvRmT1_T2_T3_mT4_P12ihipStream_tbEUlT_E0_NS1_11comp_targetILNS1_3genE5ELNS1_11target_archE942ELNS1_3gpuE9ELNS1_3repE0EEENS1_30default_config_static_selectorELNS0_4arch9wavefront6targetE0EEEvS14_
		.amdhsa_group_segment_fixed_size 0
		.amdhsa_private_segment_fixed_size 0
		.amdhsa_kernarg_size 104
		.amdhsa_user_sgpr_count 15
		.amdhsa_user_sgpr_dispatch_ptr 0
		.amdhsa_user_sgpr_queue_ptr 0
		.amdhsa_user_sgpr_kernarg_segment_ptr 1
		.amdhsa_user_sgpr_dispatch_id 0
		.amdhsa_user_sgpr_private_segment_size 0
		.amdhsa_wavefront_size32 1
		.amdhsa_uses_dynamic_stack 0
		.amdhsa_enable_private_segment 0
		.amdhsa_system_sgpr_workgroup_id_x 1
		.amdhsa_system_sgpr_workgroup_id_y 0
		.amdhsa_system_sgpr_workgroup_id_z 0
		.amdhsa_system_sgpr_workgroup_info 0
		.amdhsa_system_vgpr_workitem_id 0
		.amdhsa_next_free_vgpr 1
		.amdhsa_next_free_sgpr 1
		.amdhsa_reserve_vcc 0
		.amdhsa_float_round_mode_32 0
		.amdhsa_float_round_mode_16_64 0
		.amdhsa_float_denorm_mode_32 3
		.amdhsa_float_denorm_mode_16_64 3
		.amdhsa_dx10_clamp 1
		.amdhsa_ieee_mode 1
		.amdhsa_fp16_overflow 0
		.amdhsa_workgroup_processor_mode 1
		.amdhsa_memory_ordered 1
		.amdhsa_forward_progress 0
		.amdhsa_shared_vgpr_count 0
		.amdhsa_exception_fp_ieee_invalid_op 0
		.amdhsa_exception_fp_denorm_src 0
		.amdhsa_exception_fp_ieee_div_zero 0
		.amdhsa_exception_fp_ieee_overflow 0
		.amdhsa_exception_fp_ieee_underflow 0
		.amdhsa_exception_fp_ieee_inexact 0
		.amdhsa_exception_int_div_zero 0
	.end_amdhsa_kernel
	.section	.text._ZN7rocprim17ROCPRIM_400000_NS6detail17trampoline_kernelINS0_14default_configENS1_22reduce_config_selectorIN6thrust23THRUST_200600_302600_NS5tupleIblNS6_9null_typeES8_S8_S8_S8_S8_S8_S8_EEEEZNS1_11reduce_implILb1ES3_NS6_12zip_iteratorINS7_INS6_11hip_rocprim26transform_input_iterator_tIbNSD_35transform_pair_of_input_iterators_tIbNS6_6detail15normal_iteratorINS6_10device_ptrIKsEEEESL_NS6_8equal_toIsEEEENSG_9not_fun_tINSD_8identityEEEEENSD_19counting_iterator_tIlEES8_S8_S8_S8_S8_S8_S8_S8_EEEEPS9_S9_NSD_9__find_if7functorIS9_EEEE10hipError_tPvRmT1_T2_T3_mT4_P12ihipStream_tbEUlT_E0_NS1_11comp_targetILNS1_3genE5ELNS1_11target_archE942ELNS1_3gpuE9ELNS1_3repE0EEENS1_30default_config_static_selectorELNS0_4arch9wavefront6targetE0EEEvS14_,"axG",@progbits,_ZN7rocprim17ROCPRIM_400000_NS6detail17trampoline_kernelINS0_14default_configENS1_22reduce_config_selectorIN6thrust23THRUST_200600_302600_NS5tupleIblNS6_9null_typeES8_S8_S8_S8_S8_S8_S8_EEEEZNS1_11reduce_implILb1ES3_NS6_12zip_iteratorINS7_INS6_11hip_rocprim26transform_input_iterator_tIbNSD_35transform_pair_of_input_iterators_tIbNS6_6detail15normal_iteratorINS6_10device_ptrIKsEEEESL_NS6_8equal_toIsEEEENSG_9not_fun_tINSD_8identityEEEEENSD_19counting_iterator_tIlEES8_S8_S8_S8_S8_S8_S8_S8_EEEEPS9_S9_NSD_9__find_if7functorIS9_EEEE10hipError_tPvRmT1_T2_T3_mT4_P12ihipStream_tbEUlT_E0_NS1_11comp_targetILNS1_3genE5ELNS1_11target_archE942ELNS1_3gpuE9ELNS1_3repE0EEENS1_30default_config_static_selectorELNS0_4arch9wavefront6targetE0EEEvS14_,comdat
.Lfunc_end870:
	.size	_ZN7rocprim17ROCPRIM_400000_NS6detail17trampoline_kernelINS0_14default_configENS1_22reduce_config_selectorIN6thrust23THRUST_200600_302600_NS5tupleIblNS6_9null_typeES8_S8_S8_S8_S8_S8_S8_EEEEZNS1_11reduce_implILb1ES3_NS6_12zip_iteratorINS7_INS6_11hip_rocprim26transform_input_iterator_tIbNSD_35transform_pair_of_input_iterators_tIbNS6_6detail15normal_iteratorINS6_10device_ptrIKsEEEESL_NS6_8equal_toIsEEEENSG_9not_fun_tINSD_8identityEEEEENSD_19counting_iterator_tIlEES8_S8_S8_S8_S8_S8_S8_S8_EEEEPS9_S9_NSD_9__find_if7functorIS9_EEEE10hipError_tPvRmT1_T2_T3_mT4_P12ihipStream_tbEUlT_E0_NS1_11comp_targetILNS1_3genE5ELNS1_11target_archE942ELNS1_3gpuE9ELNS1_3repE0EEENS1_30default_config_static_selectorELNS0_4arch9wavefront6targetE0EEEvS14_, .Lfunc_end870-_ZN7rocprim17ROCPRIM_400000_NS6detail17trampoline_kernelINS0_14default_configENS1_22reduce_config_selectorIN6thrust23THRUST_200600_302600_NS5tupleIblNS6_9null_typeES8_S8_S8_S8_S8_S8_S8_EEEEZNS1_11reduce_implILb1ES3_NS6_12zip_iteratorINS7_INS6_11hip_rocprim26transform_input_iterator_tIbNSD_35transform_pair_of_input_iterators_tIbNS6_6detail15normal_iteratorINS6_10device_ptrIKsEEEESL_NS6_8equal_toIsEEEENSG_9not_fun_tINSD_8identityEEEEENSD_19counting_iterator_tIlEES8_S8_S8_S8_S8_S8_S8_S8_EEEEPS9_S9_NSD_9__find_if7functorIS9_EEEE10hipError_tPvRmT1_T2_T3_mT4_P12ihipStream_tbEUlT_E0_NS1_11comp_targetILNS1_3genE5ELNS1_11target_archE942ELNS1_3gpuE9ELNS1_3repE0EEENS1_30default_config_static_selectorELNS0_4arch9wavefront6targetE0EEEvS14_
                                        ; -- End function
	.section	.AMDGPU.csdata,"",@progbits
; Kernel info:
; codeLenInByte = 0
; NumSgprs: 0
; NumVgprs: 0
; ScratchSize: 0
; MemoryBound: 0
; FloatMode: 240
; IeeeMode: 1
; LDSByteSize: 0 bytes/workgroup (compile time only)
; SGPRBlocks: 0
; VGPRBlocks: 0
; NumSGPRsForWavesPerEU: 1
; NumVGPRsForWavesPerEU: 1
; Occupancy: 16
; WaveLimiterHint : 0
; COMPUTE_PGM_RSRC2:SCRATCH_EN: 0
; COMPUTE_PGM_RSRC2:USER_SGPR: 15
; COMPUTE_PGM_RSRC2:TRAP_HANDLER: 0
; COMPUTE_PGM_RSRC2:TGID_X_EN: 1
; COMPUTE_PGM_RSRC2:TGID_Y_EN: 0
; COMPUTE_PGM_RSRC2:TGID_Z_EN: 0
; COMPUTE_PGM_RSRC2:TIDIG_COMP_CNT: 0
	.section	.text._ZN7rocprim17ROCPRIM_400000_NS6detail17trampoline_kernelINS0_14default_configENS1_22reduce_config_selectorIN6thrust23THRUST_200600_302600_NS5tupleIblNS6_9null_typeES8_S8_S8_S8_S8_S8_S8_EEEEZNS1_11reduce_implILb1ES3_NS6_12zip_iteratorINS7_INS6_11hip_rocprim26transform_input_iterator_tIbNSD_35transform_pair_of_input_iterators_tIbNS6_6detail15normal_iteratorINS6_10device_ptrIKsEEEESL_NS6_8equal_toIsEEEENSG_9not_fun_tINSD_8identityEEEEENSD_19counting_iterator_tIlEES8_S8_S8_S8_S8_S8_S8_S8_EEEEPS9_S9_NSD_9__find_if7functorIS9_EEEE10hipError_tPvRmT1_T2_T3_mT4_P12ihipStream_tbEUlT_E0_NS1_11comp_targetILNS1_3genE4ELNS1_11target_archE910ELNS1_3gpuE8ELNS1_3repE0EEENS1_30default_config_static_selectorELNS0_4arch9wavefront6targetE0EEEvS14_,"axG",@progbits,_ZN7rocprim17ROCPRIM_400000_NS6detail17trampoline_kernelINS0_14default_configENS1_22reduce_config_selectorIN6thrust23THRUST_200600_302600_NS5tupleIblNS6_9null_typeES8_S8_S8_S8_S8_S8_S8_EEEEZNS1_11reduce_implILb1ES3_NS6_12zip_iteratorINS7_INS6_11hip_rocprim26transform_input_iterator_tIbNSD_35transform_pair_of_input_iterators_tIbNS6_6detail15normal_iteratorINS6_10device_ptrIKsEEEESL_NS6_8equal_toIsEEEENSG_9not_fun_tINSD_8identityEEEEENSD_19counting_iterator_tIlEES8_S8_S8_S8_S8_S8_S8_S8_EEEEPS9_S9_NSD_9__find_if7functorIS9_EEEE10hipError_tPvRmT1_T2_T3_mT4_P12ihipStream_tbEUlT_E0_NS1_11comp_targetILNS1_3genE4ELNS1_11target_archE910ELNS1_3gpuE8ELNS1_3repE0EEENS1_30default_config_static_selectorELNS0_4arch9wavefront6targetE0EEEvS14_,comdat
	.protected	_ZN7rocprim17ROCPRIM_400000_NS6detail17trampoline_kernelINS0_14default_configENS1_22reduce_config_selectorIN6thrust23THRUST_200600_302600_NS5tupleIblNS6_9null_typeES8_S8_S8_S8_S8_S8_S8_EEEEZNS1_11reduce_implILb1ES3_NS6_12zip_iteratorINS7_INS6_11hip_rocprim26transform_input_iterator_tIbNSD_35transform_pair_of_input_iterators_tIbNS6_6detail15normal_iteratorINS6_10device_ptrIKsEEEESL_NS6_8equal_toIsEEEENSG_9not_fun_tINSD_8identityEEEEENSD_19counting_iterator_tIlEES8_S8_S8_S8_S8_S8_S8_S8_EEEEPS9_S9_NSD_9__find_if7functorIS9_EEEE10hipError_tPvRmT1_T2_T3_mT4_P12ihipStream_tbEUlT_E0_NS1_11comp_targetILNS1_3genE4ELNS1_11target_archE910ELNS1_3gpuE8ELNS1_3repE0EEENS1_30default_config_static_selectorELNS0_4arch9wavefront6targetE0EEEvS14_ ; -- Begin function _ZN7rocprim17ROCPRIM_400000_NS6detail17trampoline_kernelINS0_14default_configENS1_22reduce_config_selectorIN6thrust23THRUST_200600_302600_NS5tupleIblNS6_9null_typeES8_S8_S8_S8_S8_S8_S8_EEEEZNS1_11reduce_implILb1ES3_NS6_12zip_iteratorINS7_INS6_11hip_rocprim26transform_input_iterator_tIbNSD_35transform_pair_of_input_iterators_tIbNS6_6detail15normal_iteratorINS6_10device_ptrIKsEEEESL_NS6_8equal_toIsEEEENSG_9not_fun_tINSD_8identityEEEEENSD_19counting_iterator_tIlEES8_S8_S8_S8_S8_S8_S8_S8_EEEEPS9_S9_NSD_9__find_if7functorIS9_EEEE10hipError_tPvRmT1_T2_T3_mT4_P12ihipStream_tbEUlT_E0_NS1_11comp_targetILNS1_3genE4ELNS1_11target_archE910ELNS1_3gpuE8ELNS1_3repE0EEENS1_30default_config_static_selectorELNS0_4arch9wavefront6targetE0EEEvS14_
	.globl	_ZN7rocprim17ROCPRIM_400000_NS6detail17trampoline_kernelINS0_14default_configENS1_22reduce_config_selectorIN6thrust23THRUST_200600_302600_NS5tupleIblNS6_9null_typeES8_S8_S8_S8_S8_S8_S8_EEEEZNS1_11reduce_implILb1ES3_NS6_12zip_iteratorINS7_INS6_11hip_rocprim26transform_input_iterator_tIbNSD_35transform_pair_of_input_iterators_tIbNS6_6detail15normal_iteratorINS6_10device_ptrIKsEEEESL_NS6_8equal_toIsEEEENSG_9not_fun_tINSD_8identityEEEEENSD_19counting_iterator_tIlEES8_S8_S8_S8_S8_S8_S8_S8_EEEEPS9_S9_NSD_9__find_if7functorIS9_EEEE10hipError_tPvRmT1_T2_T3_mT4_P12ihipStream_tbEUlT_E0_NS1_11comp_targetILNS1_3genE4ELNS1_11target_archE910ELNS1_3gpuE8ELNS1_3repE0EEENS1_30default_config_static_selectorELNS0_4arch9wavefront6targetE0EEEvS14_
	.p2align	8
	.type	_ZN7rocprim17ROCPRIM_400000_NS6detail17trampoline_kernelINS0_14default_configENS1_22reduce_config_selectorIN6thrust23THRUST_200600_302600_NS5tupleIblNS6_9null_typeES8_S8_S8_S8_S8_S8_S8_EEEEZNS1_11reduce_implILb1ES3_NS6_12zip_iteratorINS7_INS6_11hip_rocprim26transform_input_iterator_tIbNSD_35transform_pair_of_input_iterators_tIbNS6_6detail15normal_iteratorINS6_10device_ptrIKsEEEESL_NS6_8equal_toIsEEEENSG_9not_fun_tINSD_8identityEEEEENSD_19counting_iterator_tIlEES8_S8_S8_S8_S8_S8_S8_S8_EEEEPS9_S9_NSD_9__find_if7functorIS9_EEEE10hipError_tPvRmT1_T2_T3_mT4_P12ihipStream_tbEUlT_E0_NS1_11comp_targetILNS1_3genE4ELNS1_11target_archE910ELNS1_3gpuE8ELNS1_3repE0EEENS1_30default_config_static_selectorELNS0_4arch9wavefront6targetE0EEEvS14_,@function
_ZN7rocprim17ROCPRIM_400000_NS6detail17trampoline_kernelINS0_14default_configENS1_22reduce_config_selectorIN6thrust23THRUST_200600_302600_NS5tupleIblNS6_9null_typeES8_S8_S8_S8_S8_S8_S8_EEEEZNS1_11reduce_implILb1ES3_NS6_12zip_iteratorINS7_INS6_11hip_rocprim26transform_input_iterator_tIbNSD_35transform_pair_of_input_iterators_tIbNS6_6detail15normal_iteratorINS6_10device_ptrIKsEEEESL_NS6_8equal_toIsEEEENSG_9not_fun_tINSD_8identityEEEEENSD_19counting_iterator_tIlEES8_S8_S8_S8_S8_S8_S8_S8_EEEEPS9_S9_NSD_9__find_if7functorIS9_EEEE10hipError_tPvRmT1_T2_T3_mT4_P12ihipStream_tbEUlT_E0_NS1_11comp_targetILNS1_3genE4ELNS1_11target_archE910ELNS1_3gpuE8ELNS1_3repE0EEENS1_30default_config_static_selectorELNS0_4arch9wavefront6targetE0EEEvS14_: ; @_ZN7rocprim17ROCPRIM_400000_NS6detail17trampoline_kernelINS0_14default_configENS1_22reduce_config_selectorIN6thrust23THRUST_200600_302600_NS5tupleIblNS6_9null_typeES8_S8_S8_S8_S8_S8_S8_EEEEZNS1_11reduce_implILb1ES3_NS6_12zip_iteratorINS7_INS6_11hip_rocprim26transform_input_iterator_tIbNSD_35transform_pair_of_input_iterators_tIbNS6_6detail15normal_iteratorINS6_10device_ptrIKsEEEESL_NS6_8equal_toIsEEEENSG_9not_fun_tINSD_8identityEEEEENSD_19counting_iterator_tIlEES8_S8_S8_S8_S8_S8_S8_S8_EEEEPS9_S9_NSD_9__find_if7functorIS9_EEEE10hipError_tPvRmT1_T2_T3_mT4_P12ihipStream_tbEUlT_E0_NS1_11comp_targetILNS1_3genE4ELNS1_11target_archE910ELNS1_3gpuE8ELNS1_3repE0EEENS1_30default_config_static_selectorELNS0_4arch9wavefront6targetE0EEEvS14_
; %bb.0:
	.section	.rodata,"a",@progbits
	.p2align	6, 0x0
	.amdhsa_kernel _ZN7rocprim17ROCPRIM_400000_NS6detail17trampoline_kernelINS0_14default_configENS1_22reduce_config_selectorIN6thrust23THRUST_200600_302600_NS5tupleIblNS6_9null_typeES8_S8_S8_S8_S8_S8_S8_EEEEZNS1_11reduce_implILb1ES3_NS6_12zip_iteratorINS7_INS6_11hip_rocprim26transform_input_iterator_tIbNSD_35transform_pair_of_input_iterators_tIbNS6_6detail15normal_iteratorINS6_10device_ptrIKsEEEESL_NS6_8equal_toIsEEEENSG_9not_fun_tINSD_8identityEEEEENSD_19counting_iterator_tIlEES8_S8_S8_S8_S8_S8_S8_S8_EEEEPS9_S9_NSD_9__find_if7functorIS9_EEEE10hipError_tPvRmT1_T2_T3_mT4_P12ihipStream_tbEUlT_E0_NS1_11comp_targetILNS1_3genE4ELNS1_11target_archE910ELNS1_3gpuE8ELNS1_3repE0EEENS1_30default_config_static_selectorELNS0_4arch9wavefront6targetE0EEEvS14_
		.amdhsa_group_segment_fixed_size 0
		.amdhsa_private_segment_fixed_size 0
		.amdhsa_kernarg_size 104
		.amdhsa_user_sgpr_count 15
		.amdhsa_user_sgpr_dispatch_ptr 0
		.amdhsa_user_sgpr_queue_ptr 0
		.amdhsa_user_sgpr_kernarg_segment_ptr 1
		.amdhsa_user_sgpr_dispatch_id 0
		.amdhsa_user_sgpr_private_segment_size 0
		.amdhsa_wavefront_size32 1
		.amdhsa_uses_dynamic_stack 0
		.amdhsa_enable_private_segment 0
		.amdhsa_system_sgpr_workgroup_id_x 1
		.amdhsa_system_sgpr_workgroup_id_y 0
		.amdhsa_system_sgpr_workgroup_id_z 0
		.amdhsa_system_sgpr_workgroup_info 0
		.amdhsa_system_vgpr_workitem_id 0
		.amdhsa_next_free_vgpr 1
		.amdhsa_next_free_sgpr 1
		.amdhsa_reserve_vcc 0
		.amdhsa_float_round_mode_32 0
		.amdhsa_float_round_mode_16_64 0
		.amdhsa_float_denorm_mode_32 3
		.amdhsa_float_denorm_mode_16_64 3
		.amdhsa_dx10_clamp 1
		.amdhsa_ieee_mode 1
		.amdhsa_fp16_overflow 0
		.amdhsa_workgroup_processor_mode 1
		.amdhsa_memory_ordered 1
		.amdhsa_forward_progress 0
		.amdhsa_shared_vgpr_count 0
		.amdhsa_exception_fp_ieee_invalid_op 0
		.amdhsa_exception_fp_denorm_src 0
		.amdhsa_exception_fp_ieee_div_zero 0
		.amdhsa_exception_fp_ieee_overflow 0
		.amdhsa_exception_fp_ieee_underflow 0
		.amdhsa_exception_fp_ieee_inexact 0
		.amdhsa_exception_int_div_zero 0
	.end_amdhsa_kernel
	.section	.text._ZN7rocprim17ROCPRIM_400000_NS6detail17trampoline_kernelINS0_14default_configENS1_22reduce_config_selectorIN6thrust23THRUST_200600_302600_NS5tupleIblNS6_9null_typeES8_S8_S8_S8_S8_S8_S8_EEEEZNS1_11reduce_implILb1ES3_NS6_12zip_iteratorINS7_INS6_11hip_rocprim26transform_input_iterator_tIbNSD_35transform_pair_of_input_iterators_tIbNS6_6detail15normal_iteratorINS6_10device_ptrIKsEEEESL_NS6_8equal_toIsEEEENSG_9not_fun_tINSD_8identityEEEEENSD_19counting_iterator_tIlEES8_S8_S8_S8_S8_S8_S8_S8_EEEEPS9_S9_NSD_9__find_if7functorIS9_EEEE10hipError_tPvRmT1_T2_T3_mT4_P12ihipStream_tbEUlT_E0_NS1_11comp_targetILNS1_3genE4ELNS1_11target_archE910ELNS1_3gpuE8ELNS1_3repE0EEENS1_30default_config_static_selectorELNS0_4arch9wavefront6targetE0EEEvS14_,"axG",@progbits,_ZN7rocprim17ROCPRIM_400000_NS6detail17trampoline_kernelINS0_14default_configENS1_22reduce_config_selectorIN6thrust23THRUST_200600_302600_NS5tupleIblNS6_9null_typeES8_S8_S8_S8_S8_S8_S8_EEEEZNS1_11reduce_implILb1ES3_NS6_12zip_iteratorINS7_INS6_11hip_rocprim26transform_input_iterator_tIbNSD_35transform_pair_of_input_iterators_tIbNS6_6detail15normal_iteratorINS6_10device_ptrIKsEEEESL_NS6_8equal_toIsEEEENSG_9not_fun_tINSD_8identityEEEEENSD_19counting_iterator_tIlEES8_S8_S8_S8_S8_S8_S8_S8_EEEEPS9_S9_NSD_9__find_if7functorIS9_EEEE10hipError_tPvRmT1_T2_T3_mT4_P12ihipStream_tbEUlT_E0_NS1_11comp_targetILNS1_3genE4ELNS1_11target_archE910ELNS1_3gpuE8ELNS1_3repE0EEENS1_30default_config_static_selectorELNS0_4arch9wavefront6targetE0EEEvS14_,comdat
.Lfunc_end871:
	.size	_ZN7rocprim17ROCPRIM_400000_NS6detail17trampoline_kernelINS0_14default_configENS1_22reduce_config_selectorIN6thrust23THRUST_200600_302600_NS5tupleIblNS6_9null_typeES8_S8_S8_S8_S8_S8_S8_EEEEZNS1_11reduce_implILb1ES3_NS6_12zip_iteratorINS7_INS6_11hip_rocprim26transform_input_iterator_tIbNSD_35transform_pair_of_input_iterators_tIbNS6_6detail15normal_iteratorINS6_10device_ptrIKsEEEESL_NS6_8equal_toIsEEEENSG_9not_fun_tINSD_8identityEEEEENSD_19counting_iterator_tIlEES8_S8_S8_S8_S8_S8_S8_S8_EEEEPS9_S9_NSD_9__find_if7functorIS9_EEEE10hipError_tPvRmT1_T2_T3_mT4_P12ihipStream_tbEUlT_E0_NS1_11comp_targetILNS1_3genE4ELNS1_11target_archE910ELNS1_3gpuE8ELNS1_3repE0EEENS1_30default_config_static_selectorELNS0_4arch9wavefront6targetE0EEEvS14_, .Lfunc_end871-_ZN7rocprim17ROCPRIM_400000_NS6detail17trampoline_kernelINS0_14default_configENS1_22reduce_config_selectorIN6thrust23THRUST_200600_302600_NS5tupleIblNS6_9null_typeES8_S8_S8_S8_S8_S8_S8_EEEEZNS1_11reduce_implILb1ES3_NS6_12zip_iteratorINS7_INS6_11hip_rocprim26transform_input_iterator_tIbNSD_35transform_pair_of_input_iterators_tIbNS6_6detail15normal_iteratorINS6_10device_ptrIKsEEEESL_NS6_8equal_toIsEEEENSG_9not_fun_tINSD_8identityEEEEENSD_19counting_iterator_tIlEES8_S8_S8_S8_S8_S8_S8_S8_EEEEPS9_S9_NSD_9__find_if7functorIS9_EEEE10hipError_tPvRmT1_T2_T3_mT4_P12ihipStream_tbEUlT_E0_NS1_11comp_targetILNS1_3genE4ELNS1_11target_archE910ELNS1_3gpuE8ELNS1_3repE0EEENS1_30default_config_static_selectorELNS0_4arch9wavefront6targetE0EEEvS14_
                                        ; -- End function
	.section	.AMDGPU.csdata,"",@progbits
; Kernel info:
; codeLenInByte = 0
; NumSgprs: 0
; NumVgprs: 0
; ScratchSize: 0
; MemoryBound: 0
; FloatMode: 240
; IeeeMode: 1
; LDSByteSize: 0 bytes/workgroup (compile time only)
; SGPRBlocks: 0
; VGPRBlocks: 0
; NumSGPRsForWavesPerEU: 1
; NumVGPRsForWavesPerEU: 1
; Occupancy: 16
; WaveLimiterHint : 0
; COMPUTE_PGM_RSRC2:SCRATCH_EN: 0
; COMPUTE_PGM_RSRC2:USER_SGPR: 15
; COMPUTE_PGM_RSRC2:TRAP_HANDLER: 0
; COMPUTE_PGM_RSRC2:TGID_X_EN: 1
; COMPUTE_PGM_RSRC2:TGID_Y_EN: 0
; COMPUTE_PGM_RSRC2:TGID_Z_EN: 0
; COMPUTE_PGM_RSRC2:TIDIG_COMP_CNT: 0
	.section	.text._ZN7rocprim17ROCPRIM_400000_NS6detail17trampoline_kernelINS0_14default_configENS1_22reduce_config_selectorIN6thrust23THRUST_200600_302600_NS5tupleIblNS6_9null_typeES8_S8_S8_S8_S8_S8_S8_EEEEZNS1_11reduce_implILb1ES3_NS6_12zip_iteratorINS7_INS6_11hip_rocprim26transform_input_iterator_tIbNSD_35transform_pair_of_input_iterators_tIbNS6_6detail15normal_iteratorINS6_10device_ptrIKsEEEESL_NS6_8equal_toIsEEEENSG_9not_fun_tINSD_8identityEEEEENSD_19counting_iterator_tIlEES8_S8_S8_S8_S8_S8_S8_S8_EEEEPS9_S9_NSD_9__find_if7functorIS9_EEEE10hipError_tPvRmT1_T2_T3_mT4_P12ihipStream_tbEUlT_E0_NS1_11comp_targetILNS1_3genE3ELNS1_11target_archE908ELNS1_3gpuE7ELNS1_3repE0EEENS1_30default_config_static_selectorELNS0_4arch9wavefront6targetE0EEEvS14_,"axG",@progbits,_ZN7rocprim17ROCPRIM_400000_NS6detail17trampoline_kernelINS0_14default_configENS1_22reduce_config_selectorIN6thrust23THRUST_200600_302600_NS5tupleIblNS6_9null_typeES8_S8_S8_S8_S8_S8_S8_EEEEZNS1_11reduce_implILb1ES3_NS6_12zip_iteratorINS7_INS6_11hip_rocprim26transform_input_iterator_tIbNSD_35transform_pair_of_input_iterators_tIbNS6_6detail15normal_iteratorINS6_10device_ptrIKsEEEESL_NS6_8equal_toIsEEEENSG_9not_fun_tINSD_8identityEEEEENSD_19counting_iterator_tIlEES8_S8_S8_S8_S8_S8_S8_S8_EEEEPS9_S9_NSD_9__find_if7functorIS9_EEEE10hipError_tPvRmT1_T2_T3_mT4_P12ihipStream_tbEUlT_E0_NS1_11comp_targetILNS1_3genE3ELNS1_11target_archE908ELNS1_3gpuE7ELNS1_3repE0EEENS1_30default_config_static_selectorELNS0_4arch9wavefront6targetE0EEEvS14_,comdat
	.protected	_ZN7rocprim17ROCPRIM_400000_NS6detail17trampoline_kernelINS0_14default_configENS1_22reduce_config_selectorIN6thrust23THRUST_200600_302600_NS5tupleIblNS6_9null_typeES8_S8_S8_S8_S8_S8_S8_EEEEZNS1_11reduce_implILb1ES3_NS6_12zip_iteratorINS7_INS6_11hip_rocprim26transform_input_iterator_tIbNSD_35transform_pair_of_input_iterators_tIbNS6_6detail15normal_iteratorINS6_10device_ptrIKsEEEESL_NS6_8equal_toIsEEEENSG_9not_fun_tINSD_8identityEEEEENSD_19counting_iterator_tIlEES8_S8_S8_S8_S8_S8_S8_S8_EEEEPS9_S9_NSD_9__find_if7functorIS9_EEEE10hipError_tPvRmT1_T2_T3_mT4_P12ihipStream_tbEUlT_E0_NS1_11comp_targetILNS1_3genE3ELNS1_11target_archE908ELNS1_3gpuE7ELNS1_3repE0EEENS1_30default_config_static_selectorELNS0_4arch9wavefront6targetE0EEEvS14_ ; -- Begin function _ZN7rocprim17ROCPRIM_400000_NS6detail17trampoline_kernelINS0_14default_configENS1_22reduce_config_selectorIN6thrust23THRUST_200600_302600_NS5tupleIblNS6_9null_typeES8_S8_S8_S8_S8_S8_S8_EEEEZNS1_11reduce_implILb1ES3_NS6_12zip_iteratorINS7_INS6_11hip_rocprim26transform_input_iterator_tIbNSD_35transform_pair_of_input_iterators_tIbNS6_6detail15normal_iteratorINS6_10device_ptrIKsEEEESL_NS6_8equal_toIsEEEENSG_9not_fun_tINSD_8identityEEEEENSD_19counting_iterator_tIlEES8_S8_S8_S8_S8_S8_S8_S8_EEEEPS9_S9_NSD_9__find_if7functorIS9_EEEE10hipError_tPvRmT1_T2_T3_mT4_P12ihipStream_tbEUlT_E0_NS1_11comp_targetILNS1_3genE3ELNS1_11target_archE908ELNS1_3gpuE7ELNS1_3repE0EEENS1_30default_config_static_selectorELNS0_4arch9wavefront6targetE0EEEvS14_
	.globl	_ZN7rocprim17ROCPRIM_400000_NS6detail17trampoline_kernelINS0_14default_configENS1_22reduce_config_selectorIN6thrust23THRUST_200600_302600_NS5tupleIblNS6_9null_typeES8_S8_S8_S8_S8_S8_S8_EEEEZNS1_11reduce_implILb1ES3_NS6_12zip_iteratorINS7_INS6_11hip_rocprim26transform_input_iterator_tIbNSD_35transform_pair_of_input_iterators_tIbNS6_6detail15normal_iteratorINS6_10device_ptrIKsEEEESL_NS6_8equal_toIsEEEENSG_9not_fun_tINSD_8identityEEEEENSD_19counting_iterator_tIlEES8_S8_S8_S8_S8_S8_S8_S8_EEEEPS9_S9_NSD_9__find_if7functorIS9_EEEE10hipError_tPvRmT1_T2_T3_mT4_P12ihipStream_tbEUlT_E0_NS1_11comp_targetILNS1_3genE3ELNS1_11target_archE908ELNS1_3gpuE7ELNS1_3repE0EEENS1_30default_config_static_selectorELNS0_4arch9wavefront6targetE0EEEvS14_
	.p2align	8
	.type	_ZN7rocprim17ROCPRIM_400000_NS6detail17trampoline_kernelINS0_14default_configENS1_22reduce_config_selectorIN6thrust23THRUST_200600_302600_NS5tupleIblNS6_9null_typeES8_S8_S8_S8_S8_S8_S8_EEEEZNS1_11reduce_implILb1ES3_NS6_12zip_iteratorINS7_INS6_11hip_rocprim26transform_input_iterator_tIbNSD_35transform_pair_of_input_iterators_tIbNS6_6detail15normal_iteratorINS6_10device_ptrIKsEEEESL_NS6_8equal_toIsEEEENSG_9not_fun_tINSD_8identityEEEEENSD_19counting_iterator_tIlEES8_S8_S8_S8_S8_S8_S8_S8_EEEEPS9_S9_NSD_9__find_if7functorIS9_EEEE10hipError_tPvRmT1_T2_T3_mT4_P12ihipStream_tbEUlT_E0_NS1_11comp_targetILNS1_3genE3ELNS1_11target_archE908ELNS1_3gpuE7ELNS1_3repE0EEENS1_30default_config_static_selectorELNS0_4arch9wavefront6targetE0EEEvS14_,@function
_ZN7rocprim17ROCPRIM_400000_NS6detail17trampoline_kernelINS0_14default_configENS1_22reduce_config_selectorIN6thrust23THRUST_200600_302600_NS5tupleIblNS6_9null_typeES8_S8_S8_S8_S8_S8_S8_EEEEZNS1_11reduce_implILb1ES3_NS6_12zip_iteratorINS7_INS6_11hip_rocprim26transform_input_iterator_tIbNSD_35transform_pair_of_input_iterators_tIbNS6_6detail15normal_iteratorINS6_10device_ptrIKsEEEESL_NS6_8equal_toIsEEEENSG_9not_fun_tINSD_8identityEEEEENSD_19counting_iterator_tIlEES8_S8_S8_S8_S8_S8_S8_S8_EEEEPS9_S9_NSD_9__find_if7functorIS9_EEEE10hipError_tPvRmT1_T2_T3_mT4_P12ihipStream_tbEUlT_E0_NS1_11comp_targetILNS1_3genE3ELNS1_11target_archE908ELNS1_3gpuE7ELNS1_3repE0EEENS1_30default_config_static_selectorELNS0_4arch9wavefront6targetE0EEEvS14_: ; @_ZN7rocprim17ROCPRIM_400000_NS6detail17trampoline_kernelINS0_14default_configENS1_22reduce_config_selectorIN6thrust23THRUST_200600_302600_NS5tupleIblNS6_9null_typeES8_S8_S8_S8_S8_S8_S8_EEEEZNS1_11reduce_implILb1ES3_NS6_12zip_iteratorINS7_INS6_11hip_rocprim26transform_input_iterator_tIbNSD_35transform_pair_of_input_iterators_tIbNS6_6detail15normal_iteratorINS6_10device_ptrIKsEEEESL_NS6_8equal_toIsEEEENSG_9not_fun_tINSD_8identityEEEEENSD_19counting_iterator_tIlEES8_S8_S8_S8_S8_S8_S8_S8_EEEEPS9_S9_NSD_9__find_if7functorIS9_EEEE10hipError_tPvRmT1_T2_T3_mT4_P12ihipStream_tbEUlT_E0_NS1_11comp_targetILNS1_3genE3ELNS1_11target_archE908ELNS1_3gpuE7ELNS1_3repE0EEENS1_30default_config_static_selectorELNS0_4arch9wavefront6targetE0EEEvS14_
; %bb.0:
	.section	.rodata,"a",@progbits
	.p2align	6, 0x0
	.amdhsa_kernel _ZN7rocprim17ROCPRIM_400000_NS6detail17trampoline_kernelINS0_14default_configENS1_22reduce_config_selectorIN6thrust23THRUST_200600_302600_NS5tupleIblNS6_9null_typeES8_S8_S8_S8_S8_S8_S8_EEEEZNS1_11reduce_implILb1ES3_NS6_12zip_iteratorINS7_INS6_11hip_rocprim26transform_input_iterator_tIbNSD_35transform_pair_of_input_iterators_tIbNS6_6detail15normal_iteratorINS6_10device_ptrIKsEEEESL_NS6_8equal_toIsEEEENSG_9not_fun_tINSD_8identityEEEEENSD_19counting_iterator_tIlEES8_S8_S8_S8_S8_S8_S8_S8_EEEEPS9_S9_NSD_9__find_if7functorIS9_EEEE10hipError_tPvRmT1_T2_T3_mT4_P12ihipStream_tbEUlT_E0_NS1_11comp_targetILNS1_3genE3ELNS1_11target_archE908ELNS1_3gpuE7ELNS1_3repE0EEENS1_30default_config_static_selectorELNS0_4arch9wavefront6targetE0EEEvS14_
		.amdhsa_group_segment_fixed_size 0
		.amdhsa_private_segment_fixed_size 0
		.amdhsa_kernarg_size 104
		.amdhsa_user_sgpr_count 15
		.amdhsa_user_sgpr_dispatch_ptr 0
		.amdhsa_user_sgpr_queue_ptr 0
		.amdhsa_user_sgpr_kernarg_segment_ptr 1
		.amdhsa_user_sgpr_dispatch_id 0
		.amdhsa_user_sgpr_private_segment_size 0
		.amdhsa_wavefront_size32 1
		.amdhsa_uses_dynamic_stack 0
		.amdhsa_enable_private_segment 0
		.amdhsa_system_sgpr_workgroup_id_x 1
		.amdhsa_system_sgpr_workgroup_id_y 0
		.amdhsa_system_sgpr_workgroup_id_z 0
		.amdhsa_system_sgpr_workgroup_info 0
		.amdhsa_system_vgpr_workitem_id 0
		.amdhsa_next_free_vgpr 1
		.amdhsa_next_free_sgpr 1
		.amdhsa_reserve_vcc 0
		.amdhsa_float_round_mode_32 0
		.amdhsa_float_round_mode_16_64 0
		.amdhsa_float_denorm_mode_32 3
		.amdhsa_float_denorm_mode_16_64 3
		.amdhsa_dx10_clamp 1
		.amdhsa_ieee_mode 1
		.amdhsa_fp16_overflow 0
		.amdhsa_workgroup_processor_mode 1
		.amdhsa_memory_ordered 1
		.amdhsa_forward_progress 0
		.amdhsa_shared_vgpr_count 0
		.amdhsa_exception_fp_ieee_invalid_op 0
		.amdhsa_exception_fp_denorm_src 0
		.amdhsa_exception_fp_ieee_div_zero 0
		.amdhsa_exception_fp_ieee_overflow 0
		.amdhsa_exception_fp_ieee_underflow 0
		.amdhsa_exception_fp_ieee_inexact 0
		.amdhsa_exception_int_div_zero 0
	.end_amdhsa_kernel
	.section	.text._ZN7rocprim17ROCPRIM_400000_NS6detail17trampoline_kernelINS0_14default_configENS1_22reduce_config_selectorIN6thrust23THRUST_200600_302600_NS5tupleIblNS6_9null_typeES8_S8_S8_S8_S8_S8_S8_EEEEZNS1_11reduce_implILb1ES3_NS6_12zip_iteratorINS7_INS6_11hip_rocprim26transform_input_iterator_tIbNSD_35transform_pair_of_input_iterators_tIbNS6_6detail15normal_iteratorINS6_10device_ptrIKsEEEESL_NS6_8equal_toIsEEEENSG_9not_fun_tINSD_8identityEEEEENSD_19counting_iterator_tIlEES8_S8_S8_S8_S8_S8_S8_S8_EEEEPS9_S9_NSD_9__find_if7functorIS9_EEEE10hipError_tPvRmT1_T2_T3_mT4_P12ihipStream_tbEUlT_E0_NS1_11comp_targetILNS1_3genE3ELNS1_11target_archE908ELNS1_3gpuE7ELNS1_3repE0EEENS1_30default_config_static_selectorELNS0_4arch9wavefront6targetE0EEEvS14_,"axG",@progbits,_ZN7rocprim17ROCPRIM_400000_NS6detail17trampoline_kernelINS0_14default_configENS1_22reduce_config_selectorIN6thrust23THRUST_200600_302600_NS5tupleIblNS6_9null_typeES8_S8_S8_S8_S8_S8_S8_EEEEZNS1_11reduce_implILb1ES3_NS6_12zip_iteratorINS7_INS6_11hip_rocprim26transform_input_iterator_tIbNSD_35transform_pair_of_input_iterators_tIbNS6_6detail15normal_iteratorINS6_10device_ptrIKsEEEESL_NS6_8equal_toIsEEEENSG_9not_fun_tINSD_8identityEEEEENSD_19counting_iterator_tIlEES8_S8_S8_S8_S8_S8_S8_S8_EEEEPS9_S9_NSD_9__find_if7functorIS9_EEEE10hipError_tPvRmT1_T2_T3_mT4_P12ihipStream_tbEUlT_E0_NS1_11comp_targetILNS1_3genE3ELNS1_11target_archE908ELNS1_3gpuE7ELNS1_3repE0EEENS1_30default_config_static_selectorELNS0_4arch9wavefront6targetE0EEEvS14_,comdat
.Lfunc_end872:
	.size	_ZN7rocprim17ROCPRIM_400000_NS6detail17trampoline_kernelINS0_14default_configENS1_22reduce_config_selectorIN6thrust23THRUST_200600_302600_NS5tupleIblNS6_9null_typeES8_S8_S8_S8_S8_S8_S8_EEEEZNS1_11reduce_implILb1ES3_NS6_12zip_iteratorINS7_INS6_11hip_rocprim26transform_input_iterator_tIbNSD_35transform_pair_of_input_iterators_tIbNS6_6detail15normal_iteratorINS6_10device_ptrIKsEEEESL_NS6_8equal_toIsEEEENSG_9not_fun_tINSD_8identityEEEEENSD_19counting_iterator_tIlEES8_S8_S8_S8_S8_S8_S8_S8_EEEEPS9_S9_NSD_9__find_if7functorIS9_EEEE10hipError_tPvRmT1_T2_T3_mT4_P12ihipStream_tbEUlT_E0_NS1_11comp_targetILNS1_3genE3ELNS1_11target_archE908ELNS1_3gpuE7ELNS1_3repE0EEENS1_30default_config_static_selectorELNS0_4arch9wavefront6targetE0EEEvS14_, .Lfunc_end872-_ZN7rocprim17ROCPRIM_400000_NS6detail17trampoline_kernelINS0_14default_configENS1_22reduce_config_selectorIN6thrust23THRUST_200600_302600_NS5tupleIblNS6_9null_typeES8_S8_S8_S8_S8_S8_S8_EEEEZNS1_11reduce_implILb1ES3_NS6_12zip_iteratorINS7_INS6_11hip_rocprim26transform_input_iterator_tIbNSD_35transform_pair_of_input_iterators_tIbNS6_6detail15normal_iteratorINS6_10device_ptrIKsEEEESL_NS6_8equal_toIsEEEENSG_9not_fun_tINSD_8identityEEEEENSD_19counting_iterator_tIlEES8_S8_S8_S8_S8_S8_S8_S8_EEEEPS9_S9_NSD_9__find_if7functorIS9_EEEE10hipError_tPvRmT1_T2_T3_mT4_P12ihipStream_tbEUlT_E0_NS1_11comp_targetILNS1_3genE3ELNS1_11target_archE908ELNS1_3gpuE7ELNS1_3repE0EEENS1_30default_config_static_selectorELNS0_4arch9wavefront6targetE0EEEvS14_
                                        ; -- End function
	.section	.AMDGPU.csdata,"",@progbits
; Kernel info:
; codeLenInByte = 0
; NumSgprs: 0
; NumVgprs: 0
; ScratchSize: 0
; MemoryBound: 0
; FloatMode: 240
; IeeeMode: 1
; LDSByteSize: 0 bytes/workgroup (compile time only)
; SGPRBlocks: 0
; VGPRBlocks: 0
; NumSGPRsForWavesPerEU: 1
; NumVGPRsForWavesPerEU: 1
; Occupancy: 16
; WaveLimiterHint : 0
; COMPUTE_PGM_RSRC2:SCRATCH_EN: 0
; COMPUTE_PGM_RSRC2:USER_SGPR: 15
; COMPUTE_PGM_RSRC2:TRAP_HANDLER: 0
; COMPUTE_PGM_RSRC2:TGID_X_EN: 1
; COMPUTE_PGM_RSRC2:TGID_Y_EN: 0
; COMPUTE_PGM_RSRC2:TGID_Z_EN: 0
; COMPUTE_PGM_RSRC2:TIDIG_COMP_CNT: 0
	.section	.text._ZN7rocprim17ROCPRIM_400000_NS6detail17trampoline_kernelINS0_14default_configENS1_22reduce_config_selectorIN6thrust23THRUST_200600_302600_NS5tupleIblNS6_9null_typeES8_S8_S8_S8_S8_S8_S8_EEEEZNS1_11reduce_implILb1ES3_NS6_12zip_iteratorINS7_INS6_11hip_rocprim26transform_input_iterator_tIbNSD_35transform_pair_of_input_iterators_tIbNS6_6detail15normal_iteratorINS6_10device_ptrIKsEEEESL_NS6_8equal_toIsEEEENSG_9not_fun_tINSD_8identityEEEEENSD_19counting_iterator_tIlEES8_S8_S8_S8_S8_S8_S8_S8_EEEEPS9_S9_NSD_9__find_if7functorIS9_EEEE10hipError_tPvRmT1_T2_T3_mT4_P12ihipStream_tbEUlT_E0_NS1_11comp_targetILNS1_3genE2ELNS1_11target_archE906ELNS1_3gpuE6ELNS1_3repE0EEENS1_30default_config_static_selectorELNS0_4arch9wavefront6targetE0EEEvS14_,"axG",@progbits,_ZN7rocprim17ROCPRIM_400000_NS6detail17trampoline_kernelINS0_14default_configENS1_22reduce_config_selectorIN6thrust23THRUST_200600_302600_NS5tupleIblNS6_9null_typeES8_S8_S8_S8_S8_S8_S8_EEEEZNS1_11reduce_implILb1ES3_NS6_12zip_iteratorINS7_INS6_11hip_rocprim26transform_input_iterator_tIbNSD_35transform_pair_of_input_iterators_tIbNS6_6detail15normal_iteratorINS6_10device_ptrIKsEEEESL_NS6_8equal_toIsEEEENSG_9not_fun_tINSD_8identityEEEEENSD_19counting_iterator_tIlEES8_S8_S8_S8_S8_S8_S8_S8_EEEEPS9_S9_NSD_9__find_if7functorIS9_EEEE10hipError_tPvRmT1_T2_T3_mT4_P12ihipStream_tbEUlT_E0_NS1_11comp_targetILNS1_3genE2ELNS1_11target_archE906ELNS1_3gpuE6ELNS1_3repE0EEENS1_30default_config_static_selectorELNS0_4arch9wavefront6targetE0EEEvS14_,comdat
	.protected	_ZN7rocprim17ROCPRIM_400000_NS6detail17trampoline_kernelINS0_14default_configENS1_22reduce_config_selectorIN6thrust23THRUST_200600_302600_NS5tupleIblNS6_9null_typeES8_S8_S8_S8_S8_S8_S8_EEEEZNS1_11reduce_implILb1ES3_NS6_12zip_iteratorINS7_INS6_11hip_rocprim26transform_input_iterator_tIbNSD_35transform_pair_of_input_iterators_tIbNS6_6detail15normal_iteratorINS6_10device_ptrIKsEEEESL_NS6_8equal_toIsEEEENSG_9not_fun_tINSD_8identityEEEEENSD_19counting_iterator_tIlEES8_S8_S8_S8_S8_S8_S8_S8_EEEEPS9_S9_NSD_9__find_if7functorIS9_EEEE10hipError_tPvRmT1_T2_T3_mT4_P12ihipStream_tbEUlT_E0_NS1_11comp_targetILNS1_3genE2ELNS1_11target_archE906ELNS1_3gpuE6ELNS1_3repE0EEENS1_30default_config_static_selectorELNS0_4arch9wavefront6targetE0EEEvS14_ ; -- Begin function _ZN7rocprim17ROCPRIM_400000_NS6detail17trampoline_kernelINS0_14default_configENS1_22reduce_config_selectorIN6thrust23THRUST_200600_302600_NS5tupleIblNS6_9null_typeES8_S8_S8_S8_S8_S8_S8_EEEEZNS1_11reduce_implILb1ES3_NS6_12zip_iteratorINS7_INS6_11hip_rocprim26transform_input_iterator_tIbNSD_35transform_pair_of_input_iterators_tIbNS6_6detail15normal_iteratorINS6_10device_ptrIKsEEEESL_NS6_8equal_toIsEEEENSG_9not_fun_tINSD_8identityEEEEENSD_19counting_iterator_tIlEES8_S8_S8_S8_S8_S8_S8_S8_EEEEPS9_S9_NSD_9__find_if7functorIS9_EEEE10hipError_tPvRmT1_T2_T3_mT4_P12ihipStream_tbEUlT_E0_NS1_11comp_targetILNS1_3genE2ELNS1_11target_archE906ELNS1_3gpuE6ELNS1_3repE0EEENS1_30default_config_static_selectorELNS0_4arch9wavefront6targetE0EEEvS14_
	.globl	_ZN7rocprim17ROCPRIM_400000_NS6detail17trampoline_kernelINS0_14default_configENS1_22reduce_config_selectorIN6thrust23THRUST_200600_302600_NS5tupleIblNS6_9null_typeES8_S8_S8_S8_S8_S8_S8_EEEEZNS1_11reduce_implILb1ES3_NS6_12zip_iteratorINS7_INS6_11hip_rocprim26transform_input_iterator_tIbNSD_35transform_pair_of_input_iterators_tIbNS6_6detail15normal_iteratorINS6_10device_ptrIKsEEEESL_NS6_8equal_toIsEEEENSG_9not_fun_tINSD_8identityEEEEENSD_19counting_iterator_tIlEES8_S8_S8_S8_S8_S8_S8_S8_EEEEPS9_S9_NSD_9__find_if7functorIS9_EEEE10hipError_tPvRmT1_T2_T3_mT4_P12ihipStream_tbEUlT_E0_NS1_11comp_targetILNS1_3genE2ELNS1_11target_archE906ELNS1_3gpuE6ELNS1_3repE0EEENS1_30default_config_static_selectorELNS0_4arch9wavefront6targetE0EEEvS14_
	.p2align	8
	.type	_ZN7rocprim17ROCPRIM_400000_NS6detail17trampoline_kernelINS0_14default_configENS1_22reduce_config_selectorIN6thrust23THRUST_200600_302600_NS5tupleIblNS6_9null_typeES8_S8_S8_S8_S8_S8_S8_EEEEZNS1_11reduce_implILb1ES3_NS6_12zip_iteratorINS7_INS6_11hip_rocprim26transform_input_iterator_tIbNSD_35transform_pair_of_input_iterators_tIbNS6_6detail15normal_iteratorINS6_10device_ptrIKsEEEESL_NS6_8equal_toIsEEEENSG_9not_fun_tINSD_8identityEEEEENSD_19counting_iterator_tIlEES8_S8_S8_S8_S8_S8_S8_S8_EEEEPS9_S9_NSD_9__find_if7functorIS9_EEEE10hipError_tPvRmT1_T2_T3_mT4_P12ihipStream_tbEUlT_E0_NS1_11comp_targetILNS1_3genE2ELNS1_11target_archE906ELNS1_3gpuE6ELNS1_3repE0EEENS1_30default_config_static_selectorELNS0_4arch9wavefront6targetE0EEEvS14_,@function
_ZN7rocprim17ROCPRIM_400000_NS6detail17trampoline_kernelINS0_14default_configENS1_22reduce_config_selectorIN6thrust23THRUST_200600_302600_NS5tupleIblNS6_9null_typeES8_S8_S8_S8_S8_S8_S8_EEEEZNS1_11reduce_implILb1ES3_NS6_12zip_iteratorINS7_INS6_11hip_rocprim26transform_input_iterator_tIbNSD_35transform_pair_of_input_iterators_tIbNS6_6detail15normal_iteratorINS6_10device_ptrIKsEEEESL_NS6_8equal_toIsEEEENSG_9not_fun_tINSD_8identityEEEEENSD_19counting_iterator_tIlEES8_S8_S8_S8_S8_S8_S8_S8_EEEEPS9_S9_NSD_9__find_if7functorIS9_EEEE10hipError_tPvRmT1_T2_T3_mT4_P12ihipStream_tbEUlT_E0_NS1_11comp_targetILNS1_3genE2ELNS1_11target_archE906ELNS1_3gpuE6ELNS1_3repE0EEENS1_30default_config_static_selectorELNS0_4arch9wavefront6targetE0EEEvS14_: ; @_ZN7rocprim17ROCPRIM_400000_NS6detail17trampoline_kernelINS0_14default_configENS1_22reduce_config_selectorIN6thrust23THRUST_200600_302600_NS5tupleIblNS6_9null_typeES8_S8_S8_S8_S8_S8_S8_EEEEZNS1_11reduce_implILb1ES3_NS6_12zip_iteratorINS7_INS6_11hip_rocprim26transform_input_iterator_tIbNSD_35transform_pair_of_input_iterators_tIbNS6_6detail15normal_iteratorINS6_10device_ptrIKsEEEESL_NS6_8equal_toIsEEEENSG_9not_fun_tINSD_8identityEEEEENSD_19counting_iterator_tIlEES8_S8_S8_S8_S8_S8_S8_S8_EEEEPS9_S9_NSD_9__find_if7functorIS9_EEEE10hipError_tPvRmT1_T2_T3_mT4_P12ihipStream_tbEUlT_E0_NS1_11comp_targetILNS1_3genE2ELNS1_11target_archE906ELNS1_3gpuE6ELNS1_3repE0EEENS1_30default_config_static_selectorELNS0_4arch9wavefront6targetE0EEEvS14_
; %bb.0:
	.section	.rodata,"a",@progbits
	.p2align	6, 0x0
	.amdhsa_kernel _ZN7rocprim17ROCPRIM_400000_NS6detail17trampoline_kernelINS0_14default_configENS1_22reduce_config_selectorIN6thrust23THRUST_200600_302600_NS5tupleIblNS6_9null_typeES8_S8_S8_S8_S8_S8_S8_EEEEZNS1_11reduce_implILb1ES3_NS6_12zip_iteratorINS7_INS6_11hip_rocprim26transform_input_iterator_tIbNSD_35transform_pair_of_input_iterators_tIbNS6_6detail15normal_iteratorINS6_10device_ptrIKsEEEESL_NS6_8equal_toIsEEEENSG_9not_fun_tINSD_8identityEEEEENSD_19counting_iterator_tIlEES8_S8_S8_S8_S8_S8_S8_S8_EEEEPS9_S9_NSD_9__find_if7functorIS9_EEEE10hipError_tPvRmT1_T2_T3_mT4_P12ihipStream_tbEUlT_E0_NS1_11comp_targetILNS1_3genE2ELNS1_11target_archE906ELNS1_3gpuE6ELNS1_3repE0EEENS1_30default_config_static_selectorELNS0_4arch9wavefront6targetE0EEEvS14_
		.amdhsa_group_segment_fixed_size 0
		.amdhsa_private_segment_fixed_size 0
		.amdhsa_kernarg_size 104
		.amdhsa_user_sgpr_count 15
		.amdhsa_user_sgpr_dispatch_ptr 0
		.amdhsa_user_sgpr_queue_ptr 0
		.amdhsa_user_sgpr_kernarg_segment_ptr 1
		.amdhsa_user_sgpr_dispatch_id 0
		.amdhsa_user_sgpr_private_segment_size 0
		.amdhsa_wavefront_size32 1
		.amdhsa_uses_dynamic_stack 0
		.amdhsa_enable_private_segment 0
		.amdhsa_system_sgpr_workgroup_id_x 1
		.amdhsa_system_sgpr_workgroup_id_y 0
		.amdhsa_system_sgpr_workgroup_id_z 0
		.amdhsa_system_sgpr_workgroup_info 0
		.amdhsa_system_vgpr_workitem_id 0
		.amdhsa_next_free_vgpr 1
		.amdhsa_next_free_sgpr 1
		.amdhsa_reserve_vcc 0
		.amdhsa_float_round_mode_32 0
		.amdhsa_float_round_mode_16_64 0
		.amdhsa_float_denorm_mode_32 3
		.amdhsa_float_denorm_mode_16_64 3
		.amdhsa_dx10_clamp 1
		.amdhsa_ieee_mode 1
		.amdhsa_fp16_overflow 0
		.amdhsa_workgroup_processor_mode 1
		.amdhsa_memory_ordered 1
		.amdhsa_forward_progress 0
		.amdhsa_shared_vgpr_count 0
		.amdhsa_exception_fp_ieee_invalid_op 0
		.amdhsa_exception_fp_denorm_src 0
		.amdhsa_exception_fp_ieee_div_zero 0
		.amdhsa_exception_fp_ieee_overflow 0
		.amdhsa_exception_fp_ieee_underflow 0
		.amdhsa_exception_fp_ieee_inexact 0
		.amdhsa_exception_int_div_zero 0
	.end_amdhsa_kernel
	.section	.text._ZN7rocprim17ROCPRIM_400000_NS6detail17trampoline_kernelINS0_14default_configENS1_22reduce_config_selectorIN6thrust23THRUST_200600_302600_NS5tupleIblNS6_9null_typeES8_S8_S8_S8_S8_S8_S8_EEEEZNS1_11reduce_implILb1ES3_NS6_12zip_iteratorINS7_INS6_11hip_rocprim26transform_input_iterator_tIbNSD_35transform_pair_of_input_iterators_tIbNS6_6detail15normal_iteratorINS6_10device_ptrIKsEEEESL_NS6_8equal_toIsEEEENSG_9not_fun_tINSD_8identityEEEEENSD_19counting_iterator_tIlEES8_S8_S8_S8_S8_S8_S8_S8_EEEEPS9_S9_NSD_9__find_if7functorIS9_EEEE10hipError_tPvRmT1_T2_T3_mT4_P12ihipStream_tbEUlT_E0_NS1_11comp_targetILNS1_3genE2ELNS1_11target_archE906ELNS1_3gpuE6ELNS1_3repE0EEENS1_30default_config_static_selectorELNS0_4arch9wavefront6targetE0EEEvS14_,"axG",@progbits,_ZN7rocprim17ROCPRIM_400000_NS6detail17trampoline_kernelINS0_14default_configENS1_22reduce_config_selectorIN6thrust23THRUST_200600_302600_NS5tupleIblNS6_9null_typeES8_S8_S8_S8_S8_S8_S8_EEEEZNS1_11reduce_implILb1ES3_NS6_12zip_iteratorINS7_INS6_11hip_rocprim26transform_input_iterator_tIbNSD_35transform_pair_of_input_iterators_tIbNS6_6detail15normal_iteratorINS6_10device_ptrIKsEEEESL_NS6_8equal_toIsEEEENSG_9not_fun_tINSD_8identityEEEEENSD_19counting_iterator_tIlEES8_S8_S8_S8_S8_S8_S8_S8_EEEEPS9_S9_NSD_9__find_if7functorIS9_EEEE10hipError_tPvRmT1_T2_T3_mT4_P12ihipStream_tbEUlT_E0_NS1_11comp_targetILNS1_3genE2ELNS1_11target_archE906ELNS1_3gpuE6ELNS1_3repE0EEENS1_30default_config_static_selectorELNS0_4arch9wavefront6targetE0EEEvS14_,comdat
.Lfunc_end873:
	.size	_ZN7rocprim17ROCPRIM_400000_NS6detail17trampoline_kernelINS0_14default_configENS1_22reduce_config_selectorIN6thrust23THRUST_200600_302600_NS5tupleIblNS6_9null_typeES8_S8_S8_S8_S8_S8_S8_EEEEZNS1_11reduce_implILb1ES3_NS6_12zip_iteratorINS7_INS6_11hip_rocprim26transform_input_iterator_tIbNSD_35transform_pair_of_input_iterators_tIbNS6_6detail15normal_iteratorINS6_10device_ptrIKsEEEESL_NS6_8equal_toIsEEEENSG_9not_fun_tINSD_8identityEEEEENSD_19counting_iterator_tIlEES8_S8_S8_S8_S8_S8_S8_S8_EEEEPS9_S9_NSD_9__find_if7functorIS9_EEEE10hipError_tPvRmT1_T2_T3_mT4_P12ihipStream_tbEUlT_E0_NS1_11comp_targetILNS1_3genE2ELNS1_11target_archE906ELNS1_3gpuE6ELNS1_3repE0EEENS1_30default_config_static_selectorELNS0_4arch9wavefront6targetE0EEEvS14_, .Lfunc_end873-_ZN7rocprim17ROCPRIM_400000_NS6detail17trampoline_kernelINS0_14default_configENS1_22reduce_config_selectorIN6thrust23THRUST_200600_302600_NS5tupleIblNS6_9null_typeES8_S8_S8_S8_S8_S8_S8_EEEEZNS1_11reduce_implILb1ES3_NS6_12zip_iteratorINS7_INS6_11hip_rocprim26transform_input_iterator_tIbNSD_35transform_pair_of_input_iterators_tIbNS6_6detail15normal_iteratorINS6_10device_ptrIKsEEEESL_NS6_8equal_toIsEEEENSG_9not_fun_tINSD_8identityEEEEENSD_19counting_iterator_tIlEES8_S8_S8_S8_S8_S8_S8_S8_EEEEPS9_S9_NSD_9__find_if7functorIS9_EEEE10hipError_tPvRmT1_T2_T3_mT4_P12ihipStream_tbEUlT_E0_NS1_11comp_targetILNS1_3genE2ELNS1_11target_archE906ELNS1_3gpuE6ELNS1_3repE0EEENS1_30default_config_static_selectorELNS0_4arch9wavefront6targetE0EEEvS14_
                                        ; -- End function
	.section	.AMDGPU.csdata,"",@progbits
; Kernel info:
; codeLenInByte = 0
; NumSgprs: 0
; NumVgprs: 0
; ScratchSize: 0
; MemoryBound: 0
; FloatMode: 240
; IeeeMode: 1
; LDSByteSize: 0 bytes/workgroup (compile time only)
; SGPRBlocks: 0
; VGPRBlocks: 0
; NumSGPRsForWavesPerEU: 1
; NumVGPRsForWavesPerEU: 1
; Occupancy: 16
; WaveLimiterHint : 0
; COMPUTE_PGM_RSRC2:SCRATCH_EN: 0
; COMPUTE_PGM_RSRC2:USER_SGPR: 15
; COMPUTE_PGM_RSRC2:TRAP_HANDLER: 0
; COMPUTE_PGM_RSRC2:TGID_X_EN: 1
; COMPUTE_PGM_RSRC2:TGID_Y_EN: 0
; COMPUTE_PGM_RSRC2:TGID_Z_EN: 0
; COMPUTE_PGM_RSRC2:TIDIG_COMP_CNT: 0
	.section	.text._ZN7rocprim17ROCPRIM_400000_NS6detail17trampoline_kernelINS0_14default_configENS1_22reduce_config_selectorIN6thrust23THRUST_200600_302600_NS5tupleIblNS6_9null_typeES8_S8_S8_S8_S8_S8_S8_EEEEZNS1_11reduce_implILb1ES3_NS6_12zip_iteratorINS7_INS6_11hip_rocprim26transform_input_iterator_tIbNSD_35transform_pair_of_input_iterators_tIbNS6_6detail15normal_iteratorINS6_10device_ptrIKsEEEESL_NS6_8equal_toIsEEEENSG_9not_fun_tINSD_8identityEEEEENSD_19counting_iterator_tIlEES8_S8_S8_S8_S8_S8_S8_S8_EEEEPS9_S9_NSD_9__find_if7functorIS9_EEEE10hipError_tPvRmT1_T2_T3_mT4_P12ihipStream_tbEUlT_E0_NS1_11comp_targetILNS1_3genE10ELNS1_11target_archE1201ELNS1_3gpuE5ELNS1_3repE0EEENS1_30default_config_static_selectorELNS0_4arch9wavefront6targetE0EEEvS14_,"axG",@progbits,_ZN7rocprim17ROCPRIM_400000_NS6detail17trampoline_kernelINS0_14default_configENS1_22reduce_config_selectorIN6thrust23THRUST_200600_302600_NS5tupleIblNS6_9null_typeES8_S8_S8_S8_S8_S8_S8_EEEEZNS1_11reduce_implILb1ES3_NS6_12zip_iteratorINS7_INS6_11hip_rocprim26transform_input_iterator_tIbNSD_35transform_pair_of_input_iterators_tIbNS6_6detail15normal_iteratorINS6_10device_ptrIKsEEEESL_NS6_8equal_toIsEEEENSG_9not_fun_tINSD_8identityEEEEENSD_19counting_iterator_tIlEES8_S8_S8_S8_S8_S8_S8_S8_EEEEPS9_S9_NSD_9__find_if7functorIS9_EEEE10hipError_tPvRmT1_T2_T3_mT4_P12ihipStream_tbEUlT_E0_NS1_11comp_targetILNS1_3genE10ELNS1_11target_archE1201ELNS1_3gpuE5ELNS1_3repE0EEENS1_30default_config_static_selectorELNS0_4arch9wavefront6targetE0EEEvS14_,comdat
	.protected	_ZN7rocprim17ROCPRIM_400000_NS6detail17trampoline_kernelINS0_14default_configENS1_22reduce_config_selectorIN6thrust23THRUST_200600_302600_NS5tupleIblNS6_9null_typeES8_S8_S8_S8_S8_S8_S8_EEEEZNS1_11reduce_implILb1ES3_NS6_12zip_iteratorINS7_INS6_11hip_rocprim26transform_input_iterator_tIbNSD_35transform_pair_of_input_iterators_tIbNS6_6detail15normal_iteratorINS6_10device_ptrIKsEEEESL_NS6_8equal_toIsEEEENSG_9not_fun_tINSD_8identityEEEEENSD_19counting_iterator_tIlEES8_S8_S8_S8_S8_S8_S8_S8_EEEEPS9_S9_NSD_9__find_if7functorIS9_EEEE10hipError_tPvRmT1_T2_T3_mT4_P12ihipStream_tbEUlT_E0_NS1_11comp_targetILNS1_3genE10ELNS1_11target_archE1201ELNS1_3gpuE5ELNS1_3repE0EEENS1_30default_config_static_selectorELNS0_4arch9wavefront6targetE0EEEvS14_ ; -- Begin function _ZN7rocprim17ROCPRIM_400000_NS6detail17trampoline_kernelINS0_14default_configENS1_22reduce_config_selectorIN6thrust23THRUST_200600_302600_NS5tupleIblNS6_9null_typeES8_S8_S8_S8_S8_S8_S8_EEEEZNS1_11reduce_implILb1ES3_NS6_12zip_iteratorINS7_INS6_11hip_rocprim26transform_input_iterator_tIbNSD_35transform_pair_of_input_iterators_tIbNS6_6detail15normal_iteratorINS6_10device_ptrIKsEEEESL_NS6_8equal_toIsEEEENSG_9not_fun_tINSD_8identityEEEEENSD_19counting_iterator_tIlEES8_S8_S8_S8_S8_S8_S8_S8_EEEEPS9_S9_NSD_9__find_if7functorIS9_EEEE10hipError_tPvRmT1_T2_T3_mT4_P12ihipStream_tbEUlT_E0_NS1_11comp_targetILNS1_3genE10ELNS1_11target_archE1201ELNS1_3gpuE5ELNS1_3repE0EEENS1_30default_config_static_selectorELNS0_4arch9wavefront6targetE0EEEvS14_
	.globl	_ZN7rocprim17ROCPRIM_400000_NS6detail17trampoline_kernelINS0_14default_configENS1_22reduce_config_selectorIN6thrust23THRUST_200600_302600_NS5tupleIblNS6_9null_typeES8_S8_S8_S8_S8_S8_S8_EEEEZNS1_11reduce_implILb1ES3_NS6_12zip_iteratorINS7_INS6_11hip_rocprim26transform_input_iterator_tIbNSD_35transform_pair_of_input_iterators_tIbNS6_6detail15normal_iteratorINS6_10device_ptrIKsEEEESL_NS6_8equal_toIsEEEENSG_9not_fun_tINSD_8identityEEEEENSD_19counting_iterator_tIlEES8_S8_S8_S8_S8_S8_S8_S8_EEEEPS9_S9_NSD_9__find_if7functorIS9_EEEE10hipError_tPvRmT1_T2_T3_mT4_P12ihipStream_tbEUlT_E0_NS1_11comp_targetILNS1_3genE10ELNS1_11target_archE1201ELNS1_3gpuE5ELNS1_3repE0EEENS1_30default_config_static_selectorELNS0_4arch9wavefront6targetE0EEEvS14_
	.p2align	8
	.type	_ZN7rocprim17ROCPRIM_400000_NS6detail17trampoline_kernelINS0_14default_configENS1_22reduce_config_selectorIN6thrust23THRUST_200600_302600_NS5tupleIblNS6_9null_typeES8_S8_S8_S8_S8_S8_S8_EEEEZNS1_11reduce_implILb1ES3_NS6_12zip_iteratorINS7_INS6_11hip_rocprim26transform_input_iterator_tIbNSD_35transform_pair_of_input_iterators_tIbNS6_6detail15normal_iteratorINS6_10device_ptrIKsEEEESL_NS6_8equal_toIsEEEENSG_9not_fun_tINSD_8identityEEEEENSD_19counting_iterator_tIlEES8_S8_S8_S8_S8_S8_S8_S8_EEEEPS9_S9_NSD_9__find_if7functorIS9_EEEE10hipError_tPvRmT1_T2_T3_mT4_P12ihipStream_tbEUlT_E0_NS1_11comp_targetILNS1_3genE10ELNS1_11target_archE1201ELNS1_3gpuE5ELNS1_3repE0EEENS1_30default_config_static_selectorELNS0_4arch9wavefront6targetE0EEEvS14_,@function
_ZN7rocprim17ROCPRIM_400000_NS6detail17trampoline_kernelINS0_14default_configENS1_22reduce_config_selectorIN6thrust23THRUST_200600_302600_NS5tupleIblNS6_9null_typeES8_S8_S8_S8_S8_S8_S8_EEEEZNS1_11reduce_implILb1ES3_NS6_12zip_iteratorINS7_INS6_11hip_rocprim26transform_input_iterator_tIbNSD_35transform_pair_of_input_iterators_tIbNS6_6detail15normal_iteratorINS6_10device_ptrIKsEEEESL_NS6_8equal_toIsEEEENSG_9not_fun_tINSD_8identityEEEEENSD_19counting_iterator_tIlEES8_S8_S8_S8_S8_S8_S8_S8_EEEEPS9_S9_NSD_9__find_if7functorIS9_EEEE10hipError_tPvRmT1_T2_T3_mT4_P12ihipStream_tbEUlT_E0_NS1_11comp_targetILNS1_3genE10ELNS1_11target_archE1201ELNS1_3gpuE5ELNS1_3repE0EEENS1_30default_config_static_selectorELNS0_4arch9wavefront6targetE0EEEvS14_: ; @_ZN7rocprim17ROCPRIM_400000_NS6detail17trampoline_kernelINS0_14default_configENS1_22reduce_config_selectorIN6thrust23THRUST_200600_302600_NS5tupleIblNS6_9null_typeES8_S8_S8_S8_S8_S8_S8_EEEEZNS1_11reduce_implILb1ES3_NS6_12zip_iteratorINS7_INS6_11hip_rocprim26transform_input_iterator_tIbNSD_35transform_pair_of_input_iterators_tIbNS6_6detail15normal_iteratorINS6_10device_ptrIKsEEEESL_NS6_8equal_toIsEEEENSG_9not_fun_tINSD_8identityEEEEENSD_19counting_iterator_tIlEES8_S8_S8_S8_S8_S8_S8_S8_EEEEPS9_S9_NSD_9__find_if7functorIS9_EEEE10hipError_tPvRmT1_T2_T3_mT4_P12ihipStream_tbEUlT_E0_NS1_11comp_targetILNS1_3genE10ELNS1_11target_archE1201ELNS1_3gpuE5ELNS1_3repE0EEENS1_30default_config_static_selectorELNS0_4arch9wavefront6targetE0EEEvS14_
; %bb.0:
	.section	.rodata,"a",@progbits
	.p2align	6, 0x0
	.amdhsa_kernel _ZN7rocprim17ROCPRIM_400000_NS6detail17trampoline_kernelINS0_14default_configENS1_22reduce_config_selectorIN6thrust23THRUST_200600_302600_NS5tupleIblNS6_9null_typeES8_S8_S8_S8_S8_S8_S8_EEEEZNS1_11reduce_implILb1ES3_NS6_12zip_iteratorINS7_INS6_11hip_rocprim26transform_input_iterator_tIbNSD_35transform_pair_of_input_iterators_tIbNS6_6detail15normal_iteratorINS6_10device_ptrIKsEEEESL_NS6_8equal_toIsEEEENSG_9not_fun_tINSD_8identityEEEEENSD_19counting_iterator_tIlEES8_S8_S8_S8_S8_S8_S8_S8_EEEEPS9_S9_NSD_9__find_if7functorIS9_EEEE10hipError_tPvRmT1_T2_T3_mT4_P12ihipStream_tbEUlT_E0_NS1_11comp_targetILNS1_3genE10ELNS1_11target_archE1201ELNS1_3gpuE5ELNS1_3repE0EEENS1_30default_config_static_selectorELNS0_4arch9wavefront6targetE0EEEvS14_
		.amdhsa_group_segment_fixed_size 0
		.amdhsa_private_segment_fixed_size 0
		.amdhsa_kernarg_size 104
		.amdhsa_user_sgpr_count 15
		.amdhsa_user_sgpr_dispatch_ptr 0
		.amdhsa_user_sgpr_queue_ptr 0
		.amdhsa_user_sgpr_kernarg_segment_ptr 1
		.amdhsa_user_sgpr_dispatch_id 0
		.amdhsa_user_sgpr_private_segment_size 0
		.amdhsa_wavefront_size32 1
		.amdhsa_uses_dynamic_stack 0
		.amdhsa_enable_private_segment 0
		.amdhsa_system_sgpr_workgroup_id_x 1
		.amdhsa_system_sgpr_workgroup_id_y 0
		.amdhsa_system_sgpr_workgroup_id_z 0
		.amdhsa_system_sgpr_workgroup_info 0
		.amdhsa_system_vgpr_workitem_id 0
		.amdhsa_next_free_vgpr 1
		.amdhsa_next_free_sgpr 1
		.amdhsa_reserve_vcc 0
		.amdhsa_float_round_mode_32 0
		.amdhsa_float_round_mode_16_64 0
		.amdhsa_float_denorm_mode_32 3
		.amdhsa_float_denorm_mode_16_64 3
		.amdhsa_dx10_clamp 1
		.amdhsa_ieee_mode 1
		.amdhsa_fp16_overflow 0
		.amdhsa_workgroup_processor_mode 1
		.amdhsa_memory_ordered 1
		.amdhsa_forward_progress 0
		.amdhsa_shared_vgpr_count 0
		.amdhsa_exception_fp_ieee_invalid_op 0
		.amdhsa_exception_fp_denorm_src 0
		.amdhsa_exception_fp_ieee_div_zero 0
		.amdhsa_exception_fp_ieee_overflow 0
		.amdhsa_exception_fp_ieee_underflow 0
		.amdhsa_exception_fp_ieee_inexact 0
		.amdhsa_exception_int_div_zero 0
	.end_amdhsa_kernel
	.section	.text._ZN7rocprim17ROCPRIM_400000_NS6detail17trampoline_kernelINS0_14default_configENS1_22reduce_config_selectorIN6thrust23THRUST_200600_302600_NS5tupleIblNS6_9null_typeES8_S8_S8_S8_S8_S8_S8_EEEEZNS1_11reduce_implILb1ES3_NS6_12zip_iteratorINS7_INS6_11hip_rocprim26transform_input_iterator_tIbNSD_35transform_pair_of_input_iterators_tIbNS6_6detail15normal_iteratorINS6_10device_ptrIKsEEEESL_NS6_8equal_toIsEEEENSG_9not_fun_tINSD_8identityEEEEENSD_19counting_iterator_tIlEES8_S8_S8_S8_S8_S8_S8_S8_EEEEPS9_S9_NSD_9__find_if7functorIS9_EEEE10hipError_tPvRmT1_T2_T3_mT4_P12ihipStream_tbEUlT_E0_NS1_11comp_targetILNS1_3genE10ELNS1_11target_archE1201ELNS1_3gpuE5ELNS1_3repE0EEENS1_30default_config_static_selectorELNS0_4arch9wavefront6targetE0EEEvS14_,"axG",@progbits,_ZN7rocprim17ROCPRIM_400000_NS6detail17trampoline_kernelINS0_14default_configENS1_22reduce_config_selectorIN6thrust23THRUST_200600_302600_NS5tupleIblNS6_9null_typeES8_S8_S8_S8_S8_S8_S8_EEEEZNS1_11reduce_implILb1ES3_NS6_12zip_iteratorINS7_INS6_11hip_rocprim26transform_input_iterator_tIbNSD_35transform_pair_of_input_iterators_tIbNS6_6detail15normal_iteratorINS6_10device_ptrIKsEEEESL_NS6_8equal_toIsEEEENSG_9not_fun_tINSD_8identityEEEEENSD_19counting_iterator_tIlEES8_S8_S8_S8_S8_S8_S8_S8_EEEEPS9_S9_NSD_9__find_if7functorIS9_EEEE10hipError_tPvRmT1_T2_T3_mT4_P12ihipStream_tbEUlT_E0_NS1_11comp_targetILNS1_3genE10ELNS1_11target_archE1201ELNS1_3gpuE5ELNS1_3repE0EEENS1_30default_config_static_selectorELNS0_4arch9wavefront6targetE0EEEvS14_,comdat
.Lfunc_end874:
	.size	_ZN7rocprim17ROCPRIM_400000_NS6detail17trampoline_kernelINS0_14default_configENS1_22reduce_config_selectorIN6thrust23THRUST_200600_302600_NS5tupleIblNS6_9null_typeES8_S8_S8_S8_S8_S8_S8_EEEEZNS1_11reduce_implILb1ES3_NS6_12zip_iteratorINS7_INS6_11hip_rocprim26transform_input_iterator_tIbNSD_35transform_pair_of_input_iterators_tIbNS6_6detail15normal_iteratorINS6_10device_ptrIKsEEEESL_NS6_8equal_toIsEEEENSG_9not_fun_tINSD_8identityEEEEENSD_19counting_iterator_tIlEES8_S8_S8_S8_S8_S8_S8_S8_EEEEPS9_S9_NSD_9__find_if7functorIS9_EEEE10hipError_tPvRmT1_T2_T3_mT4_P12ihipStream_tbEUlT_E0_NS1_11comp_targetILNS1_3genE10ELNS1_11target_archE1201ELNS1_3gpuE5ELNS1_3repE0EEENS1_30default_config_static_selectorELNS0_4arch9wavefront6targetE0EEEvS14_, .Lfunc_end874-_ZN7rocprim17ROCPRIM_400000_NS6detail17trampoline_kernelINS0_14default_configENS1_22reduce_config_selectorIN6thrust23THRUST_200600_302600_NS5tupleIblNS6_9null_typeES8_S8_S8_S8_S8_S8_S8_EEEEZNS1_11reduce_implILb1ES3_NS6_12zip_iteratorINS7_INS6_11hip_rocprim26transform_input_iterator_tIbNSD_35transform_pair_of_input_iterators_tIbNS6_6detail15normal_iteratorINS6_10device_ptrIKsEEEESL_NS6_8equal_toIsEEEENSG_9not_fun_tINSD_8identityEEEEENSD_19counting_iterator_tIlEES8_S8_S8_S8_S8_S8_S8_S8_EEEEPS9_S9_NSD_9__find_if7functorIS9_EEEE10hipError_tPvRmT1_T2_T3_mT4_P12ihipStream_tbEUlT_E0_NS1_11comp_targetILNS1_3genE10ELNS1_11target_archE1201ELNS1_3gpuE5ELNS1_3repE0EEENS1_30default_config_static_selectorELNS0_4arch9wavefront6targetE0EEEvS14_
                                        ; -- End function
	.section	.AMDGPU.csdata,"",@progbits
; Kernel info:
; codeLenInByte = 0
; NumSgprs: 0
; NumVgprs: 0
; ScratchSize: 0
; MemoryBound: 0
; FloatMode: 240
; IeeeMode: 1
; LDSByteSize: 0 bytes/workgroup (compile time only)
; SGPRBlocks: 0
; VGPRBlocks: 0
; NumSGPRsForWavesPerEU: 1
; NumVGPRsForWavesPerEU: 1
; Occupancy: 16
; WaveLimiterHint : 0
; COMPUTE_PGM_RSRC2:SCRATCH_EN: 0
; COMPUTE_PGM_RSRC2:USER_SGPR: 15
; COMPUTE_PGM_RSRC2:TRAP_HANDLER: 0
; COMPUTE_PGM_RSRC2:TGID_X_EN: 1
; COMPUTE_PGM_RSRC2:TGID_Y_EN: 0
; COMPUTE_PGM_RSRC2:TGID_Z_EN: 0
; COMPUTE_PGM_RSRC2:TIDIG_COMP_CNT: 0
	.section	.text._ZN7rocprim17ROCPRIM_400000_NS6detail17trampoline_kernelINS0_14default_configENS1_22reduce_config_selectorIN6thrust23THRUST_200600_302600_NS5tupleIblNS6_9null_typeES8_S8_S8_S8_S8_S8_S8_EEEEZNS1_11reduce_implILb1ES3_NS6_12zip_iteratorINS7_INS6_11hip_rocprim26transform_input_iterator_tIbNSD_35transform_pair_of_input_iterators_tIbNS6_6detail15normal_iteratorINS6_10device_ptrIKsEEEESL_NS6_8equal_toIsEEEENSG_9not_fun_tINSD_8identityEEEEENSD_19counting_iterator_tIlEES8_S8_S8_S8_S8_S8_S8_S8_EEEEPS9_S9_NSD_9__find_if7functorIS9_EEEE10hipError_tPvRmT1_T2_T3_mT4_P12ihipStream_tbEUlT_E0_NS1_11comp_targetILNS1_3genE10ELNS1_11target_archE1200ELNS1_3gpuE4ELNS1_3repE0EEENS1_30default_config_static_selectorELNS0_4arch9wavefront6targetE0EEEvS14_,"axG",@progbits,_ZN7rocprim17ROCPRIM_400000_NS6detail17trampoline_kernelINS0_14default_configENS1_22reduce_config_selectorIN6thrust23THRUST_200600_302600_NS5tupleIblNS6_9null_typeES8_S8_S8_S8_S8_S8_S8_EEEEZNS1_11reduce_implILb1ES3_NS6_12zip_iteratorINS7_INS6_11hip_rocprim26transform_input_iterator_tIbNSD_35transform_pair_of_input_iterators_tIbNS6_6detail15normal_iteratorINS6_10device_ptrIKsEEEESL_NS6_8equal_toIsEEEENSG_9not_fun_tINSD_8identityEEEEENSD_19counting_iterator_tIlEES8_S8_S8_S8_S8_S8_S8_S8_EEEEPS9_S9_NSD_9__find_if7functorIS9_EEEE10hipError_tPvRmT1_T2_T3_mT4_P12ihipStream_tbEUlT_E0_NS1_11comp_targetILNS1_3genE10ELNS1_11target_archE1200ELNS1_3gpuE4ELNS1_3repE0EEENS1_30default_config_static_selectorELNS0_4arch9wavefront6targetE0EEEvS14_,comdat
	.protected	_ZN7rocprim17ROCPRIM_400000_NS6detail17trampoline_kernelINS0_14default_configENS1_22reduce_config_selectorIN6thrust23THRUST_200600_302600_NS5tupleIblNS6_9null_typeES8_S8_S8_S8_S8_S8_S8_EEEEZNS1_11reduce_implILb1ES3_NS6_12zip_iteratorINS7_INS6_11hip_rocprim26transform_input_iterator_tIbNSD_35transform_pair_of_input_iterators_tIbNS6_6detail15normal_iteratorINS6_10device_ptrIKsEEEESL_NS6_8equal_toIsEEEENSG_9not_fun_tINSD_8identityEEEEENSD_19counting_iterator_tIlEES8_S8_S8_S8_S8_S8_S8_S8_EEEEPS9_S9_NSD_9__find_if7functorIS9_EEEE10hipError_tPvRmT1_T2_T3_mT4_P12ihipStream_tbEUlT_E0_NS1_11comp_targetILNS1_3genE10ELNS1_11target_archE1200ELNS1_3gpuE4ELNS1_3repE0EEENS1_30default_config_static_selectorELNS0_4arch9wavefront6targetE0EEEvS14_ ; -- Begin function _ZN7rocprim17ROCPRIM_400000_NS6detail17trampoline_kernelINS0_14default_configENS1_22reduce_config_selectorIN6thrust23THRUST_200600_302600_NS5tupleIblNS6_9null_typeES8_S8_S8_S8_S8_S8_S8_EEEEZNS1_11reduce_implILb1ES3_NS6_12zip_iteratorINS7_INS6_11hip_rocprim26transform_input_iterator_tIbNSD_35transform_pair_of_input_iterators_tIbNS6_6detail15normal_iteratorINS6_10device_ptrIKsEEEESL_NS6_8equal_toIsEEEENSG_9not_fun_tINSD_8identityEEEEENSD_19counting_iterator_tIlEES8_S8_S8_S8_S8_S8_S8_S8_EEEEPS9_S9_NSD_9__find_if7functorIS9_EEEE10hipError_tPvRmT1_T2_T3_mT4_P12ihipStream_tbEUlT_E0_NS1_11comp_targetILNS1_3genE10ELNS1_11target_archE1200ELNS1_3gpuE4ELNS1_3repE0EEENS1_30default_config_static_selectorELNS0_4arch9wavefront6targetE0EEEvS14_
	.globl	_ZN7rocprim17ROCPRIM_400000_NS6detail17trampoline_kernelINS0_14default_configENS1_22reduce_config_selectorIN6thrust23THRUST_200600_302600_NS5tupleIblNS6_9null_typeES8_S8_S8_S8_S8_S8_S8_EEEEZNS1_11reduce_implILb1ES3_NS6_12zip_iteratorINS7_INS6_11hip_rocprim26transform_input_iterator_tIbNSD_35transform_pair_of_input_iterators_tIbNS6_6detail15normal_iteratorINS6_10device_ptrIKsEEEESL_NS6_8equal_toIsEEEENSG_9not_fun_tINSD_8identityEEEEENSD_19counting_iterator_tIlEES8_S8_S8_S8_S8_S8_S8_S8_EEEEPS9_S9_NSD_9__find_if7functorIS9_EEEE10hipError_tPvRmT1_T2_T3_mT4_P12ihipStream_tbEUlT_E0_NS1_11comp_targetILNS1_3genE10ELNS1_11target_archE1200ELNS1_3gpuE4ELNS1_3repE0EEENS1_30default_config_static_selectorELNS0_4arch9wavefront6targetE0EEEvS14_
	.p2align	8
	.type	_ZN7rocprim17ROCPRIM_400000_NS6detail17trampoline_kernelINS0_14default_configENS1_22reduce_config_selectorIN6thrust23THRUST_200600_302600_NS5tupleIblNS6_9null_typeES8_S8_S8_S8_S8_S8_S8_EEEEZNS1_11reduce_implILb1ES3_NS6_12zip_iteratorINS7_INS6_11hip_rocprim26transform_input_iterator_tIbNSD_35transform_pair_of_input_iterators_tIbNS6_6detail15normal_iteratorINS6_10device_ptrIKsEEEESL_NS6_8equal_toIsEEEENSG_9not_fun_tINSD_8identityEEEEENSD_19counting_iterator_tIlEES8_S8_S8_S8_S8_S8_S8_S8_EEEEPS9_S9_NSD_9__find_if7functorIS9_EEEE10hipError_tPvRmT1_T2_T3_mT4_P12ihipStream_tbEUlT_E0_NS1_11comp_targetILNS1_3genE10ELNS1_11target_archE1200ELNS1_3gpuE4ELNS1_3repE0EEENS1_30default_config_static_selectorELNS0_4arch9wavefront6targetE0EEEvS14_,@function
_ZN7rocprim17ROCPRIM_400000_NS6detail17trampoline_kernelINS0_14default_configENS1_22reduce_config_selectorIN6thrust23THRUST_200600_302600_NS5tupleIblNS6_9null_typeES8_S8_S8_S8_S8_S8_S8_EEEEZNS1_11reduce_implILb1ES3_NS6_12zip_iteratorINS7_INS6_11hip_rocprim26transform_input_iterator_tIbNSD_35transform_pair_of_input_iterators_tIbNS6_6detail15normal_iteratorINS6_10device_ptrIKsEEEESL_NS6_8equal_toIsEEEENSG_9not_fun_tINSD_8identityEEEEENSD_19counting_iterator_tIlEES8_S8_S8_S8_S8_S8_S8_S8_EEEEPS9_S9_NSD_9__find_if7functorIS9_EEEE10hipError_tPvRmT1_T2_T3_mT4_P12ihipStream_tbEUlT_E0_NS1_11comp_targetILNS1_3genE10ELNS1_11target_archE1200ELNS1_3gpuE4ELNS1_3repE0EEENS1_30default_config_static_selectorELNS0_4arch9wavefront6targetE0EEEvS14_: ; @_ZN7rocprim17ROCPRIM_400000_NS6detail17trampoline_kernelINS0_14default_configENS1_22reduce_config_selectorIN6thrust23THRUST_200600_302600_NS5tupleIblNS6_9null_typeES8_S8_S8_S8_S8_S8_S8_EEEEZNS1_11reduce_implILb1ES3_NS6_12zip_iteratorINS7_INS6_11hip_rocprim26transform_input_iterator_tIbNSD_35transform_pair_of_input_iterators_tIbNS6_6detail15normal_iteratorINS6_10device_ptrIKsEEEESL_NS6_8equal_toIsEEEENSG_9not_fun_tINSD_8identityEEEEENSD_19counting_iterator_tIlEES8_S8_S8_S8_S8_S8_S8_S8_EEEEPS9_S9_NSD_9__find_if7functorIS9_EEEE10hipError_tPvRmT1_T2_T3_mT4_P12ihipStream_tbEUlT_E0_NS1_11comp_targetILNS1_3genE10ELNS1_11target_archE1200ELNS1_3gpuE4ELNS1_3repE0EEENS1_30default_config_static_selectorELNS0_4arch9wavefront6targetE0EEEvS14_
; %bb.0:
	.section	.rodata,"a",@progbits
	.p2align	6, 0x0
	.amdhsa_kernel _ZN7rocprim17ROCPRIM_400000_NS6detail17trampoline_kernelINS0_14default_configENS1_22reduce_config_selectorIN6thrust23THRUST_200600_302600_NS5tupleIblNS6_9null_typeES8_S8_S8_S8_S8_S8_S8_EEEEZNS1_11reduce_implILb1ES3_NS6_12zip_iteratorINS7_INS6_11hip_rocprim26transform_input_iterator_tIbNSD_35transform_pair_of_input_iterators_tIbNS6_6detail15normal_iteratorINS6_10device_ptrIKsEEEESL_NS6_8equal_toIsEEEENSG_9not_fun_tINSD_8identityEEEEENSD_19counting_iterator_tIlEES8_S8_S8_S8_S8_S8_S8_S8_EEEEPS9_S9_NSD_9__find_if7functorIS9_EEEE10hipError_tPvRmT1_T2_T3_mT4_P12ihipStream_tbEUlT_E0_NS1_11comp_targetILNS1_3genE10ELNS1_11target_archE1200ELNS1_3gpuE4ELNS1_3repE0EEENS1_30default_config_static_selectorELNS0_4arch9wavefront6targetE0EEEvS14_
		.amdhsa_group_segment_fixed_size 0
		.amdhsa_private_segment_fixed_size 0
		.amdhsa_kernarg_size 104
		.amdhsa_user_sgpr_count 15
		.amdhsa_user_sgpr_dispatch_ptr 0
		.amdhsa_user_sgpr_queue_ptr 0
		.amdhsa_user_sgpr_kernarg_segment_ptr 1
		.amdhsa_user_sgpr_dispatch_id 0
		.amdhsa_user_sgpr_private_segment_size 0
		.amdhsa_wavefront_size32 1
		.amdhsa_uses_dynamic_stack 0
		.amdhsa_enable_private_segment 0
		.amdhsa_system_sgpr_workgroup_id_x 1
		.amdhsa_system_sgpr_workgroup_id_y 0
		.amdhsa_system_sgpr_workgroup_id_z 0
		.amdhsa_system_sgpr_workgroup_info 0
		.amdhsa_system_vgpr_workitem_id 0
		.amdhsa_next_free_vgpr 1
		.amdhsa_next_free_sgpr 1
		.amdhsa_reserve_vcc 0
		.amdhsa_float_round_mode_32 0
		.amdhsa_float_round_mode_16_64 0
		.amdhsa_float_denorm_mode_32 3
		.amdhsa_float_denorm_mode_16_64 3
		.amdhsa_dx10_clamp 1
		.amdhsa_ieee_mode 1
		.amdhsa_fp16_overflow 0
		.amdhsa_workgroup_processor_mode 1
		.amdhsa_memory_ordered 1
		.amdhsa_forward_progress 0
		.amdhsa_shared_vgpr_count 0
		.amdhsa_exception_fp_ieee_invalid_op 0
		.amdhsa_exception_fp_denorm_src 0
		.amdhsa_exception_fp_ieee_div_zero 0
		.amdhsa_exception_fp_ieee_overflow 0
		.amdhsa_exception_fp_ieee_underflow 0
		.amdhsa_exception_fp_ieee_inexact 0
		.amdhsa_exception_int_div_zero 0
	.end_amdhsa_kernel
	.section	.text._ZN7rocprim17ROCPRIM_400000_NS6detail17trampoline_kernelINS0_14default_configENS1_22reduce_config_selectorIN6thrust23THRUST_200600_302600_NS5tupleIblNS6_9null_typeES8_S8_S8_S8_S8_S8_S8_EEEEZNS1_11reduce_implILb1ES3_NS6_12zip_iteratorINS7_INS6_11hip_rocprim26transform_input_iterator_tIbNSD_35transform_pair_of_input_iterators_tIbNS6_6detail15normal_iteratorINS6_10device_ptrIKsEEEESL_NS6_8equal_toIsEEEENSG_9not_fun_tINSD_8identityEEEEENSD_19counting_iterator_tIlEES8_S8_S8_S8_S8_S8_S8_S8_EEEEPS9_S9_NSD_9__find_if7functorIS9_EEEE10hipError_tPvRmT1_T2_T3_mT4_P12ihipStream_tbEUlT_E0_NS1_11comp_targetILNS1_3genE10ELNS1_11target_archE1200ELNS1_3gpuE4ELNS1_3repE0EEENS1_30default_config_static_selectorELNS0_4arch9wavefront6targetE0EEEvS14_,"axG",@progbits,_ZN7rocprim17ROCPRIM_400000_NS6detail17trampoline_kernelINS0_14default_configENS1_22reduce_config_selectorIN6thrust23THRUST_200600_302600_NS5tupleIblNS6_9null_typeES8_S8_S8_S8_S8_S8_S8_EEEEZNS1_11reduce_implILb1ES3_NS6_12zip_iteratorINS7_INS6_11hip_rocprim26transform_input_iterator_tIbNSD_35transform_pair_of_input_iterators_tIbNS6_6detail15normal_iteratorINS6_10device_ptrIKsEEEESL_NS6_8equal_toIsEEEENSG_9not_fun_tINSD_8identityEEEEENSD_19counting_iterator_tIlEES8_S8_S8_S8_S8_S8_S8_S8_EEEEPS9_S9_NSD_9__find_if7functorIS9_EEEE10hipError_tPvRmT1_T2_T3_mT4_P12ihipStream_tbEUlT_E0_NS1_11comp_targetILNS1_3genE10ELNS1_11target_archE1200ELNS1_3gpuE4ELNS1_3repE0EEENS1_30default_config_static_selectorELNS0_4arch9wavefront6targetE0EEEvS14_,comdat
.Lfunc_end875:
	.size	_ZN7rocprim17ROCPRIM_400000_NS6detail17trampoline_kernelINS0_14default_configENS1_22reduce_config_selectorIN6thrust23THRUST_200600_302600_NS5tupleIblNS6_9null_typeES8_S8_S8_S8_S8_S8_S8_EEEEZNS1_11reduce_implILb1ES3_NS6_12zip_iteratorINS7_INS6_11hip_rocprim26transform_input_iterator_tIbNSD_35transform_pair_of_input_iterators_tIbNS6_6detail15normal_iteratorINS6_10device_ptrIKsEEEESL_NS6_8equal_toIsEEEENSG_9not_fun_tINSD_8identityEEEEENSD_19counting_iterator_tIlEES8_S8_S8_S8_S8_S8_S8_S8_EEEEPS9_S9_NSD_9__find_if7functorIS9_EEEE10hipError_tPvRmT1_T2_T3_mT4_P12ihipStream_tbEUlT_E0_NS1_11comp_targetILNS1_3genE10ELNS1_11target_archE1200ELNS1_3gpuE4ELNS1_3repE0EEENS1_30default_config_static_selectorELNS0_4arch9wavefront6targetE0EEEvS14_, .Lfunc_end875-_ZN7rocprim17ROCPRIM_400000_NS6detail17trampoline_kernelINS0_14default_configENS1_22reduce_config_selectorIN6thrust23THRUST_200600_302600_NS5tupleIblNS6_9null_typeES8_S8_S8_S8_S8_S8_S8_EEEEZNS1_11reduce_implILb1ES3_NS6_12zip_iteratorINS7_INS6_11hip_rocprim26transform_input_iterator_tIbNSD_35transform_pair_of_input_iterators_tIbNS6_6detail15normal_iteratorINS6_10device_ptrIKsEEEESL_NS6_8equal_toIsEEEENSG_9not_fun_tINSD_8identityEEEEENSD_19counting_iterator_tIlEES8_S8_S8_S8_S8_S8_S8_S8_EEEEPS9_S9_NSD_9__find_if7functorIS9_EEEE10hipError_tPvRmT1_T2_T3_mT4_P12ihipStream_tbEUlT_E0_NS1_11comp_targetILNS1_3genE10ELNS1_11target_archE1200ELNS1_3gpuE4ELNS1_3repE0EEENS1_30default_config_static_selectorELNS0_4arch9wavefront6targetE0EEEvS14_
                                        ; -- End function
	.section	.AMDGPU.csdata,"",@progbits
; Kernel info:
; codeLenInByte = 0
; NumSgprs: 0
; NumVgprs: 0
; ScratchSize: 0
; MemoryBound: 0
; FloatMode: 240
; IeeeMode: 1
; LDSByteSize: 0 bytes/workgroup (compile time only)
; SGPRBlocks: 0
; VGPRBlocks: 0
; NumSGPRsForWavesPerEU: 1
; NumVGPRsForWavesPerEU: 1
; Occupancy: 16
; WaveLimiterHint : 0
; COMPUTE_PGM_RSRC2:SCRATCH_EN: 0
; COMPUTE_PGM_RSRC2:USER_SGPR: 15
; COMPUTE_PGM_RSRC2:TRAP_HANDLER: 0
; COMPUTE_PGM_RSRC2:TGID_X_EN: 1
; COMPUTE_PGM_RSRC2:TGID_Y_EN: 0
; COMPUTE_PGM_RSRC2:TGID_Z_EN: 0
; COMPUTE_PGM_RSRC2:TIDIG_COMP_CNT: 0
	.section	.text._ZN7rocprim17ROCPRIM_400000_NS6detail17trampoline_kernelINS0_14default_configENS1_22reduce_config_selectorIN6thrust23THRUST_200600_302600_NS5tupleIblNS6_9null_typeES8_S8_S8_S8_S8_S8_S8_EEEEZNS1_11reduce_implILb1ES3_NS6_12zip_iteratorINS7_INS6_11hip_rocprim26transform_input_iterator_tIbNSD_35transform_pair_of_input_iterators_tIbNS6_6detail15normal_iteratorINS6_10device_ptrIKsEEEESL_NS6_8equal_toIsEEEENSG_9not_fun_tINSD_8identityEEEEENSD_19counting_iterator_tIlEES8_S8_S8_S8_S8_S8_S8_S8_EEEEPS9_S9_NSD_9__find_if7functorIS9_EEEE10hipError_tPvRmT1_T2_T3_mT4_P12ihipStream_tbEUlT_E0_NS1_11comp_targetILNS1_3genE9ELNS1_11target_archE1100ELNS1_3gpuE3ELNS1_3repE0EEENS1_30default_config_static_selectorELNS0_4arch9wavefront6targetE0EEEvS14_,"axG",@progbits,_ZN7rocprim17ROCPRIM_400000_NS6detail17trampoline_kernelINS0_14default_configENS1_22reduce_config_selectorIN6thrust23THRUST_200600_302600_NS5tupleIblNS6_9null_typeES8_S8_S8_S8_S8_S8_S8_EEEEZNS1_11reduce_implILb1ES3_NS6_12zip_iteratorINS7_INS6_11hip_rocprim26transform_input_iterator_tIbNSD_35transform_pair_of_input_iterators_tIbNS6_6detail15normal_iteratorINS6_10device_ptrIKsEEEESL_NS6_8equal_toIsEEEENSG_9not_fun_tINSD_8identityEEEEENSD_19counting_iterator_tIlEES8_S8_S8_S8_S8_S8_S8_S8_EEEEPS9_S9_NSD_9__find_if7functorIS9_EEEE10hipError_tPvRmT1_T2_T3_mT4_P12ihipStream_tbEUlT_E0_NS1_11comp_targetILNS1_3genE9ELNS1_11target_archE1100ELNS1_3gpuE3ELNS1_3repE0EEENS1_30default_config_static_selectorELNS0_4arch9wavefront6targetE0EEEvS14_,comdat
	.protected	_ZN7rocprim17ROCPRIM_400000_NS6detail17trampoline_kernelINS0_14default_configENS1_22reduce_config_selectorIN6thrust23THRUST_200600_302600_NS5tupleIblNS6_9null_typeES8_S8_S8_S8_S8_S8_S8_EEEEZNS1_11reduce_implILb1ES3_NS6_12zip_iteratorINS7_INS6_11hip_rocprim26transform_input_iterator_tIbNSD_35transform_pair_of_input_iterators_tIbNS6_6detail15normal_iteratorINS6_10device_ptrIKsEEEESL_NS6_8equal_toIsEEEENSG_9not_fun_tINSD_8identityEEEEENSD_19counting_iterator_tIlEES8_S8_S8_S8_S8_S8_S8_S8_EEEEPS9_S9_NSD_9__find_if7functorIS9_EEEE10hipError_tPvRmT1_T2_T3_mT4_P12ihipStream_tbEUlT_E0_NS1_11comp_targetILNS1_3genE9ELNS1_11target_archE1100ELNS1_3gpuE3ELNS1_3repE0EEENS1_30default_config_static_selectorELNS0_4arch9wavefront6targetE0EEEvS14_ ; -- Begin function _ZN7rocprim17ROCPRIM_400000_NS6detail17trampoline_kernelINS0_14default_configENS1_22reduce_config_selectorIN6thrust23THRUST_200600_302600_NS5tupleIblNS6_9null_typeES8_S8_S8_S8_S8_S8_S8_EEEEZNS1_11reduce_implILb1ES3_NS6_12zip_iteratorINS7_INS6_11hip_rocprim26transform_input_iterator_tIbNSD_35transform_pair_of_input_iterators_tIbNS6_6detail15normal_iteratorINS6_10device_ptrIKsEEEESL_NS6_8equal_toIsEEEENSG_9not_fun_tINSD_8identityEEEEENSD_19counting_iterator_tIlEES8_S8_S8_S8_S8_S8_S8_S8_EEEEPS9_S9_NSD_9__find_if7functorIS9_EEEE10hipError_tPvRmT1_T2_T3_mT4_P12ihipStream_tbEUlT_E0_NS1_11comp_targetILNS1_3genE9ELNS1_11target_archE1100ELNS1_3gpuE3ELNS1_3repE0EEENS1_30default_config_static_selectorELNS0_4arch9wavefront6targetE0EEEvS14_
	.globl	_ZN7rocprim17ROCPRIM_400000_NS6detail17trampoline_kernelINS0_14default_configENS1_22reduce_config_selectorIN6thrust23THRUST_200600_302600_NS5tupleIblNS6_9null_typeES8_S8_S8_S8_S8_S8_S8_EEEEZNS1_11reduce_implILb1ES3_NS6_12zip_iteratorINS7_INS6_11hip_rocprim26transform_input_iterator_tIbNSD_35transform_pair_of_input_iterators_tIbNS6_6detail15normal_iteratorINS6_10device_ptrIKsEEEESL_NS6_8equal_toIsEEEENSG_9not_fun_tINSD_8identityEEEEENSD_19counting_iterator_tIlEES8_S8_S8_S8_S8_S8_S8_S8_EEEEPS9_S9_NSD_9__find_if7functorIS9_EEEE10hipError_tPvRmT1_T2_T3_mT4_P12ihipStream_tbEUlT_E0_NS1_11comp_targetILNS1_3genE9ELNS1_11target_archE1100ELNS1_3gpuE3ELNS1_3repE0EEENS1_30default_config_static_selectorELNS0_4arch9wavefront6targetE0EEEvS14_
	.p2align	8
	.type	_ZN7rocprim17ROCPRIM_400000_NS6detail17trampoline_kernelINS0_14default_configENS1_22reduce_config_selectorIN6thrust23THRUST_200600_302600_NS5tupleIblNS6_9null_typeES8_S8_S8_S8_S8_S8_S8_EEEEZNS1_11reduce_implILb1ES3_NS6_12zip_iteratorINS7_INS6_11hip_rocprim26transform_input_iterator_tIbNSD_35transform_pair_of_input_iterators_tIbNS6_6detail15normal_iteratorINS6_10device_ptrIKsEEEESL_NS6_8equal_toIsEEEENSG_9not_fun_tINSD_8identityEEEEENSD_19counting_iterator_tIlEES8_S8_S8_S8_S8_S8_S8_S8_EEEEPS9_S9_NSD_9__find_if7functorIS9_EEEE10hipError_tPvRmT1_T2_T3_mT4_P12ihipStream_tbEUlT_E0_NS1_11comp_targetILNS1_3genE9ELNS1_11target_archE1100ELNS1_3gpuE3ELNS1_3repE0EEENS1_30default_config_static_selectorELNS0_4arch9wavefront6targetE0EEEvS14_,@function
_ZN7rocprim17ROCPRIM_400000_NS6detail17trampoline_kernelINS0_14default_configENS1_22reduce_config_selectorIN6thrust23THRUST_200600_302600_NS5tupleIblNS6_9null_typeES8_S8_S8_S8_S8_S8_S8_EEEEZNS1_11reduce_implILb1ES3_NS6_12zip_iteratorINS7_INS6_11hip_rocprim26transform_input_iterator_tIbNSD_35transform_pair_of_input_iterators_tIbNS6_6detail15normal_iteratorINS6_10device_ptrIKsEEEESL_NS6_8equal_toIsEEEENSG_9not_fun_tINSD_8identityEEEEENSD_19counting_iterator_tIlEES8_S8_S8_S8_S8_S8_S8_S8_EEEEPS9_S9_NSD_9__find_if7functorIS9_EEEE10hipError_tPvRmT1_T2_T3_mT4_P12ihipStream_tbEUlT_E0_NS1_11comp_targetILNS1_3genE9ELNS1_11target_archE1100ELNS1_3gpuE3ELNS1_3repE0EEENS1_30default_config_static_selectorELNS0_4arch9wavefront6targetE0EEEvS14_: ; @_ZN7rocprim17ROCPRIM_400000_NS6detail17trampoline_kernelINS0_14default_configENS1_22reduce_config_selectorIN6thrust23THRUST_200600_302600_NS5tupleIblNS6_9null_typeES8_S8_S8_S8_S8_S8_S8_EEEEZNS1_11reduce_implILb1ES3_NS6_12zip_iteratorINS7_INS6_11hip_rocprim26transform_input_iterator_tIbNSD_35transform_pair_of_input_iterators_tIbNS6_6detail15normal_iteratorINS6_10device_ptrIKsEEEESL_NS6_8equal_toIsEEEENSG_9not_fun_tINSD_8identityEEEEENSD_19counting_iterator_tIlEES8_S8_S8_S8_S8_S8_S8_S8_EEEEPS9_S9_NSD_9__find_if7functorIS9_EEEE10hipError_tPvRmT1_T2_T3_mT4_P12ihipStream_tbEUlT_E0_NS1_11comp_targetILNS1_3genE9ELNS1_11target_archE1100ELNS1_3gpuE3ELNS1_3repE0EEENS1_30default_config_static_selectorELNS0_4arch9wavefront6targetE0EEEvS14_
; %bb.0:
	s_clause 0x1
	s_load_b256 s[4:11], s[0:1], 0x20
	s_load_b128 s[24:27], s[0:1], 0x0
	s_mov_b32 s16, s15
	s_load_b128 s[12:15], s[0:1], 0x40
	s_mov_b32 s23, 0
	v_lshlrev_b32_e32 v9, 1, v0
	s_mov_b32 s17, s23
	s_waitcnt lgkmcnt(0)
	s_lshl_b64 s[2:3], s[6:7], 1
	s_delay_alu instid0(SALU_CYCLE_1)
	s_add_u32 s18, s24, s2
	s_addc_u32 s19, s25, s3
	s_add_u32 s20, s26, s2
	s_addc_u32 s21, s27, s3
	s_lshl_b32 s22, s16, 10
	s_lshr_b64 s[24:25], s[8:9], 10
	s_lshl_b64 s[2:3], s[22:23], 1
	s_delay_alu instid0(SALU_CYCLE_1)
	s_add_u32 s18, s18, s2
	s_addc_u32 s19, s19, s3
	s_add_u32 s20, s20, s2
	s_addc_u32 s21, s21, s3
	;; [unrolled: 2-line block ×4, first 2 shown]
	s_cmp_lg_u64 s[24:25], s[16:17]
	s_cbranch_scc0 .LBB876_16
; %bb.1:
	s_clause 0x7
	global_load_u16 v1, v9, s[20:21] offset:512
	global_load_u16 v2, v9, s[18:19] offset:512
	global_load_u16 v3, v9, s[18:19]
	global_load_u16 v4, v9, s[20:21]
	global_load_u16 v5, v9, s[18:19] offset:1024
	global_load_u16 v6, v9, s[20:21] offset:1024
	;; [unrolled: 1-line block ×4, first 2 shown]
	v_mov_b32_e32 v10, 0x100
	s_waitcnt vmcnt(6)
	v_cmp_ne_u16_e32 vcc_lo, v2, v1
	s_waitcnt vmcnt(4)
	v_cmp_ne_u16_e64 s2, v3, v4
	s_waitcnt vmcnt(2)
	v_cmp_ne_u16_e64 s3, v5, v6
	v_cndmask_b32_e32 v1, 0x200, v10, vcc_lo
	s_waitcnt vmcnt(0)
	v_cmp_ne_u16_e64 s4, v8, v7
	s_delay_alu instid0(VALU_DEP_2) | instskip(SKIP_1) | instid1(SALU_CYCLE_1)
	v_cndmask_b32_e64 v1, v1, 0, s2
	s_or_b32 s2, s2, vcc_lo
	s_or_b32 vcc_lo, s2, s3
	v_add_co_u32 v2, s2, s5, v0
	s_delay_alu instid0(VALU_DEP_2) | instskip(SKIP_3) | instid1(VALU_DEP_3)
	v_cndmask_b32_e32 v1, 0x300, v1, vcc_lo
	s_or_b32 s3, vcc_lo, s4
	v_add_co_ci_u32_e64 v3, null, s23, 0, s2
	v_cndmask_b32_e64 v5, 0, 1, s3
	v_add_co_u32 v1, vcc_lo, v2, v1
	s_delay_alu instid0(VALU_DEP_3) | instskip(NEXT) | instid1(VALU_DEP_3)
	v_add_co_ci_u32_e32 v2, vcc_lo, 0, v3, vcc_lo
	v_mov_b32_dpp v6, v5 quad_perm:[1,0,3,2] row_mask:0xf bank_mask:0xf
	s_delay_alu instid0(VALU_DEP_3) | instskip(SKIP_1) | instid1(VALU_DEP_3)
	v_mov_b32_dpp v3, v1 quad_perm:[1,0,3,2] row_mask:0xf bank_mask:0xf
	s_mov_b32 s4, exec_lo
	v_mov_b32_dpp v4, v2 quad_perm:[1,0,3,2] row_mask:0xf bank_mask:0xf
	s_delay_alu instid0(VALU_DEP_3) | instskip(NEXT) | instid1(VALU_DEP_1)
	v_and_b32_e32 v7, 1, v6
	v_cmpx_eq_u32_e32 1, v7
; %bb.2:
	v_cndmask_b32_e64 v5, v6, 1, s3
	s_delay_alu instid0(VALU_DEP_4) | instskip(NEXT) | instid1(VALU_DEP_2)
	v_cmp_lt_i64_e32 vcc_lo, v[1:2], v[3:4]
	v_and_b32_e32 v6, 1, v5
	v_and_b32_e32 v5, 0xff, v5
	s_and_b32 vcc_lo, s3, vcc_lo
	s_and_not1_b32 s3, s3, exec_lo
	v_dual_cndmask_b32 v2, v4, v2 :: v_dual_cndmask_b32 v1, v3, v1
	v_cmp_eq_u32_e64 s2, 1, v6
	s_delay_alu instid0(VALU_DEP_1) | instskip(NEXT) | instid1(SALU_CYCLE_1)
	s_and_b32 s2, s2, exec_lo
	s_or_b32 s3, s3, s2
; %bb.3:
	s_or_b32 exec_lo, exec_lo, s4
	v_mov_b32_dpp v6, v5 quad_perm:[2,3,0,1] row_mask:0xf bank_mask:0xf
	v_mov_b32_dpp v3, v1 quad_perm:[2,3,0,1] row_mask:0xf bank_mask:0xf
	;; [unrolled: 1-line block ×3, first 2 shown]
	s_mov_b32 s4, exec_lo
	s_delay_alu instid0(VALU_DEP_3) | instskip(NEXT) | instid1(VALU_DEP_1)
	v_and_b32_e32 v7, 1, v6
	v_cmpx_eq_u32_e32 1, v7
; %bb.4:
	v_cndmask_b32_e64 v5, v6, 1, s3
	v_cmp_lt_i64_e32 vcc_lo, v[1:2], v[3:4]
	s_delay_alu instid0(VALU_DEP_2)
	v_and_b32_e32 v6, 1, v5
	v_and_b32_e32 v5, 0xff, v5
	s_and_b32 vcc_lo, s3, vcc_lo
	s_and_not1_b32 s3, s3, exec_lo
	v_dual_cndmask_b32 v2, v4, v2 :: v_dual_cndmask_b32 v1, v3, v1
	v_cmp_eq_u32_e64 s2, 1, v6
	s_delay_alu instid0(VALU_DEP_1) | instskip(NEXT) | instid1(SALU_CYCLE_1)
	s_and_b32 s2, s2, exec_lo
	s_or_b32 s3, s3, s2
; %bb.5:
	s_or_b32 exec_lo, exec_lo, s4
	v_mov_b32_dpp v6, v5 row_ror:4 row_mask:0xf bank_mask:0xf
	v_mov_b32_dpp v3, v1 row_ror:4 row_mask:0xf bank_mask:0xf
	;; [unrolled: 1-line block ×3, first 2 shown]
	s_mov_b32 s4, exec_lo
	s_delay_alu instid0(VALU_DEP_3) | instskip(NEXT) | instid1(VALU_DEP_1)
	v_and_b32_e32 v7, 1, v6
	v_cmpx_eq_u32_e32 1, v7
; %bb.6:
	v_cndmask_b32_e64 v5, v6, 1, s3
	v_cmp_lt_i64_e32 vcc_lo, v[1:2], v[3:4]
	s_delay_alu instid0(VALU_DEP_2)
	v_and_b32_e32 v6, 1, v5
	v_and_b32_e32 v5, 0xff, v5
	s_and_b32 vcc_lo, s3, vcc_lo
	s_and_not1_b32 s3, s3, exec_lo
	v_dual_cndmask_b32 v2, v4, v2 :: v_dual_cndmask_b32 v1, v3, v1
	v_cmp_eq_u32_e64 s2, 1, v6
	s_delay_alu instid0(VALU_DEP_1) | instskip(NEXT) | instid1(SALU_CYCLE_1)
	s_and_b32 s2, s2, exec_lo
	s_or_b32 s3, s3, s2
; %bb.7:
	s_or_b32 exec_lo, exec_lo, s4
	v_mov_b32_dpp v6, v5 row_ror:8 row_mask:0xf bank_mask:0xf
	v_mov_b32_dpp v3, v1 row_ror:8 row_mask:0xf bank_mask:0xf
	;; [unrolled: 1-line block ×3, first 2 shown]
	s_mov_b32 s4, exec_lo
	s_delay_alu instid0(VALU_DEP_3) | instskip(NEXT) | instid1(VALU_DEP_1)
	v_and_b32_e32 v7, 1, v6
	v_cmpx_eq_u32_e32 1, v7
; %bb.8:
	v_cndmask_b32_e64 v5, v6, 1, s3
	v_cmp_lt_i64_e32 vcc_lo, v[1:2], v[3:4]
	s_delay_alu instid0(VALU_DEP_2)
	v_and_b32_e32 v6, 1, v5
	v_and_b32_e32 v5, 0xff, v5
	s_and_b32 vcc_lo, s3, vcc_lo
	s_and_not1_b32 s3, s3, exec_lo
	v_dual_cndmask_b32 v2, v4, v2 :: v_dual_cndmask_b32 v1, v3, v1
	v_cmp_eq_u32_e64 s2, 1, v6
	s_delay_alu instid0(VALU_DEP_1) | instskip(NEXT) | instid1(SALU_CYCLE_1)
	s_and_b32 s2, s2, exec_lo
	s_or_b32 s3, s3, s2
; %bb.9:
	s_or_b32 exec_lo, exec_lo, s4
	ds_swizzle_b32 v6, v5 offset:swizzle(BROADCAST,32,15)
	ds_swizzle_b32 v3, v1 offset:swizzle(BROADCAST,32,15)
	;; [unrolled: 1-line block ×3, first 2 shown]
	s_mov_b32 s2, exec_lo
	s_waitcnt lgkmcnt(2)
	v_and_b32_e32 v7, 1, v6
	s_delay_alu instid0(VALU_DEP_1)
	v_cmpx_eq_u32_e32 1, v7
	s_cbranch_execz .LBB876_11
; %bb.10:
	s_waitcnt lgkmcnt(0)
	v_cmp_lt_i64_e32 vcc_lo, v[1:2], v[3:4]
	v_and_b32_e32 v5, 0xff, v6
	s_delay_alu instid0(VALU_DEP_1)
	v_cndmask_b32_e64 v5, v5, 1, s3
	s_and_b32 vcc_lo, s3, vcc_lo
	v_dual_cndmask_b32 v1, v3, v1 :: v_dual_cndmask_b32 v2, v4, v2
.LBB876_11:
	s_or_b32 exec_lo, exec_lo, s2
	s_waitcnt lgkmcnt(1)
	v_mov_b32_e32 v3, 0
	s_mov_b32 s2, exec_lo
	ds_bpermute_b32 v6, v3, v5 offset:124
	ds_bpermute_b32 v1, v3, v1 offset:124
	;; [unrolled: 1-line block ×3, first 2 shown]
	v_mbcnt_lo_u32_b32 v3, -1, 0
	s_delay_alu instid0(VALU_DEP_1)
	v_cmpx_eq_u32_e32 0, v3
	s_cbranch_execz .LBB876_13
; %bb.12:
	s_waitcnt lgkmcnt(3)
	v_lshrrev_b32_e32 v4, 1, v0
	s_delay_alu instid0(VALU_DEP_1)
	v_and_b32_e32 v4, 0x70, v4
	s_waitcnt lgkmcnt(2)
	ds_store_b8 v4, v6
	s_waitcnt lgkmcnt(1)
	ds_store_b64 v4, v[1:2] offset:8
.LBB876_13:
	s_or_b32 exec_lo, exec_lo, s2
	s_delay_alu instid0(SALU_CYCLE_1)
	s_mov_b32 s4, exec_lo
	s_waitcnt lgkmcnt(0)
	s_barrier
	buffer_gl0_inv
	v_cmpx_gt_u32_e32 32, v0
	s_cbranch_execz .LBB876_15
; %bb.14:
	v_and_b32_e32 v6, 7, v3
	s_delay_alu instid0(VALU_DEP_1)
	v_lshlrev_b32_e32 v1, 4, v6
	v_cmp_ne_u32_e32 vcc_lo, 7, v6
	ds_load_u8 v7, v1
	ds_load_b64 v[1:2], v1 offset:8
	v_add_co_ci_u32_e32 v4, vcc_lo, 0, v3, vcc_lo
	v_cmp_gt_u32_e32 vcc_lo, 6, v6
	s_delay_alu instid0(VALU_DEP_2)
	v_lshlrev_b32_e32 v5, 2, v4
	v_cndmask_b32_e64 v11, 0, 1, vcc_lo
	s_waitcnt lgkmcnt(1)
	v_and_b32_e32 v4, 0xff, v7
	v_and_b32_e32 v12, 1, v7
	ds_bpermute_b32 v8, v5, v4
	s_waitcnt lgkmcnt(1)
	ds_bpermute_b32 v4, v5, v1
	ds_bpermute_b32 v5, v5, v2
	v_cmp_eq_u32_e64 s3, 1, v12
	s_waitcnt lgkmcnt(2)
	v_and_b32_e32 v10, 1, v8
	s_waitcnt lgkmcnt(0)
	v_cmp_lt_i64_e64 s2, v[4:5], v[1:2]
	s_delay_alu instid0(VALU_DEP_2) | instskip(SKIP_2) | instid1(VALU_DEP_4)
	v_cmp_eq_u32_e32 vcc_lo, 1, v10
	v_lshlrev_b32_e32 v10, 1, v11
	v_cndmask_b32_e64 v7, v7, 1, vcc_lo
	s_and_b32 vcc_lo, vcc_lo, s2
	v_dual_cndmask_b32 v1, v1, v4 :: v_dual_cndmask_b32 v2, v2, v5
	s_delay_alu instid0(VALU_DEP_2) | instskip(SKIP_2) | instid1(VALU_DEP_4)
	v_cndmask_b32_e64 v7, v8, v7, s3
	v_add_lshl_u32 v8, v10, v3, 2
	v_cmp_gt_u32_e32 vcc_lo, 4, v6
	v_cndmask_b32_e64 v1, v4, v1, s3
	v_cndmask_b32_e64 v2, v5, v2, s3
	v_and_b32_e32 v10, 0xff, v7
	v_cndmask_b32_e64 v6, 0, 1, vcc_lo
	ds_bpermute_b32 v4, v8, v1
	ds_bpermute_b32 v5, v8, v2
	ds_bpermute_b32 v10, v8, v10
	v_and_b32_e32 v11, 1, v7
	v_lshlrev_b32_e32 v6, 2, v6
	s_delay_alu instid0(VALU_DEP_1) | instskip(SKIP_4) | instid1(VALU_DEP_1)
	v_add_lshl_u32 v6, v6, v3, 2
	s_waitcnt lgkmcnt(1)
	v_cmp_lt_i64_e64 s2, v[4:5], v[1:2]
	s_waitcnt lgkmcnt(0)
	v_and_b32_e32 v8, 1, v10
	v_cmp_eq_u32_e32 vcc_lo, 1, v8
	v_cndmask_b32_e64 v7, v7, 1, vcc_lo
	s_delay_alu instid0(VALU_DEP_4) | instskip(SKIP_3) | instid1(VALU_DEP_2)
	s_and_b32 vcc_lo, vcc_lo, s2
	v_cndmask_b32_e32 v2, v2, v5, vcc_lo
	v_cmp_eq_u32_e64 s3, 1, v11
	v_cndmask_b32_e32 v1, v1, v4, vcc_lo
	v_cndmask_b32_e64 v7, v10, v7, s3
	s_delay_alu instid0(VALU_DEP_4) | instskip(NEXT) | instid1(VALU_DEP_3)
	v_cndmask_b32_e64 v2, v5, v2, s3
	v_cndmask_b32_e64 v1, v4, v1, s3
	ds_bpermute_b32 v4, v6, v2
	v_and_b32_e32 v3, 0xff, v7
	ds_bpermute_b32 v5, v6, v3
	ds_bpermute_b32 v3, v6, v1
	s_waitcnt lgkmcnt(1)
	v_and_b32_e32 v6, 1, v5
	s_waitcnt lgkmcnt(0)
	v_cmp_lt_i64_e32 vcc_lo, v[3:4], v[1:2]
	s_delay_alu instid0(VALU_DEP_2) | instskip(SKIP_1) | instid1(VALU_DEP_2)
	v_cmp_eq_u32_e64 s2, 1, v6
	v_and_b32_e32 v6, 1, v7
	v_cndmask_b32_e64 v7, v7, 1, s2
	s_and_b32 vcc_lo, s2, vcc_lo
	s_delay_alu instid0(VALU_DEP_2) | instskip(SKIP_1) | instid1(VALU_DEP_2)
	v_cmp_eq_u32_e64 s2, 1, v6
	v_dual_cndmask_b32 v2, v2, v4 :: v_dual_cndmask_b32 v1, v1, v3
	v_cndmask_b32_e64 v5, v5, v7, s2
	s_delay_alu instid0(VALU_DEP_2) | instskip(NEXT) | instid1(VALU_DEP_3)
	v_cndmask_b32_e64 v2, v4, v2, s2
	v_cndmask_b32_e64 v1, v3, v1, s2
	s_delay_alu instid0(VALU_DEP_3)
	v_and_b32_e32 v6, 0xff, v5
.LBB876_15:
	s_or_b32 exec_lo, exec_lo, s4
	s_load_b64 s[6:7], s[0:1], 0x58
	s_branch .LBB876_49
.LBB876_16:
                                        ; implicit-def: $vgpr1_vgpr2
                                        ; implicit-def: $vgpr6
	s_load_b64 s[6:7], s[0:1], 0x58
	s_cbranch_execz .LBB876_49
; %bb.17:
	v_dual_mov_b32 v5, 0 :: v_dual_mov_b32 v12, 0
	v_mov_b32_e32 v6, 0
	s_delay_alu instid0(VALU_DEP_2) | instskip(SKIP_2) | instid1(VALU_DEP_2)
	v_dual_mov_b32 v1, v5 :: v_dual_mov_b32 v10, 0
	s_sub_i32 s22, s8, s22
	s_mov_b32 s2, exec_lo
	v_mov_b32_e32 v2, v6
	v_cmpx_gt_u32_e64 s22, v0
	s_cbranch_execz .LBB876_19
; %bb.18:
	s_clause 0x1
	global_load_u16 v3, v9, s[18:19]
	global_load_u16 v4, v9, s[20:21]
	v_add_co_u32 v1, s3, s5, v0
	s_delay_alu instid0(VALU_DEP_1)
	v_add_co_ci_u32_e64 v2, null, s23, 0, s3
	s_waitcnt vmcnt(0)
	v_cmp_ne_u16_e32 vcc_lo, v3, v4
	v_cndmask_b32_e64 v10, 0, 1, vcc_lo
.LBB876_19:
	s_or_b32 exec_lo, exec_lo, s2
	v_or_b32_e32 v3, 0x100, v0
	s_delay_alu instid0(VALU_DEP_1) | instskip(NEXT) | instid1(VALU_DEP_1)
	v_cmp_gt_u32_e64 s3, s22, v3
	s_and_saveexec_b32 s2, s3
	s_cbranch_execz .LBB876_21
; %bb.20:
	s_clause 0x1
	global_load_u16 v4, v9, s[18:19] offset:512
	global_load_u16 v7, v9, s[20:21] offset:512
	v_add_co_u32 v5, s4, s5, v3
	s_delay_alu instid0(VALU_DEP_1)
	v_add_co_ci_u32_e64 v6, null, s23, 0, s4
	s_waitcnt vmcnt(0)
	v_cmp_ne_u16_e32 vcc_lo, v4, v7
	v_cndmask_b32_e64 v12, 0, 1, vcc_lo
.LBB876_21:
	s_or_b32 exec_lo, exec_lo, s2
	v_mov_b32_e32 v3, 0
	v_dual_mov_b32 v4, 0 :: v_dual_mov_b32 v11, 0
	v_or_b32_e32 v14, 0x200, v0
	s_delay_alu instid0(VALU_DEP_2) | instskip(NEXT) | instid1(VALU_DEP_4)
	v_dual_mov_b32 v13, 0 :: v_dual_mov_b32 v8, v4
	v_mov_b32_e32 v7, v3
	s_delay_alu instid0(VALU_DEP_3) | instskip(NEXT) | instid1(VALU_DEP_1)
	v_cmp_gt_u32_e64 s2, s22, v14
	s_and_saveexec_b32 s4, s2
	s_cbranch_execz .LBB876_23
; %bb.22:
	s_clause 0x1
	global_load_u16 v13, v9, s[18:19] offset:1024
	global_load_u16 v15, v9, s[20:21] offset:1024
	v_add_co_u32 v7, s24, s5, v14
	s_delay_alu instid0(VALU_DEP_1)
	v_add_co_ci_u32_e64 v8, null, s23, 0, s24
	s_waitcnt vmcnt(0)
	v_cmp_ne_u16_e32 vcc_lo, v13, v15
	v_cndmask_b32_e64 v13, 0, 1, vcc_lo
.LBB876_23:
	s_or_b32 exec_lo, exec_lo, s4
	v_or_b32_e32 v14, 0x300, v0
	s_delay_alu instid0(VALU_DEP_1)
	v_cmp_gt_u32_e32 vcc_lo, s22, v14
	s_and_saveexec_b32 s24, vcc_lo
	s_cbranch_execnz .LBB876_52
; %bb.24:
	s_or_b32 exec_lo, exec_lo, s24
	s_and_saveexec_b32 s5, s3
	s_cbranch_execnz .LBB876_53
.LBB876_25:
	s_or_b32 exec_lo, exec_lo, s5
	s_and_saveexec_b32 s4, s2
	s_cbranch_execnz .LBB876_54
.LBB876_26:
	s_or_b32 exec_lo, exec_lo, s4
	s_and_saveexec_b32 s3, vcc_lo
.LBB876_27:
	v_and_b32_e32 v5, 1, v11
	v_cmp_lt_i64_e32 vcc_lo, v[3:4], v[1:2]
	s_delay_alu instid0(VALU_DEP_2) | instskip(SKIP_1) | instid1(VALU_DEP_2)
	v_cmp_eq_u32_e64 s2, 1, v5
	v_and_b32_e32 v5, 1, v10
	s_and_b32 vcc_lo, s2, vcc_lo
	v_cndmask_b32_e64 v6, v10, 1, s2
	v_dual_cndmask_b32 v2, v2, v4 :: v_dual_cndmask_b32 v1, v1, v3
	s_delay_alu instid0(VALU_DEP_3) | instskip(NEXT) | instid1(VALU_DEP_3)
	v_cmp_eq_u32_e32 vcc_lo, 1, v5
	v_cndmask_b32_e32 v10, v11, v6, vcc_lo
	s_delay_alu instid0(VALU_DEP_3)
	v_dual_cndmask_b32 v2, v4, v2 :: v_dual_cndmask_b32 v1, v3, v1
.LBB876_28:
	s_or_b32 exec_lo, exec_lo, s3
	v_mbcnt_lo_u32_b32 v5, -1, 0
	v_and_b32_e32 v7, 0xe0, v0
	s_min_u32 s3, s22, 0x100
	v_and_b32_e32 v6, 0xffff, v10
	s_delay_alu instid0(VALU_DEP_3) | instskip(NEXT) | instid1(VALU_DEP_3)
	v_cmp_ne_u32_e32 vcc_lo, 31, v5
	v_sub_nc_u32_e64 v8, s3, v7 clamp
	v_add_nc_u32_e32 v7, 1, v5
	v_add_co_ci_u32_e32 v3, vcc_lo, 0, v5, vcc_lo
	s_delay_alu instid0(VALU_DEP_2) | instskip(NEXT) | instid1(VALU_DEP_2)
	v_cmp_lt_u32_e32 vcc_lo, v7, v8
	v_dual_mov_b32 v7, v6 :: v_dual_lshlrev_b32 v4, 2, v3
	ds_bpermute_b32 v9, v4, v6
	ds_bpermute_b32 v3, v4, v1
	;; [unrolled: 1-line block ×3, first 2 shown]
	s_and_saveexec_b32 s2, vcc_lo
	s_delay_alu instid0(SALU_CYCLE_1)
	s_xor_b32 s4, exec_lo, s2
	s_cbranch_execz .LBB876_30
; %bb.29:
	s_waitcnt lgkmcnt(0)
	v_and_b32_e32 v7, 1, v9
	v_cmp_lt_i64_e32 vcc_lo, v[3:4], v[1:2]
	s_delay_alu instid0(VALU_DEP_2) | instskip(SKIP_1) | instid1(VALU_DEP_2)
	v_cmp_eq_u32_e64 s2, 1, v7
	v_and_b32_e32 v7, 1, v10
	v_cndmask_b32_e64 v6, v6, 1, s2
	s_and_b32 vcc_lo, s2, vcc_lo
	s_delay_alu instid0(VALU_DEP_2) | instskip(SKIP_1) | instid1(VALU_DEP_2)
	v_cmp_eq_u32_e64 s2, 1, v7
	v_dual_cndmask_b32 v2, v2, v4 :: v_dual_cndmask_b32 v1, v1, v3
	v_cndmask_b32_e64 v7, v9, v6, s2
	s_delay_alu instid0(VALU_DEP_2) | instskip(NEXT) | instid1(VALU_DEP_3)
	v_cndmask_b32_e64 v2, v4, v2, s2
	v_cndmask_b32_e64 v1, v3, v1, s2
	s_delay_alu instid0(VALU_DEP_3)
	v_and_b32_e32 v6, 0xff, v7
.LBB876_30:
	s_or_b32 exec_lo, exec_lo, s4
	v_cmp_gt_u32_e32 vcc_lo, 30, v5
	v_add_nc_u32_e32 v10, 2, v5
	s_mov_b32 s4, exec_lo
	s_waitcnt lgkmcnt(0)
	v_cndmask_b32_e64 v3, 0, 1, vcc_lo
	s_delay_alu instid0(VALU_DEP_1) | instskip(NEXT) | instid1(VALU_DEP_1)
	v_lshlrev_b32_e32 v3, 1, v3
	v_add_lshl_u32 v4, v3, v5, 2
	ds_bpermute_b32 v9, v4, v6
	ds_bpermute_b32 v3, v4, v1
	ds_bpermute_b32 v4, v4, v2
	v_cmpx_lt_u32_e64 v10, v8
	s_cbranch_execz .LBB876_32
; %bb.31:
	s_waitcnt lgkmcnt(2)
	v_and_b32_e32 v6, 1, v9
	s_waitcnt lgkmcnt(0)
	v_cmp_lt_i64_e32 vcc_lo, v[3:4], v[1:2]
	s_delay_alu instid0(VALU_DEP_2) | instskip(SKIP_1) | instid1(VALU_DEP_2)
	v_cmp_eq_u32_e64 s2, 1, v6
	v_and_b32_e32 v6, 1, v7
	v_cndmask_b32_e64 v7, v7, 1, s2
	s_and_b32 vcc_lo, s2, vcc_lo
	s_delay_alu instid0(VALU_DEP_2) | instskip(SKIP_1) | instid1(VALU_DEP_2)
	v_cmp_eq_u32_e64 s2, 1, v6
	v_dual_cndmask_b32 v1, v1, v3 :: v_dual_cndmask_b32 v2, v2, v4
	v_cndmask_b32_e64 v7, v9, v7, s2
	s_delay_alu instid0(VALU_DEP_2) | instskip(NEXT) | instid1(VALU_DEP_3)
	v_cndmask_b32_e64 v1, v3, v1, s2
	v_cndmask_b32_e64 v2, v4, v2, s2
	s_delay_alu instid0(VALU_DEP_3)
	v_and_b32_e32 v6, 0xff, v7
.LBB876_32:
	s_or_b32 exec_lo, exec_lo, s4
	v_cmp_gt_u32_e32 vcc_lo, 28, v5
	v_add_nc_u32_e32 v10, 4, v5
	s_mov_b32 s4, exec_lo
	s_waitcnt lgkmcnt(1)
	v_cndmask_b32_e64 v3, 0, 1, vcc_lo
	s_delay_alu instid0(VALU_DEP_1) | instskip(SKIP_1) | instid1(VALU_DEP_1)
	v_lshlrev_b32_e32 v3, 2, v3
	s_waitcnt lgkmcnt(0)
	v_add_lshl_u32 v4, v3, v5, 2
	ds_bpermute_b32 v9, v4, v6
	ds_bpermute_b32 v3, v4, v1
	ds_bpermute_b32 v4, v4, v2
	v_cmpx_lt_u32_e64 v10, v8
	s_cbranch_execz .LBB876_34
; %bb.33:
	s_waitcnt lgkmcnt(2)
	v_and_b32_e32 v6, 1, v9
	s_waitcnt lgkmcnt(0)
	v_cmp_lt_i64_e32 vcc_lo, v[3:4], v[1:2]
	s_delay_alu instid0(VALU_DEP_2) | instskip(SKIP_1) | instid1(VALU_DEP_2)
	v_cmp_eq_u32_e64 s2, 1, v6
	v_and_b32_e32 v6, 1, v7
	v_cndmask_b32_e64 v7, v7, 1, s2
	s_and_b32 vcc_lo, s2, vcc_lo
	s_delay_alu instid0(VALU_DEP_2) | instskip(SKIP_1) | instid1(VALU_DEP_2)
	v_cmp_eq_u32_e64 s2, 1, v6
	v_dual_cndmask_b32 v1, v1, v3 :: v_dual_cndmask_b32 v2, v2, v4
	v_cndmask_b32_e64 v7, v9, v7, s2
	s_delay_alu instid0(VALU_DEP_2) | instskip(NEXT) | instid1(VALU_DEP_3)
	v_cndmask_b32_e64 v1, v3, v1, s2
	v_cndmask_b32_e64 v2, v4, v2, s2
	s_delay_alu instid0(VALU_DEP_3)
	v_and_b32_e32 v6, 0xff, v7
.LBB876_34:
	s_or_b32 exec_lo, exec_lo, s4
	v_cmp_gt_u32_e32 vcc_lo, 24, v5
	v_add_nc_u32_e32 v10, 8, v5
	s_mov_b32 s4, exec_lo
	s_waitcnt lgkmcnt(1)
	v_cndmask_b32_e64 v3, 0, 1, vcc_lo
	s_delay_alu instid0(VALU_DEP_1) | instskip(SKIP_1) | instid1(VALU_DEP_1)
	v_lshlrev_b32_e32 v3, 3, v3
	s_waitcnt lgkmcnt(0)
	;; [unrolled: 35-line block ×3, first 2 shown]
	v_add_lshl_u32 v4, v3, v5, 2
	ds_bpermute_b32 v9, v4, v6
	ds_bpermute_b32 v3, v4, v1
	;; [unrolled: 1-line block ×3, first 2 shown]
	v_cmpx_lt_u32_e64 v10, v8
	s_cbranch_execz .LBB876_38
; %bb.37:
	s_waitcnt lgkmcnt(2)
	v_and_b32_e32 v6, 1, v9
	s_waitcnt lgkmcnt(0)
	v_cmp_lt_i64_e32 vcc_lo, v[3:4], v[1:2]
	s_delay_alu instid0(VALU_DEP_2) | instskip(SKIP_1) | instid1(VALU_DEP_2)
	v_cmp_eq_u32_e64 s2, 1, v6
	v_and_b32_e32 v6, 1, v7
	v_cndmask_b32_e64 v7, v7, 1, s2
	s_and_b32 vcc_lo, s2, vcc_lo
	s_delay_alu instid0(VALU_DEP_2) | instskip(SKIP_1) | instid1(VALU_DEP_2)
	v_cmp_eq_u32_e64 s2, 1, v6
	v_dual_cndmask_b32 v1, v1, v3 :: v_dual_cndmask_b32 v2, v2, v4
	v_cndmask_b32_e64 v7, v9, v7, s2
	s_delay_alu instid0(VALU_DEP_2) | instskip(NEXT) | instid1(VALU_DEP_3)
	v_cndmask_b32_e64 v1, v3, v1, s2
	v_cndmask_b32_e64 v2, v4, v2, s2
	s_delay_alu instid0(VALU_DEP_3)
	v_and_b32_e32 v6, 0xff, v7
.LBB876_38:
	s_or_b32 exec_lo, exec_lo, s4
	s_delay_alu instid0(SALU_CYCLE_1)
	s_mov_b32 s2, exec_lo
	v_cmpx_eq_u32_e32 0, v5
	s_cbranch_execz .LBB876_40
; %bb.39:
	s_waitcnt lgkmcnt(1)
	v_lshrrev_b32_e32 v3, 1, v0
	s_delay_alu instid0(VALU_DEP_1)
	v_and_b32_e32 v3, 0x70, v3
	ds_store_b8 v3, v7 offset:128
	ds_store_b64 v3, v[1:2] offset:136
.LBB876_40:
	s_or_b32 exec_lo, exec_lo, s2
	s_delay_alu instid0(SALU_CYCLE_1)
	s_mov_b32 s4, exec_lo
	s_waitcnt lgkmcnt(0)
	s_barrier
	buffer_gl0_inv
	v_cmpx_gt_u32_e32 8, v0
	s_cbranch_execz .LBB876_48
; %bb.41:
	v_lshlrev_b32_e32 v1, 4, v5
	v_and_b32_e32 v8, 7, v5
	s_add_i32 s3, s3, 31
	s_mov_b32 s5, exec_lo
	s_lshr_b32 s3, s3, 5
	ds_load_u8 v7, v1 offset:128
	ds_load_b64 v[1:2], v1 offset:136
	v_cmp_ne_u32_e32 vcc_lo, 7, v8
	v_add_nc_u32_e32 v10, 1, v8
	v_add_co_ci_u32_e32 v3, vcc_lo, 0, v5, vcc_lo
	s_delay_alu instid0(VALU_DEP_1)
	v_lshlrev_b32_e32 v4, 2, v3
	s_waitcnt lgkmcnt(1)
	v_and_b32_e32 v6, 0xff, v7
	s_waitcnt lgkmcnt(0)
	ds_bpermute_b32 v3, v4, v1
	ds_bpermute_b32 v9, v4, v6
	;; [unrolled: 1-line block ×3, first 2 shown]
	v_cmpx_gt_u32_e64 s3, v10
	s_cbranch_execz .LBB876_43
; %bb.42:
	s_waitcnt lgkmcnt(1)
	v_and_b32_e32 v6, 1, v9
	s_waitcnt lgkmcnt(0)
	v_cmp_lt_i64_e32 vcc_lo, v[3:4], v[1:2]
	s_delay_alu instid0(VALU_DEP_2) | instskip(SKIP_1) | instid1(VALU_DEP_2)
	v_cmp_eq_u32_e64 s2, 1, v6
	v_and_b32_e32 v6, 1, v7
	v_cndmask_b32_e64 v7, v7, 1, s2
	s_and_b32 vcc_lo, s2, vcc_lo
	s_delay_alu instid0(VALU_DEP_2) | instskip(SKIP_1) | instid1(VALU_DEP_2)
	v_cmp_eq_u32_e64 s2, 1, v6
	v_dual_cndmask_b32 v1, v1, v3 :: v_dual_cndmask_b32 v2, v2, v4
	v_cndmask_b32_e64 v7, v9, v7, s2
	s_delay_alu instid0(VALU_DEP_2) | instskip(NEXT) | instid1(VALU_DEP_3)
	v_cndmask_b32_e64 v1, v3, v1, s2
	v_cndmask_b32_e64 v2, v4, v2, s2
	s_delay_alu instid0(VALU_DEP_3)
	v_and_b32_e32 v6, 0xff, v7
.LBB876_43:
	s_or_b32 exec_lo, exec_lo, s5
	v_cmp_gt_u32_e32 vcc_lo, 6, v8
	v_add_nc_u32_e32 v10, 2, v8
	s_mov_b32 s5, exec_lo
	s_waitcnt lgkmcnt(2)
	v_cndmask_b32_e64 v3, 0, 1, vcc_lo
	s_delay_alu instid0(VALU_DEP_1) | instskip(SKIP_1) | instid1(VALU_DEP_1)
	v_lshlrev_b32_e32 v3, 1, v3
	s_waitcnt lgkmcnt(0)
	v_add_lshl_u32 v4, v3, v5, 2
	ds_bpermute_b32 v9, v4, v6
	ds_bpermute_b32 v3, v4, v1
	;; [unrolled: 1-line block ×3, first 2 shown]
	v_cmpx_gt_u32_e64 s3, v10
	s_cbranch_execz .LBB876_45
; %bb.44:
	s_waitcnt lgkmcnt(2)
	v_and_b32_e32 v6, 1, v9
	s_waitcnt lgkmcnt(0)
	v_cmp_lt_i64_e32 vcc_lo, v[3:4], v[1:2]
	s_delay_alu instid0(VALU_DEP_2) | instskip(SKIP_1) | instid1(VALU_DEP_2)
	v_cmp_eq_u32_e64 s2, 1, v6
	v_and_b32_e32 v6, 1, v7
	v_cndmask_b32_e64 v7, v7, 1, s2
	s_and_b32 vcc_lo, s2, vcc_lo
	s_delay_alu instid0(VALU_DEP_2) | instskip(SKIP_1) | instid1(VALU_DEP_2)
	v_cmp_eq_u32_e64 s2, 1, v6
	v_dual_cndmask_b32 v1, v1, v3 :: v_dual_cndmask_b32 v2, v2, v4
	v_cndmask_b32_e64 v7, v9, v7, s2
	s_delay_alu instid0(VALU_DEP_2) | instskip(NEXT) | instid1(VALU_DEP_3)
	v_cndmask_b32_e64 v1, v3, v1, s2
	v_cndmask_b32_e64 v2, v4, v2, s2
	s_delay_alu instid0(VALU_DEP_3)
	v_and_b32_e32 v6, 0xff, v7
.LBB876_45:
	s_or_b32 exec_lo, exec_lo, s5
	v_cmp_gt_u32_e32 vcc_lo, 4, v8
	v_add_nc_u32_e32 v8, 4, v8
	s_waitcnt lgkmcnt(1)
	v_cndmask_b32_e64 v3, 0, 1, vcc_lo
	s_delay_alu instid0(VALU_DEP_2) | instskip(NEXT) | instid1(VALU_DEP_2)
	v_cmp_gt_u32_e32 vcc_lo, s3, v8
	v_lshlrev_b32_e32 v3, 2, v3
	s_waitcnt lgkmcnt(0)
	s_delay_alu instid0(VALU_DEP_1)
	v_add_lshl_u32 v4, v3, v5, 2
	ds_bpermute_b32 v5, v4, v6
	ds_bpermute_b32 v3, v4, v1
	;; [unrolled: 1-line block ×3, first 2 shown]
	s_and_saveexec_b32 s3, vcc_lo
	s_cbranch_execz .LBB876_47
; %bb.46:
	s_waitcnt lgkmcnt(2)
	v_and_b32_e32 v6, 1, v5
	s_waitcnt lgkmcnt(0)
	v_cmp_lt_i64_e32 vcc_lo, v[3:4], v[1:2]
	s_delay_alu instid0(VALU_DEP_2) | instskip(SKIP_1) | instid1(VALU_DEP_2)
	v_cmp_eq_u32_e64 s2, 1, v6
	v_and_b32_e32 v6, 1, v7
	v_cndmask_b32_e64 v7, v7, 1, s2
	s_and_b32 vcc_lo, s2, vcc_lo
	s_delay_alu instid0(VALU_DEP_2) | instskip(SKIP_1) | instid1(VALU_DEP_2)
	v_cmp_eq_u32_e64 s2, 1, v6
	v_dual_cndmask_b32 v1, v1, v3 :: v_dual_cndmask_b32 v2, v2, v4
	v_cndmask_b32_e64 v5, v5, v7, s2
	s_delay_alu instid0(VALU_DEP_2) | instskip(NEXT) | instid1(VALU_DEP_3)
	v_cndmask_b32_e64 v1, v3, v1, s2
	v_cndmask_b32_e64 v2, v4, v2, s2
	s_delay_alu instid0(VALU_DEP_3)
	v_and_b32_e32 v6, 0xff, v5
.LBB876_47:
	s_or_b32 exec_lo, exec_lo, s3
.LBB876_48:
	s_delay_alu instid0(SALU_CYCLE_1)
	s_or_b32 exec_lo, exec_lo, s4
.LBB876_49:
	s_load_b32 s0, s[0:1], 0x50
	s_mov_b32 s1, exec_lo
	v_cmpx_eq_u32_e32 0, v0
	s_cbranch_execz .LBB876_51
; %bb.50:
	s_mul_i32 s1, s14, s13
	s_mul_hi_u32 s2, s14, s12
	s_mul_i32 s3, s15, s12
	s_add_i32 s1, s2, s1
	s_mul_i32 s2, s14, s12
	s_add_i32 s3, s1, s3
	v_mov_b32_e32 v0, 0
	s_lshl_b64 s[2:3], s[2:3], 4
	s_delay_alu instid0(SALU_CYCLE_1)
	s_add_u32 s1, s10, s2
	s_addc_u32 s4, s11, s3
	s_cmp_eq_u64 s[8:9], 0
	s_cselect_b32 s5, -1, 0
	s_lshl_b64 s[2:3], s[16:17], 4
	s_waitcnt lgkmcnt(0)
	v_cndmask_b32_e64 v3, v6, s0, s5
	v_cndmask_b32_e64 v2, v2, s7, s5
	;; [unrolled: 1-line block ×3, first 2 shown]
	s_add_u32 s0, s1, s2
	s_addc_u32 s1, s4, s3
	s_clause 0x1
	global_store_b8 v0, v3, s[0:1]
	global_store_b64 v0, v[1:2], s[0:1] offset:8
.LBB876_51:
	s_nop 0
	s_sendmsg sendmsg(MSG_DEALLOC_VGPRS)
	s_endpgm
.LBB876_52:
	s_clause 0x1
	global_load_u16 v11, v9, s[18:19] offset:1536
	global_load_u16 v9, v9, s[20:21] offset:1536
	v_add_co_u32 v3, s4, s5, v14
	s_delay_alu instid0(VALU_DEP_1) | instskip(SKIP_2) | instid1(VALU_DEP_1)
	v_add_co_ci_u32_e64 v4, null, s23, 0, s4
	s_waitcnt vmcnt(0)
	v_cmp_ne_u16_e64 s4, v11, v9
	v_cndmask_b32_e64 v11, 0, 1, s4
	s_or_b32 exec_lo, exec_lo, s24
	s_and_saveexec_b32 s5, s3
	s_cbranch_execz .LBB876_25
.LBB876_53:
	v_and_b32_e32 v9, 1, v12
	v_cmp_lt_i64_e64 s3, v[5:6], v[1:2]
	s_delay_alu instid0(VALU_DEP_2) | instskip(SKIP_1) | instid1(VALU_DEP_2)
	v_cmp_eq_u32_e64 s4, 1, v9
	v_and_b32_e32 v9, 1, v10
	s_and_b32 s3, s4, s3
	v_cndmask_b32_e64 v10, v10, 1, s4
	v_cndmask_b32_e64 v1, v1, v5, s3
	;; [unrolled: 1-line block ×3, first 2 shown]
	v_cmp_eq_u32_e64 s3, 1, v9
	s_delay_alu instid0(VALU_DEP_1) | instskip(NEXT) | instid1(VALU_DEP_3)
	v_cndmask_b32_e64 v10, v12, v10, s3
	v_cndmask_b32_e64 v2, v6, v2, s3
	;; [unrolled: 1-line block ×3, first 2 shown]
	s_or_b32 exec_lo, exec_lo, s5
	s_and_saveexec_b32 s4, s2
	s_cbranch_execz .LBB876_26
.LBB876_54:
	v_and_b32_e32 v5, 1, v13
	v_cmp_lt_i64_e64 s2, v[7:8], v[1:2]
	s_delay_alu instid0(VALU_DEP_2) | instskip(SKIP_1) | instid1(VALU_DEP_2)
	v_cmp_eq_u32_e64 s3, 1, v5
	v_and_b32_e32 v5, 1, v10
	s_and_b32 s2, s3, s2
	v_cndmask_b32_e64 v6, v10, 1, s3
	v_cndmask_b32_e64 v1, v1, v7, s2
	;; [unrolled: 1-line block ×3, first 2 shown]
	v_cmp_eq_u32_e64 s2, 1, v5
	s_delay_alu instid0(VALU_DEP_1) | instskip(NEXT) | instid1(VALU_DEP_3)
	v_cndmask_b32_e64 v10, v13, v6, s2
	v_cndmask_b32_e64 v2, v8, v2, s2
	;; [unrolled: 1-line block ×3, first 2 shown]
	s_or_b32 exec_lo, exec_lo, s4
	s_and_saveexec_b32 s3, vcc_lo
	s_cbranch_execnz .LBB876_27
	s_branch .LBB876_28
	.section	.rodata,"a",@progbits
	.p2align	6, 0x0
	.amdhsa_kernel _ZN7rocprim17ROCPRIM_400000_NS6detail17trampoline_kernelINS0_14default_configENS1_22reduce_config_selectorIN6thrust23THRUST_200600_302600_NS5tupleIblNS6_9null_typeES8_S8_S8_S8_S8_S8_S8_EEEEZNS1_11reduce_implILb1ES3_NS6_12zip_iteratorINS7_INS6_11hip_rocprim26transform_input_iterator_tIbNSD_35transform_pair_of_input_iterators_tIbNS6_6detail15normal_iteratorINS6_10device_ptrIKsEEEESL_NS6_8equal_toIsEEEENSG_9not_fun_tINSD_8identityEEEEENSD_19counting_iterator_tIlEES8_S8_S8_S8_S8_S8_S8_S8_EEEEPS9_S9_NSD_9__find_if7functorIS9_EEEE10hipError_tPvRmT1_T2_T3_mT4_P12ihipStream_tbEUlT_E0_NS1_11comp_targetILNS1_3genE9ELNS1_11target_archE1100ELNS1_3gpuE3ELNS1_3repE0EEENS1_30default_config_static_selectorELNS0_4arch9wavefront6targetE0EEEvS14_
		.amdhsa_group_segment_fixed_size 256
		.amdhsa_private_segment_fixed_size 0
		.amdhsa_kernarg_size 104
		.amdhsa_user_sgpr_count 15
		.amdhsa_user_sgpr_dispatch_ptr 0
		.amdhsa_user_sgpr_queue_ptr 0
		.amdhsa_user_sgpr_kernarg_segment_ptr 1
		.amdhsa_user_sgpr_dispatch_id 0
		.amdhsa_user_sgpr_private_segment_size 0
		.amdhsa_wavefront_size32 1
		.amdhsa_uses_dynamic_stack 0
		.amdhsa_enable_private_segment 0
		.amdhsa_system_sgpr_workgroup_id_x 1
		.amdhsa_system_sgpr_workgroup_id_y 0
		.amdhsa_system_sgpr_workgroup_id_z 0
		.amdhsa_system_sgpr_workgroup_info 0
		.amdhsa_system_vgpr_workitem_id 0
		.amdhsa_next_free_vgpr 16
		.amdhsa_next_free_sgpr 28
		.amdhsa_reserve_vcc 1
		.amdhsa_float_round_mode_32 0
		.amdhsa_float_round_mode_16_64 0
		.amdhsa_float_denorm_mode_32 3
		.amdhsa_float_denorm_mode_16_64 3
		.amdhsa_dx10_clamp 1
		.amdhsa_ieee_mode 1
		.amdhsa_fp16_overflow 0
		.amdhsa_workgroup_processor_mode 1
		.amdhsa_memory_ordered 1
		.amdhsa_forward_progress 0
		.amdhsa_shared_vgpr_count 0
		.amdhsa_exception_fp_ieee_invalid_op 0
		.amdhsa_exception_fp_denorm_src 0
		.amdhsa_exception_fp_ieee_div_zero 0
		.amdhsa_exception_fp_ieee_overflow 0
		.amdhsa_exception_fp_ieee_underflow 0
		.amdhsa_exception_fp_ieee_inexact 0
		.amdhsa_exception_int_div_zero 0
	.end_amdhsa_kernel
	.section	.text._ZN7rocprim17ROCPRIM_400000_NS6detail17trampoline_kernelINS0_14default_configENS1_22reduce_config_selectorIN6thrust23THRUST_200600_302600_NS5tupleIblNS6_9null_typeES8_S8_S8_S8_S8_S8_S8_EEEEZNS1_11reduce_implILb1ES3_NS6_12zip_iteratorINS7_INS6_11hip_rocprim26transform_input_iterator_tIbNSD_35transform_pair_of_input_iterators_tIbNS6_6detail15normal_iteratorINS6_10device_ptrIKsEEEESL_NS6_8equal_toIsEEEENSG_9not_fun_tINSD_8identityEEEEENSD_19counting_iterator_tIlEES8_S8_S8_S8_S8_S8_S8_S8_EEEEPS9_S9_NSD_9__find_if7functorIS9_EEEE10hipError_tPvRmT1_T2_T3_mT4_P12ihipStream_tbEUlT_E0_NS1_11comp_targetILNS1_3genE9ELNS1_11target_archE1100ELNS1_3gpuE3ELNS1_3repE0EEENS1_30default_config_static_selectorELNS0_4arch9wavefront6targetE0EEEvS14_,"axG",@progbits,_ZN7rocprim17ROCPRIM_400000_NS6detail17trampoline_kernelINS0_14default_configENS1_22reduce_config_selectorIN6thrust23THRUST_200600_302600_NS5tupleIblNS6_9null_typeES8_S8_S8_S8_S8_S8_S8_EEEEZNS1_11reduce_implILb1ES3_NS6_12zip_iteratorINS7_INS6_11hip_rocprim26transform_input_iterator_tIbNSD_35transform_pair_of_input_iterators_tIbNS6_6detail15normal_iteratorINS6_10device_ptrIKsEEEESL_NS6_8equal_toIsEEEENSG_9not_fun_tINSD_8identityEEEEENSD_19counting_iterator_tIlEES8_S8_S8_S8_S8_S8_S8_S8_EEEEPS9_S9_NSD_9__find_if7functorIS9_EEEE10hipError_tPvRmT1_T2_T3_mT4_P12ihipStream_tbEUlT_E0_NS1_11comp_targetILNS1_3genE9ELNS1_11target_archE1100ELNS1_3gpuE3ELNS1_3repE0EEENS1_30default_config_static_selectorELNS0_4arch9wavefront6targetE0EEEvS14_,comdat
.Lfunc_end876:
	.size	_ZN7rocprim17ROCPRIM_400000_NS6detail17trampoline_kernelINS0_14default_configENS1_22reduce_config_selectorIN6thrust23THRUST_200600_302600_NS5tupleIblNS6_9null_typeES8_S8_S8_S8_S8_S8_S8_EEEEZNS1_11reduce_implILb1ES3_NS6_12zip_iteratorINS7_INS6_11hip_rocprim26transform_input_iterator_tIbNSD_35transform_pair_of_input_iterators_tIbNS6_6detail15normal_iteratorINS6_10device_ptrIKsEEEESL_NS6_8equal_toIsEEEENSG_9not_fun_tINSD_8identityEEEEENSD_19counting_iterator_tIlEES8_S8_S8_S8_S8_S8_S8_S8_EEEEPS9_S9_NSD_9__find_if7functorIS9_EEEE10hipError_tPvRmT1_T2_T3_mT4_P12ihipStream_tbEUlT_E0_NS1_11comp_targetILNS1_3genE9ELNS1_11target_archE1100ELNS1_3gpuE3ELNS1_3repE0EEENS1_30default_config_static_selectorELNS0_4arch9wavefront6targetE0EEEvS14_, .Lfunc_end876-_ZN7rocprim17ROCPRIM_400000_NS6detail17trampoline_kernelINS0_14default_configENS1_22reduce_config_selectorIN6thrust23THRUST_200600_302600_NS5tupleIblNS6_9null_typeES8_S8_S8_S8_S8_S8_S8_EEEEZNS1_11reduce_implILb1ES3_NS6_12zip_iteratorINS7_INS6_11hip_rocprim26transform_input_iterator_tIbNSD_35transform_pair_of_input_iterators_tIbNS6_6detail15normal_iteratorINS6_10device_ptrIKsEEEESL_NS6_8equal_toIsEEEENSG_9not_fun_tINSD_8identityEEEEENSD_19counting_iterator_tIlEES8_S8_S8_S8_S8_S8_S8_S8_EEEEPS9_S9_NSD_9__find_if7functorIS9_EEEE10hipError_tPvRmT1_T2_T3_mT4_P12ihipStream_tbEUlT_E0_NS1_11comp_targetILNS1_3genE9ELNS1_11target_archE1100ELNS1_3gpuE3ELNS1_3repE0EEENS1_30default_config_static_selectorELNS0_4arch9wavefront6targetE0EEEvS14_
                                        ; -- End function
	.section	.AMDGPU.csdata,"",@progbits
; Kernel info:
; codeLenInByte = 4024
; NumSgprs: 30
; NumVgprs: 16
; ScratchSize: 0
; MemoryBound: 0
; FloatMode: 240
; IeeeMode: 1
; LDSByteSize: 256 bytes/workgroup (compile time only)
; SGPRBlocks: 3
; VGPRBlocks: 1
; NumSGPRsForWavesPerEU: 30
; NumVGPRsForWavesPerEU: 16
; Occupancy: 16
; WaveLimiterHint : 0
; COMPUTE_PGM_RSRC2:SCRATCH_EN: 0
; COMPUTE_PGM_RSRC2:USER_SGPR: 15
; COMPUTE_PGM_RSRC2:TRAP_HANDLER: 0
; COMPUTE_PGM_RSRC2:TGID_X_EN: 1
; COMPUTE_PGM_RSRC2:TGID_Y_EN: 0
; COMPUTE_PGM_RSRC2:TGID_Z_EN: 0
; COMPUTE_PGM_RSRC2:TIDIG_COMP_CNT: 0
	.section	.text._ZN7rocprim17ROCPRIM_400000_NS6detail17trampoline_kernelINS0_14default_configENS1_22reduce_config_selectorIN6thrust23THRUST_200600_302600_NS5tupleIblNS6_9null_typeES8_S8_S8_S8_S8_S8_S8_EEEEZNS1_11reduce_implILb1ES3_NS6_12zip_iteratorINS7_INS6_11hip_rocprim26transform_input_iterator_tIbNSD_35transform_pair_of_input_iterators_tIbNS6_6detail15normal_iteratorINS6_10device_ptrIKsEEEESL_NS6_8equal_toIsEEEENSG_9not_fun_tINSD_8identityEEEEENSD_19counting_iterator_tIlEES8_S8_S8_S8_S8_S8_S8_S8_EEEEPS9_S9_NSD_9__find_if7functorIS9_EEEE10hipError_tPvRmT1_T2_T3_mT4_P12ihipStream_tbEUlT_E0_NS1_11comp_targetILNS1_3genE8ELNS1_11target_archE1030ELNS1_3gpuE2ELNS1_3repE0EEENS1_30default_config_static_selectorELNS0_4arch9wavefront6targetE0EEEvS14_,"axG",@progbits,_ZN7rocprim17ROCPRIM_400000_NS6detail17trampoline_kernelINS0_14default_configENS1_22reduce_config_selectorIN6thrust23THRUST_200600_302600_NS5tupleIblNS6_9null_typeES8_S8_S8_S8_S8_S8_S8_EEEEZNS1_11reduce_implILb1ES3_NS6_12zip_iteratorINS7_INS6_11hip_rocprim26transform_input_iterator_tIbNSD_35transform_pair_of_input_iterators_tIbNS6_6detail15normal_iteratorINS6_10device_ptrIKsEEEESL_NS6_8equal_toIsEEEENSG_9not_fun_tINSD_8identityEEEEENSD_19counting_iterator_tIlEES8_S8_S8_S8_S8_S8_S8_S8_EEEEPS9_S9_NSD_9__find_if7functorIS9_EEEE10hipError_tPvRmT1_T2_T3_mT4_P12ihipStream_tbEUlT_E0_NS1_11comp_targetILNS1_3genE8ELNS1_11target_archE1030ELNS1_3gpuE2ELNS1_3repE0EEENS1_30default_config_static_selectorELNS0_4arch9wavefront6targetE0EEEvS14_,comdat
	.protected	_ZN7rocprim17ROCPRIM_400000_NS6detail17trampoline_kernelINS0_14default_configENS1_22reduce_config_selectorIN6thrust23THRUST_200600_302600_NS5tupleIblNS6_9null_typeES8_S8_S8_S8_S8_S8_S8_EEEEZNS1_11reduce_implILb1ES3_NS6_12zip_iteratorINS7_INS6_11hip_rocprim26transform_input_iterator_tIbNSD_35transform_pair_of_input_iterators_tIbNS6_6detail15normal_iteratorINS6_10device_ptrIKsEEEESL_NS6_8equal_toIsEEEENSG_9not_fun_tINSD_8identityEEEEENSD_19counting_iterator_tIlEES8_S8_S8_S8_S8_S8_S8_S8_EEEEPS9_S9_NSD_9__find_if7functorIS9_EEEE10hipError_tPvRmT1_T2_T3_mT4_P12ihipStream_tbEUlT_E0_NS1_11comp_targetILNS1_3genE8ELNS1_11target_archE1030ELNS1_3gpuE2ELNS1_3repE0EEENS1_30default_config_static_selectorELNS0_4arch9wavefront6targetE0EEEvS14_ ; -- Begin function _ZN7rocprim17ROCPRIM_400000_NS6detail17trampoline_kernelINS0_14default_configENS1_22reduce_config_selectorIN6thrust23THRUST_200600_302600_NS5tupleIblNS6_9null_typeES8_S8_S8_S8_S8_S8_S8_EEEEZNS1_11reduce_implILb1ES3_NS6_12zip_iteratorINS7_INS6_11hip_rocprim26transform_input_iterator_tIbNSD_35transform_pair_of_input_iterators_tIbNS6_6detail15normal_iteratorINS6_10device_ptrIKsEEEESL_NS6_8equal_toIsEEEENSG_9not_fun_tINSD_8identityEEEEENSD_19counting_iterator_tIlEES8_S8_S8_S8_S8_S8_S8_S8_EEEEPS9_S9_NSD_9__find_if7functorIS9_EEEE10hipError_tPvRmT1_T2_T3_mT4_P12ihipStream_tbEUlT_E0_NS1_11comp_targetILNS1_3genE8ELNS1_11target_archE1030ELNS1_3gpuE2ELNS1_3repE0EEENS1_30default_config_static_selectorELNS0_4arch9wavefront6targetE0EEEvS14_
	.globl	_ZN7rocprim17ROCPRIM_400000_NS6detail17trampoline_kernelINS0_14default_configENS1_22reduce_config_selectorIN6thrust23THRUST_200600_302600_NS5tupleIblNS6_9null_typeES8_S8_S8_S8_S8_S8_S8_EEEEZNS1_11reduce_implILb1ES3_NS6_12zip_iteratorINS7_INS6_11hip_rocprim26transform_input_iterator_tIbNSD_35transform_pair_of_input_iterators_tIbNS6_6detail15normal_iteratorINS6_10device_ptrIKsEEEESL_NS6_8equal_toIsEEEENSG_9not_fun_tINSD_8identityEEEEENSD_19counting_iterator_tIlEES8_S8_S8_S8_S8_S8_S8_S8_EEEEPS9_S9_NSD_9__find_if7functorIS9_EEEE10hipError_tPvRmT1_T2_T3_mT4_P12ihipStream_tbEUlT_E0_NS1_11comp_targetILNS1_3genE8ELNS1_11target_archE1030ELNS1_3gpuE2ELNS1_3repE0EEENS1_30default_config_static_selectorELNS0_4arch9wavefront6targetE0EEEvS14_
	.p2align	8
	.type	_ZN7rocprim17ROCPRIM_400000_NS6detail17trampoline_kernelINS0_14default_configENS1_22reduce_config_selectorIN6thrust23THRUST_200600_302600_NS5tupleIblNS6_9null_typeES8_S8_S8_S8_S8_S8_S8_EEEEZNS1_11reduce_implILb1ES3_NS6_12zip_iteratorINS7_INS6_11hip_rocprim26transform_input_iterator_tIbNSD_35transform_pair_of_input_iterators_tIbNS6_6detail15normal_iteratorINS6_10device_ptrIKsEEEESL_NS6_8equal_toIsEEEENSG_9not_fun_tINSD_8identityEEEEENSD_19counting_iterator_tIlEES8_S8_S8_S8_S8_S8_S8_S8_EEEEPS9_S9_NSD_9__find_if7functorIS9_EEEE10hipError_tPvRmT1_T2_T3_mT4_P12ihipStream_tbEUlT_E0_NS1_11comp_targetILNS1_3genE8ELNS1_11target_archE1030ELNS1_3gpuE2ELNS1_3repE0EEENS1_30default_config_static_selectorELNS0_4arch9wavefront6targetE0EEEvS14_,@function
_ZN7rocprim17ROCPRIM_400000_NS6detail17trampoline_kernelINS0_14default_configENS1_22reduce_config_selectorIN6thrust23THRUST_200600_302600_NS5tupleIblNS6_9null_typeES8_S8_S8_S8_S8_S8_S8_EEEEZNS1_11reduce_implILb1ES3_NS6_12zip_iteratorINS7_INS6_11hip_rocprim26transform_input_iterator_tIbNSD_35transform_pair_of_input_iterators_tIbNS6_6detail15normal_iteratorINS6_10device_ptrIKsEEEESL_NS6_8equal_toIsEEEENSG_9not_fun_tINSD_8identityEEEEENSD_19counting_iterator_tIlEES8_S8_S8_S8_S8_S8_S8_S8_EEEEPS9_S9_NSD_9__find_if7functorIS9_EEEE10hipError_tPvRmT1_T2_T3_mT4_P12ihipStream_tbEUlT_E0_NS1_11comp_targetILNS1_3genE8ELNS1_11target_archE1030ELNS1_3gpuE2ELNS1_3repE0EEENS1_30default_config_static_selectorELNS0_4arch9wavefront6targetE0EEEvS14_: ; @_ZN7rocprim17ROCPRIM_400000_NS6detail17trampoline_kernelINS0_14default_configENS1_22reduce_config_selectorIN6thrust23THRUST_200600_302600_NS5tupleIblNS6_9null_typeES8_S8_S8_S8_S8_S8_S8_EEEEZNS1_11reduce_implILb1ES3_NS6_12zip_iteratorINS7_INS6_11hip_rocprim26transform_input_iterator_tIbNSD_35transform_pair_of_input_iterators_tIbNS6_6detail15normal_iteratorINS6_10device_ptrIKsEEEESL_NS6_8equal_toIsEEEENSG_9not_fun_tINSD_8identityEEEEENSD_19counting_iterator_tIlEES8_S8_S8_S8_S8_S8_S8_S8_EEEEPS9_S9_NSD_9__find_if7functorIS9_EEEE10hipError_tPvRmT1_T2_T3_mT4_P12ihipStream_tbEUlT_E0_NS1_11comp_targetILNS1_3genE8ELNS1_11target_archE1030ELNS1_3gpuE2ELNS1_3repE0EEENS1_30default_config_static_selectorELNS0_4arch9wavefront6targetE0EEEvS14_
; %bb.0:
	.section	.rodata,"a",@progbits
	.p2align	6, 0x0
	.amdhsa_kernel _ZN7rocprim17ROCPRIM_400000_NS6detail17trampoline_kernelINS0_14default_configENS1_22reduce_config_selectorIN6thrust23THRUST_200600_302600_NS5tupleIblNS6_9null_typeES8_S8_S8_S8_S8_S8_S8_EEEEZNS1_11reduce_implILb1ES3_NS6_12zip_iteratorINS7_INS6_11hip_rocprim26transform_input_iterator_tIbNSD_35transform_pair_of_input_iterators_tIbNS6_6detail15normal_iteratorINS6_10device_ptrIKsEEEESL_NS6_8equal_toIsEEEENSG_9not_fun_tINSD_8identityEEEEENSD_19counting_iterator_tIlEES8_S8_S8_S8_S8_S8_S8_S8_EEEEPS9_S9_NSD_9__find_if7functorIS9_EEEE10hipError_tPvRmT1_T2_T3_mT4_P12ihipStream_tbEUlT_E0_NS1_11comp_targetILNS1_3genE8ELNS1_11target_archE1030ELNS1_3gpuE2ELNS1_3repE0EEENS1_30default_config_static_selectorELNS0_4arch9wavefront6targetE0EEEvS14_
		.amdhsa_group_segment_fixed_size 0
		.amdhsa_private_segment_fixed_size 0
		.amdhsa_kernarg_size 104
		.amdhsa_user_sgpr_count 15
		.amdhsa_user_sgpr_dispatch_ptr 0
		.amdhsa_user_sgpr_queue_ptr 0
		.amdhsa_user_sgpr_kernarg_segment_ptr 1
		.amdhsa_user_sgpr_dispatch_id 0
		.amdhsa_user_sgpr_private_segment_size 0
		.amdhsa_wavefront_size32 1
		.amdhsa_uses_dynamic_stack 0
		.amdhsa_enable_private_segment 0
		.amdhsa_system_sgpr_workgroup_id_x 1
		.amdhsa_system_sgpr_workgroup_id_y 0
		.amdhsa_system_sgpr_workgroup_id_z 0
		.amdhsa_system_sgpr_workgroup_info 0
		.amdhsa_system_vgpr_workitem_id 0
		.amdhsa_next_free_vgpr 1
		.amdhsa_next_free_sgpr 1
		.amdhsa_reserve_vcc 0
		.amdhsa_float_round_mode_32 0
		.amdhsa_float_round_mode_16_64 0
		.amdhsa_float_denorm_mode_32 3
		.amdhsa_float_denorm_mode_16_64 3
		.amdhsa_dx10_clamp 1
		.amdhsa_ieee_mode 1
		.amdhsa_fp16_overflow 0
		.amdhsa_workgroup_processor_mode 1
		.amdhsa_memory_ordered 1
		.amdhsa_forward_progress 0
		.amdhsa_shared_vgpr_count 0
		.amdhsa_exception_fp_ieee_invalid_op 0
		.amdhsa_exception_fp_denorm_src 0
		.amdhsa_exception_fp_ieee_div_zero 0
		.amdhsa_exception_fp_ieee_overflow 0
		.amdhsa_exception_fp_ieee_underflow 0
		.amdhsa_exception_fp_ieee_inexact 0
		.amdhsa_exception_int_div_zero 0
	.end_amdhsa_kernel
	.section	.text._ZN7rocprim17ROCPRIM_400000_NS6detail17trampoline_kernelINS0_14default_configENS1_22reduce_config_selectorIN6thrust23THRUST_200600_302600_NS5tupleIblNS6_9null_typeES8_S8_S8_S8_S8_S8_S8_EEEEZNS1_11reduce_implILb1ES3_NS6_12zip_iteratorINS7_INS6_11hip_rocprim26transform_input_iterator_tIbNSD_35transform_pair_of_input_iterators_tIbNS6_6detail15normal_iteratorINS6_10device_ptrIKsEEEESL_NS6_8equal_toIsEEEENSG_9not_fun_tINSD_8identityEEEEENSD_19counting_iterator_tIlEES8_S8_S8_S8_S8_S8_S8_S8_EEEEPS9_S9_NSD_9__find_if7functorIS9_EEEE10hipError_tPvRmT1_T2_T3_mT4_P12ihipStream_tbEUlT_E0_NS1_11comp_targetILNS1_3genE8ELNS1_11target_archE1030ELNS1_3gpuE2ELNS1_3repE0EEENS1_30default_config_static_selectorELNS0_4arch9wavefront6targetE0EEEvS14_,"axG",@progbits,_ZN7rocprim17ROCPRIM_400000_NS6detail17trampoline_kernelINS0_14default_configENS1_22reduce_config_selectorIN6thrust23THRUST_200600_302600_NS5tupleIblNS6_9null_typeES8_S8_S8_S8_S8_S8_S8_EEEEZNS1_11reduce_implILb1ES3_NS6_12zip_iteratorINS7_INS6_11hip_rocprim26transform_input_iterator_tIbNSD_35transform_pair_of_input_iterators_tIbNS6_6detail15normal_iteratorINS6_10device_ptrIKsEEEESL_NS6_8equal_toIsEEEENSG_9not_fun_tINSD_8identityEEEEENSD_19counting_iterator_tIlEES8_S8_S8_S8_S8_S8_S8_S8_EEEEPS9_S9_NSD_9__find_if7functorIS9_EEEE10hipError_tPvRmT1_T2_T3_mT4_P12ihipStream_tbEUlT_E0_NS1_11comp_targetILNS1_3genE8ELNS1_11target_archE1030ELNS1_3gpuE2ELNS1_3repE0EEENS1_30default_config_static_selectorELNS0_4arch9wavefront6targetE0EEEvS14_,comdat
.Lfunc_end877:
	.size	_ZN7rocprim17ROCPRIM_400000_NS6detail17trampoline_kernelINS0_14default_configENS1_22reduce_config_selectorIN6thrust23THRUST_200600_302600_NS5tupleIblNS6_9null_typeES8_S8_S8_S8_S8_S8_S8_EEEEZNS1_11reduce_implILb1ES3_NS6_12zip_iteratorINS7_INS6_11hip_rocprim26transform_input_iterator_tIbNSD_35transform_pair_of_input_iterators_tIbNS6_6detail15normal_iteratorINS6_10device_ptrIKsEEEESL_NS6_8equal_toIsEEEENSG_9not_fun_tINSD_8identityEEEEENSD_19counting_iterator_tIlEES8_S8_S8_S8_S8_S8_S8_S8_EEEEPS9_S9_NSD_9__find_if7functorIS9_EEEE10hipError_tPvRmT1_T2_T3_mT4_P12ihipStream_tbEUlT_E0_NS1_11comp_targetILNS1_3genE8ELNS1_11target_archE1030ELNS1_3gpuE2ELNS1_3repE0EEENS1_30default_config_static_selectorELNS0_4arch9wavefront6targetE0EEEvS14_, .Lfunc_end877-_ZN7rocprim17ROCPRIM_400000_NS6detail17trampoline_kernelINS0_14default_configENS1_22reduce_config_selectorIN6thrust23THRUST_200600_302600_NS5tupleIblNS6_9null_typeES8_S8_S8_S8_S8_S8_S8_EEEEZNS1_11reduce_implILb1ES3_NS6_12zip_iteratorINS7_INS6_11hip_rocprim26transform_input_iterator_tIbNSD_35transform_pair_of_input_iterators_tIbNS6_6detail15normal_iteratorINS6_10device_ptrIKsEEEESL_NS6_8equal_toIsEEEENSG_9not_fun_tINSD_8identityEEEEENSD_19counting_iterator_tIlEES8_S8_S8_S8_S8_S8_S8_S8_EEEEPS9_S9_NSD_9__find_if7functorIS9_EEEE10hipError_tPvRmT1_T2_T3_mT4_P12ihipStream_tbEUlT_E0_NS1_11comp_targetILNS1_3genE8ELNS1_11target_archE1030ELNS1_3gpuE2ELNS1_3repE0EEENS1_30default_config_static_selectorELNS0_4arch9wavefront6targetE0EEEvS14_
                                        ; -- End function
	.section	.AMDGPU.csdata,"",@progbits
; Kernel info:
; codeLenInByte = 0
; NumSgprs: 0
; NumVgprs: 0
; ScratchSize: 0
; MemoryBound: 0
; FloatMode: 240
; IeeeMode: 1
; LDSByteSize: 0 bytes/workgroup (compile time only)
; SGPRBlocks: 0
; VGPRBlocks: 0
; NumSGPRsForWavesPerEU: 1
; NumVGPRsForWavesPerEU: 1
; Occupancy: 16
; WaveLimiterHint : 0
; COMPUTE_PGM_RSRC2:SCRATCH_EN: 0
; COMPUTE_PGM_RSRC2:USER_SGPR: 15
; COMPUTE_PGM_RSRC2:TRAP_HANDLER: 0
; COMPUTE_PGM_RSRC2:TGID_X_EN: 1
; COMPUTE_PGM_RSRC2:TGID_Y_EN: 0
; COMPUTE_PGM_RSRC2:TGID_Z_EN: 0
; COMPUTE_PGM_RSRC2:TIDIG_COMP_CNT: 0
	.section	.text._ZN7rocprim17ROCPRIM_400000_NS6detail17trampoline_kernelINS0_14default_configENS1_22reduce_config_selectorIN6thrust23THRUST_200600_302600_NS5tupleIblNS6_9null_typeES8_S8_S8_S8_S8_S8_S8_EEEEZNS1_11reduce_implILb1ES3_NS6_12zip_iteratorINS7_INS6_11hip_rocprim26transform_input_iterator_tIbNSD_35transform_pair_of_input_iterators_tIbNS6_6detail15normal_iteratorINS6_10device_ptrIKsEEEESL_NS6_8equal_toIsEEEENSG_9not_fun_tINSD_8identityEEEEENSD_19counting_iterator_tIlEES8_S8_S8_S8_S8_S8_S8_S8_EEEEPS9_S9_NSD_9__find_if7functorIS9_EEEE10hipError_tPvRmT1_T2_T3_mT4_P12ihipStream_tbEUlT_E1_NS1_11comp_targetILNS1_3genE0ELNS1_11target_archE4294967295ELNS1_3gpuE0ELNS1_3repE0EEENS1_30default_config_static_selectorELNS0_4arch9wavefront6targetE0EEEvS14_,"axG",@progbits,_ZN7rocprim17ROCPRIM_400000_NS6detail17trampoline_kernelINS0_14default_configENS1_22reduce_config_selectorIN6thrust23THRUST_200600_302600_NS5tupleIblNS6_9null_typeES8_S8_S8_S8_S8_S8_S8_EEEEZNS1_11reduce_implILb1ES3_NS6_12zip_iteratorINS7_INS6_11hip_rocprim26transform_input_iterator_tIbNSD_35transform_pair_of_input_iterators_tIbNS6_6detail15normal_iteratorINS6_10device_ptrIKsEEEESL_NS6_8equal_toIsEEEENSG_9not_fun_tINSD_8identityEEEEENSD_19counting_iterator_tIlEES8_S8_S8_S8_S8_S8_S8_S8_EEEEPS9_S9_NSD_9__find_if7functorIS9_EEEE10hipError_tPvRmT1_T2_T3_mT4_P12ihipStream_tbEUlT_E1_NS1_11comp_targetILNS1_3genE0ELNS1_11target_archE4294967295ELNS1_3gpuE0ELNS1_3repE0EEENS1_30default_config_static_selectorELNS0_4arch9wavefront6targetE0EEEvS14_,comdat
	.protected	_ZN7rocprim17ROCPRIM_400000_NS6detail17trampoline_kernelINS0_14default_configENS1_22reduce_config_selectorIN6thrust23THRUST_200600_302600_NS5tupleIblNS6_9null_typeES8_S8_S8_S8_S8_S8_S8_EEEEZNS1_11reduce_implILb1ES3_NS6_12zip_iteratorINS7_INS6_11hip_rocprim26transform_input_iterator_tIbNSD_35transform_pair_of_input_iterators_tIbNS6_6detail15normal_iteratorINS6_10device_ptrIKsEEEESL_NS6_8equal_toIsEEEENSG_9not_fun_tINSD_8identityEEEEENSD_19counting_iterator_tIlEES8_S8_S8_S8_S8_S8_S8_S8_EEEEPS9_S9_NSD_9__find_if7functorIS9_EEEE10hipError_tPvRmT1_T2_T3_mT4_P12ihipStream_tbEUlT_E1_NS1_11comp_targetILNS1_3genE0ELNS1_11target_archE4294967295ELNS1_3gpuE0ELNS1_3repE0EEENS1_30default_config_static_selectorELNS0_4arch9wavefront6targetE0EEEvS14_ ; -- Begin function _ZN7rocprim17ROCPRIM_400000_NS6detail17trampoline_kernelINS0_14default_configENS1_22reduce_config_selectorIN6thrust23THRUST_200600_302600_NS5tupleIblNS6_9null_typeES8_S8_S8_S8_S8_S8_S8_EEEEZNS1_11reduce_implILb1ES3_NS6_12zip_iteratorINS7_INS6_11hip_rocprim26transform_input_iterator_tIbNSD_35transform_pair_of_input_iterators_tIbNS6_6detail15normal_iteratorINS6_10device_ptrIKsEEEESL_NS6_8equal_toIsEEEENSG_9not_fun_tINSD_8identityEEEEENSD_19counting_iterator_tIlEES8_S8_S8_S8_S8_S8_S8_S8_EEEEPS9_S9_NSD_9__find_if7functorIS9_EEEE10hipError_tPvRmT1_T2_T3_mT4_P12ihipStream_tbEUlT_E1_NS1_11comp_targetILNS1_3genE0ELNS1_11target_archE4294967295ELNS1_3gpuE0ELNS1_3repE0EEENS1_30default_config_static_selectorELNS0_4arch9wavefront6targetE0EEEvS14_
	.globl	_ZN7rocprim17ROCPRIM_400000_NS6detail17trampoline_kernelINS0_14default_configENS1_22reduce_config_selectorIN6thrust23THRUST_200600_302600_NS5tupleIblNS6_9null_typeES8_S8_S8_S8_S8_S8_S8_EEEEZNS1_11reduce_implILb1ES3_NS6_12zip_iteratorINS7_INS6_11hip_rocprim26transform_input_iterator_tIbNSD_35transform_pair_of_input_iterators_tIbNS6_6detail15normal_iteratorINS6_10device_ptrIKsEEEESL_NS6_8equal_toIsEEEENSG_9not_fun_tINSD_8identityEEEEENSD_19counting_iterator_tIlEES8_S8_S8_S8_S8_S8_S8_S8_EEEEPS9_S9_NSD_9__find_if7functorIS9_EEEE10hipError_tPvRmT1_T2_T3_mT4_P12ihipStream_tbEUlT_E1_NS1_11comp_targetILNS1_3genE0ELNS1_11target_archE4294967295ELNS1_3gpuE0ELNS1_3repE0EEENS1_30default_config_static_selectorELNS0_4arch9wavefront6targetE0EEEvS14_
	.p2align	8
	.type	_ZN7rocprim17ROCPRIM_400000_NS6detail17trampoline_kernelINS0_14default_configENS1_22reduce_config_selectorIN6thrust23THRUST_200600_302600_NS5tupleIblNS6_9null_typeES8_S8_S8_S8_S8_S8_S8_EEEEZNS1_11reduce_implILb1ES3_NS6_12zip_iteratorINS7_INS6_11hip_rocprim26transform_input_iterator_tIbNSD_35transform_pair_of_input_iterators_tIbNS6_6detail15normal_iteratorINS6_10device_ptrIKsEEEESL_NS6_8equal_toIsEEEENSG_9not_fun_tINSD_8identityEEEEENSD_19counting_iterator_tIlEES8_S8_S8_S8_S8_S8_S8_S8_EEEEPS9_S9_NSD_9__find_if7functorIS9_EEEE10hipError_tPvRmT1_T2_T3_mT4_P12ihipStream_tbEUlT_E1_NS1_11comp_targetILNS1_3genE0ELNS1_11target_archE4294967295ELNS1_3gpuE0ELNS1_3repE0EEENS1_30default_config_static_selectorELNS0_4arch9wavefront6targetE0EEEvS14_,@function
_ZN7rocprim17ROCPRIM_400000_NS6detail17trampoline_kernelINS0_14default_configENS1_22reduce_config_selectorIN6thrust23THRUST_200600_302600_NS5tupleIblNS6_9null_typeES8_S8_S8_S8_S8_S8_S8_EEEEZNS1_11reduce_implILb1ES3_NS6_12zip_iteratorINS7_INS6_11hip_rocprim26transform_input_iterator_tIbNSD_35transform_pair_of_input_iterators_tIbNS6_6detail15normal_iteratorINS6_10device_ptrIKsEEEESL_NS6_8equal_toIsEEEENSG_9not_fun_tINSD_8identityEEEEENSD_19counting_iterator_tIlEES8_S8_S8_S8_S8_S8_S8_S8_EEEEPS9_S9_NSD_9__find_if7functorIS9_EEEE10hipError_tPvRmT1_T2_T3_mT4_P12ihipStream_tbEUlT_E1_NS1_11comp_targetILNS1_3genE0ELNS1_11target_archE4294967295ELNS1_3gpuE0ELNS1_3repE0EEENS1_30default_config_static_selectorELNS0_4arch9wavefront6targetE0EEEvS14_: ; @_ZN7rocprim17ROCPRIM_400000_NS6detail17trampoline_kernelINS0_14default_configENS1_22reduce_config_selectorIN6thrust23THRUST_200600_302600_NS5tupleIblNS6_9null_typeES8_S8_S8_S8_S8_S8_S8_EEEEZNS1_11reduce_implILb1ES3_NS6_12zip_iteratorINS7_INS6_11hip_rocprim26transform_input_iterator_tIbNSD_35transform_pair_of_input_iterators_tIbNS6_6detail15normal_iteratorINS6_10device_ptrIKsEEEESL_NS6_8equal_toIsEEEENSG_9not_fun_tINSD_8identityEEEEENSD_19counting_iterator_tIlEES8_S8_S8_S8_S8_S8_S8_S8_EEEEPS9_S9_NSD_9__find_if7functorIS9_EEEE10hipError_tPvRmT1_T2_T3_mT4_P12ihipStream_tbEUlT_E1_NS1_11comp_targetILNS1_3genE0ELNS1_11target_archE4294967295ELNS1_3gpuE0ELNS1_3repE0EEENS1_30default_config_static_selectorELNS0_4arch9wavefront6targetE0EEEvS14_
; %bb.0:
	.section	.rodata,"a",@progbits
	.p2align	6, 0x0
	.amdhsa_kernel _ZN7rocprim17ROCPRIM_400000_NS6detail17trampoline_kernelINS0_14default_configENS1_22reduce_config_selectorIN6thrust23THRUST_200600_302600_NS5tupleIblNS6_9null_typeES8_S8_S8_S8_S8_S8_S8_EEEEZNS1_11reduce_implILb1ES3_NS6_12zip_iteratorINS7_INS6_11hip_rocprim26transform_input_iterator_tIbNSD_35transform_pair_of_input_iterators_tIbNS6_6detail15normal_iteratorINS6_10device_ptrIKsEEEESL_NS6_8equal_toIsEEEENSG_9not_fun_tINSD_8identityEEEEENSD_19counting_iterator_tIlEES8_S8_S8_S8_S8_S8_S8_S8_EEEEPS9_S9_NSD_9__find_if7functorIS9_EEEE10hipError_tPvRmT1_T2_T3_mT4_P12ihipStream_tbEUlT_E1_NS1_11comp_targetILNS1_3genE0ELNS1_11target_archE4294967295ELNS1_3gpuE0ELNS1_3repE0EEENS1_30default_config_static_selectorELNS0_4arch9wavefront6targetE0EEEvS14_
		.amdhsa_group_segment_fixed_size 0
		.amdhsa_private_segment_fixed_size 0
		.amdhsa_kernarg_size 88
		.amdhsa_user_sgpr_count 15
		.amdhsa_user_sgpr_dispatch_ptr 0
		.amdhsa_user_sgpr_queue_ptr 0
		.amdhsa_user_sgpr_kernarg_segment_ptr 1
		.amdhsa_user_sgpr_dispatch_id 0
		.amdhsa_user_sgpr_private_segment_size 0
		.amdhsa_wavefront_size32 1
		.amdhsa_uses_dynamic_stack 0
		.amdhsa_enable_private_segment 0
		.amdhsa_system_sgpr_workgroup_id_x 1
		.amdhsa_system_sgpr_workgroup_id_y 0
		.amdhsa_system_sgpr_workgroup_id_z 0
		.amdhsa_system_sgpr_workgroup_info 0
		.amdhsa_system_vgpr_workitem_id 0
		.amdhsa_next_free_vgpr 1
		.amdhsa_next_free_sgpr 1
		.amdhsa_reserve_vcc 0
		.amdhsa_float_round_mode_32 0
		.amdhsa_float_round_mode_16_64 0
		.amdhsa_float_denorm_mode_32 3
		.amdhsa_float_denorm_mode_16_64 3
		.amdhsa_dx10_clamp 1
		.amdhsa_ieee_mode 1
		.amdhsa_fp16_overflow 0
		.amdhsa_workgroup_processor_mode 1
		.amdhsa_memory_ordered 1
		.amdhsa_forward_progress 0
		.amdhsa_shared_vgpr_count 0
		.amdhsa_exception_fp_ieee_invalid_op 0
		.amdhsa_exception_fp_denorm_src 0
		.amdhsa_exception_fp_ieee_div_zero 0
		.amdhsa_exception_fp_ieee_overflow 0
		.amdhsa_exception_fp_ieee_underflow 0
		.amdhsa_exception_fp_ieee_inexact 0
		.amdhsa_exception_int_div_zero 0
	.end_amdhsa_kernel
	.section	.text._ZN7rocprim17ROCPRIM_400000_NS6detail17trampoline_kernelINS0_14default_configENS1_22reduce_config_selectorIN6thrust23THRUST_200600_302600_NS5tupleIblNS6_9null_typeES8_S8_S8_S8_S8_S8_S8_EEEEZNS1_11reduce_implILb1ES3_NS6_12zip_iteratorINS7_INS6_11hip_rocprim26transform_input_iterator_tIbNSD_35transform_pair_of_input_iterators_tIbNS6_6detail15normal_iteratorINS6_10device_ptrIKsEEEESL_NS6_8equal_toIsEEEENSG_9not_fun_tINSD_8identityEEEEENSD_19counting_iterator_tIlEES8_S8_S8_S8_S8_S8_S8_S8_EEEEPS9_S9_NSD_9__find_if7functorIS9_EEEE10hipError_tPvRmT1_T2_T3_mT4_P12ihipStream_tbEUlT_E1_NS1_11comp_targetILNS1_3genE0ELNS1_11target_archE4294967295ELNS1_3gpuE0ELNS1_3repE0EEENS1_30default_config_static_selectorELNS0_4arch9wavefront6targetE0EEEvS14_,"axG",@progbits,_ZN7rocprim17ROCPRIM_400000_NS6detail17trampoline_kernelINS0_14default_configENS1_22reduce_config_selectorIN6thrust23THRUST_200600_302600_NS5tupleIblNS6_9null_typeES8_S8_S8_S8_S8_S8_S8_EEEEZNS1_11reduce_implILb1ES3_NS6_12zip_iteratorINS7_INS6_11hip_rocprim26transform_input_iterator_tIbNSD_35transform_pair_of_input_iterators_tIbNS6_6detail15normal_iteratorINS6_10device_ptrIKsEEEESL_NS6_8equal_toIsEEEENSG_9not_fun_tINSD_8identityEEEEENSD_19counting_iterator_tIlEES8_S8_S8_S8_S8_S8_S8_S8_EEEEPS9_S9_NSD_9__find_if7functorIS9_EEEE10hipError_tPvRmT1_T2_T3_mT4_P12ihipStream_tbEUlT_E1_NS1_11comp_targetILNS1_3genE0ELNS1_11target_archE4294967295ELNS1_3gpuE0ELNS1_3repE0EEENS1_30default_config_static_selectorELNS0_4arch9wavefront6targetE0EEEvS14_,comdat
.Lfunc_end878:
	.size	_ZN7rocprim17ROCPRIM_400000_NS6detail17trampoline_kernelINS0_14default_configENS1_22reduce_config_selectorIN6thrust23THRUST_200600_302600_NS5tupleIblNS6_9null_typeES8_S8_S8_S8_S8_S8_S8_EEEEZNS1_11reduce_implILb1ES3_NS6_12zip_iteratorINS7_INS6_11hip_rocprim26transform_input_iterator_tIbNSD_35transform_pair_of_input_iterators_tIbNS6_6detail15normal_iteratorINS6_10device_ptrIKsEEEESL_NS6_8equal_toIsEEEENSG_9not_fun_tINSD_8identityEEEEENSD_19counting_iterator_tIlEES8_S8_S8_S8_S8_S8_S8_S8_EEEEPS9_S9_NSD_9__find_if7functorIS9_EEEE10hipError_tPvRmT1_T2_T3_mT4_P12ihipStream_tbEUlT_E1_NS1_11comp_targetILNS1_3genE0ELNS1_11target_archE4294967295ELNS1_3gpuE0ELNS1_3repE0EEENS1_30default_config_static_selectorELNS0_4arch9wavefront6targetE0EEEvS14_, .Lfunc_end878-_ZN7rocprim17ROCPRIM_400000_NS6detail17trampoline_kernelINS0_14default_configENS1_22reduce_config_selectorIN6thrust23THRUST_200600_302600_NS5tupleIblNS6_9null_typeES8_S8_S8_S8_S8_S8_S8_EEEEZNS1_11reduce_implILb1ES3_NS6_12zip_iteratorINS7_INS6_11hip_rocprim26transform_input_iterator_tIbNSD_35transform_pair_of_input_iterators_tIbNS6_6detail15normal_iteratorINS6_10device_ptrIKsEEEESL_NS6_8equal_toIsEEEENSG_9not_fun_tINSD_8identityEEEEENSD_19counting_iterator_tIlEES8_S8_S8_S8_S8_S8_S8_S8_EEEEPS9_S9_NSD_9__find_if7functorIS9_EEEE10hipError_tPvRmT1_T2_T3_mT4_P12ihipStream_tbEUlT_E1_NS1_11comp_targetILNS1_3genE0ELNS1_11target_archE4294967295ELNS1_3gpuE0ELNS1_3repE0EEENS1_30default_config_static_selectorELNS0_4arch9wavefront6targetE0EEEvS14_
                                        ; -- End function
	.section	.AMDGPU.csdata,"",@progbits
; Kernel info:
; codeLenInByte = 0
; NumSgprs: 0
; NumVgprs: 0
; ScratchSize: 0
; MemoryBound: 0
; FloatMode: 240
; IeeeMode: 1
; LDSByteSize: 0 bytes/workgroup (compile time only)
; SGPRBlocks: 0
; VGPRBlocks: 0
; NumSGPRsForWavesPerEU: 1
; NumVGPRsForWavesPerEU: 1
; Occupancy: 16
; WaveLimiterHint : 0
; COMPUTE_PGM_RSRC2:SCRATCH_EN: 0
; COMPUTE_PGM_RSRC2:USER_SGPR: 15
; COMPUTE_PGM_RSRC2:TRAP_HANDLER: 0
; COMPUTE_PGM_RSRC2:TGID_X_EN: 1
; COMPUTE_PGM_RSRC2:TGID_Y_EN: 0
; COMPUTE_PGM_RSRC2:TGID_Z_EN: 0
; COMPUTE_PGM_RSRC2:TIDIG_COMP_CNT: 0
	.section	.text._ZN7rocprim17ROCPRIM_400000_NS6detail17trampoline_kernelINS0_14default_configENS1_22reduce_config_selectorIN6thrust23THRUST_200600_302600_NS5tupleIblNS6_9null_typeES8_S8_S8_S8_S8_S8_S8_EEEEZNS1_11reduce_implILb1ES3_NS6_12zip_iteratorINS7_INS6_11hip_rocprim26transform_input_iterator_tIbNSD_35transform_pair_of_input_iterators_tIbNS6_6detail15normal_iteratorINS6_10device_ptrIKsEEEESL_NS6_8equal_toIsEEEENSG_9not_fun_tINSD_8identityEEEEENSD_19counting_iterator_tIlEES8_S8_S8_S8_S8_S8_S8_S8_EEEEPS9_S9_NSD_9__find_if7functorIS9_EEEE10hipError_tPvRmT1_T2_T3_mT4_P12ihipStream_tbEUlT_E1_NS1_11comp_targetILNS1_3genE5ELNS1_11target_archE942ELNS1_3gpuE9ELNS1_3repE0EEENS1_30default_config_static_selectorELNS0_4arch9wavefront6targetE0EEEvS14_,"axG",@progbits,_ZN7rocprim17ROCPRIM_400000_NS6detail17trampoline_kernelINS0_14default_configENS1_22reduce_config_selectorIN6thrust23THRUST_200600_302600_NS5tupleIblNS6_9null_typeES8_S8_S8_S8_S8_S8_S8_EEEEZNS1_11reduce_implILb1ES3_NS6_12zip_iteratorINS7_INS6_11hip_rocprim26transform_input_iterator_tIbNSD_35transform_pair_of_input_iterators_tIbNS6_6detail15normal_iteratorINS6_10device_ptrIKsEEEESL_NS6_8equal_toIsEEEENSG_9not_fun_tINSD_8identityEEEEENSD_19counting_iterator_tIlEES8_S8_S8_S8_S8_S8_S8_S8_EEEEPS9_S9_NSD_9__find_if7functorIS9_EEEE10hipError_tPvRmT1_T2_T3_mT4_P12ihipStream_tbEUlT_E1_NS1_11comp_targetILNS1_3genE5ELNS1_11target_archE942ELNS1_3gpuE9ELNS1_3repE0EEENS1_30default_config_static_selectorELNS0_4arch9wavefront6targetE0EEEvS14_,comdat
	.protected	_ZN7rocprim17ROCPRIM_400000_NS6detail17trampoline_kernelINS0_14default_configENS1_22reduce_config_selectorIN6thrust23THRUST_200600_302600_NS5tupleIblNS6_9null_typeES8_S8_S8_S8_S8_S8_S8_EEEEZNS1_11reduce_implILb1ES3_NS6_12zip_iteratorINS7_INS6_11hip_rocprim26transform_input_iterator_tIbNSD_35transform_pair_of_input_iterators_tIbNS6_6detail15normal_iteratorINS6_10device_ptrIKsEEEESL_NS6_8equal_toIsEEEENSG_9not_fun_tINSD_8identityEEEEENSD_19counting_iterator_tIlEES8_S8_S8_S8_S8_S8_S8_S8_EEEEPS9_S9_NSD_9__find_if7functorIS9_EEEE10hipError_tPvRmT1_T2_T3_mT4_P12ihipStream_tbEUlT_E1_NS1_11comp_targetILNS1_3genE5ELNS1_11target_archE942ELNS1_3gpuE9ELNS1_3repE0EEENS1_30default_config_static_selectorELNS0_4arch9wavefront6targetE0EEEvS14_ ; -- Begin function _ZN7rocprim17ROCPRIM_400000_NS6detail17trampoline_kernelINS0_14default_configENS1_22reduce_config_selectorIN6thrust23THRUST_200600_302600_NS5tupleIblNS6_9null_typeES8_S8_S8_S8_S8_S8_S8_EEEEZNS1_11reduce_implILb1ES3_NS6_12zip_iteratorINS7_INS6_11hip_rocprim26transform_input_iterator_tIbNSD_35transform_pair_of_input_iterators_tIbNS6_6detail15normal_iteratorINS6_10device_ptrIKsEEEESL_NS6_8equal_toIsEEEENSG_9not_fun_tINSD_8identityEEEEENSD_19counting_iterator_tIlEES8_S8_S8_S8_S8_S8_S8_S8_EEEEPS9_S9_NSD_9__find_if7functorIS9_EEEE10hipError_tPvRmT1_T2_T3_mT4_P12ihipStream_tbEUlT_E1_NS1_11comp_targetILNS1_3genE5ELNS1_11target_archE942ELNS1_3gpuE9ELNS1_3repE0EEENS1_30default_config_static_selectorELNS0_4arch9wavefront6targetE0EEEvS14_
	.globl	_ZN7rocprim17ROCPRIM_400000_NS6detail17trampoline_kernelINS0_14default_configENS1_22reduce_config_selectorIN6thrust23THRUST_200600_302600_NS5tupleIblNS6_9null_typeES8_S8_S8_S8_S8_S8_S8_EEEEZNS1_11reduce_implILb1ES3_NS6_12zip_iteratorINS7_INS6_11hip_rocprim26transform_input_iterator_tIbNSD_35transform_pair_of_input_iterators_tIbNS6_6detail15normal_iteratorINS6_10device_ptrIKsEEEESL_NS6_8equal_toIsEEEENSG_9not_fun_tINSD_8identityEEEEENSD_19counting_iterator_tIlEES8_S8_S8_S8_S8_S8_S8_S8_EEEEPS9_S9_NSD_9__find_if7functorIS9_EEEE10hipError_tPvRmT1_T2_T3_mT4_P12ihipStream_tbEUlT_E1_NS1_11comp_targetILNS1_3genE5ELNS1_11target_archE942ELNS1_3gpuE9ELNS1_3repE0EEENS1_30default_config_static_selectorELNS0_4arch9wavefront6targetE0EEEvS14_
	.p2align	8
	.type	_ZN7rocprim17ROCPRIM_400000_NS6detail17trampoline_kernelINS0_14default_configENS1_22reduce_config_selectorIN6thrust23THRUST_200600_302600_NS5tupleIblNS6_9null_typeES8_S8_S8_S8_S8_S8_S8_EEEEZNS1_11reduce_implILb1ES3_NS6_12zip_iteratorINS7_INS6_11hip_rocprim26transform_input_iterator_tIbNSD_35transform_pair_of_input_iterators_tIbNS6_6detail15normal_iteratorINS6_10device_ptrIKsEEEESL_NS6_8equal_toIsEEEENSG_9not_fun_tINSD_8identityEEEEENSD_19counting_iterator_tIlEES8_S8_S8_S8_S8_S8_S8_S8_EEEEPS9_S9_NSD_9__find_if7functorIS9_EEEE10hipError_tPvRmT1_T2_T3_mT4_P12ihipStream_tbEUlT_E1_NS1_11comp_targetILNS1_3genE5ELNS1_11target_archE942ELNS1_3gpuE9ELNS1_3repE0EEENS1_30default_config_static_selectorELNS0_4arch9wavefront6targetE0EEEvS14_,@function
_ZN7rocprim17ROCPRIM_400000_NS6detail17trampoline_kernelINS0_14default_configENS1_22reduce_config_selectorIN6thrust23THRUST_200600_302600_NS5tupleIblNS6_9null_typeES8_S8_S8_S8_S8_S8_S8_EEEEZNS1_11reduce_implILb1ES3_NS6_12zip_iteratorINS7_INS6_11hip_rocprim26transform_input_iterator_tIbNSD_35transform_pair_of_input_iterators_tIbNS6_6detail15normal_iteratorINS6_10device_ptrIKsEEEESL_NS6_8equal_toIsEEEENSG_9not_fun_tINSD_8identityEEEEENSD_19counting_iterator_tIlEES8_S8_S8_S8_S8_S8_S8_S8_EEEEPS9_S9_NSD_9__find_if7functorIS9_EEEE10hipError_tPvRmT1_T2_T3_mT4_P12ihipStream_tbEUlT_E1_NS1_11comp_targetILNS1_3genE5ELNS1_11target_archE942ELNS1_3gpuE9ELNS1_3repE0EEENS1_30default_config_static_selectorELNS0_4arch9wavefront6targetE0EEEvS14_: ; @_ZN7rocprim17ROCPRIM_400000_NS6detail17trampoline_kernelINS0_14default_configENS1_22reduce_config_selectorIN6thrust23THRUST_200600_302600_NS5tupleIblNS6_9null_typeES8_S8_S8_S8_S8_S8_S8_EEEEZNS1_11reduce_implILb1ES3_NS6_12zip_iteratorINS7_INS6_11hip_rocprim26transform_input_iterator_tIbNSD_35transform_pair_of_input_iterators_tIbNS6_6detail15normal_iteratorINS6_10device_ptrIKsEEEESL_NS6_8equal_toIsEEEENSG_9not_fun_tINSD_8identityEEEEENSD_19counting_iterator_tIlEES8_S8_S8_S8_S8_S8_S8_S8_EEEEPS9_S9_NSD_9__find_if7functorIS9_EEEE10hipError_tPvRmT1_T2_T3_mT4_P12ihipStream_tbEUlT_E1_NS1_11comp_targetILNS1_3genE5ELNS1_11target_archE942ELNS1_3gpuE9ELNS1_3repE0EEENS1_30default_config_static_selectorELNS0_4arch9wavefront6targetE0EEEvS14_
; %bb.0:
	.section	.rodata,"a",@progbits
	.p2align	6, 0x0
	.amdhsa_kernel _ZN7rocprim17ROCPRIM_400000_NS6detail17trampoline_kernelINS0_14default_configENS1_22reduce_config_selectorIN6thrust23THRUST_200600_302600_NS5tupleIblNS6_9null_typeES8_S8_S8_S8_S8_S8_S8_EEEEZNS1_11reduce_implILb1ES3_NS6_12zip_iteratorINS7_INS6_11hip_rocprim26transform_input_iterator_tIbNSD_35transform_pair_of_input_iterators_tIbNS6_6detail15normal_iteratorINS6_10device_ptrIKsEEEESL_NS6_8equal_toIsEEEENSG_9not_fun_tINSD_8identityEEEEENSD_19counting_iterator_tIlEES8_S8_S8_S8_S8_S8_S8_S8_EEEEPS9_S9_NSD_9__find_if7functorIS9_EEEE10hipError_tPvRmT1_T2_T3_mT4_P12ihipStream_tbEUlT_E1_NS1_11comp_targetILNS1_3genE5ELNS1_11target_archE942ELNS1_3gpuE9ELNS1_3repE0EEENS1_30default_config_static_selectorELNS0_4arch9wavefront6targetE0EEEvS14_
		.amdhsa_group_segment_fixed_size 0
		.amdhsa_private_segment_fixed_size 0
		.amdhsa_kernarg_size 88
		.amdhsa_user_sgpr_count 15
		.amdhsa_user_sgpr_dispatch_ptr 0
		.amdhsa_user_sgpr_queue_ptr 0
		.amdhsa_user_sgpr_kernarg_segment_ptr 1
		.amdhsa_user_sgpr_dispatch_id 0
		.amdhsa_user_sgpr_private_segment_size 0
		.amdhsa_wavefront_size32 1
		.amdhsa_uses_dynamic_stack 0
		.amdhsa_enable_private_segment 0
		.amdhsa_system_sgpr_workgroup_id_x 1
		.amdhsa_system_sgpr_workgroup_id_y 0
		.amdhsa_system_sgpr_workgroup_id_z 0
		.amdhsa_system_sgpr_workgroup_info 0
		.amdhsa_system_vgpr_workitem_id 0
		.amdhsa_next_free_vgpr 1
		.amdhsa_next_free_sgpr 1
		.amdhsa_reserve_vcc 0
		.amdhsa_float_round_mode_32 0
		.amdhsa_float_round_mode_16_64 0
		.amdhsa_float_denorm_mode_32 3
		.amdhsa_float_denorm_mode_16_64 3
		.amdhsa_dx10_clamp 1
		.amdhsa_ieee_mode 1
		.amdhsa_fp16_overflow 0
		.amdhsa_workgroup_processor_mode 1
		.amdhsa_memory_ordered 1
		.amdhsa_forward_progress 0
		.amdhsa_shared_vgpr_count 0
		.amdhsa_exception_fp_ieee_invalid_op 0
		.amdhsa_exception_fp_denorm_src 0
		.amdhsa_exception_fp_ieee_div_zero 0
		.amdhsa_exception_fp_ieee_overflow 0
		.amdhsa_exception_fp_ieee_underflow 0
		.amdhsa_exception_fp_ieee_inexact 0
		.amdhsa_exception_int_div_zero 0
	.end_amdhsa_kernel
	.section	.text._ZN7rocprim17ROCPRIM_400000_NS6detail17trampoline_kernelINS0_14default_configENS1_22reduce_config_selectorIN6thrust23THRUST_200600_302600_NS5tupleIblNS6_9null_typeES8_S8_S8_S8_S8_S8_S8_EEEEZNS1_11reduce_implILb1ES3_NS6_12zip_iteratorINS7_INS6_11hip_rocprim26transform_input_iterator_tIbNSD_35transform_pair_of_input_iterators_tIbNS6_6detail15normal_iteratorINS6_10device_ptrIKsEEEESL_NS6_8equal_toIsEEEENSG_9not_fun_tINSD_8identityEEEEENSD_19counting_iterator_tIlEES8_S8_S8_S8_S8_S8_S8_S8_EEEEPS9_S9_NSD_9__find_if7functorIS9_EEEE10hipError_tPvRmT1_T2_T3_mT4_P12ihipStream_tbEUlT_E1_NS1_11comp_targetILNS1_3genE5ELNS1_11target_archE942ELNS1_3gpuE9ELNS1_3repE0EEENS1_30default_config_static_selectorELNS0_4arch9wavefront6targetE0EEEvS14_,"axG",@progbits,_ZN7rocprim17ROCPRIM_400000_NS6detail17trampoline_kernelINS0_14default_configENS1_22reduce_config_selectorIN6thrust23THRUST_200600_302600_NS5tupleIblNS6_9null_typeES8_S8_S8_S8_S8_S8_S8_EEEEZNS1_11reduce_implILb1ES3_NS6_12zip_iteratorINS7_INS6_11hip_rocprim26transform_input_iterator_tIbNSD_35transform_pair_of_input_iterators_tIbNS6_6detail15normal_iteratorINS6_10device_ptrIKsEEEESL_NS6_8equal_toIsEEEENSG_9not_fun_tINSD_8identityEEEEENSD_19counting_iterator_tIlEES8_S8_S8_S8_S8_S8_S8_S8_EEEEPS9_S9_NSD_9__find_if7functorIS9_EEEE10hipError_tPvRmT1_T2_T3_mT4_P12ihipStream_tbEUlT_E1_NS1_11comp_targetILNS1_3genE5ELNS1_11target_archE942ELNS1_3gpuE9ELNS1_3repE0EEENS1_30default_config_static_selectorELNS0_4arch9wavefront6targetE0EEEvS14_,comdat
.Lfunc_end879:
	.size	_ZN7rocprim17ROCPRIM_400000_NS6detail17trampoline_kernelINS0_14default_configENS1_22reduce_config_selectorIN6thrust23THRUST_200600_302600_NS5tupleIblNS6_9null_typeES8_S8_S8_S8_S8_S8_S8_EEEEZNS1_11reduce_implILb1ES3_NS6_12zip_iteratorINS7_INS6_11hip_rocprim26transform_input_iterator_tIbNSD_35transform_pair_of_input_iterators_tIbNS6_6detail15normal_iteratorINS6_10device_ptrIKsEEEESL_NS6_8equal_toIsEEEENSG_9not_fun_tINSD_8identityEEEEENSD_19counting_iterator_tIlEES8_S8_S8_S8_S8_S8_S8_S8_EEEEPS9_S9_NSD_9__find_if7functorIS9_EEEE10hipError_tPvRmT1_T2_T3_mT4_P12ihipStream_tbEUlT_E1_NS1_11comp_targetILNS1_3genE5ELNS1_11target_archE942ELNS1_3gpuE9ELNS1_3repE0EEENS1_30default_config_static_selectorELNS0_4arch9wavefront6targetE0EEEvS14_, .Lfunc_end879-_ZN7rocprim17ROCPRIM_400000_NS6detail17trampoline_kernelINS0_14default_configENS1_22reduce_config_selectorIN6thrust23THRUST_200600_302600_NS5tupleIblNS6_9null_typeES8_S8_S8_S8_S8_S8_S8_EEEEZNS1_11reduce_implILb1ES3_NS6_12zip_iteratorINS7_INS6_11hip_rocprim26transform_input_iterator_tIbNSD_35transform_pair_of_input_iterators_tIbNS6_6detail15normal_iteratorINS6_10device_ptrIKsEEEESL_NS6_8equal_toIsEEEENSG_9not_fun_tINSD_8identityEEEEENSD_19counting_iterator_tIlEES8_S8_S8_S8_S8_S8_S8_S8_EEEEPS9_S9_NSD_9__find_if7functorIS9_EEEE10hipError_tPvRmT1_T2_T3_mT4_P12ihipStream_tbEUlT_E1_NS1_11comp_targetILNS1_3genE5ELNS1_11target_archE942ELNS1_3gpuE9ELNS1_3repE0EEENS1_30default_config_static_selectorELNS0_4arch9wavefront6targetE0EEEvS14_
                                        ; -- End function
	.section	.AMDGPU.csdata,"",@progbits
; Kernel info:
; codeLenInByte = 0
; NumSgprs: 0
; NumVgprs: 0
; ScratchSize: 0
; MemoryBound: 0
; FloatMode: 240
; IeeeMode: 1
; LDSByteSize: 0 bytes/workgroup (compile time only)
; SGPRBlocks: 0
; VGPRBlocks: 0
; NumSGPRsForWavesPerEU: 1
; NumVGPRsForWavesPerEU: 1
; Occupancy: 16
; WaveLimiterHint : 0
; COMPUTE_PGM_RSRC2:SCRATCH_EN: 0
; COMPUTE_PGM_RSRC2:USER_SGPR: 15
; COMPUTE_PGM_RSRC2:TRAP_HANDLER: 0
; COMPUTE_PGM_RSRC2:TGID_X_EN: 1
; COMPUTE_PGM_RSRC2:TGID_Y_EN: 0
; COMPUTE_PGM_RSRC2:TGID_Z_EN: 0
; COMPUTE_PGM_RSRC2:TIDIG_COMP_CNT: 0
	.section	.text._ZN7rocprim17ROCPRIM_400000_NS6detail17trampoline_kernelINS0_14default_configENS1_22reduce_config_selectorIN6thrust23THRUST_200600_302600_NS5tupleIblNS6_9null_typeES8_S8_S8_S8_S8_S8_S8_EEEEZNS1_11reduce_implILb1ES3_NS6_12zip_iteratorINS7_INS6_11hip_rocprim26transform_input_iterator_tIbNSD_35transform_pair_of_input_iterators_tIbNS6_6detail15normal_iteratorINS6_10device_ptrIKsEEEESL_NS6_8equal_toIsEEEENSG_9not_fun_tINSD_8identityEEEEENSD_19counting_iterator_tIlEES8_S8_S8_S8_S8_S8_S8_S8_EEEEPS9_S9_NSD_9__find_if7functorIS9_EEEE10hipError_tPvRmT1_T2_T3_mT4_P12ihipStream_tbEUlT_E1_NS1_11comp_targetILNS1_3genE4ELNS1_11target_archE910ELNS1_3gpuE8ELNS1_3repE0EEENS1_30default_config_static_selectorELNS0_4arch9wavefront6targetE0EEEvS14_,"axG",@progbits,_ZN7rocprim17ROCPRIM_400000_NS6detail17trampoline_kernelINS0_14default_configENS1_22reduce_config_selectorIN6thrust23THRUST_200600_302600_NS5tupleIblNS6_9null_typeES8_S8_S8_S8_S8_S8_S8_EEEEZNS1_11reduce_implILb1ES3_NS6_12zip_iteratorINS7_INS6_11hip_rocprim26transform_input_iterator_tIbNSD_35transform_pair_of_input_iterators_tIbNS6_6detail15normal_iteratorINS6_10device_ptrIKsEEEESL_NS6_8equal_toIsEEEENSG_9not_fun_tINSD_8identityEEEEENSD_19counting_iterator_tIlEES8_S8_S8_S8_S8_S8_S8_S8_EEEEPS9_S9_NSD_9__find_if7functorIS9_EEEE10hipError_tPvRmT1_T2_T3_mT4_P12ihipStream_tbEUlT_E1_NS1_11comp_targetILNS1_3genE4ELNS1_11target_archE910ELNS1_3gpuE8ELNS1_3repE0EEENS1_30default_config_static_selectorELNS0_4arch9wavefront6targetE0EEEvS14_,comdat
	.protected	_ZN7rocprim17ROCPRIM_400000_NS6detail17trampoline_kernelINS0_14default_configENS1_22reduce_config_selectorIN6thrust23THRUST_200600_302600_NS5tupleIblNS6_9null_typeES8_S8_S8_S8_S8_S8_S8_EEEEZNS1_11reduce_implILb1ES3_NS6_12zip_iteratorINS7_INS6_11hip_rocprim26transform_input_iterator_tIbNSD_35transform_pair_of_input_iterators_tIbNS6_6detail15normal_iteratorINS6_10device_ptrIKsEEEESL_NS6_8equal_toIsEEEENSG_9not_fun_tINSD_8identityEEEEENSD_19counting_iterator_tIlEES8_S8_S8_S8_S8_S8_S8_S8_EEEEPS9_S9_NSD_9__find_if7functorIS9_EEEE10hipError_tPvRmT1_T2_T3_mT4_P12ihipStream_tbEUlT_E1_NS1_11comp_targetILNS1_3genE4ELNS1_11target_archE910ELNS1_3gpuE8ELNS1_3repE0EEENS1_30default_config_static_selectorELNS0_4arch9wavefront6targetE0EEEvS14_ ; -- Begin function _ZN7rocprim17ROCPRIM_400000_NS6detail17trampoline_kernelINS0_14default_configENS1_22reduce_config_selectorIN6thrust23THRUST_200600_302600_NS5tupleIblNS6_9null_typeES8_S8_S8_S8_S8_S8_S8_EEEEZNS1_11reduce_implILb1ES3_NS6_12zip_iteratorINS7_INS6_11hip_rocprim26transform_input_iterator_tIbNSD_35transform_pair_of_input_iterators_tIbNS6_6detail15normal_iteratorINS6_10device_ptrIKsEEEESL_NS6_8equal_toIsEEEENSG_9not_fun_tINSD_8identityEEEEENSD_19counting_iterator_tIlEES8_S8_S8_S8_S8_S8_S8_S8_EEEEPS9_S9_NSD_9__find_if7functorIS9_EEEE10hipError_tPvRmT1_T2_T3_mT4_P12ihipStream_tbEUlT_E1_NS1_11comp_targetILNS1_3genE4ELNS1_11target_archE910ELNS1_3gpuE8ELNS1_3repE0EEENS1_30default_config_static_selectorELNS0_4arch9wavefront6targetE0EEEvS14_
	.globl	_ZN7rocprim17ROCPRIM_400000_NS6detail17trampoline_kernelINS0_14default_configENS1_22reduce_config_selectorIN6thrust23THRUST_200600_302600_NS5tupleIblNS6_9null_typeES8_S8_S8_S8_S8_S8_S8_EEEEZNS1_11reduce_implILb1ES3_NS6_12zip_iteratorINS7_INS6_11hip_rocprim26transform_input_iterator_tIbNSD_35transform_pair_of_input_iterators_tIbNS6_6detail15normal_iteratorINS6_10device_ptrIKsEEEESL_NS6_8equal_toIsEEEENSG_9not_fun_tINSD_8identityEEEEENSD_19counting_iterator_tIlEES8_S8_S8_S8_S8_S8_S8_S8_EEEEPS9_S9_NSD_9__find_if7functorIS9_EEEE10hipError_tPvRmT1_T2_T3_mT4_P12ihipStream_tbEUlT_E1_NS1_11comp_targetILNS1_3genE4ELNS1_11target_archE910ELNS1_3gpuE8ELNS1_3repE0EEENS1_30default_config_static_selectorELNS0_4arch9wavefront6targetE0EEEvS14_
	.p2align	8
	.type	_ZN7rocprim17ROCPRIM_400000_NS6detail17trampoline_kernelINS0_14default_configENS1_22reduce_config_selectorIN6thrust23THRUST_200600_302600_NS5tupleIblNS6_9null_typeES8_S8_S8_S8_S8_S8_S8_EEEEZNS1_11reduce_implILb1ES3_NS6_12zip_iteratorINS7_INS6_11hip_rocprim26transform_input_iterator_tIbNSD_35transform_pair_of_input_iterators_tIbNS6_6detail15normal_iteratorINS6_10device_ptrIKsEEEESL_NS6_8equal_toIsEEEENSG_9not_fun_tINSD_8identityEEEEENSD_19counting_iterator_tIlEES8_S8_S8_S8_S8_S8_S8_S8_EEEEPS9_S9_NSD_9__find_if7functorIS9_EEEE10hipError_tPvRmT1_T2_T3_mT4_P12ihipStream_tbEUlT_E1_NS1_11comp_targetILNS1_3genE4ELNS1_11target_archE910ELNS1_3gpuE8ELNS1_3repE0EEENS1_30default_config_static_selectorELNS0_4arch9wavefront6targetE0EEEvS14_,@function
_ZN7rocprim17ROCPRIM_400000_NS6detail17trampoline_kernelINS0_14default_configENS1_22reduce_config_selectorIN6thrust23THRUST_200600_302600_NS5tupleIblNS6_9null_typeES8_S8_S8_S8_S8_S8_S8_EEEEZNS1_11reduce_implILb1ES3_NS6_12zip_iteratorINS7_INS6_11hip_rocprim26transform_input_iterator_tIbNSD_35transform_pair_of_input_iterators_tIbNS6_6detail15normal_iteratorINS6_10device_ptrIKsEEEESL_NS6_8equal_toIsEEEENSG_9not_fun_tINSD_8identityEEEEENSD_19counting_iterator_tIlEES8_S8_S8_S8_S8_S8_S8_S8_EEEEPS9_S9_NSD_9__find_if7functorIS9_EEEE10hipError_tPvRmT1_T2_T3_mT4_P12ihipStream_tbEUlT_E1_NS1_11comp_targetILNS1_3genE4ELNS1_11target_archE910ELNS1_3gpuE8ELNS1_3repE0EEENS1_30default_config_static_selectorELNS0_4arch9wavefront6targetE0EEEvS14_: ; @_ZN7rocprim17ROCPRIM_400000_NS6detail17trampoline_kernelINS0_14default_configENS1_22reduce_config_selectorIN6thrust23THRUST_200600_302600_NS5tupleIblNS6_9null_typeES8_S8_S8_S8_S8_S8_S8_EEEEZNS1_11reduce_implILb1ES3_NS6_12zip_iteratorINS7_INS6_11hip_rocprim26transform_input_iterator_tIbNSD_35transform_pair_of_input_iterators_tIbNS6_6detail15normal_iteratorINS6_10device_ptrIKsEEEESL_NS6_8equal_toIsEEEENSG_9not_fun_tINSD_8identityEEEEENSD_19counting_iterator_tIlEES8_S8_S8_S8_S8_S8_S8_S8_EEEEPS9_S9_NSD_9__find_if7functorIS9_EEEE10hipError_tPvRmT1_T2_T3_mT4_P12ihipStream_tbEUlT_E1_NS1_11comp_targetILNS1_3genE4ELNS1_11target_archE910ELNS1_3gpuE8ELNS1_3repE0EEENS1_30default_config_static_selectorELNS0_4arch9wavefront6targetE0EEEvS14_
; %bb.0:
	.section	.rodata,"a",@progbits
	.p2align	6, 0x0
	.amdhsa_kernel _ZN7rocprim17ROCPRIM_400000_NS6detail17trampoline_kernelINS0_14default_configENS1_22reduce_config_selectorIN6thrust23THRUST_200600_302600_NS5tupleIblNS6_9null_typeES8_S8_S8_S8_S8_S8_S8_EEEEZNS1_11reduce_implILb1ES3_NS6_12zip_iteratorINS7_INS6_11hip_rocprim26transform_input_iterator_tIbNSD_35transform_pair_of_input_iterators_tIbNS6_6detail15normal_iteratorINS6_10device_ptrIKsEEEESL_NS6_8equal_toIsEEEENSG_9not_fun_tINSD_8identityEEEEENSD_19counting_iterator_tIlEES8_S8_S8_S8_S8_S8_S8_S8_EEEEPS9_S9_NSD_9__find_if7functorIS9_EEEE10hipError_tPvRmT1_T2_T3_mT4_P12ihipStream_tbEUlT_E1_NS1_11comp_targetILNS1_3genE4ELNS1_11target_archE910ELNS1_3gpuE8ELNS1_3repE0EEENS1_30default_config_static_selectorELNS0_4arch9wavefront6targetE0EEEvS14_
		.amdhsa_group_segment_fixed_size 0
		.amdhsa_private_segment_fixed_size 0
		.amdhsa_kernarg_size 88
		.amdhsa_user_sgpr_count 15
		.amdhsa_user_sgpr_dispatch_ptr 0
		.amdhsa_user_sgpr_queue_ptr 0
		.amdhsa_user_sgpr_kernarg_segment_ptr 1
		.amdhsa_user_sgpr_dispatch_id 0
		.amdhsa_user_sgpr_private_segment_size 0
		.amdhsa_wavefront_size32 1
		.amdhsa_uses_dynamic_stack 0
		.amdhsa_enable_private_segment 0
		.amdhsa_system_sgpr_workgroup_id_x 1
		.amdhsa_system_sgpr_workgroup_id_y 0
		.amdhsa_system_sgpr_workgroup_id_z 0
		.amdhsa_system_sgpr_workgroup_info 0
		.amdhsa_system_vgpr_workitem_id 0
		.amdhsa_next_free_vgpr 1
		.amdhsa_next_free_sgpr 1
		.amdhsa_reserve_vcc 0
		.amdhsa_float_round_mode_32 0
		.amdhsa_float_round_mode_16_64 0
		.amdhsa_float_denorm_mode_32 3
		.amdhsa_float_denorm_mode_16_64 3
		.amdhsa_dx10_clamp 1
		.amdhsa_ieee_mode 1
		.amdhsa_fp16_overflow 0
		.amdhsa_workgroup_processor_mode 1
		.amdhsa_memory_ordered 1
		.amdhsa_forward_progress 0
		.amdhsa_shared_vgpr_count 0
		.amdhsa_exception_fp_ieee_invalid_op 0
		.amdhsa_exception_fp_denorm_src 0
		.amdhsa_exception_fp_ieee_div_zero 0
		.amdhsa_exception_fp_ieee_overflow 0
		.amdhsa_exception_fp_ieee_underflow 0
		.amdhsa_exception_fp_ieee_inexact 0
		.amdhsa_exception_int_div_zero 0
	.end_amdhsa_kernel
	.section	.text._ZN7rocprim17ROCPRIM_400000_NS6detail17trampoline_kernelINS0_14default_configENS1_22reduce_config_selectorIN6thrust23THRUST_200600_302600_NS5tupleIblNS6_9null_typeES8_S8_S8_S8_S8_S8_S8_EEEEZNS1_11reduce_implILb1ES3_NS6_12zip_iteratorINS7_INS6_11hip_rocprim26transform_input_iterator_tIbNSD_35transform_pair_of_input_iterators_tIbNS6_6detail15normal_iteratorINS6_10device_ptrIKsEEEESL_NS6_8equal_toIsEEEENSG_9not_fun_tINSD_8identityEEEEENSD_19counting_iterator_tIlEES8_S8_S8_S8_S8_S8_S8_S8_EEEEPS9_S9_NSD_9__find_if7functorIS9_EEEE10hipError_tPvRmT1_T2_T3_mT4_P12ihipStream_tbEUlT_E1_NS1_11comp_targetILNS1_3genE4ELNS1_11target_archE910ELNS1_3gpuE8ELNS1_3repE0EEENS1_30default_config_static_selectorELNS0_4arch9wavefront6targetE0EEEvS14_,"axG",@progbits,_ZN7rocprim17ROCPRIM_400000_NS6detail17trampoline_kernelINS0_14default_configENS1_22reduce_config_selectorIN6thrust23THRUST_200600_302600_NS5tupleIblNS6_9null_typeES8_S8_S8_S8_S8_S8_S8_EEEEZNS1_11reduce_implILb1ES3_NS6_12zip_iteratorINS7_INS6_11hip_rocprim26transform_input_iterator_tIbNSD_35transform_pair_of_input_iterators_tIbNS6_6detail15normal_iteratorINS6_10device_ptrIKsEEEESL_NS6_8equal_toIsEEEENSG_9not_fun_tINSD_8identityEEEEENSD_19counting_iterator_tIlEES8_S8_S8_S8_S8_S8_S8_S8_EEEEPS9_S9_NSD_9__find_if7functorIS9_EEEE10hipError_tPvRmT1_T2_T3_mT4_P12ihipStream_tbEUlT_E1_NS1_11comp_targetILNS1_3genE4ELNS1_11target_archE910ELNS1_3gpuE8ELNS1_3repE0EEENS1_30default_config_static_selectorELNS0_4arch9wavefront6targetE0EEEvS14_,comdat
.Lfunc_end880:
	.size	_ZN7rocprim17ROCPRIM_400000_NS6detail17trampoline_kernelINS0_14default_configENS1_22reduce_config_selectorIN6thrust23THRUST_200600_302600_NS5tupleIblNS6_9null_typeES8_S8_S8_S8_S8_S8_S8_EEEEZNS1_11reduce_implILb1ES3_NS6_12zip_iteratorINS7_INS6_11hip_rocprim26transform_input_iterator_tIbNSD_35transform_pair_of_input_iterators_tIbNS6_6detail15normal_iteratorINS6_10device_ptrIKsEEEESL_NS6_8equal_toIsEEEENSG_9not_fun_tINSD_8identityEEEEENSD_19counting_iterator_tIlEES8_S8_S8_S8_S8_S8_S8_S8_EEEEPS9_S9_NSD_9__find_if7functorIS9_EEEE10hipError_tPvRmT1_T2_T3_mT4_P12ihipStream_tbEUlT_E1_NS1_11comp_targetILNS1_3genE4ELNS1_11target_archE910ELNS1_3gpuE8ELNS1_3repE0EEENS1_30default_config_static_selectorELNS0_4arch9wavefront6targetE0EEEvS14_, .Lfunc_end880-_ZN7rocprim17ROCPRIM_400000_NS6detail17trampoline_kernelINS0_14default_configENS1_22reduce_config_selectorIN6thrust23THRUST_200600_302600_NS5tupleIblNS6_9null_typeES8_S8_S8_S8_S8_S8_S8_EEEEZNS1_11reduce_implILb1ES3_NS6_12zip_iteratorINS7_INS6_11hip_rocprim26transform_input_iterator_tIbNSD_35transform_pair_of_input_iterators_tIbNS6_6detail15normal_iteratorINS6_10device_ptrIKsEEEESL_NS6_8equal_toIsEEEENSG_9not_fun_tINSD_8identityEEEEENSD_19counting_iterator_tIlEES8_S8_S8_S8_S8_S8_S8_S8_EEEEPS9_S9_NSD_9__find_if7functorIS9_EEEE10hipError_tPvRmT1_T2_T3_mT4_P12ihipStream_tbEUlT_E1_NS1_11comp_targetILNS1_3genE4ELNS1_11target_archE910ELNS1_3gpuE8ELNS1_3repE0EEENS1_30default_config_static_selectorELNS0_4arch9wavefront6targetE0EEEvS14_
                                        ; -- End function
	.section	.AMDGPU.csdata,"",@progbits
; Kernel info:
; codeLenInByte = 0
; NumSgprs: 0
; NumVgprs: 0
; ScratchSize: 0
; MemoryBound: 0
; FloatMode: 240
; IeeeMode: 1
; LDSByteSize: 0 bytes/workgroup (compile time only)
; SGPRBlocks: 0
; VGPRBlocks: 0
; NumSGPRsForWavesPerEU: 1
; NumVGPRsForWavesPerEU: 1
; Occupancy: 16
; WaveLimiterHint : 0
; COMPUTE_PGM_RSRC2:SCRATCH_EN: 0
; COMPUTE_PGM_RSRC2:USER_SGPR: 15
; COMPUTE_PGM_RSRC2:TRAP_HANDLER: 0
; COMPUTE_PGM_RSRC2:TGID_X_EN: 1
; COMPUTE_PGM_RSRC2:TGID_Y_EN: 0
; COMPUTE_PGM_RSRC2:TGID_Z_EN: 0
; COMPUTE_PGM_RSRC2:TIDIG_COMP_CNT: 0
	.section	.text._ZN7rocprim17ROCPRIM_400000_NS6detail17trampoline_kernelINS0_14default_configENS1_22reduce_config_selectorIN6thrust23THRUST_200600_302600_NS5tupleIblNS6_9null_typeES8_S8_S8_S8_S8_S8_S8_EEEEZNS1_11reduce_implILb1ES3_NS6_12zip_iteratorINS7_INS6_11hip_rocprim26transform_input_iterator_tIbNSD_35transform_pair_of_input_iterators_tIbNS6_6detail15normal_iteratorINS6_10device_ptrIKsEEEESL_NS6_8equal_toIsEEEENSG_9not_fun_tINSD_8identityEEEEENSD_19counting_iterator_tIlEES8_S8_S8_S8_S8_S8_S8_S8_EEEEPS9_S9_NSD_9__find_if7functorIS9_EEEE10hipError_tPvRmT1_T2_T3_mT4_P12ihipStream_tbEUlT_E1_NS1_11comp_targetILNS1_3genE3ELNS1_11target_archE908ELNS1_3gpuE7ELNS1_3repE0EEENS1_30default_config_static_selectorELNS0_4arch9wavefront6targetE0EEEvS14_,"axG",@progbits,_ZN7rocprim17ROCPRIM_400000_NS6detail17trampoline_kernelINS0_14default_configENS1_22reduce_config_selectorIN6thrust23THRUST_200600_302600_NS5tupleIblNS6_9null_typeES8_S8_S8_S8_S8_S8_S8_EEEEZNS1_11reduce_implILb1ES3_NS6_12zip_iteratorINS7_INS6_11hip_rocprim26transform_input_iterator_tIbNSD_35transform_pair_of_input_iterators_tIbNS6_6detail15normal_iteratorINS6_10device_ptrIKsEEEESL_NS6_8equal_toIsEEEENSG_9not_fun_tINSD_8identityEEEEENSD_19counting_iterator_tIlEES8_S8_S8_S8_S8_S8_S8_S8_EEEEPS9_S9_NSD_9__find_if7functorIS9_EEEE10hipError_tPvRmT1_T2_T3_mT4_P12ihipStream_tbEUlT_E1_NS1_11comp_targetILNS1_3genE3ELNS1_11target_archE908ELNS1_3gpuE7ELNS1_3repE0EEENS1_30default_config_static_selectorELNS0_4arch9wavefront6targetE0EEEvS14_,comdat
	.protected	_ZN7rocprim17ROCPRIM_400000_NS6detail17trampoline_kernelINS0_14default_configENS1_22reduce_config_selectorIN6thrust23THRUST_200600_302600_NS5tupleIblNS6_9null_typeES8_S8_S8_S8_S8_S8_S8_EEEEZNS1_11reduce_implILb1ES3_NS6_12zip_iteratorINS7_INS6_11hip_rocprim26transform_input_iterator_tIbNSD_35transform_pair_of_input_iterators_tIbNS6_6detail15normal_iteratorINS6_10device_ptrIKsEEEESL_NS6_8equal_toIsEEEENSG_9not_fun_tINSD_8identityEEEEENSD_19counting_iterator_tIlEES8_S8_S8_S8_S8_S8_S8_S8_EEEEPS9_S9_NSD_9__find_if7functorIS9_EEEE10hipError_tPvRmT1_T2_T3_mT4_P12ihipStream_tbEUlT_E1_NS1_11comp_targetILNS1_3genE3ELNS1_11target_archE908ELNS1_3gpuE7ELNS1_3repE0EEENS1_30default_config_static_selectorELNS0_4arch9wavefront6targetE0EEEvS14_ ; -- Begin function _ZN7rocprim17ROCPRIM_400000_NS6detail17trampoline_kernelINS0_14default_configENS1_22reduce_config_selectorIN6thrust23THRUST_200600_302600_NS5tupleIblNS6_9null_typeES8_S8_S8_S8_S8_S8_S8_EEEEZNS1_11reduce_implILb1ES3_NS6_12zip_iteratorINS7_INS6_11hip_rocprim26transform_input_iterator_tIbNSD_35transform_pair_of_input_iterators_tIbNS6_6detail15normal_iteratorINS6_10device_ptrIKsEEEESL_NS6_8equal_toIsEEEENSG_9not_fun_tINSD_8identityEEEEENSD_19counting_iterator_tIlEES8_S8_S8_S8_S8_S8_S8_S8_EEEEPS9_S9_NSD_9__find_if7functorIS9_EEEE10hipError_tPvRmT1_T2_T3_mT4_P12ihipStream_tbEUlT_E1_NS1_11comp_targetILNS1_3genE3ELNS1_11target_archE908ELNS1_3gpuE7ELNS1_3repE0EEENS1_30default_config_static_selectorELNS0_4arch9wavefront6targetE0EEEvS14_
	.globl	_ZN7rocprim17ROCPRIM_400000_NS6detail17trampoline_kernelINS0_14default_configENS1_22reduce_config_selectorIN6thrust23THRUST_200600_302600_NS5tupleIblNS6_9null_typeES8_S8_S8_S8_S8_S8_S8_EEEEZNS1_11reduce_implILb1ES3_NS6_12zip_iteratorINS7_INS6_11hip_rocprim26transform_input_iterator_tIbNSD_35transform_pair_of_input_iterators_tIbNS6_6detail15normal_iteratorINS6_10device_ptrIKsEEEESL_NS6_8equal_toIsEEEENSG_9not_fun_tINSD_8identityEEEEENSD_19counting_iterator_tIlEES8_S8_S8_S8_S8_S8_S8_S8_EEEEPS9_S9_NSD_9__find_if7functorIS9_EEEE10hipError_tPvRmT1_T2_T3_mT4_P12ihipStream_tbEUlT_E1_NS1_11comp_targetILNS1_3genE3ELNS1_11target_archE908ELNS1_3gpuE7ELNS1_3repE0EEENS1_30default_config_static_selectorELNS0_4arch9wavefront6targetE0EEEvS14_
	.p2align	8
	.type	_ZN7rocprim17ROCPRIM_400000_NS6detail17trampoline_kernelINS0_14default_configENS1_22reduce_config_selectorIN6thrust23THRUST_200600_302600_NS5tupleIblNS6_9null_typeES8_S8_S8_S8_S8_S8_S8_EEEEZNS1_11reduce_implILb1ES3_NS6_12zip_iteratorINS7_INS6_11hip_rocprim26transform_input_iterator_tIbNSD_35transform_pair_of_input_iterators_tIbNS6_6detail15normal_iteratorINS6_10device_ptrIKsEEEESL_NS6_8equal_toIsEEEENSG_9not_fun_tINSD_8identityEEEEENSD_19counting_iterator_tIlEES8_S8_S8_S8_S8_S8_S8_S8_EEEEPS9_S9_NSD_9__find_if7functorIS9_EEEE10hipError_tPvRmT1_T2_T3_mT4_P12ihipStream_tbEUlT_E1_NS1_11comp_targetILNS1_3genE3ELNS1_11target_archE908ELNS1_3gpuE7ELNS1_3repE0EEENS1_30default_config_static_selectorELNS0_4arch9wavefront6targetE0EEEvS14_,@function
_ZN7rocprim17ROCPRIM_400000_NS6detail17trampoline_kernelINS0_14default_configENS1_22reduce_config_selectorIN6thrust23THRUST_200600_302600_NS5tupleIblNS6_9null_typeES8_S8_S8_S8_S8_S8_S8_EEEEZNS1_11reduce_implILb1ES3_NS6_12zip_iteratorINS7_INS6_11hip_rocprim26transform_input_iterator_tIbNSD_35transform_pair_of_input_iterators_tIbNS6_6detail15normal_iteratorINS6_10device_ptrIKsEEEESL_NS6_8equal_toIsEEEENSG_9not_fun_tINSD_8identityEEEEENSD_19counting_iterator_tIlEES8_S8_S8_S8_S8_S8_S8_S8_EEEEPS9_S9_NSD_9__find_if7functorIS9_EEEE10hipError_tPvRmT1_T2_T3_mT4_P12ihipStream_tbEUlT_E1_NS1_11comp_targetILNS1_3genE3ELNS1_11target_archE908ELNS1_3gpuE7ELNS1_3repE0EEENS1_30default_config_static_selectorELNS0_4arch9wavefront6targetE0EEEvS14_: ; @_ZN7rocprim17ROCPRIM_400000_NS6detail17trampoline_kernelINS0_14default_configENS1_22reduce_config_selectorIN6thrust23THRUST_200600_302600_NS5tupleIblNS6_9null_typeES8_S8_S8_S8_S8_S8_S8_EEEEZNS1_11reduce_implILb1ES3_NS6_12zip_iteratorINS7_INS6_11hip_rocprim26transform_input_iterator_tIbNSD_35transform_pair_of_input_iterators_tIbNS6_6detail15normal_iteratorINS6_10device_ptrIKsEEEESL_NS6_8equal_toIsEEEENSG_9not_fun_tINSD_8identityEEEEENSD_19counting_iterator_tIlEES8_S8_S8_S8_S8_S8_S8_S8_EEEEPS9_S9_NSD_9__find_if7functorIS9_EEEE10hipError_tPvRmT1_T2_T3_mT4_P12ihipStream_tbEUlT_E1_NS1_11comp_targetILNS1_3genE3ELNS1_11target_archE908ELNS1_3gpuE7ELNS1_3repE0EEENS1_30default_config_static_selectorELNS0_4arch9wavefront6targetE0EEEvS14_
; %bb.0:
	.section	.rodata,"a",@progbits
	.p2align	6, 0x0
	.amdhsa_kernel _ZN7rocprim17ROCPRIM_400000_NS6detail17trampoline_kernelINS0_14default_configENS1_22reduce_config_selectorIN6thrust23THRUST_200600_302600_NS5tupleIblNS6_9null_typeES8_S8_S8_S8_S8_S8_S8_EEEEZNS1_11reduce_implILb1ES3_NS6_12zip_iteratorINS7_INS6_11hip_rocprim26transform_input_iterator_tIbNSD_35transform_pair_of_input_iterators_tIbNS6_6detail15normal_iteratorINS6_10device_ptrIKsEEEESL_NS6_8equal_toIsEEEENSG_9not_fun_tINSD_8identityEEEEENSD_19counting_iterator_tIlEES8_S8_S8_S8_S8_S8_S8_S8_EEEEPS9_S9_NSD_9__find_if7functorIS9_EEEE10hipError_tPvRmT1_T2_T3_mT4_P12ihipStream_tbEUlT_E1_NS1_11comp_targetILNS1_3genE3ELNS1_11target_archE908ELNS1_3gpuE7ELNS1_3repE0EEENS1_30default_config_static_selectorELNS0_4arch9wavefront6targetE0EEEvS14_
		.amdhsa_group_segment_fixed_size 0
		.amdhsa_private_segment_fixed_size 0
		.amdhsa_kernarg_size 88
		.amdhsa_user_sgpr_count 15
		.amdhsa_user_sgpr_dispatch_ptr 0
		.amdhsa_user_sgpr_queue_ptr 0
		.amdhsa_user_sgpr_kernarg_segment_ptr 1
		.amdhsa_user_sgpr_dispatch_id 0
		.amdhsa_user_sgpr_private_segment_size 0
		.amdhsa_wavefront_size32 1
		.amdhsa_uses_dynamic_stack 0
		.amdhsa_enable_private_segment 0
		.amdhsa_system_sgpr_workgroup_id_x 1
		.amdhsa_system_sgpr_workgroup_id_y 0
		.amdhsa_system_sgpr_workgroup_id_z 0
		.amdhsa_system_sgpr_workgroup_info 0
		.amdhsa_system_vgpr_workitem_id 0
		.amdhsa_next_free_vgpr 1
		.amdhsa_next_free_sgpr 1
		.amdhsa_reserve_vcc 0
		.amdhsa_float_round_mode_32 0
		.amdhsa_float_round_mode_16_64 0
		.amdhsa_float_denorm_mode_32 3
		.amdhsa_float_denorm_mode_16_64 3
		.amdhsa_dx10_clamp 1
		.amdhsa_ieee_mode 1
		.amdhsa_fp16_overflow 0
		.amdhsa_workgroup_processor_mode 1
		.amdhsa_memory_ordered 1
		.amdhsa_forward_progress 0
		.amdhsa_shared_vgpr_count 0
		.amdhsa_exception_fp_ieee_invalid_op 0
		.amdhsa_exception_fp_denorm_src 0
		.amdhsa_exception_fp_ieee_div_zero 0
		.amdhsa_exception_fp_ieee_overflow 0
		.amdhsa_exception_fp_ieee_underflow 0
		.amdhsa_exception_fp_ieee_inexact 0
		.amdhsa_exception_int_div_zero 0
	.end_amdhsa_kernel
	.section	.text._ZN7rocprim17ROCPRIM_400000_NS6detail17trampoline_kernelINS0_14default_configENS1_22reduce_config_selectorIN6thrust23THRUST_200600_302600_NS5tupleIblNS6_9null_typeES8_S8_S8_S8_S8_S8_S8_EEEEZNS1_11reduce_implILb1ES3_NS6_12zip_iteratorINS7_INS6_11hip_rocprim26transform_input_iterator_tIbNSD_35transform_pair_of_input_iterators_tIbNS6_6detail15normal_iteratorINS6_10device_ptrIKsEEEESL_NS6_8equal_toIsEEEENSG_9not_fun_tINSD_8identityEEEEENSD_19counting_iterator_tIlEES8_S8_S8_S8_S8_S8_S8_S8_EEEEPS9_S9_NSD_9__find_if7functorIS9_EEEE10hipError_tPvRmT1_T2_T3_mT4_P12ihipStream_tbEUlT_E1_NS1_11comp_targetILNS1_3genE3ELNS1_11target_archE908ELNS1_3gpuE7ELNS1_3repE0EEENS1_30default_config_static_selectorELNS0_4arch9wavefront6targetE0EEEvS14_,"axG",@progbits,_ZN7rocprim17ROCPRIM_400000_NS6detail17trampoline_kernelINS0_14default_configENS1_22reduce_config_selectorIN6thrust23THRUST_200600_302600_NS5tupleIblNS6_9null_typeES8_S8_S8_S8_S8_S8_S8_EEEEZNS1_11reduce_implILb1ES3_NS6_12zip_iteratorINS7_INS6_11hip_rocprim26transform_input_iterator_tIbNSD_35transform_pair_of_input_iterators_tIbNS6_6detail15normal_iteratorINS6_10device_ptrIKsEEEESL_NS6_8equal_toIsEEEENSG_9not_fun_tINSD_8identityEEEEENSD_19counting_iterator_tIlEES8_S8_S8_S8_S8_S8_S8_S8_EEEEPS9_S9_NSD_9__find_if7functorIS9_EEEE10hipError_tPvRmT1_T2_T3_mT4_P12ihipStream_tbEUlT_E1_NS1_11comp_targetILNS1_3genE3ELNS1_11target_archE908ELNS1_3gpuE7ELNS1_3repE0EEENS1_30default_config_static_selectorELNS0_4arch9wavefront6targetE0EEEvS14_,comdat
.Lfunc_end881:
	.size	_ZN7rocprim17ROCPRIM_400000_NS6detail17trampoline_kernelINS0_14default_configENS1_22reduce_config_selectorIN6thrust23THRUST_200600_302600_NS5tupleIblNS6_9null_typeES8_S8_S8_S8_S8_S8_S8_EEEEZNS1_11reduce_implILb1ES3_NS6_12zip_iteratorINS7_INS6_11hip_rocprim26transform_input_iterator_tIbNSD_35transform_pair_of_input_iterators_tIbNS6_6detail15normal_iteratorINS6_10device_ptrIKsEEEESL_NS6_8equal_toIsEEEENSG_9not_fun_tINSD_8identityEEEEENSD_19counting_iterator_tIlEES8_S8_S8_S8_S8_S8_S8_S8_EEEEPS9_S9_NSD_9__find_if7functorIS9_EEEE10hipError_tPvRmT1_T2_T3_mT4_P12ihipStream_tbEUlT_E1_NS1_11comp_targetILNS1_3genE3ELNS1_11target_archE908ELNS1_3gpuE7ELNS1_3repE0EEENS1_30default_config_static_selectorELNS0_4arch9wavefront6targetE0EEEvS14_, .Lfunc_end881-_ZN7rocprim17ROCPRIM_400000_NS6detail17trampoline_kernelINS0_14default_configENS1_22reduce_config_selectorIN6thrust23THRUST_200600_302600_NS5tupleIblNS6_9null_typeES8_S8_S8_S8_S8_S8_S8_EEEEZNS1_11reduce_implILb1ES3_NS6_12zip_iteratorINS7_INS6_11hip_rocprim26transform_input_iterator_tIbNSD_35transform_pair_of_input_iterators_tIbNS6_6detail15normal_iteratorINS6_10device_ptrIKsEEEESL_NS6_8equal_toIsEEEENSG_9not_fun_tINSD_8identityEEEEENSD_19counting_iterator_tIlEES8_S8_S8_S8_S8_S8_S8_S8_EEEEPS9_S9_NSD_9__find_if7functorIS9_EEEE10hipError_tPvRmT1_T2_T3_mT4_P12ihipStream_tbEUlT_E1_NS1_11comp_targetILNS1_3genE3ELNS1_11target_archE908ELNS1_3gpuE7ELNS1_3repE0EEENS1_30default_config_static_selectorELNS0_4arch9wavefront6targetE0EEEvS14_
                                        ; -- End function
	.section	.AMDGPU.csdata,"",@progbits
; Kernel info:
; codeLenInByte = 0
; NumSgprs: 0
; NumVgprs: 0
; ScratchSize: 0
; MemoryBound: 0
; FloatMode: 240
; IeeeMode: 1
; LDSByteSize: 0 bytes/workgroup (compile time only)
; SGPRBlocks: 0
; VGPRBlocks: 0
; NumSGPRsForWavesPerEU: 1
; NumVGPRsForWavesPerEU: 1
; Occupancy: 16
; WaveLimiterHint : 0
; COMPUTE_PGM_RSRC2:SCRATCH_EN: 0
; COMPUTE_PGM_RSRC2:USER_SGPR: 15
; COMPUTE_PGM_RSRC2:TRAP_HANDLER: 0
; COMPUTE_PGM_RSRC2:TGID_X_EN: 1
; COMPUTE_PGM_RSRC2:TGID_Y_EN: 0
; COMPUTE_PGM_RSRC2:TGID_Z_EN: 0
; COMPUTE_PGM_RSRC2:TIDIG_COMP_CNT: 0
	.section	.text._ZN7rocprim17ROCPRIM_400000_NS6detail17trampoline_kernelINS0_14default_configENS1_22reduce_config_selectorIN6thrust23THRUST_200600_302600_NS5tupleIblNS6_9null_typeES8_S8_S8_S8_S8_S8_S8_EEEEZNS1_11reduce_implILb1ES3_NS6_12zip_iteratorINS7_INS6_11hip_rocprim26transform_input_iterator_tIbNSD_35transform_pair_of_input_iterators_tIbNS6_6detail15normal_iteratorINS6_10device_ptrIKsEEEESL_NS6_8equal_toIsEEEENSG_9not_fun_tINSD_8identityEEEEENSD_19counting_iterator_tIlEES8_S8_S8_S8_S8_S8_S8_S8_EEEEPS9_S9_NSD_9__find_if7functorIS9_EEEE10hipError_tPvRmT1_T2_T3_mT4_P12ihipStream_tbEUlT_E1_NS1_11comp_targetILNS1_3genE2ELNS1_11target_archE906ELNS1_3gpuE6ELNS1_3repE0EEENS1_30default_config_static_selectorELNS0_4arch9wavefront6targetE0EEEvS14_,"axG",@progbits,_ZN7rocprim17ROCPRIM_400000_NS6detail17trampoline_kernelINS0_14default_configENS1_22reduce_config_selectorIN6thrust23THRUST_200600_302600_NS5tupleIblNS6_9null_typeES8_S8_S8_S8_S8_S8_S8_EEEEZNS1_11reduce_implILb1ES3_NS6_12zip_iteratorINS7_INS6_11hip_rocprim26transform_input_iterator_tIbNSD_35transform_pair_of_input_iterators_tIbNS6_6detail15normal_iteratorINS6_10device_ptrIKsEEEESL_NS6_8equal_toIsEEEENSG_9not_fun_tINSD_8identityEEEEENSD_19counting_iterator_tIlEES8_S8_S8_S8_S8_S8_S8_S8_EEEEPS9_S9_NSD_9__find_if7functorIS9_EEEE10hipError_tPvRmT1_T2_T3_mT4_P12ihipStream_tbEUlT_E1_NS1_11comp_targetILNS1_3genE2ELNS1_11target_archE906ELNS1_3gpuE6ELNS1_3repE0EEENS1_30default_config_static_selectorELNS0_4arch9wavefront6targetE0EEEvS14_,comdat
	.protected	_ZN7rocprim17ROCPRIM_400000_NS6detail17trampoline_kernelINS0_14default_configENS1_22reduce_config_selectorIN6thrust23THRUST_200600_302600_NS5tupleIblNS6_9null_typeES8_S8_S8_S8_S8_S8_S8_EEEEZNS1_11reduce_implILb1ES3_NS6_12zip_iteratorINS7_INS6_11hip_rocprim26transform_input_iterator_tIbNSD_35transform_pair_of_input_iterators_tIbNS6_6detail15normal_iteratorINS6_10device_ptrIKsEEEESL_NS6_8equal_toIsEEEENSG_9not_fun_tINSD_8identityEEEEENSD_19counting_iterator_tIlEES8_S8_S8_S8_S8_S8_S8_S8_EEEEPS9_S9_NSD_9__find_if7functorIS9_EEEE10hipError_tPvRmT1_T2_T3_mT4_P12ihipStream_tbEUlT_E1_NS1_11comp_targetILNS1_3genE2ELNS1_11target_archE906ELNS1_3gpuE6ELNS1_3repE0EEENS1_30default_config_static_selectorELNS0_4arch9wavefront6targetE0EEEvS14_ ; -- Begin function _ZN7rocprim17ROCPRIM_400000_NS6detail17trampoline_kernelINS0_14default_configENS1_22reduce_config_selectorIN6thrust23THRUST_200600_302600_NS5tupleIblNS6_9null_typeES8_S8_S8_S8_S8_S8_S8_EEEEZNS1_11reduce_implILb1ES3_NS6_12zip_iteratorINS7_INS6_11hip_rocprim26transform_input_iterator_tIbNSD_35transform_pair_of_input_iterators_tIbNS6_6detail15normal_iteratorINS6_10device_ptrIKsEEEESL_NS6_8equal_toIsEEEENSG_9not_fun_tINSD_8identityEEEEENSD_19counting_iterator_tIlEES8_S8_S8_S8_S8_S8_S8_S8_EEEEPS9_S9_NSD_9__find_if7functorIS9_EEEE10hipError_tPvRmT1_T2_T3_mT4_P12ihipStream_tbEUlT_E1_NS1_11comp_targetILNS1_3genE2ELNS1_11target_archE906ELNS1_3gpuE6ELNS1_3repE0EEENS1_30default_config_static_selectorELNS0_4arch9wavefront6targetE0EEEvS14_
	.globl	_ZN7rocprim17ROCPRIM_400000_NS6detail17trampoline_kernelINS0_14default_configENS1_22reduce_config_selectorIN6thrust23THRUST_200600_302600_NS5tupleIblNS6_9null_typeES8_S8_S8_S8_S8_S8_S8_EEEEZNS1_11reduce_implILb1ES3_NS6_12zip_iteratorINS7_INS6_11hip_rocprim26transform_input_iterator_tIbNSD_35transform_pair_of_input_iterators_tIbNS6_6detail15normal_iteratorINS6_10device_ptrIKsEEEESL_NS6_8equal_toIsEEEENSG_9not_fun_tINSD_8identityEEEEENSD_19counting_iterator_tIlEES8_S8_S8_S8_S8_S8_S8_S8_EEEEPS9_S9_NSD_9__find_if7functorIS9_EEEE10hipError_tPvRmT1_T2_T3_mT4_P12ihipStream_tbEUlT_E1_NS1_11comp_targetILNS1_3genE2ELNS1_11target_archE906ELNS1_3gpuE6ELNS1_3repE0EEENS1_30default_config_static_selectorELNS0_4arch9wavefront6targetE0EEEvS14_
	.p2align	8
	.type	_ZN7rocprim17ROCPRIM_400000_NS6detail17trampoline_kernelINS0_14default_configENS1_22reduce_config_selectorIN6thrust23THRUST_200600_302600_NS5tupleIblNS6_9null_typeES8_S8_S8_S8_S8_S8_S8_EEEEZNS1_11reduce_implILb1ES3_NS6_12zip_iteratorINS7_INS6_11hip_rocprim26transform_input_iterator_tIbNSD_35transform_pair_of_input_iterators_tIbNS6_6detail15normal_iteratorINS6_10device_ptrIKsEEEESL_NS6_8equal_toIsEEEENSG_9not_fun_tINSD_8identityEEEEENSD_19counting_iterator_tIlEES8_S8_S8_S8_S8_S8_S8_S8_EEEEPS9_S9_NSD_9__find_if7functorIS9_EEEE10hipError_tPvRmT1_T2_T3_mT4_P12ihipStream_tbEUlT_E1_NS1_11comp_targetILNS1_3genE2ELNS1_11target_archE906ELNS1_3gpuE6ELNS1_3repE0EEENS1_30default_config_static_selectorELNS0_4arch9wavefront6targetE0EEEvS14_,@function
_ZN7rocprim17ROCPRIM_400000_NS6detail17trampoline_kernelINS0_14default_configENS1_22reduce_config_selectorIN6thrust23THRUST_200600_302600_NS5tupleIblNS6_9null_typeES8_S8_S8_S8_S8_S8_S8_EEEEZNS1_11reduce_implILb1ES3_NS6_12zip_iteratorINS7_INS6_11hip_rocprim26transform_input_iterator_tIbNSD_35transform_pair_of_input_iterators_tIbNS6_6detail15normal_iteratorINS6_10device_ptrIKsEEEESL_NS6_8equal_toIsEEEENSG_9not_fun_tINSD_8identityEEEEENSD_19counting_iterator_tIlEES8_S8_S8_S8_S8_S8_S8_S8_EEEEPS9_S9_NSD_9__find_if7functorIS9_EEEE10hipError_tPvRmT1_T2_T3_mT4_P12ihipStream_tbEUlT_E1_NS1_11comp_targetILNS1_3genE2ELNS1_11target_archE906ELNS1_3gpuE6ELNS1_3repE0EEENS1_30default_config_static_selectorELNS0_4arch9wavefront6targetE0EEEvS14_: ; @_ZN7rocprim17ROCPRIM_400000_NS6detail17trampoline_kernelINS0_14default_configENS1_22reduce_config_selectorIN6thrust23THRUST_200600_302600_NS5tupleIblNS6_9null_typeES8_S8_S8_S8_S8_S8_S8_EEEEZNS1_11reduce_implILb1ES3_NS6_12zip_iteratorINS7_INS6_11hip_rocprim26transform_input_iterator_tIbNSD_35transform_pair_of_input_iterators_tIbNS6_6detail15normal_iteratorINS6_10device_ptrIKsEEEESL_NS6_8equal_toIsEEEENSG_9not_fun_tINSD_8identityEEEEENSD_19counting_iterator_tIlEES8_S8_S8_S8_S8_S8_S8_S8_EEEEPS9_S9_NSD_9__find_if7functorIS9_EEEE10hipError_tPvRmT1_T2_T3_mT4_P12ihipStream_tbEUlT_E1_NS1_11comp_targetILNS1_3genE2ELNS1_11target_archE906ELNS1_3gpuE6ELNS1_3repE0EEENS1_30default_config_static_selectorELNS0_4arch9wavefront6targetE0EEEvS14_
; %bb.0:
	.section	.rodata,"a",@progbits
	.p2align	6, 0x0
	.amdhsa_kernel _ZN7rocprim17ROCPRIM_400000_NS6detail17trampoline_kernelINS0_14default_configENS1_22reduce_config_selectorIN6thrust23THRUST_200600_302600_NS5tupleIblNS6_9null_typeES8_S8_S8_S8_S8_S8_S8_EEEEZNS1_11reduce_implILb1ES3_NS6_12zip_iteratorINS7_INS6_11hip_rocprim26transform_input_iterator_tIbNSD_35transform_pair_of_input_iterators_tIbNS6_6detail15normal_iteratorINS6_10device_ptrIKsEEEESL_NS6_8equal_toIsEEEENSG_9not_fun_tINSD_8identityEEEEENSD_19counting_iterator_tIlEES8_S8_S8_S8_S8_S8_S8_S8_EEEEPS9_S9_NSD_9__find_if7functorIS9_EEEE10hipError_tPvRmT1_T2_T3_mT4_P12ihipStream_tbEUlT_E1_NS1_11comp_targetILNS1_3genE2ELNS1_11target_archE906ELNS1_3gpuE6ELNS1_3repE0EEENS1_30default_config_static_selectorELNS0_4arch9wavefront6targetE0EEEvS14_
		.amdhsa_group_segment_fixed_size 0
		.amdhsa_private_segment_fixed_size 0
		.amdhsa_kernarg_size 88
		.amdhsa_user_sgpr_count 15
		.amdhsa_user_sgpr_dispatch_ptr 0
		.amdhsa_user_sgpr_queue_ptr 0
		.amdhsa_user_sgpr_kernarg_segment_ptr 1
		.amdhsa_user_sgpr_dispatch_id 0
		.amdhsa_user_sgpr_private_segment_size 0
		.amdhsa_wavefront_size32 1
		.amdhsa_uses_dynamic_stack 0
		.amdhsa_enable_private_segment 0
		.amdhsa_system_sgpr_workgroup_id_x 1
		.amdhsa_system_sgpr_workgroup_id_y 0
		.amdhsa_system_sgpr_workgroup_id_z 0
		.amdhsa_system_sgpr_workgroup_info 0
		.amdhsa_system_vgpr_workitem_id 0
		.amdhsa_next_free_vgpr 1
		.amdhsa_next_free_sgpr 1
		.amdhsa_reserve_vcc 0
		.amdhsa_float_round_mode_32 0
		.amdhsa_float_round_mode_16_64 0
		.amdhsa_float_denorm_mode_32 3
		.amdhsa_float_denorm_mode_16_64 3
		.amdhsa_dx10_clamp 1
		.amdhsa_ieee_mode 1
		.amdhsa_fp16_overflow 0
		.amdhsa_workgroup_processor_mode 1
		.amdhsa_memory_ordered 1
		.amdhsa_forward_progress 0
		.amdhsa_shared_vgpr_count 0
		.amdhsa_exception_fp_ieee_invalid_op 0
		.amdhsa_exception_fp_denorm_src 0
		.amdhsa_exception_fp_ieee_div_zero 0
		.amdhsa_exception_fp_ieee_overflow 0
		.amdhsa_exception_fp_ieee_underflow 0
		.amdhsa_exception_fp_ieee_inexact 0
		.amdhsa_exception_int_div_zero 0
	.end_amdhsa_kernel
	.section	.text._ZN7rocprim17ROCPRIM_400000_NS6detail17trampoline_kernelINS0_14default_configENS1_22reduce_config_selectorIN6thrust23THRUST_200600_302600_NS5tupleIblNS6_9null_typeES8_S8_S8_S8_S8_S8_S8_EEEEZNS1_11reduce_implILb1ES3_NS6_12zip_iteratorINS7_INS6_11hip_rocprim26transform_input_iterator_tIbNSD_35transform_pair_of_input_iterators_tIbNS6_6detail15normal_iteratorINS6_10device_ptrIKsEEEESL_NS6_8equal_toIsEEEENSG_9not_fun_tINSD_8identityEEEEENSD_19counting_iterator_tIlEES8_S8_S8_S8_S8_S8_S8_S8_EEEEPS9_S9_NSD_9__find_if7functorIS9_EEEE10hipError_tPvRmT1_T2_T3_mT4_P12ihipStream_tbEUlT_E1_NS1_11comp_targetILNS1_3genE2ELNS1_11target_archE906ELNS1_3gpuE6ELNS1_3repE0EEENS1_30default_config_static_selectorELNS0_4arch9wavefront6targetE0EEEvS14_,"axG",@progbits,_ZN7rocprim17ROCPRIM_400000_NS6detail17trampoline_kernelINS0_14default_configENS1_22reduce_config_selectorIN6thrust23THRUST_200600_302600_NS5tupleIblNS6_9null_typeES8_S8_S8_S8_S8_S8_S8_EEEEZNS1_11reduce_implILb1ES3_NS6_12zip_iteratorINS7_INS6_11hip_rocprim26transform_input_iterator_tIbNSD_35transform_pair_of_input_iterators_tIbNS6_6detail15normal_iteratorINS6_10device_ptrIKsEEEESL_NS6_8equal_toIsEEEENSG_9not_fun_tINSD_8identityEEEEENSD_19counting_iterator_tIlEES8_S8_S8_S8_S8_S8_S8_S8_EEEEPS9_S9_NSD_9__find_if7functorIS9_EEEE10hipError_tPvRmT1_T2_T3_mT4_P12ihipStream_tbEUlT_E1_NS1_11comp_targetILNS1_3genE2ELNS1_11target_archE906ELNS1_3gpuE6ELNS1_3repE0EEENS1_30default_config_static_selectorELNS0_4arch9wavefront6targetE0EEEvS14_,comdat
.Lfunc_end882:
	.size	_ZN7rocprim17ROCPRIM_400000_NS6detail17trampoline_kernelINS0_14default_configENS1_22reduce_config_selectorIN6thrust23THRUST_200600_302600_NS5tupleIblNS6_9null_typeES8_S8_S8_S8_S8_S8_S8_EEEEZNS1_11reduce_implILb1ES3_NS6_12zip_iteratorINS7_INS6_11hip_rocprim26transform_input_iterator_tIbNSD_35transform_pair_of_input_iterators_tIbNS6_6detail15normal_iteratorINS6_10device_ptrIKsEEEESL_NS6_8equal_toIsEEEENSG_9not_fun_tINSD_8identityEEEEENSD_19counting_iterator_tIlEES8_S8_S8_S8_S8_S8_S8_S8_EEEEPS9_S9_NSD_9__find_if7functorIS9_EEEE10hipError_tPvRmT1_T2_T3_mT4_P12ihipStream_tbEUlT_E1_NS1_11comp_targetILNS1_3genE2ELNS1_11target_archE906ELNS1_3gpuE6ELNS1_3repE0EEENS1_30default_config_static_selectorELNS0_4arch9wavefront6targetE0EEEvS14_, .Lfunc_end882-_ZN7rocprim17ROCPRIM_400000_NS6detail17trampoline_kernelINS0_14default_configENS1_22reduce_config_selectorIN6thrust23THRUST_200600_302600_NS5tupleIblNS6_9null_typeES8_S8_S8_S8_S8_S8_S8_EEEEZNS1_11reduce_implILb1ES3_NS6_12zip_iteratorINS7_INS6_11hip_rocprim26transform_input_iterator_tIbNSD_35transform_pair_of_input_iterators_tIbNS6_6detail15normal_iteratorINS6_10device_ptrIKsEEEESL_NS6_8equal_toIsEEEENSG_9not_fun_tINSD_8identityEEEEENSD_19counting_iterator_tIlEES8_S8_S8_S8_S8_S8_S8_S8_EEEEPS9_S9_NSD_9__find_if7functorIS9_EEEE10hipError_tPvRmT1_T2_T3_mT4_P12ihipStream_tbEUlT_E1_NS1_11comp_targetILNS1_3genE2ELNS1_11target_archE906ELNS1_3gpuE6ELNS1_3repE0EEENS1_30default_config_static_selectorELNS0_4arch9wavefront6targetE0EEEvS14_
                                        ; -- End function
	.section	.AMDGPU.csdata,"",@progbits
; Kernel info:
; codeLenInByte = 0
; NumSgprs: 0
; NumVgprs: 0
; ScratchSize: 0
; MemoryBound: 0
; FloatMode: 240
; IeeeMode: 1
; LDSByteSize: 0 bytes/workgroup (compile time only)
; SGPRBlocks: 0
; VGPRBlocks: 0
; NumSGPRsForWavesPerEU: 1
; NumVGPRsForWavesPerEU: 1
; Occupancy: 16
; WaveLimiterHint : 0
; COMPUTE_PGM_RSRC2:SCRATCH_EN: 0
; COMPUTE_PGM_RSRC2:USER_SGPR: 15
; COMPUTE_PGM_RSRC2:TRAP_HANDLER: 0
; COMPUTE_PGM_RSRC2:TGID_X_EN: 1
; COMPUTE_PGM_RSRC2:TGID_Y_EN: 0
; COMPUTE_PGM_RSRC2:TGID_Z_EN: 0
; COMPUTE_PGM_RSRC2:TIDIG_COMP_CNT: 0
	.section	.text._ZN7rocprim17ROCPRIM_400000_NS6detail17trampoline_kernelINS0_14default_configENS1_22reduce_config_selectorIN6thrust23THRUST_200600_302600_NS5tupleIblNS6_9null_typeES8_S8_S8_S8_S8_S8_S8_EEEEZNS1_11reduce_implILb1ES3_NS6_12zip_iteratorINS7_INS6_11hip_rocprim26transform_input_iterator_tIbNSD_35transform_pair_of_input_iterators_tIbNS6_6detail15normal_iteratorINS6_10device_ptrIKsEEEESL_NS6_8equal_toIsEEEENSG_9not_fun_tINSD_8identityEEEEENSD_19counting_iterator_tIlEES8_S8_S8_S8_S8_S8_S8_S8_EEEEPS9_S9_NSD_9__find_if7functorIS9_EEEE10hipError_tPvRmT1_T2_T3_mT4_P12ihipStream_tbEUlT_E1_NS1_11comp_targetILNS1_3genE10ELNS1_11target_archE1201ELNS1_3gpuE5ELNS1_3repE0EEENS1_30default_config_static_selectorELNS0_4arch9wavefront6targetE0EEEvS14_,"axG",@progbits,_ZN7rocprim17ROCPRIM_400000_NS6detail17trampoline_kernelINS0_14default_configENS1_22reduce_config_selectorIN6thrust23THRUST_200600_302600_NS5tupleIblNS6_9null_typeES8_S8_S8_S8_S8_S8_S8_EEEEZNS1_11reduce_implILb1ES3_NS6_12zip_iteratorINS7_INS6_11hip_rocprim26transform_input_iterator_tIbNSD_35transform_pair_of_input_iterators_tIbNS6_6detail15normal_iteratorINS6_10device_ptrIKsEEEESL_NS6_8equal_toIsEEEENSG_9not_fun_tINSD_8identityEEEEENSD_19counting_iterator_tIlEES8_S8_S8_S8_S8_S8_S8_S8_EEEEPS9_S9_NSD_9__find_if7functorIS9_EEEE10hipError_tPvRmT1_T2_T3_mT4_P12ihipStream_tbEUlT_E1_NS1_11comp_targetILNS1_3genE10ELNS1_11target_archE1201ELNS1_3gpuE5ELNS1_3repE0EEENS1_30default_config_static_selectorELNS0_4arch9wavefront6targetE0EEEvS14_,comdat
	.protected	_ZN7rocprim17ROCPRIM_400000_NS6detail17trampoline_kernelINS0_14default_configENS1_22reduce_config_selectorIN6thrust23THRUST_200600_302600_NS5tupleIblNS6_9null_typeES8_S8_S8_S8_S8_S8_S8_EEEEZNS1_11reduce_implILb1ES3_NS6_12zip_iteratorINS7_INS6_11hip_rocprim26transform_input_iterator_tIbNSD_35transform_pair_of_input_iterators_tIbNS6_6detail15normal_iteratorINS6_10device_ptrIKsEEEESL_NS6_8equal_toIsEEEENSG_9not_fun_tINSD_8identityEEEEENSD_19counting_iterator_tIlEES8_S8_S8_S8_S8_S8_S8_S8_EEEEPS9_S9_NSD_9__find_if7functorIS9_EEEE10hipError_tPvRmT1_T2_T3_mT4_P12ihipStream_tbEUlT_E1_NS1_11comp_targetILNS1_3genE10ELNS1_11target_archE1201ELNS1_3gpuE5ELNS1_3repE0EEENS1_30default_config_static_selectorELNS0_4arch9wavefront6targetE0EEEvS14_ ; -- Begin function _ZN7rocprim17ROCPRIM_400000_NS6detail17trampoline_kernelINS0_14default_configENS1_22reduce_config_selectorIN6thrust23THRUST_200600_302600_NS5tupleIblNS6_9null_typeES8_S8_S8_S8_S8_S8_S8_EEEEZNS1_11reduce_implILb1ES3_NS6_12zip_iteratorINS7_INS6_11hip_rocprim26transform_input_iterator_tIbNSD_35transform_pair_of_input_iterators_tIbNS6_6detail15normal_iteratorINS6_10device_ptrIKsEEEESL_NS6_8equal_toIsEEEENSG_9not_fun_tINSD_8identityEEEEENSD_19counting_iterator_tIlEES8_S8_S8_S8_S8_S8_S8_S8_EEEEPS9_S9_NSD_9__find_if7functorIS9_EEEE10hipError_tPvRmT1_T2_T3_mT4_P12ihipStream_tbEUlT_E1_NS1_11comp_targetILNS1_3genE10ELNS1_11target_archE1201ELNS1_3gpuE5ELNS1_3repE0EEENS1_30default_config_static_selectorELNS0_4arch9wavefront6targetE0EEEvS14_
	.globl	_ZN7rocprim17ROCPRIM_400000_NS6detail17trampoline_kernelINS0_14default_configENS1_22reduce_config_selectorIN6thrust23THRUST_200600_302600_NS5tupleIblNS6_9null_typeES8_S8_S8_S8_S8_S8_S8_EEEEZNS1_11reduce_implILb1ES3_NS6_12zip_iteratorINS7_INS6_11hip_rocprim26transform_input_iterator_tIbNSD_35transform_pair_of_input_iterators_tIbNS6_6detail15normal_iteratorINS6_10device_ptrIKsEEEESL_NS6_8equal_toIsEEEENSG_9not_fun_tINSD_8identityEEEEENSD_19counting_iterator_tIlEES8_S8_S8_S8_S8_S8_S8_S8_EEEEPS9_S9_NSD_9__find_if7functorIS9_EEEE10hipError_tPvRmT1_T2_T3_mT4_P12ihipStream_tbEUlT_E1_NS1_11comp_targetILNS1_3genE10ELNS1_11target_archE1201ELNS1_3gpuE5ELNS1_3repE0EEENS1_30default_config_static_selectorELNS0_4arch9wavefront6targetE0EEEvS14_
	.p2align	8
	.type	_ZN7rocprim17ROCPRIM_400000_NS6detail17trampoline_kernelINS0_14default_configENS1_22reduce_config_selectorIN6thrust23THRUST_200600_302600_NS5tupleIblNS6_9null_typeES8_S8_S8_S8_S8_S8_S8_EEEEZNS1_11reduce_implILb1ES3_NS6_12zip_iteratorINS7_INS6_11hip_rocprim26transform_input_iterator_tIbNSD_35transform_pair_of_input_iterators_tIbNS6_6detail15normal_iteratorINS6_10device_ptrIKsEEEESL_NS6_8equal_toIsEEEENSG_9not_fun_tINSD_8identityEEEEENSD_19counting_iterator_tIlEES8_S8_S8_S8_S8_S8_S8_S8_EEEEPS9_S9_NSD_9__find_if7functorIS9_EEEE10hipError_tPvRmT1_T2_T3_mT4_P12ihipStream_tbEUlT_E1_NS1_11comp_targetILNS1_3genE10ELNS1_11target_archE1201ELNS1_3gpuE5ELNS1_3repE0EEENS1_30default_config_static_selectorELNS0_4arch9wavefront6targetE0EEEvS14_,@function
_ZN7rocprim17ROCPRIM_400000_NS6detail17trampoline_kernelINS0_14default_configENS1_22reduce_config_selectorIN6thrust23THRUST_200600_302600_NS5tupleIblNS6_9null_typeES8_S8_S8_S8_S8_S8_S8_EEEEZNS1_11reduce_implILb1ES3_NS6_12zip_iteratorINS7_INS6_11hip_rocprim26transform_input_iterator_tIbNSD_35transform_pair_of_input_iterators_tIbNS6_6detail15normal_iteratorINS6_10device_ptrIKsEEEESL_NS6_8equal_toIsEEEENSG_9not_fun_tINSD_8identityEEEEENSD_19counting_iterator_tIlEES8_S8_S8_S8_S8_S8_S8_S8_EEEEPS9_S9_NSD_9__find_if7functorIS9_EEEE10hipError_tPvRmT1_T2_T3_mT4_P12ihipStream_tbEUlT_E1_NS1_11comp_targetILNS1_3genE10ELNS1_11target_archE1201ELNS1_3gpuE5ELNS1_3repE0EEENS1_30default_config_static_selectorELNS0_4arch9wavefront6targetE0EEEvS14_: ; @_ZN7rocprim17ROCPRIM_400000_NS6detail17trampoline_kernelINS0_14default_configENS1_22reduce_config_selectorIN6thrust23THRUST_200600_302600_NS5tupleIblNS6_9null_typeES8_S8_S8_S8_S8_S8_S8_EEEEZNS1_11reduce_implILb1ES3_NS6_12zip_iteratorINS7_INS6_11hip_rocprim26transform_input_iterator_tIbNSD_35transform_pair_of_input_iterators_tIbNS6_6detail15normal_iteratorINS6_10device_ptrIKsEEEESL_NS6_8equal_toIsEEEENSG_9not_fun_tINSD_8identityEEEEENSD_19counting_iterator_tIlEES8_S8_S8_S8_S8_S8_S8_S8_EEEEPS9_S9_NSD_9__find_if7functorIS9_EEEE10hipError_tPvRmT1_T2_T3_mT4_P12ihipStream_tbEUlT_E1_NS1_11comp_targetILNS1_3genE10ELNS1_11target_archE1201ELNS1_3gpuE5ELNS1_3repE0EEENS1_30default_config_static_selectorELNS0_4arch9wavefront6targetE0EEEvS14_
; %bb.0:
	.section	.rodata,"a",@progbits
	.p2align	6, 0x0
	.amdhsa_kernel _ZN7rocprim17ROCPRIM_400000_NS6detail17trampoline_kernelINS0_14default_configENS1_22reduce_config_selectorIN6thrust23THRUST_200600_302600_NS5tupleIblNS6_9null_typeES8_S8_S8_S8_S8_S8_S8_EEEEZNS1_11reduce_implILb1ES3_NS6_12zip_iteratorINS7_INS6_11hip_rocprim26transform_input_iterator_tIbNSD_35transform_pair_of_input_iterators_tIbNS6_6detail15normal_iteratorINS6_10device_ptrIKsEEEESL_NS6_8equal_toIsEEEENSG_9not_fun_tINSD_8identityEEEEENSD_19counting_iterator_tIlEES8_S8_S8_S8_S8_S8_S8_S8_EEEEPS9_S9_NSD_9__find_if7functorIS9_EEEE10hipError_tPvRmT1_T2_T3_mT4_P12ihipStream_tbEUlT_E1_NS1_11comp_targetILNS1_3genE10ELNS1_11target_archE1201ELNS1_3gpuE5ELNS1_3repE0EEENS1_30default_config_static_selectorELNS0_4arch9wavefront6targetE0EEEvS14_
		.amdhsa_group_segment_fixed_size 0
		.amdhsa_private_segment_fixed_size 0
		.amdhsa_kernarg_size 88
		.amdhsa_user_sgpr_count 15
		.amdhsa_user_sgpr_dispatch_ptr 0
		.amdhsa_user_sgpr_queue_ptr 0
		.amdhsa_user_sgpr_kernarg_segment_ptr 1
		.amdhsa_user_sgpr_dispatch_id 0
		.amdhsa_user_sgpr_private_segment_size 0
		.amdhsa_wavefront_size32 1
		.amdhsa_uses_dynamic_stack 0
		.amdhsa_enable_private_segment 0
		.amdhsa_system_sgpr_workgroup_id_x 1
		.amdhsa_system_sgpr_workgroup_id_y 0
		.amdhsa_system_sgpr_workgroup_id_z 0
		.amdhsa_system_sgpr_workgroup_info 0
		.amdhsa_system_vgpr_workitem_id 0
		.amdhsa_next_free_vgpr 1
		.amdhsa_next_free_sgpr 1
		.amdhsa_reserve_vcc 0
		.amdhsa_float_round_mode_32 0
		.amdhsa_float_round_mode_16_64 0
		.amdhsa_float_denorm_mode_32 3
		.amdhsa_float_denorm_mode_16_64 3
		.amdhsa_dx10_clamp 1
		.amdhsa_ieee_mode 1
		.amdhsa_fp16_overflow 0
		.amdhsa_workgroup_processor_mode 1
		.amdhsa_memory_ordered 1
		.amdhsa_forward_progress 0
		.amdhsa_shared_vgpr_count 0
		.amdhsa_exception_fp_ieee_invalid_op 0
		.amdhsa_exception_fp_denorm_src 0
		.amdhsa_exception_fp_ieee_div_zero 0
		.amdhsa_exception_fp_ieee_overflow 0
		.amdhsa_exception_fp_ieee_underflow 0
		.amdhsa_exception_fp_ieee_inexact 0
		.amdhsa_exception_int_div_zero 0
	.end_amdhsa_kernel
	.section	.text._ZN7rocprim17ROCPRIM_400000_NS6detail17trampoline_kernelINS0_14default_configENS1_22reduce_config_selectorIN6thrust23THRUST_200600_302600_NS5tupleIblNS6_9null_typeES8_S8_S8_S8_S8_S8_S8_EEEEZNS1_11reduce_implILb1ES3_NS6_12zip_iteratorINS7_INS6_11hip_rocprim26transform_input_iterator_tIbNSD_35transform_pair_of_input_iterators_tIbNS6_6detail15normal_iteratorINS6_10device_ptrIKsEEEESL_NS6_8equal_toIsEEEENSG_9not_fun_tINSD_8identityEEEEENSD_19counting_iterator_tIlEES8_S8_S8_S8_S8_S8_S8_S8_EEEEPS9_S9_NSD_9__find_if7functorIS9_EEEE10hipError_tPvRmT1_T2_T3_mT4_P12ihipStream_tbEUlT_E1_NS1_11comp_targetILNS1_3genE10ELNS1_11target_archE1201ELNS1_3gpuE5ELNS1_3repE0EEENS1_30default_config_static_selectorELNS0_4arch9wavefront6targetE0EEEvS14_,"axG",@progbits,_ZN7rocprim17ROCPRIM_400000_NS6detail17trampoline_kernelINS0_14default_configENS1_22reduce_config_selectorIN6thrust23THRUST_200600_302600_NS5tupleIblNS6_9null_typeES8_S8_S8_S8_S8_S8_S8_EEEEZNS1_11reduce_implILb1ES3_NS6_12zip_iteratorINS7_INS6_11hip_rocprim26transform_input_iterator_tIbNSD_35transform_pair_of_input_iterators_tIbNS6_6detail15normal_iteratorINS6_10device_ptrIKsEEEESL_NS6_8equal_toIsEEEENSG_9not_fun_tINSD_8identityEEEEENSD_19counting_iterator_tIlEES8_S8_S8_S8_S8_S8_S8_S8_EEEEPS9_S9_NSD_9__find_if7functorIS9_EEEE10hipError_tPvRmT1_T2_T3_mT4_P12ihipStream_tbEUlT_E1_NS1_11comp_targetILNS1_3genE10ELNS1_11target_archE1201ELNS1_3gpuE5ELNS1_3repE0EEENS1_30default_config_static_selectorELNS0_4arch9wavefront6targetE0EEEvS14_,comdat
.Lfunc_end883:
	.size	_ZN7rocprim17ROCPRIM_400000_NS6detail17trampoline_kernelINS0_14default_configENS1_22reduce_config_selectorIN6thrust23THRUST_200600_302600_NS5tupleIblNS6_9null_typeES8_S8_S8_S8_S8_S8_S8_EEEEZNS1_11reduce_implILb1ES3_NS6_12zip_iteratorINS7_INS6_11hip_rocprim26transform_input_iterator_tIbNSD_35transform_pair_of_input_iterators_tIbNS6_6detail15normal_iteratorINS6_10device_ptrIKsEEEESL_NS6_8equal_toIsEEEENSG_9not_fun_tINSD_8identityEEEEENSD_19counting_iterator_tIlEES8_S8_S8_S8_S8_S8_S8_S8_EEEEPS9_S9_NSD_9__find_if7functorIS9_EEEE10hipError_tPvRmT1_T2_T3_mT4_P12ihipStream_tbEUlT_E1_NS1_11comp_targetILNS1_3genE10ELNS1_11target_archE1201ELNS1_3gpuE5ELNS1_3repE0EEENS1_30default_config_static_selectorELNS0_4arch9wavefront6targetE0EEEvS14_, .Lfunc_end883-_ZN7rocprim17ROCPRIM_400000_NS6detail17trampoline_kernelINS0_14default_configENS1_22reduce_config_selectorIN6thrust23THRUST_200600_302600_NS5tupleIblNS6_9null_typeES8_S8_S8_S8_S8_S8_S8_EEEEZNS1_11reduce_implILb1ES3_NS6_12zip_iteratorINS7_INS6_11hip_rocprim26transform_input_iterator_tIbNSD_35transform_pair_of_input_iterators_tIbNS6_6detail15normal_iteratorINS6_10device_ptrIKsEEEESL_NS6_8equal_toIsEEEENSG_9not_fun_tINSD_8identityEEEEENSD_19counting_iterator_tIlEES8_S8_S8_S8_S8_S8_S8_S8_EEEEPS9_S9_NSD_9__find_if7functorIS9_EEEE10hipError_tPvRmT1_T2_T3_mT4_P12ihipStream_tbEUlT_E1_NS1_11comp_targetILNS1_3genE10ELNS1_11target_archE1201ELNS1_3gpuE5ELNS1_3repE0EEENS1_30default_config_static_selectorELNS0_4arch9wavefront6targetE0EEEvS14_
                                        ; -- End function
	.section	.AMDGPU.csdata,"",@progbits
; Kernel info:
; codeLenInByte = 0
; NumSgprs: 0
; NumVgprs: 0
; ScratchSize: 0
; MemoryBound: 0
; FloatMode: 240
; IeeeMode: 1
; LDSByteSize: 0 bytes/workgroup (compile time only)
; SGPRBlocks: 0
; VGPRBlocks: 0
; NumSGPRsForWavesPerEU: 1
; NumVGPRsForWavesPerEU: 1
; Occupancy: 16
; WaveLimiterHint : 0
; COMPUTE_PGM_RSRC2:SCRATCH_EN: 0
; COMPUTE_PGM_RSRC2:USER_SGPR: 15
; COMPUTE_PGM_RSRC2:TRAP_HANDLER: 0
; COMPUTE_PGM_RSRC2:TGID_X_EN: 1
; COMPUTE_PGM_RSRC2:TGID_Y_EN: 0
; COMPUTE_PGM_RSRC2:TGID_Z_EN: 0
; COMPUTE_PGM_RSRC2:TIDIG_COMP_CNT: 0
	.section	.text._ZN7rocprim17ROCPRIM_400000_NS6detail17trampoline_kernelINS0_14default_configENS1_22reduce_config_selectorIN6thrust23THRUST_200600_302600_NS5tupleIblNS6_9null_typeES8_S8_S8_S8_S8_S8_S8_EEEEZNS1_11reduce_implILb1ES3_NS6_12zip_iteratorINS7_INS6_11hip_rocprim26transform_input_iterator_tIbNSD_35transform_pair_of_input_iterators_tIbNS6_6detail15normal_iteratorINS6_10device_ptrIKsEEEESL_NS6_8equal_toIsEEEENSG_9not_fun_tINSD_8identityEEEEENSD_19counting_iterator_tIlEES8_S8_S8_S8_S8_S8_S8_S8_EEEEPS9_S9_NSD_9__find_if7functorIS9_EEEE10hipError_tPvRmT1_T2_T3_mT4_P12ihipStream_tbEUlT_E1_NS1_11comp_targetILNS1_3genE10ELNS1_11target_archE1200ELNS1_3gpuE4ELNS1_3repE0EEENS1_30default_config_static_selectorELNS0_4arch9wavefront6targetE0EEEvS14_,"axG",@progbits,_ZN7rocprim17ROCPRIM_400000_NS6detail17trampoline_kernelINS0_14default_configENS1_22reduce_config_selectorIN6thrust23THRUST_200600_302600_NS5tupleIblNS6_9null_typeES8_S8_S8_S8_S8_S8_S8_EEEEZNS1_11reduce_implILb1ES3_NS6_12zip_iteratorINS7_INS6_11hip_rocprim26transform_input_iterator_tIbNSD_35transform_pair_of_input_iterators_tIbNS6_6detail15normal_iteratorINS6_10device_ptrIKsEEEESL_NS6_8equal_toIsEEEENSG_9not_fun_tINSD_8identityEEEEENSD_19counting_iterator_tIlEES8_S8_S8_S8_S8_S8_S8_S8_EEEEPS9_S9_NSD_9__find_if7functorIS9_EEEE10hipError_tPvRmT1_T2_T3_mT4_P12ihipStream_tbEUlT_E1_NS1_11comp_targetILNS1_3genE10ELNS1_11target_archE1200ELNS1_3gpuE4ELNS1_3repE0EEENS1_30default_config_static_selectorELNS0_4arch9wavefront6targetE0EEEvS14_,comdat
	.protected	_ZN7rocprim17ROCPRIM_400000_NS6detail17trampoline_kernelINS0_14default_configENS1_22reduce_config_selectorIN6thrust23THRUST_200600_302600_NS5tupleIblNS6_9null_typeES8_S8_S8_S8_S8_S8_S8_EEEEZNS1_11reduce_implILb1ES3_NS6_12zip_iteratorINS7_INS6_11hip_rocprim26transform_input_iterator_tIbNSD_35transform_pair_of_input_iterators_tIbNS6_6detail15normal_iteratorINS6_10device_ptrIKsEEEESL_NS6_8equal_toIsEEEENSG_9not_fun_tINSD_8identityEEEEENSD_19counting_iterator_tIlEES8_S8_S8_S8_S8_S8_S8_S8_EEEEPS9_S9_NSD_9__find_if7functorIS9_EEEE10hipError_tPvRmT1_T2_T3_mT4_P12ihipStream_tbEUlT_E1_NS1_11comp_targetILNS1_3genE10ELNS1_11target_archE1200ELNS1_3gpuE4ELNS1_3repE0EEENS1_30default_config_static_selectorELNS0_4arch9wavefront6targetE0EEEvS14_ ; -- Begin function _ZN7rocprim17ROCPRIM_400000_NS6detail17trampoline_kernelINS0_14default_configENS1_22reduce_config_selectorIN6thrust23THRUST_200600_302600_NS5tupleIblNS6_9null_typeES8_S8_S8_S8_S8_S8_S8_EEEEZNS1_11reduce_implILb1ES3_NS6_12zip_iteratorINS7_INS6_11hip_rocprim26transform_input_iterator_tIbNSD_35transform_pair_of_input_iterators_tIbNS6_6detail15normal_iteratorINS6_10device_ptrIKsEEEESL_NS6_8equal_toIsEEEENSG_9not_fun_tINSD_8identityEEEEENSD_19counting_iterator_tIlEES8_S8_S8_S8_S8_S8_S8_S8_EEEEPS9_S9_NSD_9__find_if7functorIS9_EEEE10hipError_tPvRmT1_T2_T3_mT4_P12ihipStream_tbEUlT_E1_NS1_11comp_targetILNS1_3genE10ELNS1_11target_archE1200ELNS1_3gpuE4ELNS1_3repE0EEENS1_30default_config_static_selectorELNS0_4arch9wavefront6targetE0EEEvS14_
	.globl	_ZN7rocprim17ROCPRIM_400000_NS6detail17trampoline_kernelINS0_14default_configENS1_22reduce_config_selectorIN6thrust23THRUST_200600_302600_NS5tupleIblNS6_9null_typeES8_S8_S8_S8_S8_S8_S8_EEEEZNS1_11reduce_implILb1ES3_NS6_12zip_iteratorINS7_INS6_11hip_rocprim26transform_input_iterator_tIbNSD_35transform_pair_of_input_iterators_tIbNS6_6detail15normal_iteratorINS6_10device_ptrIKsEEEESL_NS6_8equal_toIsEEEENSG_9not_fun_tINSD_8identityEEEEENSD_19counting_iterator_tIlEES8_S8_S8_S8_S8_S8_S8_S8_EEEEPS9_S9_NSD_9__find_if7functorIS9_EEEE10hipError_tPvRmT1_T2_T3_mT4_P12ihipStream_tbEUlT_E1_NS1_11comp_targetILNS1_3genE10ELNS1_11target_archE1200ELNS1_3gpuE4ELNS1_3repE0EEENS1_30default_config_static_selectorELNS0_4arch9wavefront6targetE0EEEvS14_
	.p2align	8
	.type	_ZN7rocprim17ROCPRIM_400000_NS6detail17trampoline_kernelINS0_14default_configENS1_22reduce_config_selectorIN6thrust23THRUST_200600_302600_NS5tupleIblNS6_9null_typeES8_S8_S8_S8_S8_S8_S8_EEEEZNS1_11reduce_implILb1ES3_NS6_12zip_iteratorINS7_INS6_11hip_rocprim26transform_input_iterator_tIbNSD_35transform_pair_of_input_iterators_tIbNS6_6detail15normal_iteratorINS6_10device_ptrIKsEEEESL_NS6_8equal_toIsEEEENSG_9not_fun_tINSD_8identityEEEEENSD_19counting_iterator_tIlEES8_S8_S8_S8_S8_S8_S8_S8_EEEEPS9_S9_NSD_9__find_if7functorIS9_EEEE10hipError_tPvRmT1_T2_T3_mT4_P12ihipStream_tbEUlT_E1_NS1_11comp_targetILNS1_3genE10ELNS1_11target_archE1200ELNS1_3gpuE4ELNS1_3repE0EEENS1_30default_config_static_selectorELNS0_4arch9wavefront6targetE0EEEvS14_,@function
_ZN7rocprim17ROCPRIM_400000_NS6detail17trampoline_kernelINS0_14default_configENS1_22reduce_config_selectorIN6thrust23THRUST_200600_302600_NS5tupleIblNS6_9null_typeES8_S8_S8_S8_S8_S8_S8_EEEEZNS1_11reduce_implILb1ES3_NS6_12zip_iteratorINS7_INS6_11hip_rocprim26transform_input_iterator_tIbNSD_35transform_pair_of_input_iterators_tIbNS6_6detail15normal_iteratorINS6_10device_ptrIKsEEEESL_NS6_8equal_toIsEEEENSG_9not_fun_tINSD_8identityEEEEENSD_19counting_iterator_tIlEES8_S8_S8_S8_S8_S8_S8_S8_EEEEPS9_S9_NSD_9__find_if7functorIS9_EEEE10hipError_tPvRmT1_T2_T3_mT4_P12ihipStream_tbEUlT_E1_NS1_11comp_targetILNS1_3genE10ELNS1_11target_archE1200ELNS1_3gpuE4ELNS1_3repE0EEENS1_30default_config_static_selectorELNS0_4arch9wavefront6targetE0EEEvS14_: ; @_ZN7rocprim17ROCPRIM_400000_NS6detail17trampoline_kernelINS0_14default_configENS1_22reduce_config_selectorIN6thrust23THRUST_200600_302600_NS5tupleIblNS6_9null_typeES8_S8_S8_S8_S8_S8_S8_EEEEZNS1_11reduce_implILb1ES3_NS6_12zip_iteratorINS7_INS6_11hip_rocprim26transform_input_iterator_tIbNSD_35transform_pair_of_input_iterators_tIbNS6_6detail15normal_iteratorINS6_10device_ptrIKsEEEESL_NS6_8equal_toIsEEEENSG_9not_fun_tINSD_8identityEEEEENSD_19counting_iterator_tIlEES8_S8_S8_S8_S8_S8_S8_S8_EEEEPS9_S9_NSD_9__find_if7functorIS9_EEEE10hipError_tPvRmT1_T2_T3_mT4_P12ihipStream_tbEUlT_E1_NS1_11comp_targetILNS1_3genE10ELNS1_11target_archE1200ELNS1_3gpuE4ELNS1_3repE0EEENS1_30default_config_static_selectorELNS0_4arch9wavefront6targetE0EEEvS14_
; %bb.0:
	.section	.rodata,"a",@progbits
	.p2align	6, 0x0
	.amdhsa_kernel _ZN7rocprim17ROCPRIM_400000_NS6detail17trampoline_kernelINS0_14default_configENS1_22reduce_config_selectorIN6thrust23THRUST_200600_302600_NS5tupleIblNS6_9null_typeES8_S8_S8_S8_S8_S8_S8_EEEEZNS1_11reduce_implILb1ES3_NS6_12zip_iteratorINS7_INS6_11hip_rocprim26transform_input_iterator_tIbNSD_35transform_pair_of_input_iterators_tIbNS6_6detail15normal_iteratorINS6_10device_ptrIKsEEEESL_NS6_8equal_toIsEEEENSG_9not_fun_tINSD_8identityEEEEENSD_19counting_iterator_tIlEES8_S8_S8_S8_S8_S8_S8_S8_EEEEPS9_S9_NSD_9__find_if7functorIS9_EEEE10hipError_tPvRmT1_T2_T3_mT4_P12ihipStream_tbEUlT_E1_NS1_11comp_targetILNS1_3genE10ELNS1_11target_archE1200ELNS1_3gpuE4ELNS1_3repE0EEENS1_30default_config_static_selectorELNS0_4arch9wavefront6targetE0EEEvS14_
		.amdhsa_group_segment_fixed_size 0
		.amdhsa_private_segment_fixed_size 0
		.amdhsa_kernarg_size 88
		.amdhsa_user_sgpr_count 15
		.amdhsa_user_sgpr_dispatch_ptr 0
		.amdhsa_user_sgpr_queue_ptr 0
		.amdhsa_user_sgpr_kernarg_segment_ptr 1
		.amdhsa_user_sgpr_dispatch_id 0
		.amdhsa_user_sgpr_private_segment_size 0
		.amdhsa_wavefront_size32 1
		.amdhsa_uses_dynamic_stack 0
		.amdhsa_enable_private_segment 0
		.amdhsa_system_sgpr_workgroup_id_x 1
		.amdhsa_system_sgpr_workgroup_id_y 0
		.amdhsa_system_sgpr_workgroup_id_z 0
		.amdhsa_system_sgpr_workgroup_info 0
		.amdhsa_system_vgpr_workitem_id 0
		.amdhsa_next_free_vgpr 1
		.amdhsa_next_free_sgpr 1
		.amdhsa_reserve_vcc 0
		.amdhsa_float_round_mode_32 0
		.amdhsa_float_round_mode_16_64 0
		.amdhsa_float_denorm_mode_32 3
		.amdhsa_float_denorm_mode_16_64 3
		.amdhsa_dx10_clamp 1
		.amdhsa_ieee_mode 1
		.amdhsa_fp16_overflow 0
		.amdhsa_workgroup_processor_mode 1
		.amdhsa_memory_ordered 1
		.amdhsa_forward_progress 0
		.amdhsa_shared_vgpr_count 0
		.amdhsa_exception_fp_ieee_invalid_op 0
		.amdhsa_exception_fp_denorm_src 0
		.amdhsa_exception_fp_ieee_div_zero 0
		.amdhsa_exception_fp_ieee_overflow 0
		.amdhsa_exception_fp_ieee_underflow 0
		.amdhsa_exception_fp_ieee_inexact 0
		.amdhsa_exception_int_div_zero 0
	.end_amdhsa_kernel
	.section	.text._ZN7rocprim17ROCPRIM_400000_NS6detail17trampoline_kernelINS0_14default_configENS1_22reduce_config_selectorIN6thrust23THRUST_200600_302600_NS5tupleIblNS6_9null_typeES8_S8_S8_S8_S8_S8_S8_EEEEZNS1_11reduce_implILb1ES3_NS6_12zip_iteratorINS7_INS6_11hip_rocprim26transform_input_iterator_tIbNSD_35transform_pair_of_input_iterators_tIbNS6_6detail15normal_iteratorINS6_10device_ptrIKsEEEESL_NS6_8equal_toIsEEEENSG_9not_fun_tINSD_8identityEEEEENSD_19counting_iterator_tIlEES8_S8_S8_S8_S8_S8_S8_S8_EEEEPS9_S9_NSD_9__find_if7functorIS9_EEEE10hipError_tPvRmT1_T2_T3_mT4_P12ihipStream_tbEUlT_E1_NS1_11comp_targetILNS1_3genE10ELNS1_11target_archE1200ELNS1_3gpuE4ELNS1_3repE0EEENS1_30default_config_static_selectorELNS0_4arch9wavefront6targetE0EEEvS14_,"axG",@progbits,_ZN7rocprim17ROCPRIM_400000_NS6detail17trampoline_kernelINS0_14default_configENS1_22reduce_config_selectorIN6thrust23THRUST_200600_302600_NS5tupleIblNS6_9null_typeES8_S8_S8_S8_S8_S8_S8_EEEEZNS1_11reduce_implILb1ES3_NS6_12zip_iteratorINS7_INS6_11hip_rocprim26transform_input_iterator_tIbNSD_35transform_pair_of_input_iterators_tIbNS6_6detail15normal_iteratorINS6_10device_ptrIKsEEEESL_NS6_8equal_toIsEEEENSG_9not_fun_tINSD_8identityEEEEENSD_19counting_iterator_tIlEES8_S8_S8_S8_S8_S8_S8_S8_EEEEPS9_S9_NSD_9__find_if7functorIS9_EEEE10hipError_tPvRmT1_T2_T3_mT4_P12ihipStream_tbEUlT_E1_NS1_11comp_targetILNS1_3genE10ELNS1_11target_archE1200ELNS1_3gpuE4ELNS1_3repE0EEENS1_30default_config_static_selectorELNS0_4arch9wavefront6targetE0EEEvS14_,comdat
.Lfunc_end884:
	.size	_ZN7rocprim17ROCPRIM_400000_NS6detail17trampoline_kernelINS0_14default_configENS1_22reduce_config_selectorIN6thrust23THRUST_200600_302600_NS5tupleIblNS6_9null_typeES8_S8_S8_S8_S8_S8_S8_EEEEZNS1_11reduce_implILb1ES3_NS6_12zip_iteratorINS7_INS6_11hip_rocprim26transform_input_iterator_tIbNSD_35transform_pair_of_input_iterators_tIbNS6_6detail15normal_iteratorINS6_10device_ptrIKsEEEESL_NS6_8equal_toIsEEEENSG_9not_fun_tINSD_8identityEEEEENSD_19counting_iterator_tIlEES8_S8_S8_S8_S8_S8_S8_S8_EEEEPS9_S9_NSD_9__find_if7functorIS9_EEEE10hipError_tPvRmT1_T2_T3_mT4_P12ihipStream_tbEUlT_E1_NS1_11comp_targetILNS1_3genE10ELNS1_11target_archE1200ELNS1_3gpuE4ELNS1_3repE0EEENS1_30default_config_static_selectorELNS0_4arch9wavefront6targetE0EEEvS14_, .Lfunc_end884-_ZN7rocprim17ROCPRIM_400000_NS6detail17trampoline_kernelINS0_14default_configENS1_22reduce_config_selectorIN6thrust23THRUST_200600_302600_NS5tupleIblNS6_9null_typeES8_S8_S8_S8_S8_S8_S8_EEEEZNS1_11reduce_implILb1ES3_NS6_12zip_iteratorINS7_INS6_11hip_rocprim26transform_input_iterator_tIbNSD_35transform_pair_of_input_iterators_tIbNS6_6detail15normal_iteratorINS6_10device_ptrIKsEEEESL_NS6_8equal_toIsEEEENSG_9not_fun_tINSD_8identityEEEEENSD_19counting_iterator_tIlEES8_S8_S8_S8_S8_S8_S8_S8_EEEEPS9_S9_NSD_9__find_if7functorIS9_EEEE10hipError_tPvRmT1_T2_T3_mT4_P12ihipStream_tbEUlT_E1_NS1_11comp_targetILNS1_3genE10ELNS1_11target_archE1200ELNS1_3gpuE4ELNS1_3repE0EEENS1_30default_config_static_selectorELNS0_4arch9wavefront6targetE0EEEvS14_
                                        ; -- End function
	.section	.AMDGPU.csdata,"",@progbits
; Kernel info:
; codeLenInByte = 0
; NumSgprs: 0
; NumVgprs: 0
; ScratchSize: 0
; MemoryBound: 0
; FloatMode: 240
; IeeeMode: 1
; LDSByteSize: 0 bytes/workgroup (compile time only)
; SGPRBlocks: 0
; VGPRBlocks: 0
; NumSGPRsForWavesPerEU: 1
; NumVGPRsForWavesPerEU: 1
; Occupancy: 16
; WaveLimiterHint : 0
; COMPUTE_PGM_RSRC2:SCRATCH_EN: 0
; COMPUTE_PGM_RSRC2:USER_SGPR: 15
; COMPUTE_PGM_RSRC2:TRAP_HANDLER: 0
; COMPUTE_PGM_RSRC2:TGID_X_EN: 1
; COMPUTE_PGM_RSRC2:TGID_Y_EN: 0
; COMPUTE_PGM_RSRC2:TGID_Z_EN: 0
; COMPUTE_PGM_RSRC2:TIDIG_COMP_CNT: 0
	.section	.text._ZN7rocprim17ROCPRIM_400000_NS6detail17trampoline_kernelINS0_14default_configENS1_22reduce_config_selectorIN6thrust23THRUST_200600_302600_NS5tupleIblNS6_9null_typeES8_S8_S8_S8_S8_S8_S8_EEEEZNS1_11reduce_implILb1ES3_NS6_12zip_iteratorINS7_INS6_11hip_rocprim26transform_input_iterator_tIbNSD_35transform_pair_of_input_iterators_tIbNS6_6detail15normal_iteratorINS6_10device_ptrIKsEEEESL_NS6_8equal_toIsEEEENSG_9not_fun_tINSD_8identityEEEEENSD_19counting_iterator_tIlEES8_S8_S8_S8_S8_S8_S8_S8_EEEEPS9_S9_NSD_9__find_if7functorIS9_EEEE10hipError_tPvRmT1_T2_T3_mT4_P12ihipStream_tbEUlT_E1_NS1_11comp_targetILNS1_3genE9ELNS1_11target_archE1100ELNS1_3gpuE3ELNS1_3repE0EEENS1_30default_config_static_selectorELNS0_4arch9wavefront6targetE0EEEvS14_,"axG",@progbits,_ZN7rocprim17ROCPRIM_400000_NS6detail17trampoline_kernelINS0_14default_configENS1_22reduce_config_selectorIN6thrust23THRUST_200600_302600_NS5tupleIblNS6_9null_typeES8_S8_S8_S8_S8_S8_S8_EEEEZNS1_11reduce_implILb1ES3_NS6_12zip_iteratorINS7_INS6_11hip_rocprim26transform_input_iterator_tIbNSD_35transform_pair_of_input_iterators_tIbNS6_6detail15normal_iteratorINS6_10device_ptrIKsEEEESL_NS6_8equal_toIsEEEENSG_9not_fun_tINSD_8identityEEEEENSD_19counting_iterator_tIlEES8_S8_S8_S8_S8_S8_S8_S8_EEEEPS9_S9_NSD_9__find_if7functorIS9_EEEE10hipError_tPvRmT1_T2_T3_mT4_P12ihipStream_tbEUlT_E1_NS1_11comp_targetILNS1_3genE9ELNS1_11target_archE1100ELNS1_3gpuE3ELNS1_3repE0EEENS1_30default_config_static_selectorELNS0_4arch9wavefront6targetE0EEEvS14_,comdat
	.protected	_ZN7rocprim17ROCPRIM_400000_NS6detail17trampoline_kernelINS0_14default_configENS1_22reduce_config_selectorIN6thrust23THRUST_200600_302600_NS5tupleIblNS6_9null_typeES8_S8_S8_S8_S8_S8_S8_EEEEZNS1_11reduce_implILb1ES3_NS6_12zip_iteratorINS7_INS6_11hip_rocprim26transform_input_iterator_tIbNSD_35transform_pair_of_input_iterators_tIbNS6_6detail15normal_iteratorINS6_10device_ptrIKsEEEESL_NS6_8equal_toIsEEEENSG_9not_fun_tINSD_8identityEEEEENSD_19counting_iterator_tIlEES8_S8_S8_S8_S8_S8_S8_S8_EEEEPS9_S9_NSD_9__find_if7functorIS9_EEEE10hipError_tPvRmT1_T2_T3_mT4_P12ihipStream_tbEUlT_E1_NS1_11comp_targetILNS1_3genE9ELNS1_11target_archE1100ELNS1_3gpuE3ELNS1_3repE0EEENS1_30default_config_static_selectorELNS0_4arch9wavefront6targetE0EEEvS14_ ; -- Begin function _ZN7rocprim17ROCPRIM_400000_NS6detail17trampoline_kernelINS0_14default_configENS1_22reduce_config_selectorIN6thrust23THRUST_200600_302600_NS5tupleIblNS6_9null_typeES8_S8_S8_S8_S8_S8_S8_EEEEZNS1_11reduce_implILb1ES3_NS6_12zip_iteratorINS7_INS6_11hip_rocprim26transform_input_iterator_tIbNSD_35transform_pair_of_input_iterators_tIbNS6_6detail15normal_iteratorINS6_10device_ptrIKsEEEESL_NS6_8equal_toIsEEEENSG_9not_fun_tINSD_8identityEEEEENSD_19counting_iterator_tIlEES8_S8_S8_S8_S8_S8_S8_S8_EEEEPS9_S9_NSD_9__find_if7functorIS9_EEEE10hipError_tPvRmT1_T2_T3_mT4_P12ihipStream_tbEUlT_E1_NS1_11comp_targetILNS1_3genE9ELNS1_11target_archE1100ELNS1_3gpuE3ELNS1_3repE0EEENS1_30default_config_static_selectorELNS0_4arch9wavefront6targetE0EEEvS14_
	.globl	_ZN7rocprim17ROCPRIM_400000_NS6detail17trampoline_kernelINS0_14default_configENS1_22reduce_config_selectorIN6thrust23THRUST_200600_302600_NS5tupleIblNS6_9null_typeES8_S8_S8_S8_S8_S8_S8_EEEEZNS1_11reduce_implILb1ES3_NS6_12zip_iteratorINS7_INS6_11hip_rocprim26transform_input_iterator_tIbNSD_35transform_pair_of_input_iterators_tIbNS6_6detail15normal_iteratorINS6_10device_ptrIKsEEEESL_NS6_8equal_toIsEEEENSG_9not_fun_tINSD_8identityEEEEENSD_19counting_iterator_tIlEES8_S8_S8_S8_S8_S8_S8_S8_EEEEPS9_S9_NSD_9__find_if7functorIS9_EEEE10hipError_tPvRmT1_T2_T3_mT4_P12ihipStream_tbEUlT_E1_NS1_11comp_targetILNS1_3genE9ELNS1_11target_archE1100ELNS1_3gpuE3ELNS1_3repE0EEENS1_30default_config_static_selectorELNS0_4arch9wavefront6targetE0EEEvS14_
	.p2align	8
	.type	_ZN7rocprim17ROCPRIM_400000_NS6detail17trampoline_kernelINS0_14default_configENS1_22reduce_config_selectorIN6thrust23THRUST_200600_302600_NS5tupleIblNS6_9null_typeES8_S8_S8_S8_S8_S8_S8_EEEEZNS1_11reduce_implILb1ES3_NS6_12zip_iteratorINS7_INS6_11hip_rocprim26transform_input_iterator_tIbNSD_35transform_pair_of_input_iterators_tIbNS6_6detail15normal_iteratorINS6_10device_ptrIKsEEEESL_NS6_8equal_toIsEEEENSG_9not_fun_tINSD_8identityEEEEENSD_19counting_iterator_tIlEES8_S8_S8_S8_S8_S8_S8_S8_EEEEPS9_S9_NSD_9__find_if7functorIS9_EEEE10hipError_tPvRmT1_T2_T3_mT4_P12ihipStream_tbEUlT_E1_NS1_11comp_targetILNS1_3genE9ELNS1_11target_archE1100ELNS1_3gpuE3ELNS1_3repE0EEENS1_30default_config_static_selectorELNS0_4arch9wavefront6targetE0EEEvS14_,@function
_ZN7rocprim17ROCPRIM_400000_NS6detail17trampoline_kernelINS0_14default_configENS1_22reduce_config_selectorIN6thrust23THRUST_200600_302600_NS5tupleIblNS6_9null_typeES8_S8_S8_S8_S8_S8_S8_EEEEZNS1_11reduce_implILb1ES3_NS6_12zip_iteratorINS7_INS6_11hip_rocprim26transform_input_iterator_tIbNSD_35transform_pair_of_input_iterators_tIbNS6_6detail15normal_iteratorINS6_10device_ptrIKsEEEESL_NS6_8equal_toIsEEEENSG_9not_fun_tINSD_8identityEEEEENSD_19counting_iterator_tIlEES8_S8_S8_S8_S8_S8_S8_S8_EEEEPS9_S9_NSD_9__find_if7functorIS9_EEEE10hipError_tPvRmT1_T2_T3_mT4_P12ihipStream_tbEUlT_E1_NS1_11comp_targetILNS1_3genE9ELNS1_11target_archE1100ELNS1_3gpuE3ELNS1_3repE0EEENS1_30default_config_static_selectorELNS0_4arch9wavefront6targetE0EEEvS14_: ; @_ZN7rocprim17ROCPRIM_400000_NS6detail17trampoline_kernelINS0_14default_configENS1_22reduce_config_selectorIN6thrust23THRUST_200600_302600_NS5tupleIblNS6_9null_typeES8_S8_S8_S8_S8_S8_S8_EEEEZNS1_11reduce_implILb1ES3_NS6_12zip_iteratorINS7_INS6_11hip_rocprim26transform_input_iterator_tIbNSD_35transform_pair_of_input_iterators_tIbNS6_6detail15normal_iteratorINS6_10device_ptrIKsEEEESL_NS6_8equal_toIsEEEENSG_9not_fun_tINSD_8identityEEEEENSD_19counting_iterator_tIlEES8_S8_S8_S8_S8_S8_S8_S8_EEEEPS9_S9_NSD_9__find_if7functorIS9_EEEE10hipError_tPvRmT1_T2_T3_mT4_P12ihipStream_tbEUlT_E1_NS1_11comp_targetILNS1_3genE9ELNS1_11target_archE1100ELNS1_3gpuE3ELNS1_3repE0EEENS1_30default_config_static_selectorELNS0_4arch9wavefront6targetE0EEEvS14_
; %bb.0:
	s_mov_b32 s10, s15
	s_clause 0x4
	s_load_b32 s25, s[0:1], 0x4
	s_load_b128 s[16:19], s[0:1], 0x8
	s_load_b128 s[12:15], s[0:1], 0x28
	s_load_b32 s24, s[0:1], 0x40
	s_load_b64 s[20:21], s[0:1], 0x48
	s_waitcnt lgkmcnt(0)
	s_cmp_lt_i32 s25, 4
	s_cbranch_scc1 .LBB885_19
; %bb.1:
	s_cmp_gt_i32 s25, 7
	s_cbranch_scc0 .LBB885_20
; %bb.2:
	s_cmp_eq_u32 s25, 8
	s_mov_b32 s27, 0
	s_cbranch_scc0 .LBB885_21
; %bb.3:
	s_mov_b32 s11, 0
	s_lshl_b32 s6, s10, 11
	s_mov_b32 s7, s11
	s_lshr_b64 s[4:5], s[14:15], 11
	s_lshl_b64 s[2:3], s[6:7], 1
	s_delay_alu instid0(SALU_CYCLE_1)
	s_add_u32 s8, s16, s2
	s_addc_u32 s9, s17, s3
	s_add_u32 s22, s18, s2
	s_addc_u32 s23, s19, s3
	;; [unrolled: 2-line block ×3, first 2 shown]
	s_cmp_lg_u64 s[4:5], s[10:11]
	s_cbranch_scc0 .LBB885_40
; %bb.4:
	v_dual_mov_b32 v18, 0x300 :: v_dual_lshlrev_b32 v1, 1, v0
	v_mov_b32_e32 v17, 0x100
	v_mov_b32_e32 v19, 0x500
	s_clause 0xf
	global_load_u16 v2, v1, s[22:23]
	global_load_u16 v3, v1, s[22:23] offset:512
	global_load_u16 v4, v1, s[22:23] offset:1024
	global_load_u16 v5, v1, s[8:9]
	global_load_u16 v6, v1, s[8:9] offset:512
	global_load_u16 v7, v1, s[8:9] offset:1024
	;; [unrolled: 1-line block ×12, first 2 shown]
	s_waitcnt vmcnt(12)
	v_cmp_ne_u16_e64 s2, v5, v2
	s_waitcnt vmcnt(11)
	v_cmp_ne_u16_e32 vcc_lo, v6, v3
	s_waitcnt vmcnt(10)
	v_cmp_ne_u16_e64 s3, v7, v4
	s_waitcnt vmcnt(7)
	v_cmp_ne_u16_e64 s4, v9, v10
	v_cndmask_b32_e32 v3, 0x200, v17, vcc_lo
	s_waitcnt vmcnt(6)
	v_cmp_ne_u16_e64 s5, v8, v11
	s_delay_alu instid0(VALU_DEP_2) | instskip(NEXT) | instid1(VALU_DEP_2)
	v_cndmask_b32_e64 v3, v3, 0, s2
	v_cndmask_b32_e64 v2, 0x400, v18, s5
	s_or_b32 s2, s2, vcc_lo
	s_waitcnt vmcnt(4)
	v_cmp_ne_u16_e32 vcc_lo, v12, v13
	s_or_b32 s2, s2, s3
	s_delay_alu instid0(SALU_CYCLE_1)
	v_cndmask_b32_e64 v2, v2, v3, s2
	s_or_b32 s3, s2, s5
	v_cndmask_b32_e32 v4, 0x600, v19, vcc_lo
	s_waitcnt vmcnt(2)
	v_cmp_ne_u16_e64 s2, v15, v14
	s_or_b32 s3, s3, s4
	s_waitcnt vmcnt(0)
	v_cmp_ne_u16_e64 s4, v16, v1
	v_cndmask_b32_e64 v2, v4, v2, s3
	s_or_b32 s3, s3, vcc_lo
	s_delay_alu instid0(SALU_CYCLE_1) | instskip(NEXT) | instid1(VALU_DEP_1)
	s_or_b32 vcc_lo, s3, s2
	v_cndmask_b32_e32 v1, 0x700, v2, vcc_lo
	s_or_b32 s3, vcc_lo, s4
	v_add_co_u32 v2, s2, s26, v0
	v_cndmask_b32_e64 v5, 0, 1, s3
	v_add_co_ci_u32_e64 v3, null, s28, 0, s2
	s_delay_alu instid0(VALU_DEP_3) | instskip(NEXT) | instid1(VALU_DEP_3)
	v_add_co_u32 v1, vcc_lo, v2, v1
	v_mov_b32_dpp v6, v5 quad_perm:[1,0,3,2] row_mask:0xf bank_mask:0xf
	s_delay_alu instid0(VALU_DEP_3) | instskip(NEXT) | instid1(VALU_DEP_3)
	v_add_co_ci_u32_e32 v2, vcc_lo, 0, v3, vcc_lo
	v_mov_b32_dpp v3, v1 quad_perm:[1,0,3,2] row_mask:0xf bank_mask:0xf
	s_mov_b32 s4, exec_lo
	s_delay_alu instid0(VALU_DEP_3) | instskip(NEXT) | instid1(VALU_DEP_3)
	v_and_b32_e32 v7, 1, v6
	v_mov_b32_dpp v4, v2 quad_perm:[1,0,3,2] row_mask:0xf bank_mask:0xf
	s_delay_alu instid0(VALU_DEP_2)
	v_cmpx_eq_u32_e32 1, v7
; %bb.5:
	v_cndmask_b32_e64 v5, v6, 1, s3
	s_delay_alu instid0(VALU_DEP_3) | instskip(NEXT) | instid1(VALU_DEP_2)
	v_cmp_lt_i64_e32 vcc_lo, v[1:2], v[3:4]
	v_and_b32_e32 v6, 1, v5
	v_and_b32_e32 v5, 0xff, v5
	s_and_b32 vcc_lo, s3, vcc_lo
	s_and_not1_b32 s3, s3, exec_lo
	v_dual_cndmask_b32 v2, v4, v2 :: v_dual_cndmask_b32 v1, v3, v1
	v_cmp_eq_u32_e64 s2, 1, v6
	s_delay_alu instid0(VALU_DEP_1) | instskip(NEXT) | instid1(SALU_CYCLE_1)
	s_and_b32 s2, s2, exec_lo
	s_or_b32 s3, s3, s2
; %bb.6:
	s_or_b32 exec_lo, exec_lo, s4
	v_mov_b32_dpp v6, v5 quad_perm:[2,3,0,1] row_mask:0xf bank_mask:0xf
	v_mov_b32_dpp v3, v1 quad_perm:[2,3,0,1] row_mask:0xf bank_mask:0xf
	;; [unrolled: 1-line block ×3, first 2 shown]
	s_mov_b32 s4, exec_lo
	s_delay_alu instid0(VALU_DEP_3) | instskip(NEXT) | instid1(VALU_DEP_1)
	v_and_b32_e32 v7, 1, v6
	v_cmpx_eq_u32_e32 1, v7
; %bb.7:
	v_cndmask_b32_e64 v5, v6, 1, s3
	v_cmp_lt_i64_e32 vcc_lo, v[1:2], v[3:4]
	s_delay_alu instid0(VALU_DEP_2)
	v_and_b32_e32 v6, 1, v5
	v_and_b32_e32 v5, 0xff, v5
	s_and_b32 vcc_lo, s3, vcc_lo
	s_and_not1_b32 s3, s3, exec_lo
	v_dual_cndmask_b32 v2, v4, v2 :: v_dual_cndmask_b32 v1, v3, v1
	v_cmp_eq_u32_e64 s2, 1, v6
	s_delay_alu instid0(VALU_DEP_1) | instskip(NEXT) | instid1(SALU_CYCLE_1)
	s_and_b32 s2, s2, exec_lo
	s_or_b32 s3, s3, s2
; %bb.8:
	s_or_b32 exec_lo, exec_lo, s4
	v_mov_b32_dpp v6, v5 row_ror:4 row_mask:0xf bank_mask:0xf
	v_mov_b32_dpp v3, v1 row_ror:4 row_mask:0xf bank_mask:0xf
	v_mov_b32_dpp v4, v2 row_ror:4 row_mask:0xf bank_mask:0xf
	s_mov_b32 s4, exec_lo
	s_delay_alu instid0(VALU_DEP_3) | instskip(NEXT) | instid1(VALU_DEP_1)
	v_and_b32_e32 v7, 1, v6
	v_cmpx_eq_u32_e32 1, v7
; %bb.9:
	v_cndmask_b32_e64 v5, v6, 1, s3
	v_cmp_lt_i64_e32 vcc_lo, v[1:2], v[3:4]
	s_delay_alu instid0(VALU_DEP_2)
	v_and_b32_e32 v6, 1, v5
	v_and_b32_e32 v5, 0xff, v5
	s_and_b32 vcc_lo, s3, vcc_lo
	s_and_not1_b32 s3, s3, exec_lo
	v_dual_cndmask_b32 v2, v4, v2 :: v_dual_cndmask_b32 v1, v3, v1
	v_cmp_eq_u32_e64 s2, 1, v6
	s_delay_alu instid0(VALU_DEP_1) | instskip(NEXT) | instid1(SALU_CYCLE_1)
	s_and_b32 s2, s2, exec_lo
	s_or_b32 s3, s3, s2
; %bb.10:
	s_or_b32 exec_lo, exec_lo, s4
	v_mov_b32_dpp v6, v5 row_ror:8 row_mask:0xf bank_mask:0xf
	v_mov_b32_dpp v3, v1 row_ror:8 row_mask:0xf bank_mask:0xf
	;; [unrolled: 1-line block ×3, first 2 shown]
	s_mov_b32 s4, exec_lo
	s_delay_alu instid0(VALU_DEP_3) | instskip(NEXT) | instid1(VALU_DEP_1)
	v_and_b32_e32 v7, 1, v6
	v_cmpx_eq_u32_e32 1, v7
; %bb.11:
	v_cndmask_b32_e64 v5, v6, 1, s3
	v_cmp_lt_i64_e32 vcc_lo, v[1:2], v[3:4]
	s_delay_alu instid0(VALU_DEP_2)
	v_and_b32_e32 v6, 1, v5
	v_and_b32_e32 v5, 0xff, v5
	s_and_b32 vcc_lo, s3, vcc_lo
	s_and_not1_b32 s3, s3, exec_lo
	v_dual_cndmask_b32 v2, v4, v2 :: v_dual_cndmask_b32 v1, v3, v1
	v_cmp_eq_u32_e64 s2, 1, v6
	s_delay_alu instid0(VALU_DEP_1) | instskip(NEXT) | instid1(SALU_CYCLE_1)
	s_and_b32 s2, s2, exec_lo
	s_or_b32 s3, s3, s2
; %bb.12:
	s_or_b32 exec_lo, exec_lo, s4
	ds_swizzle_b32 v6, v5 offset:swizzle(BROADCAST,32,15)
	ds_swizzle_b32 v3, v1 offset:swizzle(BROADCAST,32,15)
	;; [unrolled: 1-line block ×3, first 2 shown]
	s_mov_b32 s2, exec_lo
	s_waitcnt lgkmcnt(2)
	v_and_b32_e32 v7, 1, v6
	s_delay_alu instid0(VALU_DEP_1)
	v_cmpx_eq_u32_e32 1, v7
	s_cbranch_execz .LBB885_14
; %bb.13:
	s_waitcnt lgkmcnt(0)
	v_cmp_lt_i64_e32 vcc_lo, v[1:2], v[3:4]
	v_and_b32_e32 v5, 0xff, v6
	s_delay_alu instid0(VALU_DEP_1)
	v_cndmask_b32_e64 v5, v5, 1, s3
	s_and_b32 vcc_lo, s3, vcc_lo
	v_dual_cndmask_b32 v1, v3, v1 :: v_dual_cndmask_b32 v2, v4, v2
.LBB885_14:
	s_or_b32 exec_lo, exec_lo, s2
	s_waitcnt lgkmcnt(1)
	v_mov_b32_e32 v3, 0
	s_mov_b32 s2, exec_lo
	ds_bpermute_b32 v6, v3, v5 offset:124
	ds_bpermute_b32 v1, v3, v1 offset:124
	ds_bpermute_b32 v2, v3, v2 offset:124
	v_mbcnt_lo_u32_b32 v3, -1, 0
	s_delay_alu instid0(VALU_DEP_1)
	v_cmpx_eq_u32_e32 0, v3
	s_cbranch_execz .LBB885_16
; %bb.15:
	s_waitcnt lgkmcnt(3)
	v_lshrrev_b32_e32 v4, 1, v0
	s_delay_alu instid0(VALU_DEP_1)
	v_and_b32_e32 v4, 0x70, v4
	s_waitcnt lgkmcnt(2)
	ds_store_b8 v4, v6 offset:384
	s_waitcnt lgkmcnt(1)
	ds_store_b64 v4, v[1:2] offset:392
.LBB885_16:
	s_or_b32 exec_lo, exec_lo, s2
	s_delay_alu instid0(SALU_CYCLE_1)
	s_mov_b32 s4, exec_lo
	s_waitcnt lgkmcnt(0)
	s_barrier
	buffer_gl0_inv
	v_cmpx_gt_u32_e32 32, v0
	s_cbranch_execz .LBB885_18
; %bb.17:
	v_and_b32_e32 v6, 7, v3
	s_delay_alu instid0(VALU_DEP_1)
	v_lshlrev_b32_e32 v1, 4, v6
	v_cmp_ne_u32_e32 vcc_lo, 7, v6
	ds_load_u8 v7, v1 offset:384
	ds_load_b64 v[1:2], v1 offset:392
	v_add_co_ci_u32_e32 v4, vcc_lo, 0, v3, vcc_lo
	v_cmp_gt_u32_e32 vcc_lo, 6, v6
	s_delay_alu instid0(VALU_DEP_2)
	v_lshlrev_b32_e32 v5, 2, v4
	v_cndmask_b32_e64 v10, 0, 1, vcc_lo
	s_waitcnt lgkmcnt(1)
	v_and_b32_e32 v4, 0xff, v7
	v_and_b32_e32 v11, 1, v7
	ds_bpermute_b32 v8, v5, v4
	s_waitcnt lgkmcnt(1)
	ds_bpermute_b32 v4, v5, v1
	ds_bpermute_b32 v5, v5, v2
	v_cmp_eq_u32_e64 s3, 1, v11
	s_waitcnt lgkmcnt(2)
	v_and_b32_e32 v9, 1, v8
	s_waitcnt lgkmcnt(0)
	v_cmp_lt_i64_e64 s2, v[4:5], v[1:2]
	s_delay_alu instid0(VALU_DEP_2) | instskip(SKIP_2) | instid1(VALU_DEP_4)
	v_cmp_eq_u32_e32 vcc_lo, 1, v9
	v_lshlrev_b32_e32 v9, 1, v10
	v_cndmask_b32_e64 v7, v7, 1, vcc_lo
	s_and_b32 vcc_lo, vcc_lo, s2
	v_dual_cndmask_b32 v1, v1, v4 :: v_dual_cndmask_b32 v2, v2, v5
	s_delay_alu instid0(VALU_DEP_2) | instskip(SKIP_2) | instid1(VALU_DEP_4)
	v_cndmask_b32_e64 v7, v8, v7, s3
	v_add_lshl_u32 v8, v9, v3, 2
	v_cmp_gt_u32_e32 vcc_lo, 4, v6
	v_cndmask_b32_e64 v1, v4, v1, s3
	v_cndmask_b32_e64 v2, v5, v2, s3
	v_and_b32_e32 v9, 0xff, v7
	v_and_b32_e32 v10, 1, v7
	v_cndmask_b32_e64 v6, 0, 1, vcc_lo
	ds_bpermute_b32 v4, v8, v1
	ds_bpermute_b32 v5, v8, v2
	;; [unrolled: 1-line block ×3, first 2 shown]
	v_cmp_eq_u32_e64 s3, 1, v10
	s_waitcnt lgkmcnt(1)
	v_cmp_lt_i64_e64 s2, v[4:5], v[1:2]
	s_waitcnt lgkmcnt(0)
	v_and_b32_e32 v8, 1, v9
	s_delay_alu instid0(VALU_DEP_1) | instskip(SKIP_1) | instid1(VALU_DEP_4)
	v_cmp_eq_u32_e32 vcc_lo, 1, v8
	v_cndmask_b32_e64 v7, v7, 1, vcc_lo
	s_and_b32 vcc_lo, vcc_lo, s2
	v_dual_cndmask_b32 v1, v1, v4 :: v_dual_cndmask_b32 v2, v2, v5
	s_delay_alu instid0(VALU_DEP_2) | instskip(NEXT) | instid1(VALU_DEP_2)
	v_cndmask_b32_e64 v7, v9, v7, s3
	v_cndmask_b32_e64 v1, v4, v1, s3
	v_lshlrev_b32_e32 v6, 2, v6
	s_delay_alu instid0(VALU_DEP_4) | instskip(NEXT) | instid1(VALU_DEP_2)
	v_cndmask_b32_e64 v2, v5, v2, s3
	v_add_lshl_u32 v6, v6, v3, 2
	v_and_b32_e32 v3, 0xff, v7
	ds_bpermute_b32 v4, v6, v2
	ds_bpermute_b32 v5, v6, v3
	;; [unrolled: 1-line block ×3, first 2 shown]
	s_waitcnt lgkmcnt(1)
	v_and_b32_e32 v6, 1, v5
	s_waitcnt lgkmcnt(0)
	v_cmp_lt_i64_e32 vcc_lo, v[3:4], v[1:2]
	s_delay_alu instid0(VALU_DEP_2) | instskip(SKIP_1) | instid1(VALU_DEP_2)
	v_cmp_eq_u32_e64 s2, 1, v6
	v_and_b32_e32 v6, 1, v7
	v_cndmask_b32_e64 v7, v7, 1, s2
	s_and_b32 vcc_lo, s2, vcc_lo
	s_delay_alu instid0(VALU_DEP_2) | instskip(SKIP_1) | instid1(VALU_DEP_2)
	v_cmp_eq_u32_e64 s2, 1, v6
	v_dual_cndmask_b32 v1, v1, v3 :: v_dual_cndmask_b32 v2, v2, v4
	v_cndmask_b32_e64 v5, v5, v7, s2
	s_delay_alu instid0(VALU_DEP_2) | instskip(NEXT) | instid1(VALU_DEP_3)
	v_cndmask_b32_e64 v1, v3, v1, s2
	v_cndmask_b32_e64 v2, v4, v2, s2
	s_delay_alu instid0(VALU_DEP_3)
	v_and_b32_e32 v6, 0xff, v5
.LBB885_18:
	s_or_b32 exec_lo, exec_lo, s4
	s_branch .LBB885_85
.LBB885_19:
	s_mov_b32 s26, 0
                                        ; implicit-def: $vgpr3_vgpr4
                                        ; implicit-def: $vgpr5
	s_cbranch_execnz .LBB885_129
	s_branch .LBB885_200
.LBB885_20:
	s_mov_b32 s27, -1
.LBB885_21:
	s_mov_b32 s26, 0
                                        ; implicit-def: $vgpr3_vgpr4
                                        ; implicit-def: $vgpr5
	s_and_b32 vcc_lo, exec_lo, s27
	s_cbranch_vccz .LBB885_90
.LBB885_22:
	s_cmp_eq_u32 s25, 4
	s_cbranch_scc0 .LBB885_39
; %bb.23:
	s_mov_b32 s11, 0
	s_lshl_b32 s22, s10, 10
	s_mov_b32 s23, s11
	s_lshr_b64 s[28:29], s[14:15], 10
	s_lshl_b64 s[2:3], s[22:23], 1
	s_delay_alu instid0(SALU_CYCLE_1)
	s_add_u32 s6, s16, s2
	s_addc_u32 s7, s17, s3
	s_add_u32 s8, s18, s2
	s_addc_u32 s9, s19, s3
	;; [unrolled: 2-line block ×3, first 2 shown]
	s_cmp_lg_u64 s[28:29], s[10:11]
	s_cbranch_scc0 .LBB885_91
; %bb.24:
	v_mov_b32_e32 v9, 0x100
	v_lshlrev_b32_e32 v1, 1, v0
	global_load_u16 v2, v1, s[8:9] offset:512
	s_waitcnt lgkmcnt(1)
	global_load_u16 v3, v1, s[6:7] offset:512
	s_waitcnt lgkmcnt(0)
	s_clause 0x5
	global_load_u16 v4, v1, s[6:7]
	global_load_u16 v5, v1, s[8:9]
	global_load_u16 v6, v1, s[6:7] offset:1024
	global_load_u16 v7, v1, s[8:9] offset:1024
	;; [unrolled: 1-line block ×4, first 2 shown]
	s_waitcnt vmcnt(6)
	v_cmp_ne_u16_e32 vcc_lo, v3, v2
	s_waitcnt vmcnt(4)
	v_cmp_ne_u16_e64 s2, v4, v5
	s_waitcnt vmcnt(2)
	v_cmp_ne_u16_e64 s3, v6, v7
	v_cndmask_b32_e32 v2, 0x200, v9, vcc_lo
	s_waitcnt vmcnt(0)
	v_cmp_ne_u16_e64 s4, v1, v8
	s_delay_alu instid0(VALU_DEP_2) | instskip(SKIP_1) | instid1(SALU_CYCLE_1)
	v_cndmask_b32_e64 v2, v2, 0, s2
	s_or_b32 s2, s2, vcc_lo
	s_or_b32 vcc_lo, s2, s3
	s_delay_alu instid0(VALU_DEP_1) | instskip(SKIP_4) | instid1(VALU_DEP_3)
	v_cndmask_b32_e32 v1, 0x300, v2, vcc_lo
	s_or_b32 s3, vcc_lo, s4
	v_add_co_u32 v2, s2, s5, v0
	v_cndmask_b32_e64 v5, 0, 1, s3
	v_add_co_ci_u32_e64 v3, null, s23, 0, s2
	v_add_co_u32 v1, vcc_lo, v2, v1
	s_delay_alu instid0(VALU_DEP_3) | instskip(NEXT) | instid1(VALU_DEP_3)
	v_mov_b32_dpp v6, v5 quad_perm:[1,0,3,2] row_mask:0xf bank_mask:0xf
	v_add_co_ci_u32_e32 v2, vcc_lo, 0, v3, vcc_lo
	s_delay_alu instid0(VALU_DEP_3) | instskip(SKIP_1) | instid1(VALU_DEP_3)
	v_mov_b32_dpp v3, v1 quad_perm:[1,0,3,2] row_mask:0xf bank_mask:0xf
	s_mov_b32 s4, exec_lo
	v_and_b32_e32 v7, 1, v6
	s_delay_alu instid0(VALU_DEP_3) | instskip(NEXT) | instid1(VALU_DEP_2)
	v_mov_b32_dpp v4, v2 quad_perm:[1,0,3,2] row_mask:0xf bank_mask:0xf
	v_cmpx_eq_u32_e32 1, v7
; %bb.25:
	v_cndmask_b32_e64 v5, v6, 1, s3
	s_delay_alu instid0(VALU_DEP_3) | instskip(NEXT) | instid1(VALU_DEP_2)
	v_cmp_lt_i64_e32 vcc_lo, v[1:2], v[3:4]
	v_and_b32_e32 v6, 1, v5
	v_and_b32_e32 v5, 0xff, v5
	s_and_b32 vcc_lo, s3, vcc_lo
	s_and_not1_b32 s3, s3, exec_lo
	v_dual_cndmask_b32 v2, v4, v2 :: v_dual_cndmask_b32 v1, v3, v1
	v_cmp_eq_u32_e64 s2, 1, v6
	s_delay_alu instid0(VALU_DEP_1) | instskip(NEXT) | instid1(SALU_CYCLE_1)
	s_and_b32 s2, s2, exec_lo
	s_or_b32 s3, s3, s2
; %bb.26:
	s_or_b32 exec_lo, exec_lo, s4
	v_mov_b32_dpp v6, v5 quad_perm:[2,3,0,1] row_mask:0xf bank_mask:0xf
	v_mov_b32_dpp v3, v1 quad_perm:[2,3,0,1] row_mask:0xf bank_mask:0xf
	;; [unrolled: 1-line block ×3, first 2 shown]
	s_mov_b32 s4, exec_lo
	s_delay_alu instid0(VALU_DEP_3) | instskip(NEXT) | instid1(VALU_DEP_1)
	v_and_b32_e32 v7, 1, v6
	v_cmpx_eq_u32_e32 1, v7
; %bb.27:
	v_cndmask_b32_e64 v5, v6, 1, s3
	v_cmp_lt_i64_e32 vcc_lo, v[1:2], v[3:4]
	s_delay_alu instid0(VALU_DEP_2)
	v_and_b32_e32 v6, 1, v5
	v_and_b32_e32 v5, 0xff, v5
	s_and_b32 vcc_lo, s3, vcc_lo
	s_and_not1_b32 s3, s3, exec_lo
	v_dual_cndmask_b32 v2, v4, v2 :: v_dual_cndmask_b32 v1, v3, v1
	v_cmp_eq_u32_e64 s2, 1, v6
	s_delay_alu instid0(VALU_DEP_1) | instskip(NEXT) | instid1(SALU_CYCLE_1)
	s_and_b32 s2, s2, exec_lo
	s_or_b32 s3, s3, s2
; %bb.28:
	s_or_b32 exec_lo, exec_lo, s4
	v_mov_b32_dpp v6, v5 row_ror:4 row_mask:0xf bank_mask:0xf
	v_mov_b32_dpp v3, v1 row_ror:4 row_mask:0xf bank_mask:0xf
	;; [unrolled: 1-line block ×3, first 2 shown]
	s_mov_b32 s4, exec_lo
	s_delay_alu instid0(VALU_DEP_3) | instskip(NEXT) | instid1(VALU_DEP_1)
	v_and_b32_e32 v7, 1, v6
	v_cmpx_eq_u32_e32 1, v7
; %bb.29:
	v_cndmask_b32_e64 v5, v6, 1, s3
	v_cmp_lt_i64_e32 vcc_lo, v[1:2], v[3:4]
	s_delay_alu instid0(VALU_DEP_2)
	v_and_b32_e32 v6, 1, v5
	v_and_b32_e32 v5, 0xff, v5
	s_and_b32 vcc_lo, s3, vcc_lo
	s_and_not1_b32 s3, s3, exec_lo
	v_dual_cndmask_b32 v2, v4, v2 :: v_dual_cndmask_b32 v1, v3, v1
	v_cmp_eq_u32_e64 s2, 1, v6
	s_delay_alu instid0(VALU_DEP_1) | instskip(NEXT) | instid1(SALU_CYCLE_1)
	s_and_b32 s2, s2, exec_lo
	s_or_b32 s3, s3, s2
; %bb.30:
	s_or_b32 exec_lo, exec_lo, s4
	v_mov_b32_dpp v6, v5 row_ror:8 row_mask:0xf bank_mask:0xf
	v_mov_b32_dpp v3, v1 row_ror:8 row_mask:0xf bank_mask:0xf
	;; [unrolled: 1-line block ×3, first 2 shown]
	s_mov_b32 s4, exec_lo
	s_delay_alu instid0(VALU_DEP_3) | instskip(NEXT) | instid1(VALU_DEP_1)
	v_and_b32_e32 v7, 1, v6
	v_cmpx_eq_u32_e32 1, v7
; %bb.31:
	v_cndmask_b32_e64 v5, v6, 1, s3
	v_cmp_lt_i64_e32 vcc_lo, v[1:2], v[3:4]
	s_delay_alu instid0(VALU_DEP_2)
	v_and_b32_e32 v6, 1, v5
	v_and_b32_e32 v5, 0xff, v5
	s_and_b32 vcc_lo, s3, vcc_lo
	s_and_not1_b32 s3, s3, exec_lo
	v_dual_cndmask_b32 v2, v4, v2 :: v_dual_cndmask_b32 v1, v3, v1
	v_cmp_eq_u32_e64 s2, 1, v6
	s_delay_alu instid0(VALU_DEP_1) | instskip(NEXT) | instid1(SALU_CYCLE_1)
	s_and_b32 s2, s2, exec_lo
	s_or_b32 s3, s3, s2
; %bb.32:
	s_or_b32 exec_lo, exec_lo, s4
	ds_swizzle_b32 v6, v5 offset:swizzle(BROADCAST,32,15)
	ds_swizzle_b32 v3, v1 offset:swizzle(BROADCAST,32,15)
	;; [unrolled: 1-line block ×3, first 2 shown]
	s_mov_b32 s2, exec_lo
	s_waitcnt lgkmcnt(2)
	v_and_b32_e32 v7, 1, v6
	s_delay_alu instid0(VALU_DEP_1)
	v_cmpx_eq_u32_e32 1, v7
	s_cbranch_execz .LBB885_34
; %bb.33:
	s_waitcnt lgkmcnt(0)
	v_cmp_lt_i64_e32 vcc_lo, v[1:2], v[3:4]
	v_and_b32_e32 v5, 0xff, v6
	s_delay_alu instid0(VALU_DEP_1)
	v_cndmask_b32_e64 v5, v5, 1, s3
	s_and_b32 vcc_lo, s3, vcc_lo
	v_dual_cndmask_b32 v1, v3, v1 :: v_dual_cndmask_b32 v2, v4, v2
.LBB885_34:
	s_or_b32 exec_lo, exec_lo, s2
	s_waitcnt lgkmcnt(1)
	v_mov_b32_e32 v3, 0
	s_mov_b32 s2, exec_lo
	ds_bpermute_b32 v6, v3, v5 offset:124
	ds_bpermute_b32 v1, v3, v1 offset:124
	;; [unrolled: 1-line block ×3, first 2 shown]
	v_mbcnt_lo_u32_b32 v3, -1, 0
	s_delay_alu instid0(VALU_DEP_1)
	v_cmpx_eq_u32_e32 0, v3
	s_cbranch_execz .LBB885_36
; %bb.35:
	s_waitcnt lgkmcnt(3)
	v_lshrrev_b32_e32 v4, 1, v0
	s_delay_alu instid0(VALU_DEP_1)
	v_and_b32_e32 v4, 0x70, v4
	s_waitcnt lgkmcnt(2)
	ds_store_b8 v4, v6 offset:256
	s_waitcnt lgkmcnt(1)
	ds_store_b64 v4, v[1:2] offset:264
.LBB885_36:
	s_or_b32 exec_lo, exec_lo, s2
	s_delay_alu instid0(SALU_CYCLE_1)
	s_mov_b32 s4, exec_lo
	s_waitcnt lgkmcnt(0)
	s_barrier
	buffer_gl0_inv
	v_cmpx_gt_u32_e32 32, v0
	s_cbranch_execz .LBB885_38
; %bb.37:
	v_and_b32_e32 v6, 7, v3
	s_delay_alu instid0(VALU_DEP_1)
	v_lshlrev_b32_e32 v1, 4, v6
	v_cmp_ne_u32_e32 vcc_lo, 7, v6
	ds_load_u8 v7, v1 offset:256
	ds_load_b64 v[1:2], v1 offset:264
	v_add_co_ci_u32_e32 v4, vcc_lo, 0, v3, vcc_lo
	v_cmp_gt_u32_e32 vcc_lo, 6, v6
	s_delay_alu instid0(VALU_DEP_2)
	v_lshlrev_b32_e32 v5, 2, v4
	v_cndmask_b32_e64 v10, 0, 1, vcc_lo
	s_waitcnt lgkmcnt(1)
	v_and_b32_e32 v4, 0xff, v7
	v_and_b32_e32 v11, 1, v7
	ds_bpermute_b32 v8, v5, v4
	s_waitcnt lgkmcnt(1)
	ds_bpermute_b32 v4, v5, v1
	ds_bpermute_b32 v5, v5, v2
	v_cmp_eq_u32_e64 s3, 1, v11
	s_waitcnt lgkmcnt(2)
	v_and_b32_e32 v9, 1, v8
	s_waitcnt lgkmcnt(0)
	v_cmp_lt_i64_e64 s2, v[4:5], v[1:2]
	s_delay_alu instid0(VALU_DEP_2) | instskip(SKIP_2) | instid1(VALU_DEP_4)
	v_cmp_eq_u32_e32 vcc_lo, 1, v9
	v_lshlrev_b32_e32 v9, 1, v10
	v_cndmask_b32_e64 v7, v7, 1, vcc_lo
	s_and_b32 vcc_lo, vcc_lo, s2
	v_dual_cndmask_b32 v1, v1, v4 :: v_dual_cndmask_b32 v2, v2, v5
	s_delay_alu instid0(VALU_DEP_2) | instskip(SKIP_2) | instid1(VALU_DEP_4)
	v_cndmask_b32_e64 v7, v8, v7, s3
	v_add_lshl_u32 v8, v9, v3, 2
	v_cmp_gt_u32_e32 vcc_lo, 4, v6
	v_cndmask_b32_e64 v1, v4, v1, s3
	v_cndmask_b32_e64 v2, v5, v2, s3
	v_and_b32_e32 v9, 0xff, v7
	v_and_b32_e32 v10, 1, v7
	v_cndmask_b32_e64 v6, 0, 1, vcc_lo
	ds_bpermute_b32 v4, v8, v1
	ds_bpermute_b32 v5, v8, v2
	;; [unrolled: 1-line block ×3, first 2 shown]
	v_cmp_eq_u32_e64 s3, 1, v10
	s_waitcnt lgkmcnt(1)
	v_cmp_lt_i64_e64 s2, v[4:5], v[1:2]
	s_waitcnt lgkmcnt(0)
	v_and_b32_e32 v8, 1, v9
	s_delay_alu instid0(VALU_DEP_1) | instskip(SKIP_1) | instid1(VALU_DEP_4)
	v_cmp_eq_u32_e32 vcc_lo, 1, v8
	v_cndmask_b32_e64 v7, v7, 1, vcc_lo
	s_and_b32 vcc_lo, vcc_lo, s2
	v_dual_cndmask_b32 v1, v1, v4 :: v_dual_cndmask_b32 v2, v2, v5
	s_delay_alu instid0(VALU_DEP_2) | instskip(NEXT) | instid1(VALU_DEP_2)
	v_cndmask_b32_e64 v7, v9, v7, s3
	v_cndmask_b32_e64 v1, v4, v1, s3
	v_lshlrev_b32_e32 v6, 2, v6
	s_delay_alu instid0(VALU_DEP_4) | instskip(NEXT) | instid1(VALU_DEP_2)
	v_cndmask_b32_e64 v2, v5, v2, s3
	v_add_lshl_u32 v6, v6, v3, 2
	v_and_b32_e32 v3, 0xff, v7
	ds_bpermute_b32 v4, v6, v2
	ds_bpermute_b32 v5, v6, v3
	;; [unrolled: 1-line block ×3, first 2 shown]
	s_waitcnt lgkmcnt(1)
	v_and_b32_e32 v6, 1, v5
	s_waitcnt lgkmcnt(0)
	v_cmp_lt_i64_e32 vcc_lo, v[3:4], v[1:2]
	s_delay_alu instid0(VALU_DEP_2) | instskip(SKIP_1) | instid1(VALU_DEP_2)
	v_cmp_eq_u32_e64 s2, 1, v6
	v_and_b32_e32 v6, 1, v7
	v_cndmask_b32_e64 v7, v7, 1, s2
	s_and_b32 vcc_lo, s2, vcc_lo
	s_delay_alu instid0(VALU_DEP_2) | instskip(SKIP_1) | instid1(VALU_DEP_2)
	v_cmp_eq_u32_e64 s2, 1, v6
	v_dual_cndmask_b32 v1, v1, v3 :: v_dual_cndmask_b32 v2, v2, v4
	v_cndmask_b32_e64 v5, v5, v7, s2
	s_delay_alu instid0(VALU_DEP_2) | instskip(NEXT) | instid1(VALU_DEP_3)
	v_cndmask_b32_e64 v1, v3, v1, s2
	v_cndmask_b32_e64 v2, v4, v2, s2
	s_delay_alu instid0(VALU_DEP_3)
	v_and_b32_e32 v6, 0xff, v5
.LBB885_38:
	s_or_b32 exec_lo, exec_lo, s4
	s_branch .LBB885_124
.LBB885_39:
                                        ; implicit-def: $vgpr3_vgpr4
                                        ; implicit-def: $vgpr5
	s_branch .LBB885_200
.LBB885_40:
                                        ; implicit-def: $vgpr1_vgpr2
                                        ; implicit-def: $vgpr6
	s_cbranch_execz .LBB885_85
; %bb.41:
	v_mov_b32_e32 v9, 0
	v_dual_mov_b32 v10, 0 :: v_dual_mov_b32 v21, 0
	s_delay_alu instid0(VALU_DEP_2) | instskip(SKIP_2) | instid1(VALU_DEP_3)
	v_mov_b32_e32 v1, v9
	v_mov_b32_e32 v17, 0
	s_sub_i32 s29, s14, s6
	v_mov_b32_e32 v2, v10
	s_mov_b32 s2, exec_lo
	v_cmpx_gt_u32_e64 s29, v0
	s_cbranch_execz .LBB885_43
; %bb.42:
	v_lshlrev_b32_e32 v1, 1, v0
	s_clause 0x1
	global_load_u16 v3, v1, s[8:9]
	global_load_u16 v4, v1, s[22:23]
	v_add_co_u32 v1, s3, s26, v0
	s_delay_alu instid0(VALU_DEP_1)
	v_add_co_ci_u32_e64 v2, null, s28, 0, s3
	s_waitcnt vmcnt(0)
	v_cmp_ne_u16_e32 vcc_lo, v3, v4
	v_cndmask_b32_e64 v17, 0, 1, vcc_lo
.LBB885_43:
	s_or_b32 exec_lo, exec_lo, s2
	v_or_b32_e32 v3, 0x100, v0
	s_delay_alu instid0(VALU_DEP_1) | instskip(NEXT) | instid1(VALU_DEP_1)
	v_cmp_gt_u32_e64 s7, s29, v3
	s_and_saveexec_b32 s2, s7
	s_cbranch_execz .LBB885_45
; %bb.44:
	v_lshlrev_b32_e32 v4, 1, v0
	v_add_co_u32 v9, s3, s26, v3
	s_delay_alu instid0(VALU_DEP_1)
	v_add_co_ci_u32_e64 v10, null, s28, 0, s3
	s_clause 0x1
	global_load_u16 v5, v4, s[8:9] offset:512
	global_load_u16 v4, v4, s[22:23] offset:512
	s_waitcnt vmcnt(0)
	v_cmp_ne_u16_e32 vcc_lo, v5, v4
	v_cndmask_b32_e64 v21, 0, 1, vcc_lo
.LBB885_45:
	s_or_b32 exec_lo, exec_lo, s2
	v_dual_mov_b32 v7, 0 :: v_dual_mov_b32 v20, 0
	v_mov_b32_e32 v8, 0
	v_or_b32_e32 v3, 0x200, v0
	v_mov_b32_e32 v24, 0
	s_delay_alu instid0(VALU_DEP_3) | instskip(NEXT) | instid1(VALU_DEP_3)
	v_dual_mov_b32 v16, v8 :: v_dual_mov_b32 v15, v7
	v_cmp_gt_u32_e64 s6, s29, v3
	s_delay_alu instid0(VALU_DEP_1)
	s_and_saveexec_b32 s2, s6
	s_cbranch_execz .LBB885_47
; %bb.46:
	v_lshlrev_b32_e32 v4, 1, v0
	v_add_co_u32 v15, s3, s26, v3
	s_delay_alu instid0(VALU_DEP_1)
	v_add_co_ci_u32_e64 v16, null, s28, 0, s3
	s_clause 0x1
	global_load_u16 v5, v4, s[8:9] offset:1024
	global_load_u16 v4, v4, s[22:23] offset:1024
	s_waitcnt vmcnt(0)
	v_cmp_ne_u16_e32 vcc_lo, v5, v4
	v_cndmask_b32_e64 v24, 0, 1, vcc_lo
.LBB885_47:
	s_or_b32 exec_lo, exec_lo, s2
	v_or_b32_e32 v3, 0x300, v0
	s_delay_alu instid0(VALU_DEP_1) | instskip(NEXT) | instid1(VALU_DEP_1)
	v_cmp_gt_u32_e64 s5, s29, v3
	s_and_saveexec_b32 s2, s5
	s_cbranch_execz .LBB885_49
; %bb.48:
	v_lshlrev_b32_e32 v4, 1, v0
	v_add_co_u32 v7, s3, s26, v3
	s_delay_alu instid0(VALU_DEP_1)
	v_add_co_ci_u32_e64 v8, null, s28, 0, s3
	s_clause 0x1
	global_load_u16 v5, v4, s[8:9] offset:1536
	global_load_u16 v4, v4, s[22:23] offset:1536
	s_waitcnt vmcnt(0)
	v_cmp_ne_u16_e32 vcc_lo, v5, v4
	v_cndmask_b32_e64 v20, 0, 1, vcc_lo
.LBB885_49:
	s_or_b32 exec_lo, exec_lo, s2
	v_mov_b32_e32 v5, 0
	v_dual_mov_b32 v6, 0 :: v_dual_mov_b32 v19, 0
	v_or_b32_e32 v3, 0x400, v0
	s_delay_alu instid0(VALU_DEP_2) | instskip(NEXT) | instid1(VALU_DEP_4)
	v_dual_mov_b32 v23, 0 :: v_dual_mov_b32 v14, v6
	v_mov_b32_e32 v13, v5
	s_delay_alu instid0(VALU_DEP_3) | instskip(NEXT) | instid1(VALU_DEP_1)
	v_cmp_gt_u32_e64 s4, s29, v3
	s_and_saveexec_b32 s2, s4
	s_cbranch_execz .LBB885_51
; %bb.50:
	v_lshlrev_b32_e32 v4, 1, v0
	v_add_co_u32 v13, s3, s26, v3
	s_delay_alu instid0(VALU_DEP_1)
	v_add_co_ci_u32_e64 v14, null, s28, 0, s3
	s_clause 0x1
	global_load_u16 v11, v4, s[8:9] offset:2048
	global_load_u16 v4, v4, s[22:23] offset:2048
	s_waitcnt vmcnt(0)
	v_cmp_ne_u16_e32 vcc_lo, v11, v4
	v_cndmask_b32_e64 v23, 0, 1, vcc_lo
.LBB885_51:
	s_or_b32 exec_lo, exec_lo, s2
	v_or_b32_e32 v3, 0x500, v0
	s_delay_alu instid0(VALU_DEP_1) | instskip(NEXT) | instid1(VALU_DEP_1)
	v_cmp_gt_u32_e64 s3, s29, v3
	s_and_saveexec_b32 s2, s3
	s_cbranch_execz .LBB885_53
; %bb.52:
	v_lshlrev_b32_e32 v4, 1, v0
	v_add_co_u32 v5, s30, s26, v3
	s_delay_alu instid0(VALU_DEP_1)
	v_add_co_ci_u32_e64 v6, null, s28, 0, s30
	s_clause 0x1
	global_load_u16 v11, v4, s[8:9] offset:2560
	global_load_u16 v4, v4, s[22:23] offset:2560
	s_waitcnt vmcnt(0)
	v_cmp_ne_u16_e32 vcc_lo, v11, v4
	v_cndmask_b32_e64 v19, 0, 1, vcc_lo
.LBB885_53:
	s_or_b32 exec_lo, exec_lo, s2
	v_dual_mov_b32 v3, 0 :: v_dual_mov_b32 v18, 0
	v_mov_b32_e32 v4, 0
	v_or_b32_e32 v25, 0x600, v0
	v_mov_b32_e32 v22, 0
	s_delay_alu instid0(VALU_DEP_3) | instskip(NEXT) | instid1(VALU_DEP_3)
	v_dual_mov_b32 v12, v4 :: v_dual_mov_b32 v11, v3
	v_cmp_gt_u32_e64 s2, s29, v25
	s_delay_alu instid0(VALU_DEP_1)
	s_and_saveexec_b32 s30, s2
	s_cbranch_execz .LBB885_55
; %bb.54:
	v_lshlrev_b32_e32 v11, 1, v0
	s_clause 0x1
	global_load_u16 v22, v11, s[8:9] offset:3072
	global_load_u16 v26, v11, s[22:23] offset:3072
	v_add_co_u32 v11, s31, s26, v25
	s_delay_alu instid0(VALU_DEP_1)
	v_add_co_ci_u32_e64 v12, null, s28, 0, s31
	s_waitcnt vmcnt(0)
	v_cmp_ne_u16_e32 vcc_lo, v22, v26
	v_cndmask_b32_e64 v22, 0, 1, vcc_lo
.LBB885_55:
	s_or_b32 exec_lo, exec_lo, s30
	v_or_b32_e32 v25, 0x700, v0
	s_delay_alu instid0(VALU_DEP_1)
	v_cmp_gt_u32_e32 vcc_lo, s29, v25
	s_and_saveexec_b32 s30, vcc_lo
	s_cbranch_execnz .LBB885_232
; %bb.56:
	s_or_b32 exec_lo, exec_lo, s30
	s_and_saveexec_b32 s9, s7
	s_cbranch_execnz .LBB885_233
.LBB885_57:
	s_or_b32 exec_lo, exec_lo, s9
	s_and_saveexec_b32 s8, s6
	s_cbranch_execnz .LBB885_234
.LBB885_58:
	s_or_b32 exec_lo, exec_lo, s8
	s_and_saveexec_b32 s7, s5
	s_cbranch_execnz .LBB885_235
.LBB885_59:
	s_or_b32 exec_lo, exec_lo, s7
	s_and_saveexec_b32 s6, s4
	s_cbranch_execnz .LBB885_236
.LBB885_60:
	s_or_b32 exec_lo, exec_lo, s6
	s_and_saveexec_b32 s5, s3
	s_cbranch_execnz .LBB885_237
.LBB885_61:
	s_or_b32 exec_lo, exec_lo, s5
	s_and_saveexec_b32 s4, s2
	s_cbranch_execnz .LBB885_238
.LBB885_62:
	s_or_b32 exec_lo, exec_lo, s4
	s_and_saveexec_b32 s3, vcc_lo
.LBB885_63:
	v_and_b32_e32 v5, 1, v18
	v_cmp_lt_i64_e32 vcc_lo, v[3:4], v[1:2]
	s_delay_alu instid0(VALU_DEP_2) | instskip(NEXT) | instid1(VALU_DEP_1)
	v_cmp_eq_u32_e64 s2, 1, v5
	s_and_b32 vcc_lo, s2, vcc_lo
	v_cndmask_b32_e64 v6, v17, 1, s2
	v_dual_cndmask_b32 v2, v2, v4 :: v_dual_and_b32 v5, 1, v17
	v_cndmask_b32_e32 v1, v1, v3, vcc_lo
	s_delay_alu instid0(VALU_DEP_2) | instskip(NEXT) | instid1(VALU_DEP_3)
	v_cmp_eq_u32_e32 vcc_lo, 1, v5
	v_cndmask_b32_e32 v2, v4, v2, vcc_lo
	v_cndmask_b32_e32 v17, v18, v6, vcc_lo
	s_delay_alu instid0(VALU_DEP_4)
	v_cndmask_b32_e32 v1, v3, v1, vcc_lo
.LBB885_64:
	s_or_b32 exec_lo, exec_lo, s3
	v_mbcnt_lo_u32_b32 v5, -1, 0
	v_and_b32_e32 v7, 0xe0, v0
	s_min_u32 s3, s29, 0x100
	v_and_b32_e32 v6, 0xffff, v17
	s_delay_alu instid0(VALU_DEP_3) | instskip(NEXT) | instid1(VALU_DEP_3)
	v_cmp_ne_u32_e32 vcc_lo, 31, v5
	v_sub_nc_u32_e64 v8, s3, v7 clamp
	v_add_nc_u32_e32 v7, 1, v5
	v_add_co_ci_u32_e32 v3, vcc_lo, 0, v5, vcc_lo
	s_delay_alu instid0(VALU_DEP_2) | instskip(NEXT) | instid1(VALU_DEP_2)
	v_cmp_lt_u32_e32 vcc_lo, v7, v8
	v_dual_mov_b32 v7, v6 :: v_dual_lshlrev_b32 v4, 2, v3
	ds_bpermute_b32 v9, v4, v6
	ds_bpermute_b32 v3, v4, v1
	;; [unrolled: 1-line block ×3, first 2 shown]
	s_and_saveexec_b32 s2, vcc_lo
	s_delay_alu instid0(SALU_CYCLE_1)
	s_xor_b32 s4, exec_lo, s2
	s_cbranch_execz .LBB885_66
; %bb.65:
	s_waitcnt lgkmcnt(2)
	v_and_b32_e32 v7, 1, v9
	s_waitcnt lgkmcnt(0)
	v_cmp_lt_i64_e32 vcc_lo, v[3:4], v[1:2]
	s_delay_alu instid0(VALU_DEP_2) | instskip(SKIP_1) | instid1(VALU_DEP_2)
	v_cmp_eq_u32_e64 s2, 1, v7
	v_and_b32_e32 v7, 1, v17
	v_cndmask_b32_e64 v6, v6, 1, s2
	s_and_b32 vcc_lo, s2, vcc_lo
	s_delay_alu instid0(VALU_DEP_2) | instskip(SKIP_1) | instid1(VALU_DEP_2)
	v_cmp_eq_u32_e64 s2, 1, v7
	v_dual_cndmask_b32 v2, v2, v4 :: v_dual_cndmask_b32 v1, v1, v3
	v_cndmask_b32_e64 v7, v9, v6, s2
	s_delay_alu instid0(VALU_DEP_2) | instskip(NEXT) | instid1(VALU_DEP_3)
	v_cndmask_b32_e64 v2, v4, v2, s2
	v_cndmask_b32_e64 v1, v3, v1, s2
	s_delay_alu instid0(VALU_DEP_3)
	v_and_b32_e32 v6, 0xff, v7
.LBB885_66:
	s_or_b32 exec_lo, exec_lo, s4
	v_cmp_gt_u32_e32 vcc_lo, 30, v5
	v_add_nc_u32_e32 v10, 2, v5
	s_mov_b32 s4, exec_lo
	s_waitcnt lgkmcnt(1)
	v_cndmask_b32_e64 v3, 0, 1, vcc_lo
	s_delay_alu instid0(VALU_DEP_1) | instskip(SKIP_1) | instid1(VALU_DEP_1)
	v_lshlrev_b32_e32 v3, 1, v3
	s_waitcnt lgkmcnt(0)
	v_add_lshl_u32 v4, v3, v5, 2
	ds_bpermute_b32 v9, v4, v6
	ds_bpermute_b32 v3, v4, v1
	ds_bpermute_b32 v4, v4, v2
	v_cmpx_lt_u32_e64 v10, v8
	s_cbranch_execz .LBB885_68
; %bb.67:
	s_waitcnt lgkmcnt(2)
	v_and_b32_e32 v6, 1, v9
	s_waitcnt lgkmcnt(0)
	v_cmp_lt_i64_e32 vcc_lo, v[3:4], v[1:2]
	s_delay_alu instid0(VALU_DEP_2) | instskip(SKIP_1) | instid1(VALU_DEP_2)
	v_cmp_eq_u32_e64 s2, 1, v6
	v_and_b32_e32 v6, 1, v7
	v_cndmask_b32_e64 v7, v7, 1, s2
	s_and_b32 vcc_lo, s2, vcc_lo
	s_delay_alu instid0(VALU_DEP_2) | instskip(SKIP_1) | instid1(VALU_DEP_2)
	v_cmp_eq_u32_e64 s2, 1, v6
	v_dual_cndmask_b32 v1, v1, v3 :: v_dual_cndmask_b32 v2, v2, v4
	v_cndmask_b32_e64 v7, v9, v7, s2
	s_delay_alu instid0(VALU_DEP_2) | instskip(NEXT) | instid1(VALU_DEP_3)
	v_cndmask_b32_e64 v1, v3, v1, s2
	v_cndmask_b32_e64 v2, v4, v2, s2
	s_delay_alu instid0(VALU_DEP_3)
	v_and_b32_e32 v6, 0xff, v7
.LBB885_68:
	s_or_b32 exec_lo, exec_lo, s4
	v_cmp_gt_u32_e32 vcc_lo, 28, v5
	v_add_nc_u32_e32 v10, 4, v5
	s_mov_b32 s4, exec_lo
	s_waitcnt lgkmcnt(1)
	v_cndmask_b32_e64 v3, 0, 1, vcc_lo
	s_delay_alu instid0(VALU_DEP_1) | instskip(SKIP_1) | instid1(VALU_DEP_1)
	v_lshlrev_b32_e32 v3, 2, v3
	s_waitcnt lgkmcnt(0)
	v_add_lshl_u32 v4, v3, v5, 2
	ds_bpermute_b32 v9, v4, v6
	ds_bpermute_b32 v3, v4, v1
	ds_bpermute_b32 v4, v4, v2
	v_cmpx_lt_u32_e64 v10, v8
	;; [unrolled: 35-line block ×4, first 2 shown]
	s_cbranch_execz .LBB885_74
; %bb.73:
	s_waitcnt lgkmcnt(2)
	v_and_b32_e32 v6, 1, v9
	s_waitcnt lgkmcnt(0)
	v_cmp_lt_i64_e32 vcc_lo, v[3:4], v[1:2]
	s_delay_alu instid0(VALU_DEP_2) | instskip(SKIP_1) | instid1(VALU_DEP_2)
	v_cmp_eq_u32_e64 s2, 1, v6
	v_and_b32_e32 v6, 1, v7
	v_cndmask_b32_e64 v7, v7, 1, s2
	s_and_b32 vcc_lo, s2, vcc_lo
	s_delay_alu instid0(VALU_DEP_2) | instskip(SKIP_1) | instid1(VALU_DEP_2)
	v_cmp_eq_u32_e64 s2, 1, v6
	v_dual_cndmask_b32 v1, v1, v3 :: v_dual_cndmask_b32 v2, v2, v4
	v_cndmask_b32_e64 v7, v9, v7, s2
	s_delay_alu instid0(VALU_DEP_2) | instskip(NEXT) | instid1(VALU_DEP_3)
	v_cndmask_b32_e64 v1, v3, v1, s2
	v_cndmask_b32_e64 v2, v4, v2, s2
	s_delay_alu instid0(VALU_DEP_3)
	v_and_b32_e32 v6, 0xff, v7
.LBB885_74:
	s_or_b32 exec_lo, exec_lo, s4
	s_delay_alu instid0(SALU_CYCLE_1)
	s_mov_b32 s2, exec_lo
	v_cmpx_eq_u32_e32 0, v5
	s_cbranch_execz .LBB885_76
; %bb.75:
	s_waitcnt lgkmcnt(1)
	v_lshrrev_b32_e32 v3, 1, v0
	s_delay_alu instid0(VALU_DEP_1)
	v_and_b32_e32 v3, 0x70, v3
	ds_store_b8 v3, v7 offset:512
	ds_store_b64 v3, v[1:2] offset:520
.LBB885_76:
	s_or_b32 exec_lo, exec_lo, s2
	s_delay_alu instid0(SALU_CYCLE_1)
	s_mov_b32 s4, exec_lo
	s_waitcnt lgkmcnt(0)
	s_barrier
	buffer_gl0_inv
	v_cmpx_gt_u32_e32 8, v0
	s_cbranch_execz .LBB885_84
; %bb.77:
	v_lshlrev_b32_e32 v1, 4, v5
	v_and_b32_e32 v8, 7, v5
	s_add_i32 s3, s3, 31
	s_mov_b32 s5, exec_lo
	s_lshr_b32 s3, s3, 5
	ds_load_u8 v7, v1 offset:512
	ds_load_b64 v[1:2], v1 offset:520
	v_cmp_ne_u32_e32 vcc_lo, 7, v8
	v_add_nc_u32_e32 v10, 1, v8
	v_add_co_ci_u32_e32 v3, vcc_lo, 0, v5, vcc_lo
	s_delay_alu instid0(VALU_DEP_1)
	v_lshlrev_b32_e32 v4, 2, v3
	s_waitcnt lgkmcnt(1)
	v_and_b32_e32 v6, 0xff, v7
	s_waitcnt lgkmcnt(0)
	ds_bpermute_b32 v3, v4, v1
	ds_bpermute_b32 v9, v4, v6
	;; [unrolled: 1-line block ×3, first 2 shown]
	v_cmpx_gt_u32_e64 s3, v10
	s_cbranch_execz .LBB885_79
; %bb.78:
	s_waitcnt lgkmcnt(1)
	v_and_b32_e32 v6, 1, v9
	s_waitcnt lgkmcnt(0)
	v_cmp_lt_i64_e32 vcc_lo, v[3:4], v[1:2]
	s_delay_alu instid0(VALU_DEP_2) | instskip(SKIP_1) | instid1(VALU_DEP_2)
	v_cmp_eq_u32_e64 s2, 1, v6
	v_and_b32_e32 v6, 1, v7
	v_cndmask_b32_e64 v7, v7, 1, s2
	s_and_b32 vcc_lo, s2, vcc_lo
	s_delay_alu instid0(VALU_DEP_2) | instskip(SKIP_1) | instid1(VALU_DEP_2)
	v_cmp_eq_u32_e64 s2, 1, v6
	v_dual_cndmask_b32 v1, v1, v3 :: v_dual_cndmask_b32 v2, v2, v4
	v_cndmask_b32_e64 v7, v9, v7, s2
	s_delay_alu instid0(VALU_DEP_2) | instskip(NEXT) | instid1(VALU_DEP_3)
	v_cndmask_b32_e64 v1, v3, v1, s2
	v_cndmask_b32_e64 v2, v4, v2, s2
	s_delay_alu instid0(VALU_DEP_3)
	v_and_b32_e32 v6, 0xff, v7
.LBB885_79:
	s_or_b32 exec_lo, exec_lo, s5
	v_cmp_gt_u32_e32 vcc_lo, 6, v8
	v_add_nc_u32_e32 v10, 2, v8
	s_mov_b32 s5, exec_lo
	s_waitcnt lgkmcnt(2)
	v_cndmask_b32_e64 v3, 0, 1, vcc_lo
	s_delay_alu instid0(VALU_DEP_1) | instskip(SKIP_1) | instid1(VALU_DEP_1)
	v_lshlrev_b32_e32 v3, 1, v3
	s_waitcnt lgkmcnt(0)
	v_add_lshl_u32 v4, v3, v5, 2
	ds_bpermute_b32 v9, v4, v6
	ds_bpermute_b32 v3, v4, v1
	;; [unrolled: 1-line block ×3, first 2 shown]
	v_cmpx_gt_u32_e64 s3, v10
	s_cbranch_execz .LBB885_81
; %bb.80:
	s_waitcnt lgkmcnt(2)
	v_and_b32_e32 v6, 1, v9
	s_waitcnt lgkmcnt(0)
	v_cmp_lt_i64_e32 vcc_lo, v[3:4], v[1:2]
	s_delay_alu instid0(VALU_DEP_2) | instskip(SKIP_1) | instid1(VALU_DEP_2)
	v_cmp_eq_u32_e64 s2, 1, v6
	v_and_b32_e32 v6, 1, v7
	v_cndmask_b32_e64 v7, v7, 1, s2
	s_and_b32 vcc_lo, s2, vcc_lo
	s_delay_alu instid0(VALU_DEP_2) | instskip(SKIP_1) | instid1(VALU_DEP_2)
	v_cmp_eq_u32_e64 s2, 1, v6
	v_dual_cndmask_b32 v1, v1, v3 :: v_dual_cndmask_b32 v2, v2, v4
	v_cndmask_b32_e64 v7, v9, v7, s2
	s_delay_alu instid0(VALU_DEP_2) | instskip(NEXT) | instid1(VALU_DEP_3)
	v_cndmask_b32_e64 v1, v3, v1, s2
	v_cndmask_b32_e64 v2, v4, v2, s2
	s_delay_alu instid0(VALU_DEP_3)
	v_and_b32_e32 v6, 0xff, v7
.LBB885_81:
	s_or_b32 exec_lo, exec_lo, s5
	v_cmp_gt_u32_e32 vcc_lo, 4, v8
	v_add_nc_u32_e32 v8, 4, v8
	s_waitcnt lgkmcnt(1)
	v_cndmask_b32_e64 v3, 0, 1, vcc_lo
	s_delay_alu instid0(VALU_DEP_2) | instskip(NEXT) | instid1(VALU_DEP_2)
	v_cmp_gt_u32_e32 vcc_lo, s3, v8
	v_lshlrev_b32_e32 v3, 2, v3
	s_waitcnt lgkmcnt(0)
	s_delay_alu instid0(VALU_DEP_1)
	v_add_lshl_u32 v4, v3, v5, 2
	ds_bpermute_b32 v5, v4, v6
	ds_bpermute_b32 v3, v4, v1
	;; [unrolled: 1-line block ×3, first 2 shown]
	s_and_saveexec_b32 s3, vcc_lo
	s_cbranch_execz .LBB885_83
; %bb.82:
	s_waitcnt lgkmcnt(2)
	v_and_b32_e32 v6, 1, v5
	s_waitcnt lgkmcnt(0)
	v_cmp_lt_i64_e32 vcc_lo, v[3:4], v[1:2]
	s_delay_alu instid0(VALU_DEP_2) | instskip(SKIP_1) | instid1(VALU_DEP_2)
	v_cmp_eq_u32_e64 s2, 1, v6
	v_and_b32_e32 v6, 1, v7
	v_cndmask_b32_e64 v7, v7, 1, s2
	s_and_b32 vcc_lo, s2, vcc_lo
	s_delay_alu instid0(VALU_DEP_2) | instskip(SKIP_1) | instid1(VALU_DEP_2)
	v_cmp_eq_u32_e64 s2, 1, v6
	v_dual_cndmask_b32 v1, v1, v3 :: v_dual_cndmask_b32 v2, v2, v4
	v_cndmask_b32_e64 v5, v5, v7, s2
	s_delay_alu instid0(VALU_DEP_2) | instskip(NEXT) | instid1(VALU_DEP_3)
	v_cndmask_b32_e64 v1, v3, v1, s2
	v_cndmask_b32_e64 v2, v4, v2, s2
	s_delay_alu instid0(VALU_DEP_3)
	v_and_b32_e32 v6, 0xff, v5
.LBB885_83:
	s_or_b32 exec_lo, exec_lo, s3
.LBB885_84:
	s_delay_alu instid0(SALU_CYCLE_1)
	s_or_b32 exec_lo, exec_lo, s4
.LBB885_85:
	s_mov_b32 s26, 0
                                        ; implicit-def: $vgpr3_vgpr4
                                        ; implicit-def: $vgpr5
	s_mov_b32 s2, exec_lo
	v_cmpx_eq_u32_e32 0, v0
	s_xor_b32 s4, exec_lo, s2
	s_cbranch_execz .LBB885_89
; %bb.86:
	s_waitcnt lgkmcnt(0)
	v_dual_mov_b32 v3, s20 :: v_dual_mov_b32 v4, s21
	v_mov_b32_e32 v5, s24
	s_cmp_eq_u64 s[14:15], 0
	s_cbranch_scc1 .LBB885_88
; %bb.87:
	v_and_b32_e32 v3, 1, v6
	v_cmp_gt_i64_e32 vcc_lo, s[20:21], v[1:2]
	s_bitcmp1_b32 s24, 0
	s_cselect_b32 s3, -1, 0
	s_delay_alu instid0(VALU_DEP_2) | instskip(NEXT) | instid1(VALU_DEP_1)
	v_cmp_eq_u32_e64 s2, 1, v3
	s_and_b32 vcc_lo, s2, vcc_lo
	v_cndmask_b32_e64 v3, s24, 1, s2
	v_cndmask_b32_e32 v7, s20, v1, vcc_lo
	v_cndmask_b32_e32 v4, s21, v2, vcc_lo
	s_delay_alu instid0(VALU_DEP_3) | instskip(NEXT) | instid1(VALU_DEP_3)
	v_cndmask_b32_e64 v5, v6, v3, s3
	v_cndmask_b32_e64 v3, v1, v7, s3
	s_delay_alu instid0(VALU_DEP_3)
	v_cndmask_b32_e64 v4, v2, v4, s3
.LBB885_88:
	s_mov_b32 s26, exec_lo
.LBB885_89:
	s_or_b32 exec_lo, exec_lo, s4
	s_delay_alu instid0(SALU_CYCLE_1)
	s_and_b32 vcc_lo, exec_lo, s27
	s_cbranch_vccnz .LBB885_22
.LBB885_90:
	s_branch .LBB885_200
.LBB885_91:
                                        ; implicit-def: $vgpr1_vgpr2
                                        ; implicit-def: $vgpr6
	s_cbranch_execz .LBB885_124
; %bb.92:
	s_waitcnt lgkmcnt(2)
	v_mov_b32_e32 v5, 0
	v_dual_mov_b32 v6, 0 :: v_dual_mov_b32 v11, 0
	s_delay_alu instid0(VALU_DEP_2) | instskip(SKIP_2) | instid1(VALU_DEP_3)
	v_mov_b32_e32 v1, v5
	v_mov_b32_e32 v9, 0
	s_sub_i32 s22, s14, s22
	v_mov_b32_e32 v2, v6
	s_mov_b32 s2, exec_lo
	v_cmpx_gt_u32_e64 s22, v0
	s_cbranch_execz .LBB885_94
; %bb.93:
	v_lshlrev_b32_e32 v1, 1, v0
	s_waitcnt lgkmcnt(1)
	global_load_u16 v3, v1, s[6:7]
	s_waitcnt lgkmcnt(0)
	global_load_u16 v4, v1, s[8:9]
	v_add_co_u32 v1, s3, s5, v0
	s_delay_alu instid0(VALU_DEP_1)
	v_add_co_ci_u32_e64 v2, null, s23, 0, s3
	s_waitcnt vmcnt(0)
	v_cmp_ne_u16_e32 vcc_lo, v3, v4
	v_cndmask_b32_e64 v9, 0, 1, vcc_lo
.LBB885_94:
	s_or_b32 exec_lo, exec_lo, s2
	s_waitcnt lgkmcnt(1)
	v_or_b32_e32 v3, 0x100, v0
	s_delay_alu instid0(VALU_DEP_1) | instskip(NEXT) | instid1(VALU_DEP_1)
	v_cmp_gt_u32_e64 s3, s22, v3
	s_and_saveexec_b32 s2, s3
	s_cbranch_execz .LBB885_96
; %bb.95:
	s_waitcnt lgkmcnt(0)
	v_lshlrev_b32_e32 v4, 1, v0
	v_add_co_u32 v5, s4, s5, v3
	s_delay_alu instid0(VALU_DEP_1)
	v_add_co_ci_u32_e64 v6, null, s23, 0, s4
	s_clause 0x1
	global_load_u16 v7, v4, s[6:7] offset:512
	global_load_u16 v4, v4, s[8:9] offset:512
	s_waitcnt vmcnt(0)
	v_cmp_ne_u16_e32 vcc_lo, v7, v4
	v_cndmask_b32_e64 v11, 0, 1, vcc_lo
.LBB885_96:
	s_or_b32 exec_lo, exec_lo, s2
	s_waitcnt lgkmcnt(0)
	v_dual_mov_b32 v3, 0 :: v_dual_mov_b32 v10, 0
	v_mov_b32_e32 v4, 0
	v_or_b32_e32 v13, 0x200, v0
	v_mov_b32_e32 v12, 0
	s_delay_alu instid0(VALU_DEP_3) | instskip(NEXT) | instid1(VALU_DEP_3)
	v_dual_mov_b32 v8, v4 :: v_dual_mov_b32 v7, v3
	v_cmp_gt_u32_e64 s2, s22, v13
	s_delay_alu instid0(VALU_DEP_1)
	s_and_saveexec_b32 s4, s2
	s_cbranch_execz .LBB885_98
; %bb.97:
	v_lshlrev_b32_e32 v7, 1, v0
	s_clause 0x1
	global_load_u16 v12, v7, s[6:7] offset:1024
	global_load_u16 v14, v7, s[8:9] offset:1024
	v_add_co_u32 v7, s27, s5, v13
	s_delay_alu instid0(VALU_DEP_1)
	v_add_co_ci_u32_e64 v8, null, s23, 0, s27
	s_waitcnt vmcnt(0)
	v_cmp_ne_u16_e32 vcc_lo, v12, v14
	v_cndmask_b32_e64 v12, 0, 1, vcc_lo
.LBB885_98:
	s_or_b32 exec_lo, exec_lo, s4
	v_or_b32_e32 v13, 0x300, v0
	s_delay_alu instid0(VALU_DEP_1)
	v_cmp_gt_u32_e32 vcc_lo, s22, v13
	s_and_saveexec_b32 s27, vcc_lo
	s_cbranch_execnz .LBB885_239
; %bb.99:
	s_or_b32 exec_lo, exec_lo, s27
	s_and_saveexec_b32 s5, s3
	s_cbranch_execnz .LBB885_240
.LBB885_100:
	s_or_b32 exec_lo, exec_lo, s5
	s_and_saveexec_b32 s4, s2
	s_cbranch_execnz .LBB885_241
.LBB885_101:
	s_or_b32 exec_lo, exec_lo, s4
	s_and_saveexec_b32 s3, vcc_lo
.LBB885_102:
	v_and_b32_e32 v5, 1, v10
	v_cmp_lt_i64_e32 vcc_lo, v[3:4], v[1:2]
	s_delay_alu instid0(VALU_DEP_2) | instskip(NEXT) | instid1(VALU_DEP_1)
	v_cmp_eq_u32_e64 s2, 1, v5
	s_and_b32 vcc_lo, s2, vcc_lo
	v_cndmask_b32_e64 v6, v9, 1, s2
	v_dual_cndmask_b32 v2, v2, v4 :: v_dual_and_b32 v5, 1, v9
	v_cndmask_b32_e32 v1, v1, v3, vcc_lo
	s_delay_alu instid0(VALU_DEP_2) | instskip(NEXT) | instid1(VALU_DEP_3)
	v_cmp_eq_u32_e32 vcc_lo, 1, v5
	v_cndmask_b32_e32 v2, v4, v2, vcc_lo
	v_cndmask_b32_e32 v9, v10, v6, vcc_lo
	s_delay_alu instid0(VALU_DEP_4)
	v_cndmask_b32_e32 v1, v3, v1, vcc_lo
.LBB885_103:
	s_or_b32 exec_lo, exec_lo, s3
	v_mbcnt_lo_u32_b32 v5, -1, 0
	v_and_b32_e32 v7, 0xe0, v0
	s_min_u32 s3, s22, 0x100
	v_and_b32_e32 v6, 0xffff, v9
	s_delay_alu instid0(VALU_DEP_3) | instskip(NEXT) | instid1(VALU_DEP_3)
	v_cmp_ne_u32_e32 vcc_lo, 31, v5
	v_sub_nc_u32_e64 v8, s3, v7 clamp
	v_add_nc_u32_e32 v7, 1, v5
	v_add_co_ci_u32_e32 v3, vcc_lo, 0, v5, vcc_lo
	s_delay_alu instid0(VALU_DEP_2) | instskip(NEXT) | instid1(VALU_DEP_2)
	v_cmp_lt_u32_e32 vcc_lo, v7, v8
	v_dual_mov_b32 v7, v6 :: v_dual_lshlrev_b32 v4, 2, v3
	ds_bpermute_b32 v10, v4, v6
	ds_bpermute_b32 v3, v4, v1
	;; [unrolled: 1-line block ×3, first 2 shown]
	s_and_saveexec_b32 s2, vcc_lo
	s_delay_alu instid0(SALU_CYCLE_1)
	s_xor_b32 s4, exec_lo, s2
	s_cbranch_execz .LBB885_105
; %bb.104:
	s_waitcnt lgkmcnt(2)
	v_and_b32_e32 v7, 1, v10
	s_waitcnt lgkmcnt(0)
	v_cmp_lt_i64_e32 vcc_lo, v[3:4], v[1:2]
	s_delay_alu instid0(VALU_DEP_2) | instskip(SKIP_1) | instid1(VALU_DEP_2)
	v_cmp_eq_u32_e64 s2, 1, v7
	v_and_b32_e32 v7, 1, v9
	v_cndmask_b32_e64 v6, v6, 1, s2
	s_and_b32 vcc_lo, s2, vcc_lo
	s_delay_alu instid0(VALU_DEP_2) | instskip(SKIP_1) | instid1(VALU_DEP_2)
	v_cmp_eq_u32_e64 s2, 1, v7
	v_dual_cndmask_b32 v2, v2, v4 :: v_dual_cndmask_b32 v1, v1, v3
	v_cndmask_b32_e64 v7, v10, v6, s2
	s_delay_alu instid0(VALU_DEP_2) | instskip(NEXT) | instid1(VALU_DEP_3)
	v_cndmask_b32_e64 v2, v4, v2, s2
	v_cndmask_b32_e64 v1, v3, v1, s2
	s_delay_alu instid0(VALU_DEP_3)
	v_and_b32_e32 v6, 0xff, v7
.LBB885_105:
	s_or_b32 exec_lo, exec_lo, s4
	v_cmp_gt_u32_e32 vcc_lo, 30, v5
	s_waitcnt lgkmcnt(2)
	v_add_nc_u32_e32 v10, 2, v5
	s_mov_b32 s4, exec_lo
	s_waitcnt lgkmcnt(1)
	v_cndmask_b32_e64 v3, 0, 1, vcc_lo
	s_delay_alu instid0(VALU_DEP_1) | instskip(SKIP_1) | instid1(VALU_DEP_1)
	v_lshlrev_b32_e32 v3, 1, v3
	s_waitcnt lgkmcnt(0)
	v_add_lshl_u32 v4, v3, v5, 2
	ds_bpermute_b32 v9, v4, v6
	ds_bpermute_b32 v3, v4, v1
	ds_bpermute_b32 v4, v4, v2
	v_cmpx_lt_u32_e64 v10, v8
	s_cbranch_execz .LBB885_107
; %bb.106:
	s_waitcnt lgkmcnt(2)
	v_and_b32_e32 v6, 1, v9
	s_waitcnt lgkmcnt(0)
	v_cmp_lt_i64_e32 vcc_lo, v[3:4], v[1:2]
	s_delay_alu instid0(VALU_DEP_2) | instskip(SKIP_1) | instid1(VALU_DEP_2)
	v_cmp_eq_u32_e64 s2, 1, v6
	v_and_b32_e32 v6, 1, v7
	v_cndmask_b32_e64 v7, v7, 1, s2
	s_and_b32 vcc_lo, s2, vcc_lo
	s_delay_alu instid0(VALU_DEP_2) | instskip(SKIP_1) | instid1(VALU_DEP_2)
	v_cmp_eq_u32_e64 s2, 1, v6
	v_dual_cndmask_b32 v1, v1, v3 :: v_dual_cndmask_b32 v2, v2, v4
	v_cndmask_b32_e64 v7, v9, v7, s2
	s_delay_alu instid0(VALU_DEP_2) | instskip(NEXT) | instid1(VALU_DEP_3)
	v_cndmask_b32_e64 v1, v3, v1, s2
	v_cndmask_b32_e64 v2, v4, v2, s2
	s_delay_alu instid0(VALU_DEP_3)
	v_and_b32_e32 v6, 0xff, v7
.LBB885_107:
	s_or_b32 exec_lo, exec_lo, s4
	v_cmp_gt_u32_e32 vcc_lo, 28, v5
	v_add_nc_u32_e32 v10, 4, v5
	s_mov_b32 s4, exec_lo
	s_waitcnt lgkmcnt(1)
	v_cndmask_b32_e64 v3, 0, 1, vcc_lo
	s_delay_alu instid0(VALU_DEP_1) | instskip(SKIP_1) | instid1(VALU_DEP_1)
	v_lshlrev_b32_e32 v3, 2, v3
	s_waitcnt lgkmcnt(0)
	v_add_lshl_u32 v4, v3, v5, 2
	ds_bpermute_b32 v9, v4, v6
	ds_bpermute_b32 v3, v4, v1
	ds_bpermute_b32 v4, v4, v2
	v_cmpx_lt_u32_e64 v10, v8
	s_cbranch_execz .LBB885_109
; %bb.108:
	s_waitcnt lgkmcnt(2)
	v_and_b32_e32 v6, 1, v9
	s_waitcnt lgkmcnt(0)
	v_cmp_lt_i64_e32 vcc_lo, v[3:4], v[1:2]
	s_delay_alu instid0(VALU_DEP_2) | instskip(SKIP_1) | instid1(VALU_DEP_2)
	v_cmp_eq_u32_e64 s2, 1, v6
	v_and_b32_e32 v6, 1, v7
	v_cndmask_b32_e64 v7, v7, 1, s2
	s_and_b32 vcc_lo, s2, vcc_lo
	s_delay_alu instid0(VALU_DEP_2) | instskip(SKIP_1) | instid1(VALU_DEP_2)
	v_cmp_eq_u32_e64 s2, 1, v6
	v_dual_cndmask_b32 v1, v1, v3 :: v_dual_cndmask_b32 v2, v2, v4
	v_cndmask_b32_e64 v7, v9, v7, s2
	s_delay_alu instid0(VALU_DEP_2) | instskip(NEXT) | instid1(VALU_DEP_3)
	v_cndmask_b32_e64 v1, v3, v1, s2
	v_cndmask_b32_e64 v2, v4, v2, s2
	s_delay_alu instid0(VALU_DEP_3)
	v_and_b32_e32 v6, 0xff, v7
.LBB885_109:
	s_or_b32 exec_lo, exec_lo, s4
	v_cmp_gt_u32_e32 vcc_lo, 24, v5
	;; [unrolled: 35-line block ×3, first 2 shown]
	v_add_nc_u32_e32 v10, 16, v5
	s_mov_b32 s4, exec_lo
	s_waitcnt lgkmcnt(1)
	v_cndmask_b32_e64 v3, 0, 1, vcc_lo
	s_delay_alu instid0(VALU_DEP_1) | instskip(SKIP_1) | instid1(VALU_DEP_1)
	v_lshlrev_b32_e32 v3, 4, v3
	s_waitcnt lgkmcnt(0)
	v_add_lshl_u32 v4, v3, v5, 2
	ds_bpermute_b32 v9, v4, v6
	ds_bpermute_b32 v3, v4, v1
	;; [unrolled: 1-line block ×3, first 2 shown]
	v_cmpx_lt_u32_e64 v10, v8
	s_cbranch_execz .LBB885_113
; %bb.112:
	s_waitcnt lgkmcnt(2)
	v_and_b32_e32 v6, 1, v9
	s_waitcnt lgkmcnt(0)
	v_cmp_lt_i64_e32 vcc_lo, v[3:4], v[1:2]
	s_delay_alu instid0(VALU_DEP_2) | instskip(SKIP_1) | instid1(VALU_DEP_2)
	v_cmp_eq_u32_e64 s2, 1, v6
	v_and_b32_e32 v6, 1, v7
	v_cndmask_b32_e64 v7, v7, 1, s2
	s_and_b32 vcc_lo, s2, vcc_lo
	s_delay_alu instid0(VALU_DEP_2) | instskip(SKIP_1) | instid1(VALU_DEP_2)
	v_cmp_eq_u32_e64 s2, 1, v6
	v_dual_cndmask_b32 v1, v1, v3 :: v_dual_cndmask_b32 v2, v2, v4
	v_cndmask_b32_e64 v7, v9, v7, s2
	s_delay_alu instid0(VALU_DEP_2) | instskip(NEXT) | instid1(VALU_DEP_3)
	v_cndmask_b32_e64 v1, v3, v1, s2
	v_cndmask_b32_e64 v2, v4, v2, s2
	s_delay_alu instid0(VALU_DEP_3)
	v_and_b32_e32 v6, 0xff, v7
.LBB885_113:
	s_or_b32 exec_lo, exec_lo, s4
	s_delay_alu instid0(SALU_CYCLE_1)
	s_mov_b32 s2, exec_lo
	v_cmpx_eq_u32_e32 0, v5
	s_cbranch_execz .LBB885_115
; %bb.114:
	s_waitcnt lgkmcnt(1)
	v_lshrrev_b32_e32 v3, 1, v0
	s_delay_alu instid0(VALU_DEP_1)
	v_and_b32_e32 v3, 0x70, v3
	ds_store_b8 v3, v7 offset:512
	ds_store_b64 v3, v[1:2] offset:520
.LBB885_115:
	s_or_b32 exec_lo, exec_lo, s2
	s_delay_alu instid0(SALU_CYCLE_1)
	s_mov_b32 s4, exec_lo
	s_waitcnt lgkmcnt(0)
	s_barrier
	buffer_gl0_inv
	v_cmpx_gt_u32_e32 8, v0
	s_cbranch_execz .LBB885_123
; %bb.116:
	v_lshlrev_b32_e32 v1, 4, v5
	v_and_b32_e32 v8, 7, v5
	s_add_i32 s3, s3, 31
	s_mov_b32 s5, exec_lo
	s_lshr_b32 s3, s3, 5
	ds_load_u8 v7, v1 offset:512
	ds_load_b64 v[1:2], v1 offset:520
	v_cmp_ne_u32_e32 vcc_lo, 7, v8
	v_add_nc_u32_e32 v10, 1, v8
	v_add_co_ci_u32_e32 v3, vcc_lo, 0, v5, vcc_lo
	s_delay_alu instid0(VALU_DEP_1)
	v_lshlrev_b32_e32 v4, 2, v3
	s_waitcnt lgkmcnt(1)
	v_and_b32_e32 v6, 0xff, v7
	s_waitcnt lgkmcnt(0)
	ds_bpermute_b32 v3, v4, v1
	ds_bpermute_b32 v9, v4, v6
	;; [unrolled: 1-line block ×3, first 2 shown]
	v_cmpx_gt_u32_e64 s3, v10
	s_cbranch_execz .LBB885_118
; %bb.117:
	s_waitcnt lgkmcnt(1)
	v_and_b32_e32 v6, 1, v9
	s_waitcnt lgkmcnt(0)
	v_cmp_lt_i64_e32 vcc_lo, v[3:4], v[1:2]
	s_delay_alu instid0(VALU_DEP_2) | instskip(SKIP_1) | instid1(VALU_DEP_2)
	v_cmp_eq_u32_e64 s2, 1, v6
	v_and_b32_e32 v6, 1, v7
	v_cndmask_b32_e64 v7, v7, 1, s2
	s_and_b32 vcc_lo, s2, vcc_lo
	s_delay_alu instid0(VALU_DEP_2) | instskip(SKIP_1) | instid1(VALU_DEP_2)
	v_cmp_eq_u32_e64 s2, 1, v6
	v_dual_cndmask_b32 v1, v1, v3 :: v_dual_cndmask_b32 v2, v2, v4
	v_cndmask_b32_e64 v7, v9, v7, s2
	s_delay_alu instid0(VALU_DEP_2) | instskip(NEXT) | instid1(VALU_DEP_3)
	v_cndmask_b32_e64 v1, v3, v1, s2
	v_cndmask_b32_e64 v2, v4, v2, s2
	s_delay_alu instid0(VALU_DEP_3)
	v_and_b32_e32 v6, 0xff, v7
.LBB885_118:
	s_or_b32 exec_lo, exec_lo, s5
	v_cmp_gt_u32_e32 vcc_lo, 6, v8
	v_add_nc_u32_e32 v10, 2, v8
	s_mov_b32 s5, exec_lo
	s_waitcnt lgkmcnt(2)
	v_cndmask_b32_e64 v3, 0, 1, vcc_lo
	s_delay_alu instid0(VALU_DEP_1) | instskip(SKIP_1) | instid1(VALU_DEP_1)
	v_lshlrev_b32_e32 v3, 1, v3
	s_waitcnt lgkmcnt(0)
	v_add_lshl_u32 v4, v3, v5, 2
	ds_bpermute_b32 v9, v4, v6
	ds_bpermute_b32 v3, v4, v1
	;; [unrolled: 1-line block ×3, first 2 shown]
	v_cmpx_gt_u32_e64 s3, v10
	s_cbranch_execz .LBB885_120
; %bb.119:
	s_waitcnt lgkmcnt(2)
	v_and_b32_e32 v6, 1, v9
	s_waitcnt lgkmcnt(0)
	v_cmp_lt_i64_e32 vcc_lo, v[3:4], v[1:2]
	s_delay_alu instid0(VALU_DEP_2) | instskip(SKIP_1) | instid1(VALU_DEP_2)
	v_cmp_eq_u32_e64 s2, 1, v6
	v_and_b32_e32 v6, 1, v7
	v_cndmask_b32_e64 v7, v7, 1, s2
	s_and_b32 vcc_lo, s2, vcc_lo
	s_delay_alu instid0(VALU_DEP_2) | instskip(SKIP_1) | instid1(VALU_DEP_2)
	v_cmp_eq_u32_e64 s2, 1, v6
	v_dual_cndmask_b32 v1, v1, v3 :: v_dual_cndmask_b32 v2, v2, v4
	v_cndmask_b32_e64 v7, v9, v7, s2
	s_delay_alu instid0(VALU_DEP_2) | instskip(NEXT) | instid1(VALU_DEP_3)
	v_cndmask_b32_e64 v1, v3, v1, s2
	v_cndmask_b32_e64 v2, v4, v2, s2
	s_delay_alu instid0(VALU_DEP_3)
	v_and_b32_e32 v6, 0xff, v7
.LBB885_120:
	s_or_b32 exec_lo, exec_lo, s5
	v_cmp_gt_u32_e32 vcc_lo, 4, v8
	v_add_nc_u32_e32 v8, 4, v8
	s_waitcnt lgkmcnt(1)
	v_cndmask_b32_e64 v3, 0, 1, vcc_lo
	s_delay_alu instid0(VALU_DEP_2) | instskip(NEXT) | instid1(VALU_DEP_2)
	v_cmp_gt_u32_e32 vcc_lo, s3, v8
	v_lshlrev_b32_e32 v3, 2, v3
	s_waitcnt lgkmcnt(0)
	s_delay_alu instid0(VALU_DEP_1)
	v_add_lshl_u32 v4, v3, v5, 2
	ds_bpermute_b32 v5, v4, v6
	ds_bpermute_b32 v3, v4, v1
	;; [unrolled: 1-line block ×3, first 2 shown]
	s_and_saveexec_b32 s3, vcc_lo
	s_cbranch_execz .LBB885_122
; %bb.121:
	s_waitcnt lgkmcnt(2)
	v_and_b32_e32 v6, 1, v5
	s_waitcnt lgkmcnt(0)
	v_cmp_lt_i64_e32 vcc_lo, v[3:4], v[1:2]
	s_delay_alu instid0(VALU_DEP_2) | instskip(SKIP_1) | instid1(VALU_DEP_2)
	v_cmp_eq_u32_e64 s2, 1, v6
	v_and_b32_e32 v6, 1, v7
	v_cndmask_b32_e64 v7, v7, 1, s2
	s_and_b32 vcc_lo, s2, vcc_lo
	s_delay_alu instid0(VALU_DEP_2) | instskip(SKIP_1) | instid1(VALU_DEP_2)
	v_cmp_eq_u32_e64 s2, 1, v6
	v_dual_cndmask_b32 v1, v1, v3 :: v_dual_cndmask_b32 v2, v2, v4
	v_cndmask_b32_e64 v5, v5, v7, s2
	s_delay_alu instid0(VALU_DEP_2) | instskip(NEXT) | instid1(VALU_DEP_3)
	v_cndmask_b32_e64 v1, v3, v1, s2
	v_cndmask_b32_e64 v2, v4, v2, s2
	s_delay_alu instid0(VALU_DEP_3)
	v_and_b32_e32 v6, 0xff, v5
.LBB885_122:
	s_or_b32 exec_lo, exec_lo, s3
.LBB885_123:
	s_delay_alu instid0(SALU_CYCLE_1)
	s_or_b32 exec_lo, exec_lo, s4
.LBB885_124:
                                        ; implicit-def: $vgpr3_vgpr4
                                        ; implicit-def: $vgpr5
	s_delay_alu instid0(SALU_CYCLE_1)
	s_mov_b32 s2, exec_lo
	v_cmpx_eq_u32_e32 0, v0
	s_xor_b32 s4, exec_lo, s2
	s_cbranch_execz .LBB885_128
; %bb.125:
	s_waitcnt lgkmcnt(0)
	v_dual_mov_b32 v3, s20 :: v_dual_mov_b32 v4, s21
	v_mov_b32_e32 v5, s24
	s_cmp_eq_u64 s[14:15], 0
	s_cbranch_scc1 .LBB885_127
; %bb.126:
	v_and_b32_e32 v3, 1, v6
	v_cmp_gt_i64_e32 vcc_lo, s[20:21], v[1:2]
	s_bitcmp1_b32 s24, 0
	s_cselect_b32 s3, -1, 0
	s_delay_alu instid0(VALU_DEP_2) | instskip(NEXT) | instid1(VALU_DEP_1)
	v_cmp_eq_u32_e64 s2, 1, v3
	s_and_b32 vcc_lo, s2, vcc_lo
	v_cndmask_b32_e64 v3, s24, 1, s2
	v_cndmask_b32_e32 v7, s20, v1, vcc_lo
	v_cndmask_b32_e32 v4, s21, v2, vcc_lo
	s_delay_alu instid0(VALU_DEP_3) | instskip(NEXT) | instid1(VALU_DEP_3)
	v_cndmask_b32_e64 v5, v6, v3, s3
	v_cndmask_b32_e64 v3, v1, v7, s3
	s_delay_alu instid0(VALU_DEP_3)
	v_cndmask_b32_e64 v4, v2, v4, s3
.LBB885_127:
	s_or_b32 s26, s26, exec_lo
.LBB885_128:
	s_or_b32 exec_lo, exec_lo, s4
	s_branch .LBB885_200
.LBB885_129:
	s_cmp_gt_i32 s25, 1
	s_cbranch_scc0 .LBB885_147
; %bb.130:
	s_cmp_eq_u32 s25, 2
	s_cbranch_scc0 .LBB885_148
; %bb.131:
	s_mov_b32 s11, 0
	s_lshl_b32 s8, s10, 9
	s_mov_b32 s9, s11
	s_lshr_b64 s[28:29], s[14:15], 9
	s_lshl_b64 s[2:3], s[8:9], 1
	s_delay_alu instid0(SALU_CYCLE_1)
	s_add_u32 s4, s16, s2
	s_addc_u32 s5, s17, s3
	s_add_u32 s6, s18, s2
	s_addc_u32 s7, s19, s3
	;; [unrolled: 2-line block ×3, first 2 shown]
	s_cmp_lg_u64 s[28:29], s[10:11]
	s_cbranch_scc0 .LBB885_149
; %bb.132:
	v_lshlrev_b32_e32 v1, 1, v0
	v_add_co_u32 v7, s2, s9, v0
	s_waitcnt lgkmcnt(2)
	v_add_co_ci_u32_e64 v5, null, s22, 0, s2
	global_load_u16 v2, v1, s[6:7] offset:512
	s_waitcnt lgkmcnt(1)
	global_load_u16 v3, v1, s[6:7]
	s_waitcnt lgkmcnt(0)
	s_clause 0x1
	global_load_u16 v4, v1, s[4:5] offset:512
	global_load_u16 v1, v1, s[4:5]
	v_add_co_u32 v8, vcc_lo, 0x100, v7
	v_add_co_ci_u32_e32 v6, vcc_lo, 0, v5, vcc_lo
	s_mov_b32 s23, exec_lo
	s_waitcnt vmcnt(1)
	v_cmp_ne_u16_e32 vcc_lo, v4, v2
	s_waitcnt vmcnt(0)
	v_cmp_ne_u16_e64 s2, v1, v3
	s_delay_alu instid0(VALU_DEP_1) | instskip(SKIP_3) | instid1(VALU_DEP_3)
	s_or_b32 s3, s2, vcc_lo
	v_cndmask_b32_e64 v2, v6, v5, s2
	v_cndmask_b32_e64 v5, 0, 1, s3
	;; [unrolled: 1-line block ×3, first 2 shown]
	v_mov_b32_dpp v4, v2 quad_perm:[1,0,3,2] row_mask:0xf bank_mask:0xf
	s_delay_alu instid0(VALU_DEP_3) | instskip(NEXT) | instid1(VALU_DEP_3)
	v_mov_b32_dpp v6, v5 quad_perm:[1,0,3,2] row_mask:0xf bank_mask:0xf
	v_mov_b32_dpp v3, v1 quad_perm:[1,0,3,2] row_mask:0xf bank_mask:0xf
	s_delay_alu instid0(VALU_DEP_2) | instskip(NEXT) | instid1(VALU_DEP_1)
	v_and_b32_e32 v7, 1, v6
	v_cmpx_eq_u32_e32 1, v7
; %bb.133:
	v_cndmask_b32_e64 v5, v6, 1, s3
	s_delay_alu instid0(VALU_DEP_4) | instskip(NEXT) | instid1(VALU_DEP_2)
	v_cmp_lt_i64_e32 vcc_lo, v[1:2], v[3:4]
	v_and_b32_e32 v6, 1, v5
	v_and_b32_e32 v5, 0xff, v5
	s_and_b32 vcc_lo, s3, vcc_lo
	s_and_not1_b32 s3, s3, exec_lo
	v_dual_cndmask_b32 v2, v4, v2 :: v_dual_cndmask_b32 v1, v3, v1
	v_cmp_eq_u32_e64 s2, 1, v6
	s_delay_alu instid0(VALU_DEP_1) | instskip(NEXT) | instid1(SALU_CYCLE_1)
	s_and_b32 s2, s2, exec_lo
	s_or_b32 s3, s3, s2
; %bb.134:
	s_or_b32 exec_lo, exec_lo, s23
	v_mov_b32_dpp v6, v5 quad_perm:[2,3,0,1] row_mask:0xf bank_mask:0xf
	v_mov_b32_dpp v3, v1 quad_perm:[2,3,0,1] row_mask:0xf bank_mask:0xf
	;; [unrolled: 1-line block ×3, first 2 shown]
	s_mov_b32 s23, exec_lo
	s_delay_alu instid0(VALU_DEP_3) | instskip(NEXT) | instid1(VALU_DEP_1)
	v_and_b32_e32 v7, 1, v6
	v_cmpx_eq_u32_e32 1, v7
; %bb.135:
	v_cndmask_b32_e64 v5, v6, 1, s3
	v_cmp_lt_i64_e32 vcc_lo, v[1:2], v[3:4]
	s_delay_alu instid0(VALU_DEP_2)
	v_and_b32_e32 v6, 1, v5
	v_and_b32_e32 v5, 0xff, v5
	s_and_b32 vcc_lo, s3, vcc_lo
	s_and_not1_b32 s3, s3, exec_lo
	v_dual_cndmask_b32 v2, v4, v2 :: v_dual_cndmask_b32 v1, v3, v1
	v_cmp_eq_u32_e64 s2, 1, v6
	s_delay_alu instid0(VALU_DEP_1) | instskip(NEXT) | instid1(SALU_CYCLE_1)
	s_and_b32 s2, s2, exec_lo
	s_or_b32 s3, s3, s2
; %bb.136:
	s_or_b32 exec_lo, exec_lo, s23
	v_mov_b32_dpp v6, v5 row_ror:4 row_mask:0xf bank_mask:0xf
	v_mov_b32_dpp v3, v1 row_ror:4 row_mask:0xf bank_mask:0xf
	;; [unrolled: 1-line block ×3, first 2 shown]
	s_mov_b32 s23, exec_lo
	s_delay_alu instid0(VALU_DEP_3) | instskip(NEXT) | instid1(VALU_DEP_1)
	v_and_b32_e32 v7, 1, v6
	v_cmpx_eq_u32_e32 1, v7
; %bb.137:
	v_cndmask_b32_e64 v5, v6, 1, s3
	v_cmp_lt_i64_e32 vcc_lo, v[1:2], v[3:4]
	s_delay_alu instid0(VALU_DEP_2)
	v_and_b32_e32 v6, 1, v5
	v_and_b32_e32 v5, 0xff, v5
	s_and_b32 vcc_lo, s3, vcc_lo
	s_and_not1_b32 s3, s3, exec_lo
	v_dual_cndmask_b32 v2, v4, v2 :: v_dual_cndmask_b32 v1, v3, v1
	v_cmp_eq_u32_e64 s2, 1, v6
	s_delay_alu instid0(VALU_DEP_1) | instskip(NEXT) | instid1(SALU_CYCLE_1)
	s_and_b32 s2, s2, exec_lo
	s_or_b32 s3, s3, s2
; %bb.138:
	s_or_b32 exec_lo, exec_lo, s23
	v_mov_b32_dpp v6, v5 row_ror:8 row_mask:0xf bank_mask:0xf
	v_mov_b32_dpp v3, v1 row_ror:8 row_mask:0xf bank_mask:0xf
	;; [unrolled: 1-line block ×3, first 2 shown]
	s_mov_b32 s23, exec_lo
	s_delay_alu instid0(VALU_DEP_3) | instskip(NEXT) | instid1(VALU_DEP_1)
	v_and_b32_e32 v7, 1, v6
	v_cmpx_eq_u32_e32 1, v7
; %bb.139:
	v_cndmask_b32_e64 v5, v6, 1, s3
	v_cmp_lt_i64_e32 vcc_lo, v[1:2], v[3:4]
	s_delay_alu instid0(VALU_DEP_2)
	v_and_b32_e32 v6, 1, v5
	v_and_b32_e32 v5, 0xff, v5
	s_and_b32 vcc_lo, s3, vcc_lo
	s_and_not1_b32 s3, s3, exec_lo
	v_dual_cndmask_b32 v2, v4, v2 :: v_dual_cndmask_b32 v1, v3, v1
	v_cmp_eq_u32_e64 s2, 1, v6
	s_delay_alu instid0(VALU_DEP_1) | instskip(NEXT) | instid1(SALU_CYCLE_1)
	s_and_b32 s2, s2, exec_lo
	s_or_b32 s3, s3, s2
; %bb.140:
	s_or_b32 exec_lo, exec_lo, s23
	ds_swizzle_b32 v6, v5 offset:swizzle(BROADCAST,32,15)
	ds_swizzle_b32 v3, v1 offset:swizzle(BROADCAST,32,15)
	;; [unrolled: 1-line block ×3, first 2 shown]
	s_mov_b32 s2, exec_lo
	s_waitcnt lgkmcnt(2)
	v_and_b32_e32 v7, 1, v6
	s_delay_alu instid0(VALU_DEP_1)
	v_cmpx_eq_u32_e32 1, v7
	s_cbranch_execz .LBB885_142
; %bb.141:
	s_waitcnt lgkmcnt(0)
	v_cmp_lt_i64_e32 vcc_lo, v[1:2], v[3:4]
	v_and_b32_e32 v5, 0xff, v6
	s_delay_alu instid0(VALU_DEP_1)
	v_cndmask_b32_e64 v5, v5, 1, s3
	s_and_b32 vcc_lo, s3, vcc_lo
	v_dual_cndmask_b32 v1, v3, v1 :: v_dual_cndmask_b32 v2, v4, v2
.LBB885_142:
	s_or_b32 exec_lo, exec_lo, s2
	s_waitcnt lgkmcnt(1)
	v_mov_b32_e32 v3, 0
	s_mov_b32 s2, exec_lo
	ds_bpermute_b32 v6, v3, v5 offset:124
	ds_bpermute_b32 v1, v3, v1 offset:124
	;; [unrolled: 1-line block ×3, first 2 shown]
	v_mbcnt_lo_u32_b32 v3, -1, 0
	s_delay_alu instid0(VALU_DEP_1)
	v_cmpx_eq_u32_e32 0, v3
	s_cbranch_execz .LBB885_144
; %bb.143:
	s_waitcnt lgkmcnt(3)
	v_lshrrev_b32_e32 v4, 1, v0
	s_delay_alu instid0(VALU_DEP_1)
	v_and_b32_e32 v4, 0x70, v4
	s_waitcnt lgkmcnt(2)
	ds_store_b8 v4, v6 offset:128
	s_waitcnt lgkmcnt(1)
	ds_store_b64 v4, v[1:2] offset:136
.LBB885_144:
	s_or_b32 exec_lo, exec_lo, s2
	s_delay_alu instid0(SALU_CYCLE_1)
	s_mov_b32 s23, exec_lo
	s_waitcnt lgkmcnt(0)
	s_barrier
	buffer_gl0_inv
	v_cmpx_gt_u32_e32 32, v0
	s_cbranch_execz .LBB885_146
; %bb.145:
	v_and_b32_e32 v6, 7, v3
	s_delay_alu instid0(VALU_DEP_1)
	v_lshlrev_b32_e32 v1, 4, v6
	v_cmp_ne_u32_e32 vcc_lo, 7, v6
	ds_load_u8 v7, v1 offset:128
	ds_load_b64 v[1:2], v1 offset:136
	v_add_co_ci_u32_e32 v4, vcc_lo, 0, v3, vcc_lo
	v_cmp_gt_u32_e32 vcc_lo, 6, v6
	s_delay_alu instid0(VALU_DEP_2)
	v_lshlrev_b32_e32 v5, 2, v4
	v_cndmask_b32_e64 v10, 0, 1, vcc_lo
	s_waitcnt lgkmcnt(1)
	v_and_b32_e32 v4, 0xff, v7
	v_and_b32_e32 v11, 1, v7
	ds_bpermute_b32 v8, v5, v4
	s_waitcnt lgkmcnt(1)
	ds_bpermute_b32 v4, v5, v1
	ds_bpermute_b32 v5, v5, v2
	v_cmp_eq_u32_e64 s3, 1, v11
	s_waitcnt lgkmcnt(2)
	v_and_b32_e32 v9, 1, v8
	s_waitcnt lgkmcnt(0)
	v_cmp_lt_i64_e64 s2, v[4:5], v[1:2]
	s_delay_alu instid0(VALU_DEP_2) | instskip(SKIP_2) | instid1(VALU_DEP_4)
	v_cmp_eq_u32_e32 vcc_lo, 1, v9
	v_lshlrev_b32_e32 v9, 1, v10
	v_cndmask_b32_e64 v7, v7, 1, vcc_lo
	s_and_b32 vcc_lo, vcc_lo, s2
	v_dual_cndmask_b32 v1, v1, v4 :: v_dual_cndmask_b32 v2, v2, v5
	s_delay_alu instid0(VALU_DEP_2) | instskip(SKIP_2) | instid1(VALU_DEP_4)
	v_cndmask_b32_e64 v7, v8, v7, s3
	v_add_lshl_u32 v8, v9, v3, 2
	v_cmp_gt_u32_e32 vcc_lo, 4, v6
	v_cndmask_b32_e64 v1, v4, v1, s3
	v_cndmask_b32_e64 v2, v5, v2, s3
	v_and_b32_e32 v9, 0xff, v7
	v_and_b32_e32 v10, 1, v7
	v_cndmask_b32_e64 v6, 0, 1, vcc_lo
	ds_bpermute_b32 v4, v8, v1
	ds_bpermute_b32 v5, v8, v2
	;; [unrolled: 1-line block ×3, first 2 shown]
	v_cmp_eq_u32_e64 s3, 1, v10
	s_waitcnt lgkmcnt(1)
	v_cmp_lt_i64_e64 s2, v[4:5], v[1:2]
	s_waitcnt lgkmcnt(0)
	v_and_b32_e32 v8, 1, v9
	s_delay_alu instid0(VALU_DEP_1) | instskip(SKIP_1) | instid1(VALU_DEP_4)
	v_cmp_eq_u32_e32 vcc_lo, 1, v8
	v_cndmask_b32_e64 v7, v7, 1, vcc_lo
	s_and_b32 vcc_lo, vcc_lo, s2
	v_dual_cndmask_b32 v1, v1, v4 :: v_dual_cndmask_b32 v2, v2, v5
	s_delay_alu instid0(VALU_DEP_2) | instskip(NEXT) | instid1(VALU_DEP_2)
	v_cndmask_b32_e64 v7, v9, v7, s3
	v_cndmask_b32_e64 v1, v4, v1, s3
	v_lshlrev_b32_e32 v6, 2, v6
	s_delay_alu instid0(VALU_DEP_4) | instskip(NEXT) | instid1(VALU_DEP_2)
	v_cndmask_b32_e64 v2, v5, v2, s3
	v_add_lshl_u32 v6, v6, v3, 2
	v_and_b32_e32 v3, 0xff, v7
	ds_bpermute_b32 v4, v6, v2
	ds_bpermute_b32 v5, v6, v3
	;; [unrolled: 1-line block ×3, first 2 shown]
	s_waitcnt lgkmcnt(1)
	v_and_b32_e32 v6, 1, v5
	s_waitcnt lgkmcnt(0)
	v_cmp_lt_i64_e32 vcc_lo, v[3:4], v[1:2]
	s_delay_alu instid0(VALU_DEP_2) | instskip(SKIP_1) | instid1(VALU_DEP_2)
	v_cmp_eq_u32_e64 s2, 1, v6
	v_and_b32_e32 v6, 1, v7
	v_cndmask_b32_e64 v7, v7, 1, s2
	s_and_b32 vcc_lo, s2, vcc_lo
	s_delay_alu instid0(VALU_DEP_2) | instskip(SKIP_1) | instid1(VALU_DEP_2)
	v_cmp_eq_u32_e64 s2, 1, v6
	v_dual_cndmask_b32 v1, v1, v3 :: v_dual_cndmask_b32 v2, v2, v4
	v_cndmask_b32_e64 v5, v5, v7, s2
	s_delay_alu instid0(VALU_DEP_2) | instskip(NEXT) | instid1(VALU_DEP_3)
	v_cndmask_b32_e64 v1, v3, v1, s2
	v_cndmask_b32_e64 v2, v4, v2, s2
	s_delay_alu instid0(VALU_DEP_3)
	v_and_b32_e32 v6, 0xff, v5
.LBB885_146:
	s_or_b32 exec_lo, exec_lo, s23
	s_branch .LBB885_177
.LBB885_147:
                                        ; implicit-def: $vgpr3_vgpr4
                                        ; implicit-def: $vgpr5
	s_cbranch_execnz .LBB885_182
	s_branch .LBB885_200
.LBB885_148:
                                        ; implicit-def: $vgpr3_vgpr4
                                        ; implicit-def: $vgpr5
	s_branch .LBB885_200
.LBB885_149:
                                        ; implicit-def: $vgpr1_vgpr2
                                        ; implicit-def: $vgpr6
	s_cbranch_execz .LBB885_177
; %bb.150:
	s_waitcnt lgkmcnt(0)
	v_mov_b32_e32 v3, 0
	v_dual_mov_b32 v4, 0 :: v_dual_mov_b32 v5, 0
	s_delay_alu instid0(VALU_DEP_2) | instskip(SKIP_2) | instid1(VALU_DEP_3)
	v_mov_b32_e32 v1, v3
	v_mov_b32_e32 v7, 0
	s_sub_i32 s3, s14, s8
	v_mov_b32_e32 v2, v4
	s_mov_b32 s2, exec_lo
	v_cmpx_gt_u32_e64 s3, v0
	s_cbranch_execz .LBB885_152
; %bb.151:
	v_lshlrev_b32_e32 v1, 1, v0
	s_clause 0x1
	global_load_u16 v6, v1, s[4:5]
	global_load_u16 v7, v1, s[6:7]
	v_add_co_u32 v1, s8, s9, v0
	s_delay_alu instid0(VALU_DEP_1)
	v_add_co_ci_u32_e64 v2, null, s22, 0, s8
	s_waitcnt vmcnt(0)
	v_cmp_ne_u16_e32 vcc_lo, v6, v7
	v_cndmask_b32_e64 v7, 0, 1, vcc_lo
.LBB885_152:
	s_or_b32 exec_lo, exec_lo, s2
	v_or_b32_e32 v6, 0x100, v0
	s_delay_alu instid0(VALU_DEP_1)
	v_cmp_gt_u32_e32 vcc_lo, s3, v6
	s_and_saveexec_b32 s8, vcc_lo
	s_cbranch_execz .LBB885_154
; %bb.153:
	v_lshlrev_b32_e32 v3, 1, v0
	s_clause 0x1
	global_load_u16 v5, v3, s[4:5] offset:512
	global_load_u16 v8, v3, s[6:7] offset:512
	v_add_co_u32 v3, s2, s9, v6
	s_delay_alu instid0(VALU_DEP_1) | instskip(SKIP_2) | instid1(VALU_DEP_1)
	v_add_co_ci_u32_e64 v4, null, s22, 0, s2
	s_waitcnt vmcnt(0)
	v_cmp_ne_u16_e64 s2, v5, v8
	v_cndmask_b32_e64 v5, 0, 1, s2
.LBB885_154:
	s_or_b32 exec_lo, exec_lo, s8
	s_and_saveexec_b32 s4, vcc_lo
; %bb.155:
	s_delay_alu instid0(VALU_DEP_1) | instskip(SKIP_1) | instid1(VALU_DEP_2)
	v_and_b32_e32 v6, 1, v5
	v_cmp_lt_i64_e32 vcc_lo, v[3:4], v[1:2]
	v_cmp_eq_u32_e64 s2, 1, v6
	s_delay_alu instid0(VALU_DEP_1) | instskip(SKIP_4) | instid1(VALU_DEP_3)
	s_and_b32 vcc_lo, s2, vcc_lo
	v_cndmask_b32_e32 v1, v1, v3, vcc_lo
	v_and_b32_e32 v6, 1, v7
	v_cndmask_b32_e64 v7, v7, 1, s2
	v_cndmask_b32_e32 v2, v2, v4, vcc_lo
	v_cmp_eq_u32_e32 vcc_lo, 1, v6
	s_delay_alu instid0(VALU_DEP_2)
	v_dual_cndmask_b32 v7, v5, v7 :: v_dual_cndmask_b32 v2, v4, v2
	v_cndmask_b32_e32 v1, v3, v1, vcc_lo
; %bb.156:
	s_or_b32 exec_lo, exec_lo, s4
	v_mbcnt_lo_u32_b32 v5, -1, 0
	s_delay_alu instid0(VALU_DEP_3)
	v_and_b32_e32 v6, 0xffff, v7
	v_and_b32_e32 v8, 0xe0, v0
	s_min_u32 s3, s3, 0x100
	s_mov_b32 s4, exec_lo
	v_cmp_ne_u32_e32 vcc_lo, 31, v5
	v_add_nc_u32_e32 v10, 1, v5
	v_sub_nc_u32_e64 v8, s3, v8 clamp
	v_add_co_ci_u32_e32 v3, vcc_lo, 0, v5, vcc_lo
	s_delay_alu instid0(VALU_DEP_1)
	v_lshlrev_b32_e32 v4, 2, v3
	ds_bpermute_b32 v9, v4, v6
	ds_bpermute_b32 v3, v4, v1
	ds_bpermute_b32 v4, v4, v2
	v_cmpx_lt_u32_e64 v10, v8
	s_cbranch_execz .LBB885_158
; %bb.157:
	s_waitcnt lgkmcnt(2)
	v_and_b32_e32 v6, 1, v9
	s_waitcnt lgkmcnt(0)
	v_cmp_lt_i64_e32 vcc_lo, v[3:4], v[1:2]
	s_delay_alu instid0(VALU_DEP_2) | instskip(SKIP_1) | instid1(VALU_DEP_2)
	v_cmp_eq_u32_e64 s2, 1, v6
	v_and_b32_e32 v6, 1, v7
	v_cndmask_b32_e64 v7, v7, 1, s2
	s_and_b32 vcc_lo, s2, vcc_lo
	s_delay_alu instid0(VALU_DEP_2) | instskip(SKIP_1) | instid1(VALU_DEP_2)
	v_cmp_eq_u32_e64 s2, 1, v6
	v_dual_cndmask_b32 v1, v1, v3 :: v_dual_cndmask_b32 v2, v2, v4
	v_cndmask_b32_e64 v7, v9, v7, s2
	s_delay_alu instid0(VALU_DEP_2) | instskip(NEXT) | instid1(VALU_DEP_3)
	v_cndmask_b32_e64 v1, v3, v1, s2
	v_cndmask_b32_e64 v2, v4, v2, s2
	s_delay_alu instid0(VALU_DEP_3)
	v_and_b32_e32 v6, 0xff, v7
.LBB885_158:
	s_or_b32 exec_lo, exec_lo, s4
	v_cmp_gt_u32_e32 vcc_lo, 30, v5
	v_add_nc_u32_e32 v10, 2, v5
	s_mov_b32 s4, exec_lo
	s_waitcnt lgkmcnt(1)
	v_cndmask_b32_e64 v3, 0, 1, vcc_lo
	s_delay_alu instid0(VALU_DEP_1) | instskip(SKIP_1) | instid1(VALU_DEP_1)
	v_lshlrev_b32_e32 v3, 1, v3
	s_waitcnt lgkmcnt(0)
	v_add_lshl_u32 v4, v3, v5, 2
	ds_bpermute_b32 v9, v4, v6
	ds_bpermute_b32 v3, v4, v1
	ds_bpermute_b32 v4, v4, v2
	v_cmpx_lt_u32_e64 v10, v8
	s_cbranch_execz .LBB885_160
; %bb.159:
	s_waitcnt lgkmcnt(2)
	v_and_b32_e32 v6, 1, v9
	s_waitcnt lgkmcnt(0)
	v_cmp_lt_i64_e32 vcc_lo, v[3:4], v[1:2]
	s_delay_alu instid0(VALU_DEP_2) | instskip(SKIP_1) | instid1(VALU_DEP_2)
	v_cmp_eq_u32_e64 s2, 1, v6
	v_and_b32_e32 v6, 1, v7
	v_cndmask_b32_e64 v7, v7, 1, s2
	s_and_b32 vcc_lo, s2, vcc_lo
	s_delay_alu instid0(VALU_DEP_2) | instskip(SKIP_1) | instid1(VALU_DEP_2)
	v_cmp_eq_u32_e64 s2, 1, v6
	v_dual_cndmask_b32 v1, v1, v3 :: v_dual_cndmask_b32 v2, v2, v4
	v_cndmask_b32_e64 v7, v9, v7, s2
	s_delay_alu instid0(VALU_DEP_2) | instskip(NEXT) | instid1(VALU_DEP_3)
	v_cndmask_b32_e64 v1, v3, v1, s2
	v_cndmask_b32_e64 v2, v4, v2, s2
	s_delay_alu instid0(VALU_DEP_3)
	v_and_b32_e32 v6, 0xff, v7
.LBB885_160:
	s_or_b32 exec_lo, exec_lo, s4
	v_cmp_gt_u32_e32 vcc_lo, 28, v5
	v_add_nc_u32_e32 v10, 4, v5
	s_mov_b32 s4, exec_lo
	s_waitcnt lgkmcnt(1)
	v_cndmask_b32_e64 v3, 0, 1, vcc_lo
	s_delay_alu instid0(VALU_DEP_1) | instskip(SKIP_1) | instid1(VALU_DEP_1)
	v_lshlrev_b32_e32 v3, 2, v3
	s_waitcnt lgkmcnt(0)
	v_add_lshl_u32 v4, v3, v5, 2
	;; [unrolled: 35-line block ×4, first 2 shown]
	ds_bpermute_b32 v9, v4, v6
	ds_bpermute_b32 v3, v4, v1
	;; [unrolled: 1-line block ×3, first 2 shown]
	v_cmpx_lt_u32_e64 v10, v8
	s_cbranch_execz .LBB885_166
; %bb.165:
	s_waitcnt lgkmcnt(2)
	v_and_b32_e32 v6, 1, v9
	s_waitcnt lgkmcnt(0)
	v_cmp_lt_i64_e32 vcc_lo, v[3:4], v[1:2]
	s_delay_alu instid0(VALU_DEP_2) | instskip(SKIP_1) | instid1(VALU_DEP_2)
	v_cmp_eq_u32_e64 s2, 1, v6
	v_and_b32_e32 v6, 1, v7
	v_cndmask_b32_e64 v7, v7, 1, s2
	s_and_b32 vcc_lo, s2, vcc_lo
	s_delay_alu instid0(VALU_DEP_2) | instskip(SKIP_1) | instid1(VALU_DEP_2)
	v_cmp_eq_u32_e64 s2, 1, v6
	v_dual_cndmask_b32 v1, v1, v3 :: v_dual_cndmask_b32 v2, v2, v4
	v_cndmask_b32_e64 v7, v9, v7, s2
	s_delay_alu instid0(VALU_DEP_2) | instskip(NEXT) | instid1(VALU_DEP_3)
	v_cndmask_b32_e64 v1, v3, v1, s2
	v_cndmask_b32_e64 v2, v4, v2, s2
	s_delay_alu instid0(VALU_DEP_3)
	v_and_b32_e32 v6, 0xff, v7
.LBB885_166:
	s_or_b32 exec_lo, exec_lo, s4
	s_delay_alu instid0(SALU_CYCLE_1)
	s_mov_b32 s2, exec_lo
	v_cmpx_eq_u32_e32 0, v5
	s_cbranch_execz .LBB885_168
; %bb.167:
	s_waitcnt lgkmcnt(1)
	v_lshrrev_b32_e32 v3, 1, v0
	s_delay_alu instid0(VALU_DEP_1)
	v_and_b32_e32 v3, 0x70, v3
	ds_store_b8 v3, v7 offset:512
	ds_store_b64 v3, v[1:2] offset:520
.LBB885_168:
	s_or_b32 exec_lo, exec_lo, s2
	s_delay_alu instid0(SALU_CYCLE_1)
	s_mov_b32 s4, exec_lo
	s_waitcnt lgkmcnt(0)
	s_barrier
	buffer_gl0_inv
	v_cmpx_gt_u32_e32 8, v0
	s_cbranch_execz .LBB885_176
; %bb.169:
	v_lshlrev_b32_e32 v1, 4, v5
	v_and_b32_e32 v8, 7, v5
	s_add_i32 s3, s3, 31
	s_mov_b32 s5, exec_lo
	s_lshr_b32 s3, s3, 5
	ds_load_u8 v7, v1 offset:512
	ds_load_b64 v[1:2], v1 offset:520
	v_cmp_ne_u32_e32 vcc_lo, 7, v8
	v_add_nc_u32_e32 v10, 1, v8
	v_add_co_ci_u32_e32 v3, vcc_lo, 0, v5, vcc_lo
	s_delay_alu instid0(VALU_DEP_1)
	v_lshlrev_b32_e32 v4, 2, v3
	s_waitcnt lgkmcnt(1)
	v_and_b32_e32 v6, 0xff, v7
	s_waitcnt lgkmcnt(0)
	ds_bpermute_b32 v3, v4, v1
	ds_bpermute_b32 v9, v4, v6
	;; [unrolled: 1-line block ×3, first 2 shown]
	v_cmpx_gt_u32_e64 s3, v10
	s_cbranch_execz .LBB885_171
; %bb.170:
	s_waitcnt lgkmcnt(1)
	v_and_b32_e32 v6, 1, v9
	s_waitcnt lgkmcnt(0)
	v_cmp_lt_i64_e32 vcc_lo, v[3:4], v[1:2]
	s_delay_alu instid0(VALU_DEP_2) | instskip(SKIP_1) | instid1(VALU_DEP_2)
	v_cmp_eq_u32_e64 s2, 1, v6
	v_and_b32_e32 v6, 1, v7
	v_cndmask_b32_e64 v7, v7, 1, s2
	s_and_b32 vcc_lo, s2, vcc_lo
	s_delay_alu instid0(VALU_DEP_2) | instskip(SKIP_1) | instid1(VALU_DEP_2)
	v_cmp_eq_u32_e64 s2, 1, v6
	v_dual_cndmask_b32 v1, v1, v3 :: v_dual_cndmask_b32 v2, v2, v4
	v_cndmask_b32_e64 v7, v9, v7, s2
	s_delay_alu instid0(VALU_DEP_2) | instskip(NEXT) | instid1(VALU_DEP_3)
	v_cndmask_b32_e64 v1, v3, v1, s2
	v_cndmask_b32_e64 v2, v4, v2, s2
	s_delay_alu instid0(VALU_DEP_3)
	v_and_b32_e32 v6, 0xff, v7
.LBB885_171:
	s_or_b32 exec_lo, exec_lo, s5
	v_cmp_gt_u32_e32 vcc_lo, 6, v8
	v_add_nc_u32_e32 v10, 2, v8
	s_mov_b32 s5, exec_lo
	s_waitcnt lgkmcnt(2)
	v_cndmask_b32_e64 v3, 0, 1, vcc_lo
	s_delay_alu instid0(VALU_DEP_1) | instskip(SKIP_1) | instid1(VALU_DEP_1)
	v_lshlrev_b32_e32 v3, 1, v3
	s_waitcnt lgkmcnt(0)
	v_add_lshl_u32 v4, v3, v5, 2
	ds_bpermute_b32 v9, v4, v6
	ds_bpermute_b32 v3, v4, v1
	;; [unrolled: 1-line block ×3, first 2 shown]
	v_cmpx_gt_u32_e64 s3, v10
	s_cbranch_execz .LBB885_173
; %bb.172:
	s_waitcnt lgkmcnt(2)
	v_and_b32_e32 v6, 1, v9
	s_waitcnt lgkmcnt(0)
	v_cmp_lt_i64_e32 vcc_lo, v[3:4], v[1:2]
	s_delay_alu instid0(VALU_DEP_2) | instskip(SKIP_1) | instid1(VALU_DEP_2)
	v_cmp_eq_u32_e64 s2, 1, v6
	v_and_b32_e32 v6, 1, v7
	v_cndmask_b32_e64 v7, v7, 1, s2
	s_and_b32 vcc_lo, s2, vcc_lo
	s_delay_alu instid0(VALU_DEP_2) | instskip(SKIP_1) | instid1(VALU_DEP_2)
	v_cmp_eq_u32_e64 s2, 1, v6
	v_dual_cndmask_b32 v1, v1, v3 :: v_dual_cndmask_b32 v2, v2, v4
	v_cndmask_b32_e64 v7, v9, v7, s2
	s_delay_alu instid0(VALU_DEP_2) | instskip(NEXT) | instid1(VALU_DEP_3)
	v_cndmask_b32_e64 v1, v3, v1, s2
	v_cndmask_b32_e64 v2, v4, v2, s2
	s_delay_alu instid0(VALU_DEP_3)
	v_and_b32_e32 v6, 0xff, v7
.LBB885_173:
	s_or_b32 exec_lo, exec_lo, s5
	v_cmp_gt_u32_e32 vcc_lo, 4, v8
	v_add_nc_u32_e32 v8, 4, v8
	s_waitcnt lgkmcnt(1)
	v_cndmask_b32_e64 v3, 0, 1, vcc_lo
	s_delay_alu instid0(VALU_DEP_2) | instskip(NEXT) | instid1(VALU_DEP_2)
	v_cmp_gt_u32_e32 vcc_lo, s3, v8
	v_lshlrev_b32_e32 v3, 2, v3
	s_waitcnt lgkmcnt(0)
	s_delay_alu instid0(VALU_DEP_1)
	v_add_lshl_u32 v4, v3, v5, 2
	ds_bpermute_b32 v5, v4, v6
	ds_bpermute_b32 v3, v4, v1
	;; [unrolled: 1-line block ×3, first 2 shown]
	s_and_saveexec_b32 s3, vcc_lo
	s_cbranch_execz .LBB885_175
; %bb.174:
	s_waitcnt lgkmcnt(2)
	v_and_b32_e32 v6, 1, v5
	s_waitcnt lgkmcnt(0)
	v_cmp_lt_i64_e32 vcc_lo, v[3:4], v[1:2]
	s_delay_alu instid0(VALU_DEP_2) | instskip(SKIP_1) | instid1(VALU_DEP_2)
	v_cmp_eq_u32_e64 s2, 1, v6
	v_and_b32_e32 v6, 1, v7
	v_cndmask_b32_e64 v7, v7, 1, s2
	s_and_b32 vcc_lo, s2, vcc_lo
	s_delay_alu instid0(VALU_DEP_2) | instskip(SKIP_1) | instid1(VALU_DEP_2)
	v_cmp_eq_u32_e64 s2, 1, v6
	v_dual_cndmask_b32 v1, v1, v3 :: v_dual_cndmask_b32 v2, v2, v4
	v_cndmask_b32_e64 v5, v5, v7, s2
	s_delay_alu instid0(VALU_DEP_2) | instskip(NEXT) | instid1(VALU_DEP_3)
	v_cndmask_b32_e64 v1, v3, v1, s2
	v_cndmask_b32_e64 v2, v4, v2, s2
	s_delay_alu instid0(VALU_DEP_3)
	v_and_b32_e32 v6, 0xff, v5
.LBB885_175:
	s_or_b32 exec_lo, exec_lo, s3
.LBB885_176:
	s_delay_alu instid0(SALU_CYCLE_1)
	s_or_b32 exec_lo, exec_lo, s4
.LBB885_177:
                                        ; implicit-def: $vgpr3_vgpr4
                                        ; implicit-def: $vgpr5
	s_delay_alu instid0(SALU_CYCLE_1)
	s_mov_b32 s2, exec_lo
	v_cmpx_eq_u32_e32 0, v0
	s_xor_b32 s4, exec_lo, s2
	s_cbranch_execz .LBB885_181
; %bb.178:
	s_waitcnt lgkmcnt(0)
	v_dual_mov_b32 v3, s20 :: v_dual_mov_b32 v4, s21
	v_mov_b32_e32 v5, s24
	s_cmp_eq_u64 s[14:15], 0
	s_cbranch_scc1 .LBB885_180
; %bb.179:
	v_and_b32_e32 v3, 1, v6
	v_cmp_gt_i64_e32 vcc_lo, s[20:21], v[1:2]
	s_bitcmp1_b32 s24, 0
	s_cselect_b32 s3, -1, 0
	s_delay_alu instid0(VALU_DEP_2) | instskip(NEXT) | instid1(VALU_DEP_1)
	v_cmp_eq_u32_e64 s2, 1, v3
	s_and_b32 vcc_lo, s2, vcc_lo
	v_cndmask_b32_e64 v3, s24, 1, s2
	v_cndmask_b32_e32 v7, s20, v1, vcc_lo
	v_cndmask_b32_e32 v4, s21, v2, vcc_lo
	s_delay_alu instid0(VALU_DEP_3) | instskip(NEXT) | instid1(VALU_DEP_3)
	v_cndmask_b32_e64 v5, v6, v3, s3
	v_cndmask_b32_e64 v3, v1, v7, s3
	s_delay_alu instid0(VALU_DEP_3)
	v_cndmask_b32_e64 v4, v2, v4, s3
.LBB885_180:
	s_or_b32 s26, s26, exec_lo
.LBB885_181:
	s_or_b32 exec_lo, exec_lo, s4
	s_branch .LBB885_200
.LBB885_182:
	s_cmp_eq_u32 s25, 1
	s_cbranch_scc0 .LBB885_199
; %bb.183:
	s_mov_b32 s5, 0
	s_lshr_b64 s[2:3], s[14:15], 8
	s_mov_b32 s11, s5
	s_lshl_b32 s4, s10, 8
	s_cmp_lg_u64 s[2:3], s[10:11]
	s_cbranch_scc0 .LBB885_203
; %bb.184:
	s_lshl_b64 s[2:3], s[4:5], 1
	v_lshlrev_b32_e32 v1, 1, v0
	s_add_u32 s6, s16, s2
	s_addc_u32 s7, s17, s3
	s_add_u32 s2, s18, s2
	s_addc_u32 s3, s19, s3
	s_clause 0x1
	global_load_u16 v2, v1, s[6:7]
	global_load_u16 v1, v1, s[2:3]
	s_add_u32 s2, s12, s4
	s_addc_u32 s3, s13, 0
	s_waitcnt vmcnt(0)
	v_cmp_ne_u16_e32 vcc_lo, v2, v1
	v_cndmask_b32_e64 v1, 0, 1, vcc_lo
	v_cndmask_b32_e64 v6, 0, 1, vcc_lo
	s_waitcnt lgkmcnt(2)
	s_delay_alu instid0(VALU_DEP_2) | instskip(SKIP_1) | instid1(VALU_DEP_1)
	v_mov_b32_dpp v5, v1 quad_perm:[1,0,3,2] row_mask:0xf bank_mask:0xf
	v_add_co_u32 v1, s2, s2, v0
	v_add_co_ci_u32_e64 v2, null, s3, 0, s2
	s_delay_alu instid0(VALU_DEP_3) | instskip(SKIP_1) | instid1(VALU_DEP_3)
	v_and_b32_e32 v7, 1, v5
	s_waitcnt lgkmcnt(1)
	v_mov_b32_dpp v3, v1 quad_perm:[1,0,3,2] row_mask:0xf bank_mask:0xf
	s_mov_b32 s3, exec_lo
	s_waitcnt lgkmcnt(0)
	v_mov_b32_dpp v4, v2 quad_perm:[1,0,3,2] row_mask:0xf bank_mask:0xf
	v_cmpx_eq_u32_e32 1, v7
; %bb.185:
	s_delay_alu instid0(VALU_DEP_2) | instskip(SKIP_1) | instid1(VALU_DEP_2)
	v_cmp_lt_i64_e64 s2, v[1:2], v[3:4]
	v_cndmask_b32_e64 v6, v5, 1, vcc_lo
	s_and_b32 vcc_lo, vcc_lo, s2
	v_dual_cndmask_b32 v2, v4, v2 :: v_dual_cndmask_b32 v1, v3, v1
; %bb.186:
	s_or_b32 exec_lo, exec_lo, s3
	s_delay_alu instid0(VALU_DEP_2) | instskip(SKIP_1) | instid1(VALU_DEP_3)
	v_and_b32_e32 v5, 0xff, v6
	v_and_b32_e32 v6, 1, v6
	v_mov_b32_dpp v3, v1 quad_perm:[2,3,0,1] row_mask:0xf bank_mask:0xf
	v_mov_b32_dpp v4, v2 quad_perm:[2,3,0,1] row_mask:0xf bank_mask:0xf
	s_mov_b32 s6, exec_lo
	v_mov_b32_dpp v7, v5 quad_perm:[2,3,0,1] row_mask:0xf bank_mask:0xf
	v_cmp_eq_u32_e64 s3, 1, v6
	s_delay_alu instid0(VALU_DEP_2) | instskip(NEXT) | instid1(VALU_DEP_1)
	v_and_b32_e32 v8, 1, v7
	v_cmpx_eq_u32_e32 1, v8
; %bb.187:
	s_delay_alu instid0(VALU_DEP_3) | instskip(SKIP_1) | instid1(VALU_DEP_2)
	v_cndmask_b32_e64 v5, v7, 1, s3
	v_cmp_lt_i64_e32 vcc_lo, v[1:2], v[3:4]
	v_and_b32_e32 v6, 1, v5
	v_and_b32_e32 v5, 0xff, v5
	s_and_b32 vcc_lo, s3, vcc_lo
	s_and_not1_b32 s3, s3, exec_lo
	v_dual_cndmask_b32 v2, v4, v2 :: v_dual_cndmask_b32 v1, v3, v1
	v_cmp_eq_u32_e64 s2, 1, v6
	s_delay_alu instid0(VALU_DEP_1) | instskip(NEXT) | instid1(SALU_CYCLE_1)
	s_and_b32 s2, s2, exec_lo
	s_or_b32 s3, s3, s2
; %bb.188:
	s_or_b32 exec_lo, exec_lo, s6
	v_mov_b32_dpp v6, v5 row_ror:4 row_mask:0xf bank_mask:0xf
	v_mov_b32_dpp v3, v1 row_ror:4 row_mask:0xf bank_mask:0xf
	;; [unrolled: 1-line block ×3, first 2 shown]
	s_mov_b32 s6, exec_lo
	s_delay_alu instid0(VALU_DEP_3) | instskip(NEXT) | instid1(VALU_DEP_1)
	v_and_b32_e32 v7, 1, v6
	v_cmpx_eq_u32_e32 1, v7
; %bb.189:
	v_cndmask_b32_e64 v5, v6, 1, s3
	v_cmp_lt_i64_e32 vcc_lo, v[1:2], v[3:4]
	s_delay_alu instid0(VALU_DEP_2)
	v_and_b32_e32 v6, 1, v5
	v_and_b32_e32 v5, 0xff, v5
	s_and_b32 vcc_lo, s3, vcc_lo
	s_and_not1_b32 s3, s3, exec_lo
	v_dual_cndmask_b32 v2, v4, v2 :: v_dual_cndmask_b32 v1, v3, v1
	v_cmp_eq_u32_e64 s2, 1, v6
	s_delay_alu instid0(VALU_DEP_1) | instskip(NEXT) | instid1(SALU_CYCLE_1)
	s_and_b32 s2, s2, exec_lo
	s_or_b32 s3, s3, s2
; %bb.190:
	s_or_b32 exec_lo, exec_lo, s6
	v_mov_b32_dpp v6, v5 row_ror:8 row_mask:0xf bank_mask:0xf
	v_mov_b32_dpp v3, v1 row_ror:8 row_mask:0xf bank_mask:0xf
	;; [unrolled: 1-line block ×3, first 2 shown]
	s_mov_b32 s6, exec_lo
	s_delay_alu instid0(VALU_DEP_3) | instskip(NEXT) | instid1(VALU_DEP_1)
	v_and_b32_e32 v7, 1, v6
	v_cmpx_eq_u32_e32 1, v7
; %bb.191:
	v_cndmask_b32_e64 v5, v6, 1, s3
	v_cmp_lt_i64_e32 vcc_lo, v[1:2], v[3:4]
	s_delay_alu instid0(VALU_DEP_2)
	v_and_b32_e32 v6, 1, v5
	v_and_b32_e32 v5, 0xff, v5
	s_and_b32 vcc_lo, s3, vcc_lo
	s_and_not1_b32 s3, s3, exec_lo
	v_dual_cndmask_b32 v2, v4, v2 :: v_dual_cndmask_b32 v1, v3, v1
	v_cmp_eq_u32_e64 s2, 1, v6
	s_delay_alu instid0(VALU_DEP_1) | instskip(NEXT) | instid1(SALU_CYCLE_1)
	s_and_b32 s2, s2, exec_lo
	s_or_b32 s3, s3, s2
; %bb.192:
	s_or_b32 exec_lo, exec_lo, s6
	ds_swizzle_b32 v6, v5 offset:swizzle(BROADCAST,32,15)
	ds_swizzle_b32 v3, v1 offset:swizzle(BROADCAST,32,15)
	;; [unrolled: 1-line block ×3, first 2 shown]
	s_mov_b32 s2, exec_lo
	s_waitcnt lgkmcnt(2)
	v_and_b32_e32 v7, 1, v6
	s_delay_alu instid0(VALU_DEP_1)
	v_cmpx_eq_u32_e32 1, v7
	s_cbranch_execz .LBB885_194
; %bb.193:
	s_waitcnt lgkmcnt(0)
	v_cmp_lt_i64_e32 vcc_lo, v[1:2], v[3:4]
	v_and_b32_e32 v5, 0xff, v6
	s_delay_alu instid0(VALU_DEP_1)
	v_cndmask_b32_e64 v5, v5, 1, s3
	s_and_b32 vcc_lo, s3, vcc_lo
	v_dual_cndmask_b32 v1, v3, v1 :: v_dual_cndmask_b32 v2, v4, v2
.LBB885_194:
	s_or_b32 exec_lo, exec_lo, s2
	s_waitcnt lgkmcnt(1)
	v_mov_b32_e32 v3, 0
	s_mov_b32 s2, exec_lo
	ds_bpermute_b32 v6, v3, v5 offset:124
	ds_bpermute_b32 v1, v3, v1 offset:124
	;; [unrolled: 1-line block ×3, first 2 shown]
	v_mbcnt_lo_u32_b32 v3, -1, 0
	s_delay_alu instid0(VALU_DEP_1)
	v_cmpx_eq_u32_e32 0, v3
	s_cbranch_execz .LBB885_196
; %bb.195:
	s_waitcnt lgkmcnt(3)
	v_lshrrev_b32_e32 v4, 1, v0
	s_delay_alu instid0(VALU_DEP_1)
	v_and_b32_e32 v4, 0x70, v4
	s_waitcnt lgkmcnt(2)
	ds_store_b8 v4, v6
	s_waitcnt lgkmcnt(1)
	ds_store_b64 v4, v[1:2] offset:8
.LBB885_196:
	s_or_b32 exec_lo, exec_lo, s2
	s_delay_alu instid0(SALU_CYCLE_1)
	s_mov_b32 s6, exec_lo
	s_waitcnt lgkmcnt(0)
	s_barrier
	buffer_gl0_inv
	v_cmpx_gt_u32_e32 32, v0
	s_cbranch_execz .LBB885_198
; %bb.197:
	v_and_b32_e32 v6, 7, v3
	s_delay_alu instid0(VALU_DEP_1)
	v_lshlrev_b32_e32 v1, 4, v6
	v_cmp_ne_u32_e32 vcc_lo, 7, v6
	ds_load_u8 v7, v1
	ds_load_b64 v[1:2], v1 offset:8
	v_add_co_ci_u32_e32 v4, vcc_lo, 0, v3, vcc_lo
	v_cmp_gt_u32_e32 vcc_lo, 6, v6
	s_delay_alu instid0(VALU_DEP_2)
	v_lshlrev_b32_e32 v5, 2, v4
	v_cndmask_b32_e64 v10, 0, 1, vcc_lo
	s_waitcnt lgkmcnt(1)
	v_and_b32_e32 v4, 0xff, v7
	v_and_b32_e32 v11, 1, v7
	ds_bpermute_b32 v8, v5, v4
	s_waitcnt lgkmcnt(1)
	ds_bpermute_b32 v4, v5, v1
	ds_bpermute_b32 v5, v5, v2
	v_cmp_eq_u32_e64 s3, 1, v11
	s_waitcnt lgkmcnt(2)
	v_and_b32_e32 v9, 1, v8
	s_waitcnt lgkmcnt(0)
	v_cmp_lt_i64_e64 s2, v[4:5], v[1:2]
	s_delay_alu instid0(VALU_DEP_2) | instskip(SKIP_2) | instid1(VALU_DEP_4)
	v_cmp_eq_u32_e32 vcc_lo, 1, v9
	v_lshlrev_b32_e32 v9, 1, v10
	v_cndmask_b32_e64 v7, v7, 1, vcc_lo
	s_and_b32 vcc_lo, vcc_lo, s2
	v_dual_cndmask_b32 v1, v1, v4 :: v_dual_cndmask_b32 v2, v2, v5
	s_delay_alu instid0(VALU_DEP_2) | instskip(SKIP_2) | instid1(VALU_DEP_4)
	v_cndmask_b32_e64 v7, v8, v7, s3
	v_add_lshl_u32 v8, v9, v3, 2
	v_cmp_gt_u32_e32 vcc_lo, 4, v6
	v_cndmask_b32_e64 v1, v4, v1, s3
	v_cndmask_b32_e64 v2, v5, v2, s3
	v_and_b32_e32 v9, 0xff, v7
	v_and_b32_e32 v10, 1, v7
	v_cndmask_b32_e64 v6, 0, 1, vcc_lo
	ds_bpermute_b32 v4, v8, v1
	ds_bpermute_b32 v5, v8, v2
	ds_bpermute_b32 v9, v8, v9
	v_cmp_eq_u32_e64 s3, 1, v10
	s_waitcnt lgkmcnt(1)
	v_cmp_lt_i64_e64 s2, v[4:5], v[1:2]
	s_waitcnt lgkmcnt(0)
	v_and_b32_e32 v8, 1, v9
	s_delay_alu instid0(VALU_DEP_1) | instskip(SKIP_1) | instid1(VALU_DEP_4)
	v_cmp_eq_u32_e32 vcc_lo, 1, v8
	v_cndmask_b32_e64 v7, v7, 1, vcc_lo
	s_and_b32 vcc_lo, vcc_lo, s2
	v_dual_cndmask_b32 v1, v1, v4 :: v_dual_cndmask_b32 v2, v2, v5
	s_delay_alu instid0(VALU_DEP_2) | instskip(NEXT) | instid1(VALU_DEP_2)
	v_cndmask_b32_e64 v7, v9, v7, s3
	v_cndmask_b32_e64 v1, v4, v1, s3
	v_lshlrev_b32_e32 v6, 2, v6
	s_delay_alu instid0(VALU_DEP_4) | instskip(NEXT) | instid1(VALU_DEP_2)
	v_cndmask_b32_e64 v2, v5, v2, s3
	v_add_lshl_u32 v6, v6, v3, 2
	v_and_b32_e32 v3, 0xff, v7
	ds_bpermute_b32 v4, v6, v2
	ds_bpermute_b32 v5, v6, v3
	ds_bpermute_b32 v3, v6, v1
	s_waitcnt lgkmcnt(1)
	v_and_b32_e32 v6, 1, v5
	s_waitcnt lgkmcnt(0)
	v_cmp_lt_i64_e32 vcc_lo, v[3:4], v[1:2]
	s_delay_alu instid0(VALU_DEP_2) | instskip(SKIP_1) | instid1(VALU_DEP_2)
	v_cmp_eq_u32_e64 s2, 1, v6
	v_and_b32_e32 v6, 1, v7
	v_cndmask_b32_e64 v7, v7, 1, s2
	s_and_b32 vcc_lo, s2, vcc_lo
	s_delay_alu instid0(VALU_DEP_2) | instskip(SKIP_1) | instid1(VALU_DEP_2)
	v_cmp_eq_u32_e64 s2, 1, v6
	v_dual_cndmask_b32 v1, v1, v3 :: v_dual_cndmask_b32 v2, v2, v4
	v_cndmask_b32_e64 v5, v5, v7, s2
	s_delay_alu instid0(VALU_DEP_2) | instskip(NEXT) | instid1(VALU_DEP_3)
	v_cndmask_b32_e64 v1, v3, v1, s2
	v_cndmask_b32_e64 v2, v4, v2, s2
	s_delay_alu instid0(VALU_DEP_3)
	v_and_b32_e32 v6, 0xff, v5
.LBB885_198:
	s_or_b32 exec_lo, exec_lo, s6
	s_branch .LBB885_227
.LBB885_199:
                                        ; implicit-def: $vgpr3_vgpr4
                                        ; implicit-def: $vgpr5
                                        ; implicit-def: $sgpr10_sgpr11
.LBB885_200:
	s_and_saveexec_b32 s2, s26
	s_cbranch_execz .LBB885_202
.LBB885_201:
	s_load_b64 s[0:1], s[0:1], 0x38
	s_lshl_b64 s[2:3], s[10:11], 4
	v_mov_b32_e32 v0, 0
	s_waitcnt lgkmcnt(0)
	s_add_u32 s0, s0, s2
	s_addc_u32 s1, s1, s3
	s_clause 0x1
	global_store_b8 v0, v5, s[0:1]
	global_store_b64 v0, v[3:4], s[0:1] offset:8
.LBB885_202:
	s_nop 0
	s_sendmsg sendmsg(MSG_DEALLOC_VGPRS)
	s_endpgm
.LBB885_203:
                                        ; implicit-def: $vgpr1_vgpr2
                                        ; implicit-def: $vgpr6
	s_cbranch_execz .LBB885_227
; %bb.204:
	v_mov_b32_e32 v1, 0
	v_dual_mov_b32 v2, 0 :: v_dual_mov_b32 v7, 0
	s_sub_i32 s2, s14, s4
	s_mov_b32 s3, exec_lo
	v_cmpx_gt_u32_e64 s2, v0
	s_cbranch_execz .LBB885_206
; %bb.205:
	s_lshl_b64 s[6:7], s[4:5], 1
	v_lshlrev_b32_e32 v1, 1, v0
	s_add_u32 s8, s18, s6
	s_addc_u32 s9, s19, s7
	s_add_u32 s6, s16, s6
	s_addc_u32 s7, s17, s7
	s_add_u32 s4, s12, s4
	s_waitcnt lgkmcnt(1)
	global_load_u16 v3, v1, s[6:7]
	s_waitcnt lgkmcnt(0)
	global_load_u16 v4, v1, s[8:9]
	s_addc_u32 s5, s13, 0
	v_add_co_u32 v1, s4, s4, v0
	s_delay_alu instid0(VALU_DEP_1)
	v_add_co_ci_u32_e64 v2, null, s5, 0, s4
	s_waitcnt vmcnt(0)
	v_cmp_ne_u16_e32 vcc_lo, v3, v4
	v_cndmask_b32_e64 v7, 0, 1, vcc_lo
.LBB885_206:
	s_or_b32 exec_lo, exec_lo, s3
	s_waitcnt lgkmcnt(2)
	v_mbcnt_lo_u32_b32 v5, -1, 0
	s_delay_alu instid0(VALU_DEP_2)
	v_and_b32_e32 v6, 0xffff, v7
	v_and_b32_e32 v8, 0xe0, v0
	s_min_u32 s3, s2, 0x100
	s_mov_b32 s4, exec_lo
	v_cmp_ne_u32_e32 vcc_lo, 31, v5
	v_add_nc_u32_e32 v10, 1, v5
	v_sub_nc_u32_e64 v8, s3, v8 clamp
	s_waitcnt lgkmcnt(1)
	v_add_co_ci_u32_e32 v3, vcc_lo, 0, v5, vcc_lo
	s_waitcnt lgkmcnt(0)
	s_delay_alu instid0(VALU_DEP_1)
	v_lshlrev_b32_e32 v4, 2, v3
	ds_bpermute_b32 v9, v4, v6
	ds_bpermute_b32 v3, v4, v1
	ds_bpermute_b32 v4, v4, v2
	v_cmpx_lt_u32_e64 v10, v8
	s_cbranch_execz .LBB885_208
; %bb.207:
	s_waitcnt lgkmcnt(2)
	v_and_b32_e32 v6, 1, v9
	s_waitcnt lgkmcnt(0)
	v_cmp_lt_i64_e32 vcc_lo, v[3:4], v[1:2]
	s_delay_alu instid0(VALU_DEP_2) | instskip(SKIP_1) | instid1(VALU_DEP_2)
	v_cmp_eq_u32_e64 s2, 1, v6
	v_and_b32_e32 v6, 1, v7
	v_cndmask_b32_e64 v7, v7, 1, s2
	s_and_b32 vcc_lo, s2, vcc_lo
	s_delay_alu instid0(VALU_DEP_2) | instskip(SKIP_1) | instid1(VALU_DEP_2)
	v_cmp_eq_u32_e64 s2, 1, v6
	v_dual_cndmask_b32 v1, v1, v3 :: v_dual_cndmask_b32 v2, v2, v4
	v_cndmask_b32_e64 v7, v9, v7, s2
	s_delay_alu instid0(VALU_DEP_2) | instskip(NEXT) | instid1(VALU_DEP_3)
	v_cndmask_b32_e64 v1, v3, v1, s2
	v_cndmask_b32_e64 v2, v4, v2, s2
	s_delay_alu instid0(VALU_DEP_3)
	v_and_b32_e32 v6, 0xff, v7
.LBB885_208:
	s_or_b32 exec_lo, exec_lo, s4
	v_cmp_gt_u32_e32 vcc_lo, 30, v5
	v_add_nc_u32_e32 v10, 2, v5
	s_mov_b32 s4, exec_lo
	s_waitcnt lgkmcnt(1)
	v_cndmask_b32_e64 v3, 0, 1, vcc_lo
	s_delay_alu instid0(VALU_DEP_1) | instskip(SKIP_1) | instid1(VALU_DEP_1)
	v_lshlrev_b32_e32 v3, 1, v3
	s_waitcnt lgkmcnt(0)
	v_add_lshl_u32 v4, v3, v5, 2
	ds_bpermute_b32 v9, v4, v6
	ds_bpermute_b32 v3, v4, v1
	ds_bpermute_b32 v4, v4, v2
	v_cmpx_lt_u32_e64 v10, v8
	s_cbranch_execz .LBB885_210
; %bb.209:
	s_waitcnt lgkmcnt(2)
	v_and_b32_e32 v6, 1, v9
	s_waitcnt lgkmcnt(0)
	v_cmp_lt_i64_e32 vcc_lo, v[3:4], v[1:2]
	s_delay_alu instid0(VALU_DEP_2) | instskip(SKIP_1) | instid1(VALU_DEP_2)
	v_cmp_eq_u32_e64 s2, 1, v6
	v_and_b32_e32 v6, 1, v7
	v_cndmask_b32_e64 v7, v7, 1, s2
	s_and_b32 vcc_lo, s2, vcc_lo
	s_delay_alu instid0(VALU_DEP_2) | instskip(SKIP_1) | instid1(VALU_DEP_2)
	v_cmp_eq_u32_e64 s2, 1, v6
	v_dual_cndmask_b32 v1, v1, v3 :: v_dual_cndmask_b32 v2, v2, v4
	v_cndmask_b32_e64 v7, v9, v7, s2
	s_delay_alu instid0(VALU_DEP_2) | instskip(NEXT) | instid1(VALU_DEP_3)
	v_cndmask_b32_e64 v1, v3, v1, s2
	v_cndmask_b32_e64 v2, v4, v2, s2
	s_delay_alu instid0(VALU_DEP_3)
	v_and_b32_e32 v6, 0xff, v7
.LBB885_210:
	s_or_b32 exec_lo, exec_lo, s4
	v_cmp_gt_u32_e32 vcc_lo, 28, v5
	v_add_nc_u32_e32 v10, 4, v5
	s_mov_b32 s4, exec_lo
	s_waitcnt lgkmcnt(1)
	v_cndmask_b32_e64 v3, 0, 1, vcc_lo
	s_delay_alu instid0(VALU_DEP_1) | instskip(SKIP_1) | instid1(VALU_DEP_1)
	v_lshlrev_b32_e32 v3, 2, v3
	s_waitcnt lgkmcnt(0)
	v_add_lshl_u32 v4, v3, v5, 2
	;; [unrolled: 35-line block ×4, first 2 shown]
	ds_bpermute_b32 v9, v4, v6
	ds_bpermute_b32 v3, v4, v1
	;; [unrolled: 1-line block ×3, first 2 shown]
	v_cmpx_lt_u32_e64 v10, v8
	s_cbranch_execz .LBB885_216
; %bb.215:
	s_waitcnt lgkmcnt(2)
	v_and_b32_e32 v6, 1, v9
	s_waitcnt lgkmcnt(0)
	v_cmp_lt_i64_e32 vcc_lo, v[3:4], v[1:2]
	s_delay_alu instid0(VALU_DEP_2) | instskip(SKIP_1) | instid1(VALU_DEP_2)
	v_cmp_eq_u32_e64 s2, 1, v6
	v_and_b32_e32 v6, 1, v7
	v_cndmask_b32_e64 v7, v7, 1, s2
	s_and_b32 vcc_lo, s2, vcc_lo
	s_delay_alu instid0(VALU_DEP_2) | instskip(SKIP_1) | instid1(VALU_DEP_2)
	v_cmp_eq_u32_e64 s2, 1, v6
	v_dual_cndmask_b32 v1, v1, v3 :: v_dual_cndmask_b32 v2, v2, v4
	v_cndmask_b32_e64 v7, v9, v7, s2
	s_delay_alu instid0(VALU_DEP_2) | instskip(NEXT) | instid1(VALU_DEP_3)
	v_cndmask_b32_e64 v1, v3, v1, s2
	v_cndmask_b32_e64 v2, v4, v2, s2
	s_delay_alu instid0(VALU_DEP_3)
	v_and_b32_e32 v6, 0xff, v7
.LBB885_216:
	s_or_b32 exec_lo, exec_lo, s4
	s_delay_alu instid0(SALU_CYCLE_1)
	s_mov_b32 s2, exec_lo
	v_cmpx_eq_u32_e32 0, v5
	s_cbranch_execz .LBB885_218
; %bb.217:
	s_waitcnt lgkmcnt(1)
	v_lshrrev_b32_e32 v3, 1, v0
	s_delay_alu instid0(VALU_DEP_1)
	v_and_b32_e32 v3, 0x70, v3
	ds_store_b8 v3, v7 offset:512
	ds_store_b64 v3, v[1:2] offset:520
.LBB885_218:
	s_or_b32 exec_lo, exec_lo, s2
	s_delay_alu instid0(SALU_CYCLE_1)
	s_mov_b32 s4, exec_lo
	s_waitcnt lgkmcnt(0)
	s_barrier
	buffer_gl0_inv
	v_cmpx_gt_u32_e32 8, v0
	s_cbranch_execz .LBB885_226
; %bb.219:
	v_lshlrev_b32_e32 v1, 4, v5
	v_and_b32_e32 v8, 7, v5
	s_add_i32 s3, s3, 31
	s_mov_b32 s5, exec_lo
	s_lshr_b32 s3, s3, 5
	ds_load_u8 v7, v1 offset:512
	ds_load_b64 v[1:2], v1 offset:520
	v_cmp_ne_u32_e32 vcc_lo, 7, v8
	v_add_nc_u32_e32 v10, 1, v8
	v_add_co_ci_u32_e32 v3, vcc_lo, 0, v5, vcc_lo
	s_delay_alu instid0(VALU_DEP_1)
	v_lshlrev_b32_e32 v4, 2, v3
	s_waitcnt lgkmcnt(1)
	v_and_b32_e32 v6, 0xff, v7
	s_waitcnt lgkmcnt(0)
	ds_bpermute_b32 v3, v4, v1
	ds_bpermute_b32 v9, v4, v6
	;; [unrolled: 1-line block ×3, first 2 shown]
	v_cmpx_gt_u32_e64 s3, v10
	s_cbranch_execz .LBB885_221
; %bb.220:
	s_waitcnt lgkmcnt(1)
	v_and_b32_e32 v6, 1, v9
	s_waitcnt lgkmcnt(0)
	v_cmp_lt_i64_e32 vcc_lo, v[3:4], v[1:2]
	s_delay_alu instid0(VALU_DEP_2) | instskip(SKIP_1) | instid1(VALU_DEP_2)
	v_cmp_eq_u32_e64 s2, 1, v6
	v_and_b32_e32 v6, 1, v7
	v_cndmask_b32_e64 v7, v7, 1, s2
	s_and_b32 vcc_lo, s2, vcc_lo
	s_delay_alu instid0(VALU_DEP_2) | instskip(SKIP_1) | instid1(VALU_DEP_2)
	v_cmp_eq_u32_e64 s2, 1, v6
	v_dual_cndmask_b32 v1, v1, v3 :: v_dual_cndmask_b32 v2, v2, v4
	v_cndmask_b32_e64 v7, v9, v7, s2
	s_delay_alu instid0(VALU_DEP_2) | instskip(NEXT) | instid1(VALU_DEP_3)
	v_cndmask_b32_e64 v1, v3, v1, s2
	v_cndmask_b32_e64 v2, v4, v2, s2
	s_delay_alu instid0(VALU_DEP_3)
	v_and_b32_e32 v6, 0xff, v7
.LBB885_221:
	s_or_b32 exec_lo, exec_lo, s5
	v_cmp_gt_u32_e32 vcc_lo, 6, v8
	v_add_nc_u32_e32 v10, 2, v8
	s_mov_b32 s5, exec_lo
	s_waitcnt lgkmcnt(2)
	v_cndmask_b32_e64 v3, 0, 1, vcc_lo
	s_delay_alu instid0(VALU_DEP_1) | instskip(SKIP_1) | instid1(VALU_DEP_1)
	v_lshlrev_b32_e32 v3, 1, v3
	s_waitcnt lgkmcnt(0)
	v_add_lshl_u32 v4, v3, v5, 2
	ds_bpermute_b32 v9, v4, v6
	ds_bpermute_b32 v3, v4, v1
	;; [unrolled: 1-line block ×3, first 2 shown]
	v_cmpx_gt_u32_e64 s3, v10
	s_cbranch_execz .LBB885_223
; %bb.222:
	s_waitcnt lgkmcnt(2)
	v_and_b32_e32 v6, 1, v9
	s_waitcnt lgkmcnt(0)
	v_cmp_lt_i64_e32 vcc_lo, v[3:4], v[1:2]
	s_delay_alu instid0(VALU_DEP_2) | instskip(SKIP_1) | instid1(VALU_DEP_2)
	v_cmp_eq_u32_e64 s2, 1, v6
	v_and_b32_e32 v6, 1, v7
	v_cndmask_b32_e64 v7, v7, 1, s2
	s_and_b32 vcc_lo, s2, vcc_lo
	s_delay_alu instid0(VALU_DEP_2) | instskip(SKIP_1) | instid1(VALU_DEP_2)
	v_cmp_eq_u32_e64 s2, 1, v6
	v_dual_cndmask_b32 v1, v1, v3 :: v_dual_cndmask_b32 v2, v2, v4
	v_cndmask_b32_e64 v7, v9, v7, s2
	s_delay_alu instid0(VALU_DEP_2) | instskip(NEXT) | instid1(VALU_DEP_3)
	v_cndmask_b32_e64 v1, v3, v1, s2
	v_cndmask_b32_e64 v2, v4, v2, s2
	s_delay_alu instid0(VALU_DEP_3)
	v_and_b32_e32 v6, 0xff, v7
.LBB885_223:
	s_or_b32 exec_lo, exec_lo, s5
	v_cmp_gt_u32_e32 vcc_lo, 4, v8
	v_add_nc_u32_e32 v8, 4, v8
	s_waitcnt lgkmcnt(1)
	v_cndmask_b32_e64 v3, 0, 1, vcc_lo
	s_delay_alu instid0(VALU_DEP_2) | instskip(NEXT) | instid1(VALU_DEP_2)
	v_cmp_gt_u32_e32 vcc_lo, s3, v8
	v_lshlrev_b32_e32 v3, 2, v3
	s_waitcnt lgkmcnt(0)
	s_delay_alu instid0(VALU_DEP_1)
	v_add_lshl_u32 v4, v3, v5, 2
	ds_bpermute_b32 v5, v4, v6
	ds_bpermute_b32 v3, v4, v1
	;; [unrolled: 1-line block ×3, first 2 shown]
	s_and_saveexec_b32 s3, vcc_lo
	s_cbranch_execz .LBB885_225
; %bb.224:
	s_waitcnt lgkmcnt(2)
	v_and_b32_e32 v6, 1, v5
	s_waitcnt lgkmcnt(0)
	v_cmp_lt_i64_e32 vcc_lo, v[3:4], v[1:2]
	s_delay_alu instid0(VALU_DEP_2) | instskip(SKIP_1) | instid1(VALU_DEP_2)
	v_cmp_eq_u32_e64 s2, 1, v6
	v_and_b32_e32 v6, 1, v7
	v_cndmask_b32_e64 v7, v7, 1, s2
	s_and_b32 vcc_lo, s2, vcc_lo
	s_delay_alu instid0(VALU_DEP_2) | instskip(SKIP_1) | instid1(VALU_DEP_2)
	v_cmp_eq_u32_e64 s2, 1, v6
	v_dual_cndmask_b32 v1, v1, v3 :: v_dual_cndmask_b32 v2, v2, v4
	v_cndmask_b32_e64 v5, v5, v7, s2
	s_delay_alu instid0(VALU_DEP_2) | instskip(NEXT) | instid1(VALU_DEP_3)
	v_cndmask_b32_e64 v1, v3, v1, s2
	v_cndmask_b32_e64 v2, v4, v2, s2
	s_delay_alu instid0(VALU_DEP_3)
	v_and_b32_e32 v6, 0xff, v5
.LBB885_225:
	s_or_b32 exec_lo, exec_lo, s3
.LBB885_226:
	s_delay_alu instid0(SALU_CYCLE_1)
	s_or_b32 exec_lo, exec_lo, s4
.LBB885_227:
	s_delay_alu instid0(SALU_CYCLE_1)
	s_mov_b32 s4, exec_lo
                                        ; implicit-def: $vgpr3_vgpr4
                                        ; implicit-def: $vgpr5
	v_cmpx_eq_u32_e32 0, v0
	s_cbranch_execz .LBB885_231
; %bb.228:
	s_waitcnt lgkmcnt(0)
	v_dual_mov_b32 v3, s20 :: v_dual_mov_b32 v4, s21
	v_mov_b32_e32 v5, s24
	s_cmp_eq_u64 s[14:15], 0
	s_cbranch_scc1 .LBB885_230
; %bb.229:
	v_and_b32_e32 v0, 1, v6
	v_cmp_gt_i64_e32 vcc_lo, s[20:21], v[1:2]
	s_bitcmp1_b32 s24, 0
	s_cselect_b32 s3, -1, 0
	s_delay_alu instid0(VALU_DEP_2) | instskip(NEXT) | instid1(VALU_DEP_1)
	v_cmp_eq_u32_e64 s2, 1, v0
	s_and_b32 vcc_lo, s2, vcc_lo
	v_cndmask_b32_e64 v0, s24, 1, s2
	v_cndmask_b32_e32 v3, s20, v1, vcc_lo
	v_cndmask_b32_e32 v4, s21, v2, vcc_lo
	s_delay_alu instid0(VALU_DEP_3) | instskip(NEXT) | instid1(VALU_DEP_3)
	v_cndmask_b32_e64 v5, v6, v0, s3
	v_cndmask_b32_e64 v3, v1, v3, s3
	s_delay_alu instid0(VALU_DEP_3)
	v_cndmask_b32_e64 v4, v2, v4, s3
.LBB885_230:
	s_or_b32 s26, s26, exec_lo
.LBB885_231:
	s_or_b32 exec_lo, exec_lo, s4
	s_and_saveexec_b32 s2, s26
	s_cbranch_execnz .LBB885_201
	s_branch .LBB885_202
.LBB885_232:
	v_lshlrev_b32_e32 v3, 1, v0
	s_clause 0x1
	global_load_u16 v18, v3, s[8:9] offset:3584
	global_load_u16 v26, v3, s[22:23] offset:3584
	v_add_co_u32 v3, s8, s26, v25
	s_delay_alu instid0(VALU_DEP_1) | instskip(SKIP_2) | instid1(VALU_DEP_1)
	v_add_co_ci_u32_e64 v4, null, s28, 0, s8
	s_waitcnt vmcnt(0)
	v_cmp_ne_u16_e64 s8, v18, v26
	v_cndmask_b32_e64 v18, 0, 1, s8
	s_or_b32 exec_lo, exec_lo, s30
	s_and_saveexec_b32 s9, s7
	s_cbranch_execz .LBB885_57
.LBB885_233:
	v_and_b32_e32 v25, 1, v21
	v_cmp_lt_i64_e64 s7, v[9:10], v[1:2]
	s_delay_alu instid0(VALU_DEP_2) | instskip(SKIP_1) | instid1(VALU_DEP_2)
	v_cmp_eq_u32_e64 s8, 1, v25
	v_and_b32_e32 v25, 1, v17
	s_and_b32 s7, s8, s7
	v_cndmask_b32_e64 v17, v17, 1, s8
	v_cndmask_b32_e64 v1, v1, v9, s7
	;; [unrolled: 1-line block ×3, first 2 shown]
	v_cmp_eq_u32_e64 s7, 1, v25
	s_delay_alu instid0(VALU_DEP_1) | instskip(NEXT) | instid1(VALU_DEP_3)
	v_cndmask_b32_e64 v17, v21, v17, s7
	v_cndmask_b32_e64 v2, v10, v2, s7
	;; [unrolled: 1-line block ×3, first 2 shown]
	s_or_b32 exec_lo, exec_lo, s9
	s_and_saveexec_b32 s8, s6
	s_cbranch_execz .LBB885_58
.LBB885_234:
	v_and_b32_e32 v9, 1, v24
	v_cmp_lt_i64_e64 s6, v[15:16], v[1:2]
	s_delay_alu instid0(VALU_DEP_2) | instskip(SKIP_1) | instid1(VALU_DEP_2)
	v_cmp_eq_u32_e64 s7, 1, v9
	v_and_b32_e32 v9, 1, v17
	s_and_b32 s6, s7, s6
	v_cndmask_b32_e64 v10, v17, 1, s7
	v_cndmask_b32_e64 v1, v1, v15, s6
	;; [unrolled: 1-line block ×3, first 2 shown]
	v_cmp_eq_u32_e64 s6, 1, v9
	s_delay_alu instid0(VALU_DEP_1) | instskip(NEXT) | instid1(VALU_DEP_3)
	v_cndmask_b32_e64 v17, v24, v10, s6
	v_cndmask_b32_e64 v2, v16, v2, s6
	;; [unrolled: 1-line block ×3, first 2 shown]
	s_or_b32 exec_lo, exec_lo, s8
	s_and_saveexec_b32 s7, s5
	s_cbranch_execz .LBB885_59
.LBB885_235:
	v_and_b32_e32 v9, 1, v20
	v_cmp_lt_i64_e64 s5, v[7:8], v[1:2]
	s_delay_alu instid0(VALU_DEP_2) | instskip(SKIP_1) | instid1(VALU_DEP_2)
	v_cmp_eq_u32_e64 s6, 1, v9
	v_and_b32_e32 v9, 1, v17
	s_and_b32 s5, s6, s5
	v_cndmask_b32_e64 v10, v17, 1, s6
	v_cndmask_b32_e64 v1, v1, v7, s5
	;; [unrolled: 1-line block ×3, first 2 shown]
	v_cmp_eq_u32_e64 s5, 1, v9
	s_delay_alu instid0(VALU_DEP_1) | instskip(NEXT) | instid1(VALU_DEP_3)
	v_cndmask_b32_e64 v17, v20, v10, s5
	v_cndmask_b32_e64 v2, v8, v2, s5
	v_cndmask_b32_e64 v1, v7, v1, s5
	s_or_b32 exec_lo, exec_lo, s7
	s_and_saveexec_b32 s6, s4
	s_cbranch_execz .LBB885_60
.LBB885_236:
	v_and_b32_e32 v7, 1, v23
	v_cmp_lt_i64_e64 s4, v[13:14], v[1:2]
	s_delay_alu instid0(VALU_DEP_2) | instskip(SKIP_1) | instid1(VALU_DEP_2)
	v_cmp_eq_u32_e64 s5, 1, v7
	v_and_b32_e32 v7, 1, v17
	s_and_b32 s4, s5, s4
	v_cndmask_b32_e64 v8, v17, 1, s5
	v_cndmask_b32_e64 v1, v1, v13, s4
	;; [unrolled: 1-line block ×3, first 2 shown]
	v_cmp_eq_u32_e64 s4, 1, v7
	s_delay_alu instid0(VALU_DEP_1) | instskip(NEXT) | instid1(VALU_DEP_3)
	v_cndmask_b32_e64 v17, v23, v8, s4
	v_cndmask_b32_e64 v2, v14, v2, s4
	;; [unrolled: 1-line block ×3, first 2 shown]
	s_or_b32 exec_lo, exec_lo, s6
	s_and_saveexec_b32 s5, s3
	s_cbranch_execz .LBB885_61
.LBB885_237:
	v_and_b32_e32 v7, 1, v19
	v_cmp_lt_i64_e64 s3, v[5:6], v[1:2]
	s_delay_alu instid0(VALU_DEP_2) | instskip(SKIP_1) | instid1(VALU_DEP_2)
	v_cmp_eq_u32_e64 s4, 1, v7
	v_and_b32_e32 v7, 1, v17
	s_and_b32 s3, s4, s3
	v_cndmask_b32_e64 v8, v17, 1, s4
	v_cndmask_b32_e64 v1, v1, v5, s3
	;; [unrolled: 1-line block ×3, first 2 shown]
	v_cmp_eq_u32_e64 s3, 1, v7
	s_delay_alu instid0(VALU_DEP_1) | instskip(NEXT) | instid1(VALU_DEP_3)
	v_cndmask_b32_e64 v17, v19, v8, s3
	v_cndmask_b32_e64 v2, v6, v2, s3
	;; [unrolled: 1-line block ×3, first 2 shown]
	s_or_b32 exec_lo, exec_lo, s5
	s_and_saveexec_b32 s4, s2
	s_cbranch_execz .LBB885_62
.LBB885_238:
	v_and_b32_e32 v5, 1, v22
	v_cmp_lt_i64_e64 s2, v[11:12], v[1:2]
	s_delay_alu instid0(VALU_DEP_2) | instskip(SKIP_1) | instid1(VALU_DEP_2)
	v_cmp_eq_u32_e64 s3, 1, v5
	v_and_b32_e32 v5, 1, v17
	s_and_b32 s2, s3, s2
	v_cndmask_b32_e64 v6, v17, 1, s3
	v_cndmask_b32_e64 v1, v1, v11, s2
	;; [unrolled: 1-line block ×3, first 2 shown]
	v_cmp_eq_u32_e64 s2, 1, v5
	s_delay_alu instid0(VALU_DEP_1) | instskip(NEXT) | instid1(VALU_DEP_3)
	v_cndmask_b32_e64 v17, v22, v6, s2
	v_cndmask_b32_e64 v2, v12, v2, s2
	;; [unrolled: 1-line block ×3, first 2 shown]
	s_or_b32 exec_lo, exec_lo, s4
	s_and_saveexec_b32 s3, vcc_lo
	s_cbranch_execnz .LBB885_63
	s_branch .LBB885_64
.LBB885_239:
	v_lshlrev_b32_e32 v3, 1, v0
	s_clause 0x1
	global_load_u16 v10, v3, s[6:7] offset:1536
	global_load_u16 v14, v3, s[8:9] offset:1536
	v_add_co_u32 v3, s4, s5, v13
	s_delay_alu instid0(VALU_DEP_1) | instskip(SKIP_2) | instid1(VALU_DEP_1)
	v_add_co_ci_u32_e64 v4, null, s23, 0, s4
	s_waitcnt vmcnt(0)
	v_cmp_ne_u16_e64 s4, v10, v14
	v_cndmask_b32_e64 v10, 0, 1, s4
	s_or_b32 exec_lo, exec_lo, s27
	s_and_saveexec_b32 s5, s3
	s_cbranch_execz .LBB885_100
.LBB885_240:
	v_and_b32_e32 v13, 1, v11
	v_cmp_lt_i64_e64 s3, v[5:6], v[1:2]
	s_delay_alu instid0(VALU_DEP_2) | instskip(SKIP_1) | instid1(VALU_DEP_2)
	v_cmp_eq_u32_e64 s4, 1, v13
	v_and_b32_e32 v13, 1, v9
	s_and_b32 s3, s4, s3
	v_cndmask_b32_e64 v9, v9, 1, s4
	v_cndmask_b32_e64 v1, v1, v5, s3
	;; [unrolled: 1-line block ×3, first 2 shown]
	v_cmp_eq_u32_e64 s3, 1, v13
	s_delay_alu instid0(VALU_DEP_1) | instskip(NEXT) | instid1(VALU_DEP_3)
	v_cndmask_b32_e64 v9, v11, v9, s3
	v_cndmask_b32_e64 v2, v6, v2, s3
	;; [unrolled: 1-line block ×3, first 2 shown]
	s_or_b32 exec_lo, exec_lo, s5
	s_and_saveexec_b32 s4, s2
	s_cbranch_execz .LBB885_101
.LBB885_241:
	v_and_b32_e32 v5, 1, v12
	v_cmp_lt_i64_e64 s2, v[7:8], v[1:2]
	s_delay_alu instid0(VALU_DEP_2) | instskip(SKIP_1) | instid1(VALU_DEP_2)
	v_cmp_eq_u32_e64 s3, 1, v5
	v_and_b32_e32 v5, 1, v9
	s_and_b32 s2, s3, s2
	v_cndmask_b32_e64 v6, v9, 1, s3
	v_cndmask_b32_e64 v1, v1, v7, s2
	;; [unrolled: 1-line block ×3, first 2 shown]
	v_cmp_eq_u32_e64 s2, 1, v5
	s_delay_alu instid0(VALU_DEP_1) | instskip(NEXT) | instid1(VALU_DEP_3)
	v_cndmask_b32_e64 v9, v12, v6, s2
	v_cndmask_b32_e64 v2, v8, v2, s2
	;; [unrolled: 1-line block ×3, first 2 shown]
	s_or_b32 exec_lo, exec_lo, s4
	s_and_saveexec_b32 s3, vcc_lo
	s_cbranch_execnz .LBB885_102
	s_branch .LBB885_103
	.section	.rodata,"a",@progbits
	.p2align	6, 0x0
	.amdhsa_kernel _ZN7rocprim17ROCPRIM_400000_NS6detail17trampoline_kernelINS0_14default_configENS1_22reduce_config_selectorIN6thrust23THRUST_200600_302600_NS5tupleIblNS6_9null_typeES8_S8_S8_S8_S8_S8_S8_EEEEZNS1_11reduce_implILb1ES3_NS6_12zip_iteratorINS7_INS6_11hip_rocprim26transform_input_iterator_tIbNSD_35transform_pair_of_input_iterators_tIbNS6_6detail15normal_iteratorINS6_10device_ptrIKsEEEESL_NS6_8equal_toIsEEEENSG_9not_fun_tINSD_8identityEEEEENSD_19counting_iterator_tIlEES8_S8_S8_S8_S8_S8_S8_S8_EEEEPS9_S9_NSD_9__find_if7functorIS9_EEEE10hipError_tPvRmT1_T2_T3_mT4_P12ihipStream_tbEUlT_E1_NS1_11comp_targetILNS1_3genE9ELNS1_11target_archE1100ELNS1_3gpuE3ELNS1_3repE0EEENS1_30default_config_static_selectorELNS0_4arch9wavefront6targetE0EEEvS14_
		.amdhsa_group_segment_fixed_size 640
		.amdhsa_private_segment_fixed_size 0
		.amdhsa_kernarg_size 88
		.amdhsa_user_sgpr_count 15
		.amdhsa_user_sgpr_dispatch_ptr 0
		.amdhsa_user_sgpr_queue_ptr 0
		.amdhsa_user_sgpr_kernarg_segment_ptr 1
		.amdhsa_user_sgpr_dispatch_id 0
		.amdhsa_user_sgpr_private_segment_size 0
		.amdhsa_wavefront_size32 1
		.amdhsa_uses_dynamic_stack 0
		.amdhsa_enable_private_segment 0
		.amdhsa_system_sgpr_workgroup_id_x 1
		.amdhsa_system_sgpr_workgroup_id_y 0
		.amdhsa_system_sgpr_workgroup_id_z 0
		.amdhsa_system_sgpr_workgroup_info 0
		.amdhsa_system_vgpr_workitem_id 0
		.amdhsa_next_free_vgpr 27
		.amdhsa_next_free_sgpr 32
		.amdhsa_reserve_vcc 1
		.amdhsa_float_round_mode_32 0
		.amdhsa_float_round_mode_16_64 0
		.amdhsa_float_denorm_mode_32 3
		.amdhsa_float_denorm_mode_16_64 3
		.amdhsa_dx10_clamp 1
		.amdhsa_ieee_mode 1
		.amdhsa_fp16_overflow 0
		.amdhsa_workgroup_processor_mode 1
		.amdhsa_memory_ordered 1
		.amdhsa_forward_progress 0
		.amdhsa_shared_vgpr_count 0
		.amdhsa_exception_fp_ieee_invalid_op 0
		.amdhsa_exception_fp_denorm_src 0
		.amdhsa_exception_fp_ieee_div_zero 0
		.amdhsa_exception_fp_ieee_overflow 0
		.amdhsa_exception_fp_ieee_underflow 0
		.amdhsa_exception_fp_ieee_inexact 0
		.amdhsa_exception_int_div_zero 0
	.end_amdhsa_kernel
	.section	.text._ZN7rocprim17ROCPRIM_400000_NS6detail17trampoline_kernelINS0_14default_configENS1_22reduce_config_selectorIN6thrust23THRUST_200600_302600_NS5tupleIblNS6_9null_typeES8_S8_S8_S8_S8_S8_S8_EEEEZNS1_11reduce_implILb1ES3_NS6_12zip_iteratorINS7_INS6_11hip_rocprim26transform_input_iterator_tIbNSD_35transform_pair_of_input_iterators_tIbNS6_6detail15normal_iteratorINS6_10device_ptrIKsEEEESL_NS6_8equal_toIsEEEENSG_9not_fun_tINSD_8identityEEEEENSD_19counting_iterator_tIlEES8_S8_S8_S8_S8_S8_S8_S8_EEEEPS9_S9_NSD_9__find_if7functorIS9_EEEE10hipError_tPvRmT1_T2_T3_mT4_P12ihipStream_tbEUlT_E1_NS1_11comp_targetILNS1_3genE9ELNS1_11target_archE1100ELNS1_3gpuE3ELNS1_3repE0EEENS1_30default_config_static_selectorELNS0_4arch9wavefront6targetE0EEEvS14_,"axG",@progbits,_ZN7rocprim17ROCPRIM_400000_NS6detail17trampoline_kernelINS0_14default_configENS1_22reduce_config_selectorIN6thrust23THRUST_200600_302600_NS5tupleIblNS6_9null_typeES8_S8_S8_S8_S8_S8_S8_EEEEZNS1_11reduce_implILb1ES3_NS6_12zip_iteratorINS7_INS6_11hip_rocprim26transform_input_iterator_tIbNSD_35transform_pair_of_input_iterators_tIbNS6_6detail15normal_iteratorINS6_10device_ptrIKsEEEESL_NS6_8equal_toIsEEEENSG_9not_fun_tINSD_8identityEEEEENSD_19counting_iterator_tIlEES8_S8_S8_S8_S8_S8_S8_S8_EEEEPS9_S9_NSD_9__find_if7functorIS9_EEEE10hipError_tPvRmT1_T2_T3_mT4_P12ihipStream_tbEUlT_E1_NS1_11comp_targetILNS1_3genE9ELNS1_11target_archE1100ELNS1_3gpuE3ELNS1_3repE0EEENS1_30default_config_static_selectorELNS0_4arch9wavefront6targetE0EEEvS14_,comdat
.Lfunc_end885:
	.size	_ZN7rocprim17ROCPRIM_400000_NS6detail17trampoline_kernelINS0_14default_configENS1_22reduce_config_selectorIN6thrust23THRUST_200600_302600_NS5tupleIblNS6_9null_typeES8_S8_S8_S8_S8_S8_S8_EEEEZNS1_11reduce_implILb1ES3_NS6_12zip_iteratorINS7_INS6_11hip_rocprim26transform_input_iterator_tIbNSD_35transform_pair_of_input_iterators_tIbNS6_6detail15normal_iteratorINS6_10device_ptrIKsEEEESL_NS6_8equal_toIsEEEENSG_9not_fun_tINSD_8identityEEEEENSD_19counting_iterator_tIlEES8_S8_S8_S8_S8_S8_S8_S8_EEEEPS9_S9_NSD_9__find_if7functorIS9_EEEE10hipError_tPvRmT1_T2_T3_mT4_P12ihipStream_tbEUlT_E1_NS1_11comp_targetILNS1_3genE9ELNS1_11target_archE1100ELNS1_3gpuE3ELNS1_3repE0EEENS1_30default_config_static_selectorELNS0_4arch9wavefront6targetE0EEEvS14_, .Lfunc_end885-_ZN7rocprim17ROCPRIM_400000_NS6detail17trampoline_kernelINS0_14default_configENS1_22reduce_config_selectorIN6thrust23THRUST_200600_302600_NS5tupleIblNS6_9null_typeES8_S8_S8_S8_S8_S8_S8_EEEEZNS1_11reduce_implILb1ES3_NS6_12zip_iteratorINS7_INS6_11hip_rocprim26transform_input_iterator_tIbNSD_35transform_pair_of_input_iterators_tIbNS6_6detail15normal_iteratorINS6_10device_ptrIKsEEEESL_NS6_8equal_toIsEEEENSG_9not_fun_tINSD_8identityEEEEENSD_19counting_iterator_tIlEES8_S8_S8_S8_S8_S8_S8_S8_EEEEPS9_S9_NSD_9__find_if7functorIS9_EEEE10hipError_tPvRmT1_T2_T3_mT4_P12ihipStream_tbEUlT_E1_NS1_11comp_targetILNS1_3genE9ELNS1_11target_archE1100ELNS1_3gpuE3ELNS1_3repE0EEENS1_30default_config_static_selectorELNS0_4arch9wavefront6targetE0EEEvS14_
                                        ; -- End function
	.section	.AMDGPU.csdata,"",@progbits
; Kernel info:
; codeLenInByte = 15880
; NumSgprs: 34
; NumVgprs: 27
; ScratchSize: 0
; MemoryBound: 0
; FloatMode: 240
; IeeeMode: 1
; LDSByteSize: 640 bytes/workgroup (compile time only)
; SGPRBlocks: 4
; VGPRBlocks: 3
; NumSGPRsForWavesPerEU: 34
; NumVGPRsForWavesPerEU: 27
; Occupancy: 16
; WaveLimiterHint : 0
; COMPUTE_PGM_RSRC2:SCRATCH_EN: 0
; COMPUTE_PGM_RSRC2:USER_SGPR: 15
; COMPUTE_PGM_RSRC2:TRAP_HANDLER: 0
; COMPUTE_PGM_RSRC2:TGID_X_EN: 1
; COMPUTE_PGM_RSRC2:TGID_Y_EN: 0
; COMPUTE_PGM_RSRC2:TGID_Z_EN: 0
; COMPUTE_PGM_RSRC2:TIDIG_COMP_CNT: 0
	.section	.text._ZN7rocprim17ROCPRIM_400000_NS6detail17trampoline_kernelINS0_14default_configENS1_22reduce_config_selectorIN6thrust23THRUST_200600_302600_NS5tupleIblNS6_9null_typeES8_S8_S8_S8_S8_S8_S8_EEEEZNS1_11reduce_implILb1ES3_NS6_12zip_iteratorINS7_INS6_11hip_rocprim26transform_input_iterator_tIbNSD_35transform_pair_of_input_iterators_tIbNS6_6detail15normal_iteratorINS6_10device_ptrIKsEEEESL_NS6_8equal_toIsEEEENSG_9not_fun_tINSD_8identityEEEEENSD_19counting_iterator_tIlEES8_S8_S8_S8_S8_S8_S8_S8_EEEEPS9_S9_NSD_9__find_if7functorIS9_EEEE10hipError_tPvRmT1_T2_T3_mT4_P12ihipStream_tbEUlT_E1_NS1_11comp_targetILNS1_3genE8ELNS1_11target_archE1030ELNS1_3gpuE2ELNS1_3repE0EEENS1_30default_config_static_selectorELNS0_4arch9wavefront6targetE0EEEvS14_,"axG",@progbits,_ZN7rocprim17ROCPRIM_400000_NS6detail17trampoline_kernelINS0_14default_configENS1_22reduce_config_selectorIN6thrust23THRUST_200600_302600_NS5tupleIblNS6_9null_typeES8_S8_S8_S8_S8_S8_S8_EEEEZNS1_11reduce_implILb1ES3_NS6_12zip_iteratorINS7_INS6_11hip_rocprim26transform_input_iterator_tIbNSD_35transform_pair_of_input_iterators_tIbNS6_6detail15normal_iteratorINS6_10device_ptrIKsEEEESL_NS6_8equal_toIsEEEENSG_9not_fun_tINSD_8identityEEEEENSD_19counting_iterator_tIlEES8_S8_S8_S8_S8_S8_S8_S8_EEEEPS9_S9_NSD_9__find_if7functorIS9_EEEE10hipError_tPvRmT1_T2_T3_mT4_P12ihipStream_tbEUlT_E1_NS1_11comp_targetILNS1_3genE8ELNS1_11target_archE1030ELNS1_3gpuE2ELNS1_3repE0EEENS1_30default_config_static_selectorELNS0_4arch9wavefront6targetE0EEEvS14_,comdat
	.protected	_ZN7rocprim17ROCPRIM_400000_NS6detail17trampoline_kernelINS0_14default_configENS1_22reduce_config_selectorIN6thrust23THRUST_200600_302600_NS5tupleIblNS6_9null_typeES8_S8_S8_S8_S8_S8_S8_EEEEZNS1_11reduce_implILb1ES3_NS6_12zip_iteratorINS7_INS6_11hip_rocprim26transform_input_iterator_tIbNSD_35transform_pair_of_input_iterators_tIbNS6_6detail15normal_iteratorINS6_10device_ptrIKsEEEESL_NS6_8equal_toIsEEEENSG_9not_fun_tINSD_8identityEEEEENSD_19counting_iterator_tIlEES8_S8_S8_S8_S8_S8_S8_S8_EEEEPS9_S9_NSD_9__find_if7functorIS9_EEEE10hipError_tPvRmT1_T2_T3_mT4_P12ihipStream_tbEUlT_E1_NS1_11comp_targetILNS1_3genE8ELNS1_11target_archE1030ELNS1_3gpuE2ELNS1_3repE0EEENS1_30default_config_static_selectorELNS0_4arch9wavefront6targetE0EEEvS14_ ; -- Begin function _ZN7rocprim17ROCPRIM_400000_NS6detail17trampoline_kernelINS0_14default_configENS1_22reduce_config_selectorIN6thrust23THRUST_200600_302600_NS5tupleIblNS6_9null_typeES8_S8_S8_S8_S8_S8_S8_EEEEZNS1_11reduce_implILb1ES3_NS6_12zip_iteratorINS7_INS6_11hip_rocprim26transform_input_iterator_tIbNSD_35transform_pair_of_input_iterators_tIbNS6_6detail15normal_iteratorINS6_10device_ptrIKsEEEESL_NS6_8equal_toIsEEEENSG_9not_fun_tINSD_8identityEEEEENSD_19counting_iterator_tIlEES8_S8_S8_S8_S8_S8_S8_S8_EEEEPS9_S9_NSD_9__find_if7functorIS9_EEEE10hipError_tPvRmT1_T2_T3_mT4_P12ihipStream_tbEUlT_E1_NS1_11comp_targetILNS1_3genE8ELNS1_11target_archE1030ELNS1_3gpuE2ELNS1_3repE0EEENS1_30default_config_static_selectorELNS0_4arch9wavefront6targetE0EEEvS14_
	.globl	_ZN7rocprim17ROCPRIM_400000_NS6detail17trampoline_kernelINS0_14default_configENS1_22reduce_config_selectorIN6thrust23THRUST_200600_302600_NS5tupleIblNS6_9null_typeES8_S8_S8_S8_S8_S8_S8_EEEEZNS1_11reduce_implILb1ES3_NS6_12zip_iteratorINS7_INS6_11hip_rocprim26transform_input_iterator_tIbNSD_35transform_pair_of_input_iterators_tIbNS6_6detail15normal_iteratorINS6_10device_ptrIKsEEEESL_NS6_8equal_toIsEEEENSG_9not_fun_tINSD_8identityEEEEENSD_19counting_iterator_tIlEES8_S8_S8_S8_S8_S8_S8_S8_EEEEPS9_S9_NSD_9__find_if7functorIS9_EEEE10hipError_tPvRmT1_T2_T3_mT4_P12ihipStream_tbEUlT_E1_NS1_11comp_targetILNS1_3genE8ELNS1_11target_archE1030ELNS1_3gpuE2ELNS1_3repE0EEENS1_30default_config_static_selectorELNS0_4arch9wavefront6targetE0EEEvS14_
	.p2align	8
	.type	_ZN7rocprim17ROCPRIM_400000_NS6detail17trampoline_kernelINS0_14default_configENS1_22reduce_config_selectorIN6thrust23THRUST_200600_302600_NS5tupleIblNS6_9null_typeES8_S8_S8_S8_S8_S8_S8_EEEEZNS1_11reduce_implILb1ES3_NS6_12zip_iteratorINS7_INS6_11hip_rocprim26transform_input_iterator_tIbNSD_35transform_pair_of_input_iterators_tIbNS6_6detail15normal_iteratorINS6_10device_ptrIKsEEEESL_NS6_8equal_toIsEEEENSG_9not_fun_tINSD_8identityEEEEENSD_19counting_iterator_tIlEES8_S8_S8_S8_S8_S8_S8_S8_EEEEPS9_S9_NSD_9__find_if7functorIS9_EEEE10hipError_tPvRmT1_T2_T3_mT4_P12ihipStream_tbEUlT_E1_NS1_11comp_targetILNS1_3genE8ELNS1_11target_archE1030ELNS1_3gpuE2ELNS1_3repE0EEENS1_30default_config_static_selectorELNS0_4arch9wavefront6targetE0EEEvS14_,@function
_ZN7rocprim17ROCPRIM_400000_NS6detail17trampoline_kernelINS0_14default_configENS1_22reduce_config_selectorIN6thrust23THRUST_200600_302600_NS5tupleIblNS6_9null_typeES8_S8_S8_S8_S8_S8_S8_EEEEZNS1_11reduce_implILb1ES3_NS6_12zip_iteratorINS7_INS6_11hip_rocprim26transform_input_iterator_tIbNSD_35transform_pair_of_input_iterators_tIbNS6_6detail15normal_iteratorINS6_10device_ptrIKsEEEESL_NS6_8equal_toIsEEEENSG_9not_fun_tINSD_8identityEEEEENSD_19counting_iterator_tIlEES8_S8_S8_S8_S8_S8_S8_S8_EEEEPS9_S9_NSD_9__find_if7functorIS9_EEEE10hipError_tPvRmT1_T2_T3_mT4_P12ihipStream_tbEUlT_E1_NS1_11comp_targetILNS1_3genE8ELNS1_11target_archE1030ELNS1_3gpuE2ELNS1_3repE0EEENS1_30default_config_static_selectorELNS0_4arch9wavefront6targetE0EEEvS14_: ; @_ZN7rocprim17ROCPRIM_400000_NS6detail17trampoline_kernelINS0_14default_configENS1_22reduce_config_selectorIN6thrust23THRUST_200600_302600_NS5tupleIblNS6_9null_typeES8_S8_S8_S8_S8_S8_S8_EEEEZNS1_11reduce_implILb1ES3_NS6_12zip_iteratorINS7_INS6_11hip_rocprim26transform_input_iterator_tIbNSD_35transform_pair_of_input_iterators_tIbNS6_6detail15normal_iteratorINS6_10device_ptrIKsEEEESL_NS6_8equal_toIsEEEENSG_9not_fun_tINSD_8identityEEEEENSD_19counting_iterator_tIlEES8_S8_S8_S8_S8_S8_S8_S8_EEEEPS9_S9_NSD_9__find_if7functorIS9_EEEE10hipError_tPvRmT1_T2_T3_mT4_P12ihipStream_tbEUlT_E1_NS1_11comp_targetILNS1_3genE8ELNS1_11target_archE1030ELNS1_3gpuE2ELNS1_3repE0EEENS1_30default_config_static_selectorELNS0_4arch9wavefront6targetE0EEEvS14_
; %bb.0:
	.section	.rodata,"a",@progbits
	.p2align	6, 0x0
	.amdhsa_kernel _ZN7rocprim17ROCPRIM_400000_NS6detail17trampoline_kernelINS0_14default_configENS1_22reduce_config_selectorIN6thrust23THRUST_200600_302600_NS5tupleIblNS6_9null_typeES8_S8_S8_S8_S8_S8_S8_EEEEZNS1_11reduce_implILb1ES3_NS6_12zip_iteratorINS7_INS6_11hip_rocprim26transform_input_iterator_tIbNSD_35transform_pair_of_input_iterators_tIbNS6_6detail15normal_iteratorINS6_10device_ptrIKsEEEESL_NS6_8equal_toIsEEEENSG_9not_fun_tINSD_8identityEEEEENSD_19counting_iterator_tIlEES8_S8_S8_S8_S8_S8_S8_S8_EEEEPS9_S9_NSD_9__find_if7functorIS9_EEEE10hipError_tPvRmT1_T2_T3_mT4_P12ihipStream_tbEUlT_E1_NS1_11comp_targetILNS1_3genE8ELNS1_11target_archE1030ELNS1_3gpuE2ELNS1_3repE0EEENS1_30default_config_static_selectorELNS0_4arch9wavefront6targetE0EEEvS14_
		.amdhsa_group_segment_fixed_size 0
		.amdhsa_private_segment_fixed_size 0
		.amdhsa_kernarg_size 88
		.amdhsa_user_sgpr_count 15
		.amdhsa_user_sgpr_dispatch_ptr 0
		.amdhsa_user_sgpr_queue_ptr 0
		.amdhsa_user_sgpr_kernarg_segment_ptr 1
		.amdhsa_user_sgpr_dispatch_id 0
		.amdhsa_user_sgpr_private_segment_size 0
		.amdhsa_wavefront_size32 1
		.amdhsa_uses_dynamic_stack 0
		.amdhsa_enable_private_segment 0
		.amdhsa_system_sgpr_workgroup_id_x 1
		.amdhsa_system_sgpr_workgroup_id_y 0
		.amdhsa_system_sgpr_workgroup_id_z 0
		.amdhsa_system_sgpr_workgroup_info 0
		.amdhsa_system_vgpr_workitem_id 0
		.amdhsa_next_free_vgpr 1
		.amdhsa_next_free_sgpr 1
		.amdhsa_reserve_vcc 0
		.amdhsa_float_round_mode_32 0
		.amdhsa_float_round_mode_16_64 0
		.amdhsa_float_denorm_mode_32 3
		.amdhsa_float_denorm_mode_16_64 3
		.amdhsa_dx10_clamp 1
		.amdhsa_ieee_mode 1
		.amdhsa_fp16_overflow 0
		.amdhsa_workgroup_processor_mode 1
		.amdhsa_memory_ordered 1
		.amdhsa_forward_progress 0
		.amdhsa_shared_vgpr_count 0
		.amdhsa_exception_fp_ieee_invalid_op 0
		.amdhsa_exception_fp_denorm_src 0
		.amdhsa_exception_fp_ieee_div_zero 0
		.amdhsa_exception_fp_ieee_overflow 0
		.amdhsa_exception_fp_ieee_underflow 0
		.amdhsa_exception_fp_ieee_inexact 0
		.amdhsa_exception_int_div_zero 0
	.end_amdhsa_kernel
	.section	.text._ZN7rocprim17ROCPRIM_400000_NS6detail17trampoline_kernelINS0_14default_configENS1_22reduce_config_selectorIN6thrust23THRUST_200600_302600_NS5tupleIblNS6_9null_typeES8_S8_S8_S8_S8_S8_S8_EEEEZNS1_11reduce_implILb1ES3_NS6_12zip_iteratorINS7_INS6_11hip_rocprim26transform_input_iterator_tIbNSD_35transform_pair_of_input_iterators_tIbNS6_6detail15normal_iteratorINS6_10device_ptrIKsEEEESL_NS6_8equal_toIsEEEENSG_9not_fun_tINSD_8identityEEEEENSD_19counting_iterator_tIlEES8_S8_S8_S8_S8_S8_S8_S8_EEEEPS9_S9_NSD_9__find_if7functorIS9_EEEE10hipError_tPvRmT1_T2_T3_mT4_P12ihipStream_tbEUlT_E1_NS1_11comp_targetILNS1_3genE8ELNS1_11target_archE1030ELNS1_3gpuE2ELNS1_3repE0EEENS1_30default_config_static_selectorELNS0_4arch9wavefront6targetE0EEEvS14_,"axG",@progbits,_ZN7rocprim17ROCPRIM_400000_NS6detail17trampoline_kernelINS0_14default_configENS1_22reduce_config_selectorIN6thrust23THRUST_200600_302600_NS5tupleIblNS6_9null_typeES8_S8_S8_S8_S8_S8_S8_EEEEZNS1_11reduce_implILb1ES3_NS6_12zip_iteratorINS7_INS6_11hip_rocprim26transform_input_iterator_tIbNSD_35transform_pair_of_input_iterators_tIbNS6_6detail15normal_iteratorINS6_10device_ptrIKsEEEESL_NS6_8equal_toIsEEEENSG_9not_fun_tINSD_8identityEEEEENSD_19counting_iterator_tIlEES8_S8_S8_S8_S8_S8_S8_S8_EEEEPS9_S9_NSD_9__find_if7functorIS9_EEEE10hipError_tPvRmT1_T2_T3_mT4_P12ihipStream_tbEUlT_E1_NS1_11comp_targetILNS1_3genE8ELNS1_11target_archE1030ELNS1_3gpuE2ELNS1_3repE0EEENS1_30default_config_static_selectorELNS0_4arch9wavefront6targetE0EEEvS14_,comdat
.Lfunc_end886:
	.size	_ZN7rocprim17ROCPRIM_400000_NS6detail17trampoline_kernelINS0_14default_configENS1_22reduce_config_selectorIN6thrust23THRUST_200600_302600_NS5tupleIblNS6_9null_typeES8_S8_S8_S8_S8_S8_S8_EEEEZNS1_11reduce_implILb1ES3_NS6_12zip_iteratorINS7_INS6_11hip_rocprim26transform_input_iterator_tIbNSD_35transform_pair_of_input_iterators_tIbNS6_6detail15normal_iteratorINS6_10device_ptrIKsEEEESL_NS6_8equal_toIsEEEENSG_9not_fun_tINSD_8identityEEEEENSD_19counting_iterator_tIlEES8_S8_S8_S8_S8_S8_S8_S8_EEEEPS9_S9_NSD_9__find_if7functorIS9_EEEE10hipError_tPvRmT1_T2_T3_mT4_P12ihipStream_tbEUlT_E1_NS1_11comp_targetILNS1_3genE8ELNS1_11target_archE1030ELNS1_3gpuE2ELNS1_3repE0EEENS1_30default_config_static_selectorELNS0_4arch9wavefront6targetE0EEEvS14_, .Lfunc_end886-_ZN7rocprim17ROCPRIM_400000_NS6detail17trampoline_kernelINS0_14default_configENS1_22reduce_config_selectorIN6thrust23THRUST_200600_302600_NS5tupleIblNS6_9null_typeES8_S8_S8_S8_S8_S8_S8_EEEEZNS1_11reduce_implILb1ES3_NS6_12zip_iteratorINS7_INS6_11hip_rocprim26transform_input_iterator_tIbNSD_35transform_pair_of_input_iterators_tIbNS6_6detail15normal_iteratorINS6_10device_ptrIKsEEEESL_NS6_8equal_toIsEEEENSG_9not_fun_tINSD_8identityEEEEENSD_19counting_iterator_tIlEES8_S8_S8_S8_S8_S8_S8_S8_EEEEPS9_S9_NSD_9__find_if7functorIS9_EEEE10hipError_tPvRmT1_T2_T3_mT4_P12ihipStream_tbEUlT_E1_NS1_11comp_targetILNS1_3genE8ELNS1_11target_archE1030ELNS1_3gpuE2ELNS1_3repE0EEENS1_30default_config_static_selectorELNS0_4arch9wavefront6targetE0EEEvS14_
                                        ; -- End function
	.section	.AMDGPU.csdata,"",@progbits
; Kernel info:
; codeLenInByte = 0
; NumSgprs: 0
; NumVgprs: 0
; ScratchSize: 0
; MemoryBound: 0
; FloatMode: 240
; IeeeMode: 1
; LDSByteSize: 0 bytes/workgroup (compile time only)
; SGPRBlocks: 0
; VGPRBlocks: 0
; NumSGPRsForWavesPerEU: 1
; NumVGPRsForWavesPerEU: 1
; Occupancy: 16
; WaveLimiterHint : 0
; COMPUTE_PGM_RSRC2:SCRATCH_EN: 0
; COMPUTE_PGM_RSRC2:USER_SGPR: 15
; COMPUTE_PGM_RSRC2:TRAP_HANDLER: 0
; COMPUTE_PGM_RSRC2:TGID_X_EN: 1
; COMPUTE_PGM_RSRC2:TGID_Y_EN: 0
; COMPUTE_PGM_RSRC2:TGID_Z_EN: 0
; COMPUTE_PGM_RSRC2:TIDIG_COMP_CNT: 0
	.section	.text._ZN6thrust23THRUST_200600_302600_NS11hip_rocprim14__parallel_for6kernelILj256ENS1_11__transform17unary_transform_fINS0_17constant_iteratorINS0_5tupleI10large_dataS8_NS0_9null_typeES9_S9_S9_S9_S9_S9_S9_EENS0_11use_defaultESB_EENS0_12zip_iteratorINS7_INS0_6detail15normal_iteratorINS0_10device_ptrIS8_EEEESI_S9_S9_S9_S9_S9_S9_S9_S9_EEEENS4_14no_stencil_tagENS0_8identityISA_EENS4_21always_true_predicateEEExLj1EEEvT0_T1_SR_,"axG",@progbits,_ZN6thrust23THRUST_200600_302600_NS11hip_rocprim14__parallel_for6kernelILj256ENS1_11__transform17unary_transform_fINS0_17constant_iteratorINS0_5tupleI10large_dataS8_NS0_9null_typeES9_S9_S9_S9_S9_S9_S9_EENS0_11use_defaultESB_EENS0_12zip_iteratorINS7_INS0_6detail15normal_iteratorINS0_10device_ptrIS8_EEEESI_S9_S9_S9_S9_S9_S9_S9_S9_EEEENS4_14no_stencil_tagENS0_8identityISA_EENS4_21always_true_predicateEEExLj1EEEvT0_T1_SR_,comdat
	.protected	_ZN6thrust23THRUST_200600_302600_NS11hip_rocprim14__parallel_for6kernelILj256ENS1_11__transform17unary_transform_fINS0_17constant_iteratorINS0_5tupleI10large_dataS8_NS0_9null_typeES9_S9_S9_S9_S9_S9_S9_EENS0_11use_defaultESB_EENS0_12zip_iteratorINS7_INS0_6detail15normal_iteratorINS0_10device_ptrIS8_EEEESI_S9_S9_S9_S9_S9_S9_S9_S9_EEEENS4_14no_stencil_tagENS0_8identityISA_EENS4_21always_true_predicateEEExLj1EEEvT0_T1_SR_ ; -- Begin function _ZN6thrust23THRUST_200600_302600_NS11hip_rocprim14__parallel_for6kernelILj256ENS1_11__transform17unary_transform_fINS0_17constant_iteratorINS0_5tupleI10large_dataS8_NS0_9null_typeES9_S9_S9_S9_S9_S9_S9_EENS0_11use_defaultESB_EENS0_12zip_iteratorINS7_INS0_6detail15normal_iteratorINS0_10device_ptrIS8_EEEESI_S9_S9_S9_S9_S9_S9_S9_S9_EEEENS4_14no_stencil_tagENS0_8identityISA_EENS4_21always_true_predicateEEExLj1EEEvT0_T1_SR_
	.globl	_ZN6thrust23THRUST_200600_302600_NS11hip_rocprim14__parallel_for6kernelILj256ENS1_11__transform17unary_transform_fINS0_17constant_iteratorINS0_5tupleI10large_dataS8_NS0_9null_typeES9_S9_S9_S9_S9_S9_S9_EENS0_11use_defaultESB_EENS0_12zip_iteratorINS7_INS0_6detail15normal_iteratorINS0_10device_ptrIS8_EEEESI_S9_S9_S9_S9_S9_S9_S9_S9_EEEENS4_14no_stencil_tagENS0_8identityISA_EENS4_21always_true_predicateEEExLj1EEEvT0_T1_SR_
	.p2align	8
	.type	_ZN6thrust23THRUST_200600_302600_NS11hip_rocprim14__parallel_for6kernelILj256ENS1_11__transform17unary_transform_fINS0_17constant_iteratorINS0_5tupleI10large_dataS8_NS0_9null_typeES9_S9_S9_S9_S9_S9_S9_EENS0_11use_defaultESB_EENS0_12zip_iteratorINS7_INS0_6detail15normal_iteratorINS0_10device_ptrIS8_EEEESI_S9_S9_S9_S9_S9_S9_S9_S9_EEEENS4_14no_stencil_tagENS0_8identityISA_EENS4_21always_true_predicateEEExLj1EEEvT0_T1_SR_,@function
_ZN6thrust23THRUST_200600_302600_NS11hip_rocprim14__parallel_for6kernelILj256ENS1_11__transform17unary_transform_fINS0_17constant_iteratorINS0_5tupleI10large_dataS8_NS0_9null_typeES9_S9_S9_S9_S9_S9_S9_EENS0_11use_defaultESB_EENS0_12zip_iteratorINS7_INS0_6detail15normal_iteratorINS0_10device_ptrIS8_EEEESI_S9_S9_S9_S9_S9_S9_S9_S9_EEEENS4_14no_stencil_tagENS0_8identityISA_EENS4_21always_true_predicateEEExLj1EEEvT0_T1_SR_: ; @_ZN6thrust23THRUST_200600_302600_NS11hip_rocprim14__parallel_for6kernelILj256ENS1_11__transform17unary_transform_fINS0_17constant_iteratorINS0_5tupleI10large_dataS8_NS0_9null_typeES9_S9_S9_S9_S9_S9_S9_EENS0_11use_defaultESB_EENS0_12zip_iteratorINS7_INS0_6detail15normal_iteratorINS0_10device_ptrIS8_EEEESI_S9_S9_S9_S9_S9_S9_S9_S9_EEEENS4_14no_stencil_tagENS0_8identityISA_EENS4_21always_true_predicateEEExLj1EEEvT0_T1_SR_
; %bb.0:
	s_load_b128 s[4:7], s[0:1], 0x420
	s_lshl_b32 s2, s15, 8
	s_waitcnt lgkmcnt(0)
	s_add_u32 s2, s2, s6
	s_addc_u32 s3, 0, s7
	s_sub_u32 s4, s4, s2
	s_subb_u32 s5, s5, s3
	s_delay_alu instid0(SALU_CYCLE_1) | instskip(NEXT) | instid1(VALU_DEP_1)
	v_cmp_gt_i64_e64 s5, 0x100, s[4:5]
	s_and_b32 s5, s5, exec_lo
	s_cselect_b32 s4, s4, 0x100
	s_delay_alu instid0(SALU_CYCLE_1) | instskip(SKIP_2) | instid1(SALU_CYCLE_1)
	v_cmp_gt_u32_e32 vcc_lo, s4, v0
	s_cmpk_eq_i32 s4, 0x100
	s_cselect_b32 s4, -1, 0
	s_or_b32 s4, s4, vcc_lo
	s_delay_alu instid0(SALU_CYCLE_1)
	s_and_saveexec_b32 s5, s4
	s_cbranch_execz .LBB887_2
; %bb.1:
	s_clause 0x2
	s_load_b128 s[4:7], s[0:1], 0x408
	s_load_b32 s8, s[0:1], 0x208
	s_load_b32 s0, s[0:1], 0x8
	v_add_co_u32 v0, s1, s2, v0
	s_delay_alu instid0(VALU_DEP_1) | instskip(NEXT) | instid1(VALU_DEP_1)
	v_add_co_ci_u32_e64 v1, null, s3, 0, s1
	v_lshlrev_b64 v[0:1], 9, v[0:1]
	s_waitcnt lgkmcnt(0)
	s_delay_alu instid0(VALU_DEP_1) | instskip(NEXT) | instid1(VALU_DEP_2)
	v_add_co_u32 v2, vcc_lo, s6, v0
	v_add_co_ci_u32_e32 v3, vcc_lo, s7, v1, vcc_lo
	v_add_co_u32 v0, vcc_lo, s4, v0
	v_add_co_ci_u32_e32 v1, vcc_lo, s5, v1, vcc_lo
	v_dual_mov_b32 v4, s0 :: v_dual_mov_b32 v5, s8
	global_store_b8 v[0:1], v4, off
	global_store_b8 v[2:3], v5, off
.LBB887_2:
	s_nop 0
	s_sendmsg sendmsg(MSG_DEALLOC_VGPRS)
	s_endpgm
	.section	.rodata,"a",@progbits
	.p2align	6, 0x0
	.amdhsa_kernel _ZN6thrust23THRUST_200600_302600_NS11hip_rocprim14__parallel_for6kernelILj256ENS1_11__transform17unary_transform_fINS0_17constant_iteratorINS0_5tupleI10large_dataS8_NS0_9null_typeES9_S9_S9_S9_S9_S9_S9_EENS0_11use_defaultESB_EENS0_12zip_iteratorINS7_INS0_6detail15normal_iteratorINS0_10device_ptrIS8_EEEESI_S9_S9_S9_S9_S9_S9_S9_S9_EEEENS4_14no_stencil_tagENS0_8identityISA_EENS4_21always_true_predicateEEExLj1EEEvT0_T1_SR_
		.amdhsa_group_segment_fixed_size 0
		.amdhsa_private_segment_fixed_size 0
		.amdhsa_kernarg_size 1072
		.amdhsa_user_sgpr_count 15
		.amdhsa_user_sgpr_dispatch_ptr 0
		.amdhsa_user_sgpr_queue_ptr 0
		.amdhsa_user_sgpr_kernarg_segment_ptr 1
		.amdhsa_user_sgpr_dispatch_id 0
		.amdhsa_user_sgpr_private_segment_size 0
		.amdhsa_wavefront_size32 1
		.amdhsa_uses_dynamic_stack 0
		.amdhsa_enable_private_segment 0
		.amdhsa_system_sgpr_workgroup_id_x 1
		.amdhsa_system_sgpr_workgroup_id_y 0
		.amdhsa_system_sgpr_workgroup_id_z 0
		.amdhsa_system_sgpr_workgroup_info 0
		.amdhsa_system_vgpr_workitem_id 0
		.amdhsa_next_free_vgpr 6
		.amdhsa_next_free_sgpr 16
		.amdhsa_reserve_vcc 1
		.amdhsa_float_round_mode_32 0
		.amdhsa_float_round_mode_16_64 0
		.amdhsa_float_denorm_mode_32 3
		.amdhsa_float_denorm_mode_16_64 3
		.amdhsa_dx10_clamp 1
		.amdhsa_ieee_mode 1
		.amdhsa_fp16_overflow 0
		.amdhsa_workgroup_processor_mode 1
		.amdhsa_memory_ordered 1
		.amdhsa_forward_progress 0
		.amdhsa_shared_vgpr_count 0
		.amdhsa_exception_fp_ieee_invalid_op 0
		.amdhsa_exception_fp_denorm_src 0
		.amdhsa_exception_fp_ieee_div_zero 0
		.amdhsa_exception_fp_ieee_overflow 0
		.amdhsa_exception_fp_ieee_underflow 0
		.amdhsa_exception_fp_ieee_inexact 0
		.amdhsa_exception_int_div_zero 0
	.end_amdhsa_kernel
	.section	.text._ZN6thrust23THRUST_200600_302600_NS11hip_rocprim14__parallel_for6kernelILj256ENS1_11__transform17unary_transform_fINS0_17constant_iteratorINS0_5tupleI10large_dataS8_NS0_9null_typeES9_S9_S9_S9_S9_S9_S9_EENS0_11use_defaultESB_EENS0_12zip_iteratorINS7_INS0_6detail15normal_iteratorINS0_10device_ptrIS8_EEEESI_S9_S9_S9_S9_S9_S9_S9_S9_EEEENS4_14no_stencil_tagENS0_8identityISA_EENS4_21always_true_predicateEEExLj1EEEvT0_T1_SR_,"axG",@progbits,_ZN6thrust23THRUST_200600_302600_NS11hip_rocprim14__parallel_for6kernelILj256ENS1_11__transform17unary_transform_fINS0_17constant_iteratorINS0_5tupleI10large_dataS8_NS0_9null_typeES9_S9_S9_S9_S9_S9_S9_EENS0_11use_defaultESB_EENS0_12zip_iteratorINS7_INS0_6detail15normal_iteratorINS0_10device_ptrIS8_EEEESI_S9_S9_S9_S9_S9_S9_S9_S9_EEEENS4_14no_stencil_tagENS0_8identityISA_EENS4_21always_true_predicateEEExLj1EEEvT0_T1_SR_,comdat
.Lfunc_end887:
	.size	_ZN6thrust23THRUST_200600_302600_NS11hip_rocprim14__parallel_for6kernelILj256ENS1_11__transform17unary_transform_fINS0_17constant_iteratorINS0_5tupleI10large_dataS8_NS0_9null_typeES9_S9_S9_S9_S9_S9_S9_EENS0_11use_defaultESB_EENS0_12zip_iteratorINS7_INS0_6detail15normal_iteratorINS0_10device_ptrIS8_EEEESI_S9_S9_S9_S9_S9_S9_S9_S9_EEEENS4_14no_stencil_tagENS0_8identityISA_EENS4_21always_true_predicateEEExLj1EEEvT0_T1_SR_, .Lfunc_end887-_ZN6thrust23THRUST_200600_302600_NS11hip_rocprim14__parallel_for6kernelILj256ENS1_11__transform17unary_transform_fINS0_17constant_iteratorINS0_5tupleI10large_dataS8_NS0_9null_typeES9_S9_S9_S9_S9_S9_S9_EENS0_11use_defaultESB_EENS0_12zip_iteratorINS7_INS0_6detail15normal_iteratorINS0_10device_ptrIS8_EEEESI_S9_S9_S9_S9_S9_S9_S9_S9_EEEENS4_14no_stencil_tagENS0_8identityISA_EENS4_21always_true_predicateEEExLj1EEEvT0_T1_SR_
                                        ; -- End function
	.section	.AMDGPU.csdata,"",@progbits
; Kernel info:
; codeLenInByte = 216
; NumSgprs: 18
; NumVgprs: 6
; ScratchSize: 0
; MemoryBound: 0
; FloatMode: 240
; IeeeMode: 1
; LDSByteSize: 0 bytes/workgroup (compile time only)
; SGPRBlocks: 2
; VGPRBlocks: 0
; NumSGPRsForWavesPerEU: 18
; NumVGPRsForWavesPerEU: 6
; Occupancy: 16
; WaveLimiterHint : 1
; COMPUTE_PGM_RSRC2:SCRATCH_EN: 0
; COMPUTE_PGM_RSRC2:USER_SGPR: 15
; COMPUTE_PGM_RSRC2:TRAP_HANDLER: 0
; COMPUTE_PGM_RSRC2:TGID_X_EN: 1
; COMPUTE_PGM_RSRC2:TGID_Y_EN: 0
; COMPUTE_PGM_RSRC2:TGID_Z_EN: 0
; COMPUTE_PGM_RSRC2:TIDIG_COMP_CNT: 0
	.section	.text._ZN6thrust23THRUST_200600_302600_NS11hip_rocprim14__parallel_for6kernelILj256ENS1_11__transform17unary_transform_fINS0_17constant_iteratorINS0_5tupleIddNS0_9null_typeES8_S8_S8_S8_S8_S8_S8_EENS0_11use_defaultESA_EENS0_12zip_iteratorINS7_INS0_6detail15normal_iteratorINS0_10device_ptrIdEEEESH_S8_S8_S8_S8_S8_S8_S8_S8_EEEENS4_14no_stencil_tagENS0_8identityIS9_EENS4_21always_true_predicateEEExLj1EEEvT0_T1_SQ_,"axG",@progbits,_ZN6thrust23THRUST_200600_302600_NS11hip_rocprim14__parallel_for6kernelILj256ENS1_11__transform17unary_transform_fINS0_17constant_iteratorINS0_5tupleIddNS0_9null_typeES8_S8_S8_S8_S8_S8_S8_EENS0_11use_defaultESA_EENS0_12zip_iteratorINS7_INS0_6detail15normal_iteratorINS0_10device_ptrIdEEEESH_S8_S8_S8_S8_S8_S8_S8_S8_EEEENS4_14no_stencil_tagENS0_8identityIS9_EENS4_21always_true_predicateEEExLj1EEEvT0_T1_SQ_,comdat
	.protected	_ZN6thrust23THRUST_200600_302600_NS11hip_rocprim14__parallel_for6kernelILj256ENS1_11__transform17unary_transform_fINS0_17constant_iteratorINS0_5tupleIddNS0_9null_typeES8_S8_S8_S8_S8_S8_S8_EENS0_11use_defaultESA_EENS0_12zip_iteratorINS7_INS0_6detail15normal_iteratorINS0_10device_ptrIdEEEESH_S8_S8_S8_S8_S8_S8_S8_S8_EEEENS4_14no_stencil_tagENS0_8identityIS9_EENS4_21always_true_predicateEEExLj1EEEvT0_T1_SQ_ ; -- Begin function _ZN6thrust23THRUST_200600_302600_NS11hip_rocprim14__parallel_for6kernelILj256ENS1_11__transform17unary_transform_fINS0_17constant_iteratorINS0_5tupleIddNS0_9null_typeES8_S8_S8_S8_S8_S8_S8_EENS0_11use_defaultESA_EENS0_12zip_iteratorINS7_INS0_6detail15normal_iteratorINS0_10device_ptrIdEEEESH_S8_S8_S8_S8_S8_S8_S8_S8_EEEENS4_14no_stencil_tagENS0_8identityIS9_EENS4_21always_true_predicateEEExLj1EEEvT0_T1_SQ_
	.globl	_ZN6thrust23THRUST_200600_302600_NS11hip_rocprim14__parallel_for6kernelILj256ENS1_11__transform17unary_transform_fINS0_17constant_iteratorINS0_5tupleIddNS0_9null_typeES8_S8_S8_S8_S8_S8_S8_EENS0_11use_defaultESA_EENS0_12zip_iteratorINS7_INS0_6detail15normal_iteratorINS0_10device_ptrIdEEEESH_S8_S8_S8_S8_S8_S8_S8_S8_EEEENS4_14no_stencil_tagENS0_8identityIS9_EENS4_21always_true_predicateEEExLj1EEEvT0_T1_SQ_
	.p2align	8
	.type	_ZN6thrust23THRUST_200600_302600_NS11hip_rocprim14__parallel_for6kernelILj256ENS1_11__transform17unary_transform_fINS0_17constant_iteratorINS0_5tupleIddNS0_9null_typeES8_S8_S8_S8_S8_S8_S8_EENS0_11use_defaultESA_EENS0_12zip_iteratorINS7_INS0_6detail15normal_iteratorINS0_10device_ptrIdEEEESH_S8_S8_S8_S8_S8_S8_S8_S8_EEEENS4_14no_stencil_tagENS0_8identityIS9_EENS4_21always_true_predicateEEExLj1EEEvT0_T1_SQ_,@function
_ZN6thrust23THRUST_200600_302600_NS11hip_rocprim14__parallel_for6kernelILj256ENS1_11__transform17unary_transform_fINS0_17constant_iteratorINS0_5tupleIddNS0_9null_typeES8_S8_S8_S8_S8_S8_S8_EENS0_11use_defaultESA_EENS0_12zip_iteratorINS7_INS0_6detail15normal_iteratorINS0_10device_ptrIdEEEESH_S8_S8_S8_S8_S8_S8_S8_S8_EEEENS4_14no_stencil_tagENS0_8identityIS9_EENS4_21always_true_predicateEEExLj1EEEvT0_T1_SQ_: ; @_ZN6thrust23THRUST_200600_302600_NS11hip_rocprim14__parallel_for6kernelILj256ENS1_11__transform17unary_transform_fINS0_17constant_iteratorINS0_5tupleIddNS0_9null_typeES8_S8_S8_S8_S8_S8_S8_EENS0_11use_defaultESA_EENS0_12zip_iteratorINS7_INS0_6detail15normal_iteratorINS0_10device_ptrIdEEEESH_S8_S8_S8_S8_S8_S8_S8_S8_EEEENS4_14no_stencil_tagENS0_8identityIS9_EENS4_21always_true_predicateEEExLj1EEEvT0_T1_SQ_
; %bb.0:
	s_load_b128 s[4:7], s[0:1], 0x30
	s_lshl_b32 s2, s15, 8
	s_waitcnt lgkmcnt(0)
	s_add_u32 s2, s2, s6
	s_addc_u32 s3, 0, s7
	s_sub_u32 s4, s4, s2
	s_subb_u32 s5, s5, s3
	s_delay_alu instid0(SALU_CYCLE_1) | instskip(NEXT) | instid1(VALU_DEP_1)
	v_cmp_gt_i64_e64 s5, 0x100, s[4:5]
	s_and_b32 s5, s5, exec_lo
	s_cselect_b32 s4, s4, 0x100
	s_delay_alu instid0(SALU_CYCLE_1) | instskip(SKIP_2) | instid1(SALU_CYCLE_1)
	v_cmp_gt_u32_e32 vcc_lo, s4, v0
	s_cmpk_eq_i32 s4, 0x100
	s_cselect_b32 s4, -1, 0
	s_or_b32 s4, s4, vcc_lo
	s_delay_alu instid0(SALU_CYCLE_1)
	s_and_saveexec_b32 s5, s4
	s_cbranch_execz .LBB888_2
; %bb.1:
	s_load_b256 s[4:11], s[0:1], 0x8
	v_add_co_u32 v0, s0, s2, v0
	s_delay_alu instid0(VALU_DEP_1) | instskip(NEXT) | instid1(VALU_DEP_1)
	v_add_co_ci_u32_e64 v1, null, s3, 0, s0
	v_lshlrev_b64 v[0:1], 3, v[0:1]
	s_waitcnt lgkmcnt(0)
	s_delay_alu instid0(VALU_DEP_1) | instskip(NEXT) | instid1(VALU_DEP_2)
	v_add_co_u32 v6, vcc_lo, s8, v0
	v_add_co_ci_u32_e32 v7, vcc_lo, s9, v1, vcc_lo
	v_add_co_u32 v0, vcc_lo, s10, v0
	v_dual_mov_b32 v2, s4 :: v_dual_mov_b32 v3, s5
	v_dual_mov_b32 v4, s6 :: v_dual_mov_b32 v5, s7
	v_add_co_ci_u32_e32 v1, vcc_lo, s11, v1, vcc_lo
	global_store_b64 v[6:7], v[2:3], off
	global_store_b64 v[0:1], v[4:5], off
.LBB888_2:
	s_nop 0
	s_sendmsg sendmsg(MSG_DEALLOC_VGPRS)
	s_endpgm
	.section	.rodata,"a",@progbits
	.p2align	6, 0x0
	.amdhsa_kernel _ZN6thrust23THRUST_200600_302600_NS11hip_rocprim14__parallel_for6kernelILj256ENS1_11__transform17unary_transform_fINS0_17constant_iteratorINS0_5tupleIddNS0_9null_typeES8_S8_S8_S8_S8_S8_S8_EENS0_11use_defaultESA_EENS0_12zip_iteratorINS7_INS0_6detail15normal_iteratorINS0_10device_ptrIdEEEESH_S8_S8_S8_S8_S8_S8_S8_S8_EEEENS4_14no_stencil_tagENS0_8identityIS9_EENS4_21always_true_predicateEEExLj1EEEvT0_T1_SQ_
		.amdhsa_group_segment_fixed_size 0
		.amdhsa_private_segment_fixed_size 0
		.amdhsa_kernarg_size 64
		.amdhsa_user_sgpr_count 15
		.amdhsa_user_sgpr_dispatch_ptr 0
		.amdhsa_user_sgpr_queue_ptr 0
		.amdhsa_user_sgpr_kernarg_segment_ptr 1
		.amdhsa_user_sgpr_dispatch_id 0
		.amdhsa_user_sgpr_private_segment_size 0
		.amdhsa_wavefront_size32 1
		.amdhsa_uses_dynamic_stack 0
		.amdhsa_enable_private_segment 0
		.amdhsa_system_sgpr_workgroup_id_x 1
		.amdhsa_system_sgpr_workgroup_id_y 0
		.amdhsa_system_sgpr_workgroup_id_z 0
		.amdhsa_system_sgpr_workgroup_info 0
		.amdhsa_system_vgpr_workitem_id 0
		.amdhsa_next_free_vgpr 8
		.amdhsa_next_free_sgpr 16
		.amdhsa_reserve_vcc 1
		.amdhsa_float_round_mode_32 0
		.amdhsa_float_round_mode_16_64 0
		.amdhsa_float_denorm_mode_32 3
		.amdhsa_float_denorm_mode_16_64 3
		.amdhsa_dx10_clamp 1
		.amdhsa_ieee_mode 1
		.amdhsa_fp16_overflow 0
		.amdhsa_workgroup_processor_mode 1
		.amdhsa_memory_ordered 1
		.amdhsa_forward_progress 0
		.amdhsa_shared_vgpr_count 0
		.amdhsa_exception_fp_ieee_invalid_op 0
		.amdhsa_exception_fp_denorm_src 0
		.amdhsa_exception_fp_ieee_div_zero 0
		.amdhsa_exception_fp_ieee_overflow 0
		.amdhsa_exception_fp_ieee_underflow 0
		.amdhsa_exception_fp_ieee_inexact 0
		.amdhsa_exception_int_div_zero 0
	.end_amdhsa_kernel
	.section	.text._ZN6thrust23THRUST_200600_302600_NS11hip_rocprim14__parallel_for6kernelILj256ENS1_11__transform17unary_transform_fINS0_17constant_iteratorINS0_5tupleIddNS0_9null_typeES8_S8_S8_S8_S8_S8_S8_EENS0_11use_defaultESA_EENS0_12zip_iteratorINS7_INS0_6detail15normal_iteratorINS0_10device_ptrIdEEEESH_S8_S8_S8_S8_S8_S8_S8_S8_EEEENS4_14no_stencil_tagENS0_8identityIS9_EENS4_21always_true_predicateEEExLj1EEEvT0_T1_SQ_,"axG",@progbits,_ZN6thrust23THRUST_200600_302600_NS11hip_rocprim14__parallel_for6kernelILj256ENS1_11__transform17unary_transform_fINS0_17constant_iteratorINS0_5tupleIddNS0_9null_typeES8_S8_S8_S8_S8_S8_S8_EENS0_11use_defaultESA_EENS0_12zip_iteratorINS7_INS0_6detail15normal_iteratorINS0_10device_ptrIdEEEESH_S8_S8_S8_S8_S8_S8_S8_S8_EEEENS4_14no_stencil_tagENS0_8identityIS9_EENS4_21always_true_predicateEEExLj1EEEvT0_T1_SQ_,comdat
.Lfunc_end888:
	.size	_ZN6thrust23THRUST_200600_302600_NS11hip_rocprim14__parallel_for6kernelILj256ENS1_11__transform17unary_transform_fINS0_17constant_iteratorINS0_5tupleIddNS0_9null_typeES8_S8_S8_S8_S8_S8_S8_EENS0_11use_defaultESA_EENS0_12zip_iteratorINS7_INS0_6detail15normal_iteratorINS0_10device_ptrIdEEEESH_S8_S8_S8_S8_S8_S8_S8_S8_EEEENS4_14no_stencil_tagENS0_8identityIS9_EENS4_21always_true_predicateEEExLj1EEEvT0_T1_SQ_, .Lfunc_end888-_ZN6thrust23THRUST_200600_302600_NS11hip_rocprim14__parallel_for6kernelILj256ENS1_11__transform17unary_transform_fINS0_17constant_iteratorINS0_5tupleIddNS0_9null_typeES8_S8_S8_S8_S8_S8_S8_EENS0_11use_defaultESA_EENS0_12zip_iteratorINS7_INS0_6detail15normal_iteratorINS0_10device_ptrIdEEEESH_S8_S8_S8_S8_S8_S8_S8_S8_EEEENS4_14no_stencil_tagENS0_8identityIS9_EENS4_21always_true_predicateEEExLj1EEEvT0_T1_SQ_
                                        ; -- End function
	.section	.AMDGPU.csdata,"",@progbits
; Kernel info:
; codeLenInByte = 204
; NumSgprs: 18
; NumVgprs: 8
; ScratchSize: 0
; MemoryBound: 0
; FloatMode: 240
; IeeeMode: 1
; LDSByteSize: 0 bytes/workgroup (compile time only)
; SGPRBlocks: 2
; VGPRBlocks: 0
; NumSGPRsForWavesPerEU: 18
; NumVGPRsForWavesPerEU: 8
; Occupancy: 16
; WaveLimiterHint : 0
; COMPUTE_PGM_RSRC2:SCRATCH_EN: 0
; COMPUTE_PGM_RSRC2:USER_SGPR: 15
; COMPUTE_PGM_RSRC2:TRAP_HANDLER: 0
; COMPUTE_PGM_RSRC2:TGID_X_EN: 1
; COMPUTE_PGM_RSRC2:TGID_Y_EN: 0
; COMPUTE_PGM_RSRC2:TGID_Z_EN: 0
; COMPUTE_PGM_RSRC2:TIDIG_COMP_CNT: 0
	.section	.text._ZN6thrust23THRUST_200600_302600_NS11hip_rocprim14__parallel_for6kernelILj256ENS1_11__transform17unary_transform_fINS0_17constant_iteratorINS0_5tupleIffNS0_9null_typeES8_S8_S8_S8_S8_S8_S8_EENS0_11use_defaultESA_EENS0_12zip_iteratorINS7_INS0_6detail15normal_iteratorINS0_10device_ptrIfEEEESH_S8_S8_S8_S8_S8_S8_S8_S8_EEEENS4_14no_stencil_tagENS0_8identityIS9_EENS4_21always_true_predicateEEExLj1EEEvT0_T1_SQ_,"axG",@progbits,_ZN6thrust23THRUST_200600_302600_NS11hip_rocprim14__parallel_for6kernelILj256ENS1_11__transform17unary_transform_fINS0_17constant_iteratorINS0_5tupleIffNS0_9null_typeES8_S8_S8_S8_S8_S8_S8_EENS0_11use_defaultESA_EENS0_12zip_iteratorINS7_INS0_6detail15normal_iteratorINS0_10device_ptrIfEEEESH_S8_S8_S8_S8_S8_S8_S8_S8_EEEENS4_14no_stencil_tagENS0_8identityIS9_EENS4_21always_true_predicateEEExLj1EEEvT0_T1_SQ_,comdat
	.protected	_ZN6thrust23THRUST_200600_302600_NS11hip_rocprim14__parallel_for6kernelILj256ENS1_11__transform17unary_transform_fINS0_17constant_iteratorINS0_5tupleIffNS0_9null_typeES8_S8_S8_S8_S8_S8_S8_EENS0_11use_defaultESA_EENS0_12zip_iteratorINS7_INS0_6detail15normal_iteratorINS0_10device_ptrIfEEEESH_S8_S8_S8_S8_S8_S8_S8_S8_EEEENS4_14no_stencil_tagENS0_8identityIS9_EENS4_21always_true_predicateEEExLj1EEEvT0_T1_SQ_ ; -- Begin function _ZN6thrust23THRUST_200600_302600_NS11hip_rocprim14__parallel_for6kernelILj256ENS1_11__transform17unary_transform_fINS0_17constant_iteratorINS0_5tupleIffNS0_9null_typeES8_S8_S8_S8_S8_S8_S8_EENS0_11use_defaultESA_EENS0_12zip_iteratorINS7_INS0_6detail15normal_iteratorINS0_10device_ptrIfEEEESH_S8_S8_S8_S8_S8_S8_S8_S8_EEEENS4_14no_stencil_tagENS0_8identityIS9_EENS4_21always_true_predicateEEExLj1EEEvT0_T1_SQ_
	.globl	_ZN6thrust23THRUST_200600_302600_NS11hip_rocprim14__parallel_for6kernelILj256ENS1_11__transform17unary_transform_fINS0_17constant_iteratorINS0_5tupleIffNS0_9null_typeES8_S8_S8_S8_S8_S8_S8_EENS0_11use_defaultESA_EENS0_12zip_iteratorINS7_INS0_6detail15normal_iteratorINS0_10device_ptrIfEEEESH_S8_S8_S8_S8_S8_S8_S8_S8_EEEENS4_14no_stencil_tagENS0_8identityIS9_EENS4_21always_true_predicateEEExLj1EEEvT0_T1_SQ_
	.p2align	8
	.type	_ZN6thrust23THRUST_200600_302600_NS11hip_rocprim14__parallel_for6kernelILj256ENS1_11__transform17unary_transform_fINS0_17constant_iteratorINS0_5tupleIffNS0_9null_typeES8_S8_S8_S8_S8_S8_S8_EENS0_11use_defaultESA_EENS0_12zip_iteratorINS7_INS0_6detail15normal_iteratorINS0_10device_ptrIfEEEESH_S8_S8_S8_S8_S8_S8_S8_S8_EEEENS4_14no_stencil_tagENS0_8identityIS9_EENS4_21always_true_predicateEEExLj1EEEvT0_T1_SQ_,@function
_ZN6thrust23THRUST_200600_302600_NS11hip_rocprim14__parallel_for6kernelILj256ENS1_11__transform17unary_transform_fINS0_17constant_iteratorINS0_5tupleIffNS0_9null_typeES8_S8_S8_S8_S8_S8_S8_EENS0_11use_defaultESA_EENS0_12zip_iteratorINS7_INS0_6detail15normal_iteratorINS0_10device_ptrIfEEEESH_S8_S8_S8_S8_S8_S8_S8_S8_EEEENS4_14no_stencil_tagENS0_8identityIS9_EENS4_21always_true_predicateEEExLj1EEEvT0_T1_SQ_: ; @_ZN6thrust23THRUST_200600_302600_NS11hip_rocprim14__parallel_for6kernelILj256ENS1_11__transform17unary_transform_fINS0_17constant_iteratorINS0_5tupleIffNS0_9null_typeES8_S8_S8_S8_S8_S8_S8_EENS0_11use_defaultESA_EENS0_12zip_iteratorINS7_INS0_6detail15normal_iteratorINS0_10device_ptrIfEEEESH_S8_S8_S8_S8_S8_S8_S8_S8_EEEENS4_14no_stencil_tagENS0_8identityIS9_EENS4_21always_true_predicateEEExLj1EEEvT0_T1_SQ_
; %bb.0:
	s_load_b128 s[4:7], s[0:1], 0x28
	s_lshl_b32 s2, s15, 8
	s_waitcnt lgkmcnt(0)
	s_add_u32 s2, s2, s6
	s_addc_u32 s3, 0, s7
	s_sub_u32 s4, s4, s2
	s_subb_u32 s5, s5, s3
	s_delay_alu instid0(SALU_CYCLE_1) | instskip(NEXT) | instid1(VALU_DEP_1)
	v_cmp_gt_i64_e64 s5, 0x100, s[4:5]
	s_and_b32 s5, s5, exec_lo
	s_cselect_b32 s4, s4, 0x100
	s_delay_alu instid0(SALU_CYCLE_1) | instskip(SKIP_2) | instid1(SALU_CYCLE_1)
	v_cmp_gt_u32_e32 vcc_lo, s4, v0
	s_cmpk_eq_i32 s4, 0x100
	s_cselect_b32 s4, -1, 0
	s_or_b32 s4, s4, vcc_lo
	s_delay_alu instid0(SALU_CYCLE_1)
	s_and_saveexec_b32 s5, s4
	s_cbranch_execz .LBB889_2
; %bb.1:
	s_clause 0x1
	s_load_b128 s[4:7], s[0:1], 0x10
	s_load_b64 s[0:1], s[0:1], 0x8
	v_add_co_u32 v0, s2, s2, v0
	s_delay_alu instid0(VALU_DEP_1) | instskip(NEXT) | instid1(VALU_DEP_1)
	v_add_co_ci_u32_e64 v1, null, s3, 0, s2
	v_lshlrev_b64 v[0:1], 2, v[0:1]
	s_waitcnt lgkmcnt(0)
	s_delay_alu instid0(VALU_DEP_1) | instskip(NEXT) | instid1(VALU_DEP_2)
	v_add_co_u32 v2, vcc_lo, s6, v0
	v_add_co_ci_u32_e32 v3, vcc_lo, s7, v1, vcc_lo
	v_add_co_u32 v0, vcc_lo, s4, v0
	v_add_co_ci_u32_e32 v1, vcc_lo, s5, v1, vcc_lo
	v_dual_mov_b32 v4, s0 :: v_dual_mov_b32 v5, s1
	global_store_b32 v[0:1], v4, off
	global_store_b32 v[2:3], v5, off
.LBB889_2:
	s_nop 0
	s_sendmsg sendmsg(MSG_DEALLOC_VGPRS)
	s_endpgm
	.section	.rodata,"a",@progbits
	.p2align	6, 0x0
	.amdhsa_kernel _ZN6thrust23THRUST_200600_302600_NS11hip_rocprim14__parallel_for6kernelILj256ENS1_11__transform17unary_transform_fINS0_17constant_iteratorINS0_5tupleIffNS0_9null_typeES8_S8_S8_S8_S8_S8_S8_EENS0_11use_defaultESA_EENS0_12zip_iteratorINS7_INS0_6detail15normal_iteratorINS0_10device_ptrIfEEEESH_S8_S8_S8_S8_S8_S8_S8_S8_EEEENS4_14no_stencil_tagENS0_8identityIS9_EENS4_21always_true_predicateEEExLj1EEEvT0_T1_SQ_
		.amdhsa_group_segment_fixed_size 0
		.amdhsa_private_segment_fixed_size 0
		.amdhsa_kernarg_size 56
		.amdhsa_user_sgpr_count 15
		.amdhsa_user_sgpr_dispatch_ptr 0
		.amdhsa_user_sgpr_queue_ptr 0
		.amdhsa_user_sgpr_kernarg_segment_ptr 1
		.amdhsa_user_sgpr_dispatch_id 0
		.amdhsa_user_sgpr_private_segment_size 0
		.amdhsa_wavefront_size32 1
		.amdhsa_uses_dynamic_stack 0
		.amdhsa_enable_private_segment 0
		.amdhsa_system_sgpr_workgroup_id_x 1
		.amdhsa_system_sgpr_workgroup_id_y 0
		.amdhsa_system_sgpr_workgroup_id_z 0
		.amdhsa_system_sgpr_workgroup_info 0
		.amdhsa_system_vgpr_workitem_id 0
		.amdhsa_next_free_vgpr 6
		.amdhsa_next_free_sgpr 16
		.amdhsa_reserve_vcc 1
		.amdhsa_float_round_mode_32 0
		.amdhsa_float_round_mode_16_64 0
		.amdhsa_float_denorm_mode_32 3
		.amdhsa_float_denorm_mode_16_64 3
		.amdhsa_dx10_clamp 1
		.amdhsa_ieee_mode 1
		.amdhsa_fp16_overflow 0
		.amdhsa_workgroup_processor_mode 1
		.amdhsa_memory_ordered 1
		.amdhsa_forward_progress 0
		.amdhsa_shared_vgpr_count 0
		.amdhsa_exception_fp_ieee_invalid_op 0
		.amdhsa_exception_fp_denorm_src 0
		.amdhsa_exception_fp_ieee_div_zero 0
		.amdhsa_exception_fp_ieee_overflow 0
		.amdhsa_exception_fp_ieee_underflow 0
		.amdhsa_exception_fp_ieee_inexact 0
		.amdhsa_exception_int_div_zero 0
	.end_amdhsa_kernel
	.section	.text._ZN6thrust23THRUST_200600_302600_NS11hip_rocprim14__parallel_for6kernelILj256ENS1_11__transform17unary_transform_fINS0_17constant_iteratorINS0_5tupleIffNS0_9null_typeES8_S8_S8_S8_S8_S8_S8_EENS0_11use_defaultESA_EENS0_12zip_iteratorINS7_INS0_6detail15normal_iteratorINS0_10device_ptrIfEEEESH_S8_S8_S8_S8_S8_S8_S8_S8_EEEENS4_14no_stencil_tagENS0_8identityIS9_EENS4_21always_true_predicateEEExLj1EEEvT0_T1_SQ_,"axG",@progbits,_ZN6thrust23THRUST_200600_302600_NS11hip_rocprim14__parallel_for6kernelILj256ENS1_11__transform17unary_transform_fINS0_17constant_iteratorINS0_5tupleIffNS0_9null_typeES8_S8_S8_S8_S8_S8_S8_EENS0_11use_defaultESA_EENS0_12zip_iteratorINS7_INS0_6detail15normal_iteratorINS0_10device_ptrIfEEEESH_S8_S8_S8_S8_S8_S8_S8_S8_EEEENS4_14no_stencil_tagENS0_8identityIS9_EENS4_21always_true_predicateEEExLj1EEEvT0_T1_SQ_,comdat
.Lfunc_end889:
	.size	_ZN6thrust23THRUST_200600_302600_NS11hip_rocprim14__parallel_for6kernelILj256ENS1_11__transform17unary_transform_fINS0_17constant_iteratorINS0_5tupleIffNS0_9null_typeES8_S8_S8_S8_S8_S8_S8_EENS0_11use_defaultESA_EENS0_12zip_iteratorINS7_INS0_6detail15normal_iteratorINS0_10device_ptrIfEEEESH_S8_S8_S8_S8_S8_S8_S8_S8_EEEENS4_14no_stencil_tagENS0_8identityIS9_EENS4_21always_true_predicateEEExLj1EEEvT0_T1_SQ_, .Lfunc_end889-_ZN6thrust23THRUST_200600_302600_NS11hip_rocprim14__parallel_for6kernelILj256ENS1_11__transform17unary_transform_fINS0_17constant_iteratorINS0_5tupleIffNS0_9null_typeES8_S8_S8_S8_S8_S8_S8_EENS0_11use_defaultESA_EENS0_12zip_iteratorINS7_INS0_6detail15normal_iteratorINS0_10device_ptrIfEEEESH_S8_S8_S8_S8_S8_S8_S8_S8_EEEENS4_14no_stencil_tagENS0_8identityIS9_EENS4_21always_true_predicateEEExLj1EEEvT0_T1_SQ_
                                        ; -- End function
	.section	.AMDGPU.csdata,"",@progbits
; Kernel info:
; codeLenInByte = 208
; NumSgprs: 18
; NumVgprs: 6
; ScratchSize: 0
; MemoryBound: 0
; FloatMode: 240
; IeeeMode: 1
; LDSByteSize: 0 bytes/workgroup (compile time only)
; SGPRBlocks: 2
; VGPRBlocks: 0
; NumSGPRsForWavesPerEU: 18
; NumVGPRsForWavesPerEU: 6
; Occupancy: 16
; WaveLimiterHint : 0
; COMPUTE_PGM_RSRC2:SCRATCH_EN: 0
; COMPUTE_PGM_RSRC2:USER_SGPR: 15
; COMPUTE_PGM_RSRC2:TRAP_HANDLER: 0
; COMPUTE_PGM_RSRC2:TGID_X_EN: 1
; COMPUTE_PGM_RSRC2:TGID_Y_EN: 0
; COMPUTE_PGM_RSRC2:TGID_Z_EN: 0
; COMPUTE_PGM_RSRC2:TIDIG_COMP_CNT: 0
	.section	.text._ZN6thrust23THRUST_200600_302600_NS11hip_rocprim14__parallel_for6kernelILj256ENS1_11__transform17unary_transform_fINS0_17constant_iteratorINS0_5tupleIyyNS0_9null_typeES8_S8_S8_S8_S8_S8_S8_EENS0_11use_defaultESA_EENS0_12zip_iteratorINS7_INS0_6detail15normal_iteratorINS0_10device_ptrIyEEEESH_S8_S8_S8_S8_S8_S8_S8_S8_EEEENS4_14no_stencil_tagENS0_8identityIS9_EENS4_21always_true_predicateEEExLj1EEEvT0_T1_SQ_,"axG",@progbits,_ZN6thrust23THRUST_200600_302600_NS11hip_rocprim14__parallel_for6kernelILj256ENS1_11__transform17unary_transform_fINS0_17constant_iteratorINS0_5tupleIyyNS0_9null_typeES8_S8_S8_S8_S8_S8_S8_EENS0_11use_defaultESA_EENS0_12zip_iteratorINS7_INS0_6detail15normal_iteratorINS0_10device_ptrIyEEEESH_S8_S8_S8_S8_S8_S8_S8_S8_EEEENS4_14no_stencil_tagENS0_8identityIS9_EENS4_21always_true_predicateEEExLj1EEEvT0_T1_SQ_,comdat
	.protected	_ZN6thrust23THRUST_200600_302600_NS11hip_rocprim14__parallel_for6kernelILj256ENS1_11__transform17unary_transform_fINS0_17constant_iteratorINS0_5tupleIyyNS0_9null_typeES8_S8_S8_S8_S8_S8_S8_EENS0_11use_defaultESA_EENS0_12zip_iteratorINS7_INS0_6detail15normal_iteratorINS0_10device_ptrIyEEEESH_S8_S8_S8_S8_S8_S8_S8_S8_EEEENS4_14no_stencil_tagENS0_8identityIS9_EENS4_21always_true_predicateEEExLj1EEEvT0_T1_SQ_ ; -- Begin function _ZN6thrust23THRUST_200600_302600_NS11hip_rocprim14__parallel_for6kernelILj256ENS1_11__transform17unary_transform_fINS0_17constant_iteratorINS0_5tupleIyyNS0_9null_typeES8_S8_S8_S8_S8_S8_S8_EENS0_11use_defaultESA_EENS0_12zip_iteratorINS7_INS0_6detail15normal_iteratorINS0_10device_ptrIyEEEESH_S8_S8_S8_S8_S8_S8_S8_S8_EEEENS4_14no_stencil_tagENS0_8identityIS9_EENS4_21always_true_predicateEEExLj1EEEvT0_T1_SQ_
	.globl	_ZN6thrust23THRUST_200600_302600_NS11hip_rocprim14__parallel_for6kernelILj256ENS1_11__transform17unary_transform_fINS0_17constant_iteratorINS0_5tupleIyyNS0_9null_typeES8_S8_S8_S8_S8_S8_S8_EENS0_11use_defaultESA_EENS0_12zip_iteratorINS7_INS0_6detail15normal_iteratorINS0_10device_ptrIyEEEESH_S8_S8_S8_S8_S8_S8_S8_S8_EEEENS4_14no_stencil_tagENS0_8identityIS9_EENS4_21always_true_predicateEEExLj1EEEvT0_T1_SQ_
	.p2align	8
	.type	_ZN6thrust23THRUST_200600_302600_NS11hip_rocprim14__parallel_for6kernelILj256ENS1_11__transform17unary_transform_fINS0_17constant_iteratorINS0_5tupleIyyNS0_9null_typeES8_S8_S8_S8_S8_S8_S8_EENS0_11use_defaultESA_EENS0_12zip_iteratorINS7_INS0_6detail15normal_iteratorINS0_10device_ptrIyEEEESH_S8_S8_S8_S8_S8_S8_S8_S8_EEEENS4_14no_stencil_tagENS0_8identityIS9_EENS4_21always_true_predicateEEExLj1EEEvT0_T1_SQ_,@function
_ZN6thrust23THRUST_200600_302600_NS11hip_rocprim14__parallel_for6kernelILj256ENS1_11__transform17unary_transform_fINS0_17constant_iteratorINS0_5tupleIyyNS0_9null_typeES8_S8_S8_S8_S8_S8_S8_EENS0_11use_defaultESA_EENS0_12zip_iteratorINS7_INS0_6detail15normal_iteratorINS0_10device_ptrIyEEEESH_S8_S8_S8_S8_S8_S8_S8_S8_EEEENS4_14no_stencil_tagENS0_8identityIS9_EENS4_21always_true_predicateEEExLj1EEEvT0_T1_SQ_: ; @_ZN6thrust23THRUST_200600_302600_NS11hip_rocprim14__parallel_for6kernelILj256ENS1_11__transform17unary_transform_fINS0_17constant_iteratorINS0_5tupleIyyNS0_9null_typeES8_S8_S8_S8_S8_S8_S8_EENS0_11use_defaultESA_EENS0_12zip_iteratorINS7_INS0_6detail15normal_iteratorINS0_10device_ptrIyEEEESH_S8_S8_S8_S8_S8_S8_S8_S8_EEEENS4_14no_stencil_tagENS0_8identityIS9_EENS4_21always_true_predicateEEExLj1EEEvT0_T1_SQ_
; %bb.0:
	s_load_b128 s[4:7], s[0:1], 0x30
	s_lshl_b32 s2, s15, 8
	s_waitcnt lgkmcnt(0)
	s_add_u32 s2, s2, s6
	s_addc_u32 s3, 0, s7
	s_sub_u32 s4, s4, s2
	s_subb_u32 s5, s5, s3
	s_delay_alu instid0(SALU_CYCLE_1) | instskip(NEXT) | instid1(VALU_DEP_1)
	v_cmp_gt_i64_e64 s5, 0x100, s[4:5]
	s_and_b32 s5, s5, exec_lo
	s_cselect_b32 s4, s4, 0x100
	s_delay_alu instid0(SALU_CYCLE_1) | instskip(SKIP_2) | instid1(SALU_CYCLE_1)
	v_cmp_gt_u32_e32 vcc_lo, s4, v0
	s_cmpk_eq_i32 s4, 0x100
	s_cselect_b32 s4, -1, 0
	s_or_b32 s4, s4, vcc_lo
	s_delay_alu instid0(SALU_CYCLE_1)
	s_and_saveexec_b32 s5, s4
	s_cbranch_execz .LBB890_2
; %bb.1:
	s_load_b256 s[4:11], s[0:1], 0x8
	v_add_co_u32 v0, s0, s2, v0
	s_delay_alu instid0(VALU_DEP_1) | instskip(NEXT) | instid1(VALU_DEP_1)
	v_add_co_ci_u32_e64 v1, null, s3, 0, s0
	v_lshlrev_b64 v[0:1], 3, v[0:1]
	s_waitcnt lgkmcnt(0)
	s_delay_alu instid0(VALU_DEP_1) | instskip(NEXT) | instid1(VALU_DEP_2)
	v_add_co_u32 v6, vcc_lo, s8, v0
	v_add_co_ci_u32_e32 v7, vcc_lo, s9, v1, vcc_lo
	v_add_co_u32 v0, vcc_lo, s10, v0
	v_dual_mov_b32 v2, s4 :: v_dual_mov_b32 v3, s5
	v_dual_mov_b32 v4, s6 :: v_dual_mov_b32 v5, s7
	v_add_co_ci_u32_e32 v1, vcc_lo, s11, v1, vcc_lo
	global_store_b64 v[6:7], v[2:3], off
	global_store_b64 v[0:1], v[4:5], off
.LBB890_2:
	s_nop 0
	s_sendmsg sendmsg(MSG_DEALLOC_VGPRS)
	s_endpgm
	.section	.rodata,"a",@progbits
	.p2align	6, 0x0
	.amdhsa_kernel _ZN6thrust23THRUST_200600_302600_NS11hip_rocprim14__parallel_for6kernelILj256ENS1_11__transform17unary_transform_fINS0_17constant_iteratorINS0_5tupleIyyNS0_9null_typeES8_S8_S8_S8_S8_S8_S8_EENS0_11use_defaultESA_EENS0_12zip_iteratorINS7_INS0_6detail15normal_iteratorINS0_10device_ptrIyEEEESH_S8_S8_S8_S8_S8_S8_S8_S8_EEEENS4_14no_stencil_tagENS0_8identityIS9_EENS4_21always_true_predicateEEExLj1EEEvT0_T1_SQ_
		.amdhsa_group_segment_fixed_size 0
		.amdhsa_private_segment_fixed_size 0
		.amdhsa_kernarg_size 64
		.amdhsa_user_sgpr_count 15
		.amdhsa_user_sgpr_dispatch_ptr 0
		.amdhsa_user_sgpr_queue_ptr 0
		.amdhsa_user_sgpr_kernarg_segment_ptr 1
		.amdhsa_user_sgpr_dispatch_id 0
		.amdhsa_user_sgpr_private_segment_size 0
		.amdhsa_wavefront_size32 1
		.amdhsa_uses_dynamic_stack 0
		.amdhsa_enable_private_segment 0
		.amdhsa_system_sgpr_workgroup_id_x 1
		.amdhsa_system_sgpr_workgroup_id_y 0
		.amdhsa_system_sgpr_workgroup_id_z 0
		.amdhsa_system_sgpr_workgroup_info 0
		.amdhsa_system_vgpr_workitem_id 0
		.amdhsa_next_free_vgpr 8
		.amdhsa_next_free_sgpr 16
		.amdhsa_reserve_vcc 1
		.amdhsa_float_round_mode_32 0
		.amdhsa_float_round_mode_16_64 0
		.amdhsa_float_denorm_mode_32 3
		.amdhsa_float_denorm_mode_16_64 3
		.amdhsa_dx10_clamp 1
		.amdhsa_ieee_mode 1
		.amdhsa_fp16_overflow 0
		.amdhsa_workgroup_processor_mode 1
		.amdhsa_memory_ordered 1
		.amdhsa_forward_progress 0
		.amdhsa_shared_vgpr_count 0
		.amdhsa_exception_fp_ieee_invalid_op 0
		.amdhsa_exception_fp_denorm_src 0
		.amdhsa_exception_fp_ieee_div_zero 0
		.amdhsa_exception_fp_ieee_overflow 0
		.amdhsa_exception_fp_ieee_underflow 0
		.amdhsa_exception_fp_ieee_inexact 0
		.amdhsa_exception_int_div_zero 0
	.end_amdhsa_kernel
	.section	.text._ZN6thrust23THRUST_200600_302600_NS11hip_rocprim14__parallel_for6kernelILj256ENS1_11__transform17unary_transform_fINS0_17constant_iteratorINS0_5tupleIyyNS0_9null_typeES8_S8_S8_S8_S8_S8_S8_EENS0_11use_defaultESA_EENS0_12zip_iteratorINS7_INS0_6detail15normal_iteratorINS0_10device_ptrIyEEEESH_S8_S8_S8_S8_S8_S8_S8_S8_EEEENS4_14no_stencil_tagENS0_8identityIS9_EENS4_21always_true_predicateEEExLj1EEEvT0_T1_SQ_,"axG",@progbits,_ZN6thrust23THRUST_200600_302600_NS11hip_rocprim14__parallel_for6kernelILj256ENS1_11__transform17unary_transform_fINS0_17constant_iteratorINS0_5tupleIyyNS0_9null_typeES8_S8_S8_S8_S8_S8_S8_EENS0_11use_defaultESA_EENS0_12zip_iteratorINS7_INS0_6detail15normal_iteratorINS0_10device_ptrIyEEEESH_S8_S8_S8_S8_S8_S8_S8_S8_EEEENS4_14no_stencil_tagENS0_8identityIS9_EENS4_21always_true_predicateEEExLj1EEEvT0_T1_SQ_,comdat
.Lfunc_end890:
	.size	_ZN6thrust23THRUST_200600_302600_NS11hip_rocprim14__parallel_for6kernelILj256ENS1_11__transform17unary_transform_fINS0_17constant_iteratorINS0_5tupleIyyNS0_9null_typeES8_S8_S8_S8_S8_S8_S8_EENS0_11use_defaultESA_EENS0_12zip_iteratorINS7_INS0_6detail15normal_iteratorINS0_10device_ptrIyEEEESH_S8_S8_S8_S8_S8_S8_S8_S8_EEEENS4_14no_stencil_tagENS0_8identityIS9_EENS4_21always_true_predicateEEExLj1EEEvT0_T1_SQ_, .Lfunc_end890-_ZN6thrust23THRUST_200600_302600_NS11hip_rocprim14__parallel_for6kernelILj256ENS1_11__transform17unary_transform_fINS0_17constant_iteratorINS0_5tupleIyyNS0_9null_typeES8_S8_S8_S8_S8_S8_S8_EENS0_11use_defaultESA_EENS0_12zip_iteratorINS7_INS0_6detail15normal_iteratorINS0_10device_ptrIyEEEESH_S8_S8_S8_S8_S8_S8_S8_S8_EEEENS4_14no_stencil_tagENS0_8identityIS9_EENS4_21always_true_predicateEEExLj1EEEvT0_T1_SQ_
                                        ; -- End function
	.section	.AMDGPU.csdata,"",@progbits
; Kernel info:
; codeLenInByte = 204
; NumSgprs: 18
; NumVgprs: 8
; ScratchSize: 0
; MemoryBound: 0
; FloatMode: 240
; IeeeMode: 1
; LDSByteSize: 0 bytes/workgroup (compile time only)
; SGPRBlocks: 2
; VGPRBlocks: 0
; NumSGPRsForWavesPerEU: 18
; NumVGPRsForWavesPerEU: 8
; Occupancy: 16
; WaveLimiterHint : 0
; COMPUTE_PGM_RSRC2:SCRATCH_EN: 0
; COMPUTE_PGM_RSRC2:USER_SGPR: 15
; COMPUTE_PGM_RSRC2:TRAP_HANDLER: 0
; COMPUTE_PGM_RSRC2:TGID_X_EN: 1
; COMPUTE_PGM_RSRC2:TGID_Y_EN: 0
; COMPUTE_PGM_RSRC2:TGID_Z_EN: 0
; COMPUTE_PGM_RSRC2:TIDIG_COMP_CNT: 0
	.section	.text._ZN6thrust23THRUST_200600_302600_NS11hip_rocprim14__parallel_for6kernelILj256ENS1_11__transform17unary_transform_fINS0_17constant_iteratorINS0_5tupleIjjNS0_9null_typeES8_S8_S8_S8_S8_S8_S8_EENS0_11use_defaultESA_EENS0_12zip_iteratorINS7_INS0_6detail15normal_iteratorINS0_10device_ptrIjEEEESH_S8_S8_S8_S8_S8_S8_S8_S8_EEEENS4_14no_stencil_tagENS0_8identityIS9_EENS4_21always_true_predicateEEExLj1EEEvT0_T1_SQ_,"axG",@progbits,_ZN6thrust23THRUST_200600_302600_NS11hip_rocprim14__parallel_for6kernelILj256ENS1_11__transform17unary_transform_fINS0_17constant_iteratorINS0_5tupleIjjNS0_9null_typeES8_S8_S8_S8_S8_S8_S8_EENS0_11use_defaultESA_EENS0_12zip_iteratorINS7_INS0_6detail15normal_iteratorINS0_10device_ptrIjEEEESH_S8_S8_S8_S8_S8_S8_S8_S8_EEEENS4_14no_stencil_tagENS0_8identityIS9_EENS4_21always_true_predicateEEExLj1EEEvT0_T1_SQ_,comdat
	.protected	_ZN6thrust23THRUST_200600_302600_NS11hip_rocprim14__parallel_for6kernelILj256ENS1_11__transform17unary_transform_fINS0_17constant_iteratorINS0_5tupleIjjNS0_9null_typeES8_S8_S8_S8_S8_S8_S8_EENS0_11use_defaultESA_EENS0_12zip_iteratorINS7_INS0_6detail15normal_iteratorINS0_10device_ptrIjEEEESH_S8_S8_S8_S8_S8_S8_S8_S8_EEEENS4_14no_stencil_tagENS0_8identityIS9_EENS4_21always_true_predicateEEExLj1EEEvT0_T1_SQ_ ; -- Begin function _ZN6thrust23THRUST_200600_302600_NS11hip_rocprim14__parallel_for6kernelILj256ENS1_11__transform17unary_transform_fINS0_17constant_iteratorINS0_5tupleIjjNS0_9null_typeES8_S8_S8_S8_S8_S8_S8_EENS0_11use_defaultESA_EENS0_12zip_iteratorINS7_INS0_6detail15normal_iteratorINS0_10device_ptrIjEEEESH_S8_S8_S8_S8_S8_S8_S8_S8_EEEENS4_14no_stencil_tagENS0_8identityIS9_EENS4_21always_true_predicateEEExLj1EEEvT0_T1_SQ_
	.globl	_ZN6thrust23THRUST_200600_302600_NS11hip_rocprim14__parallel_for6kernelILj256ENS1_11__transform17unary_transform_fINS0_17constant_iteratorINS0_5tupleIjjNS0_9null_typeES8_S8_S8_S8_S8_S8_S8_EENS0_11use_defaultESA_EENS0_12zip_iteratorINS7_INS0_6detail15normal_iteratorINS0_10device_ptrIjEEEESH_S8_S8_S8_S8_S8_S8_S8_S8_EEEENS4_14no_stencil_tagENS0_8identityIS9_EENS4_21always_true_predicateEEExLj1EEEvT0_T1_SQ_
	.p2align	8
	.type	_ZN6thrust23THRUST_200600_302600_NS11hip_rocprim14__parallel_for6kernelILj256ENS1_11__transform17unary_transform_fINS0_17constant_iteratorINS0_5tupleIjjNS0_9null_typeES8_S8_S8_S8_S8_S8_S8_EENS0_11use_defaultESA_EENS0_12zip_iteratorINS7_INS0_6detail15normal_iteratorINS0_10device_ptrIjEEEESH_S8_S8_S8_S8_S8_S8_S8_S8_EEEENS4_14no_stencil_tagENS0_8identityIS9_EENS4_21always_true_predicateEEExLj1EEEvT0_T1_SQ_,@function
_ZN6thrust23THRUST_200600_302600_NS11hip_rocprim14__parallel_for6kernelILj256ENS1_11__transform17unary_transform_fINS0_17constant_iteratorINS0_5tupleIjjNS0_9null_typeES8_S8_S8_S8_S8_S8_S8_EENS0_11use_defaultESA_EENS0_12zip_iteratorINS7_INS0_6detail15normal_iteratorINS0_10device_ptrIjEEEESH_S8_S8_S8_S8_S8_S8_S8_S8_EEEENS4_14no_stencil_tagENS0_8identityIS9_EENS4_21always_true_predicateEEExLj1EEEvT0_T1_SQ_: ; @_ZN6thrust23THRUST_200600_302600_NS11hip_rocprim14__parallel_for6kernelILj256ENS1_11__transform17unary_transform_fINS0_17constant_iteratorINS0_5tupleIjjNS0_9null_typeES8_S8_S8_S8_S8_S8_S8_EENS0_11use_defaultESA_EENS0_12zip_iteratorINS7_INS0_6detail15normal_iteratorINS0_10device_ptrIjEEEESH_S8_S8_S8_S8_S8_S8_S8_S8_EEEENS4_14no_stencil_tagENS0_8identityIS9_EENS4_21always_true_predicateEEExLj1EEEvT0_T1_SQ_
; %bb.0:
	s_load_b128 s[4:7], s[0:1], 0x28
	s_lshl_b32 s2, s15, 8
	s_waitcnt lgkmcnt(0)
	s_add_u32 s2, s2, s6
	s_addc_u32 s3, 0, s7
	s_sub_u32 s4, s4, s2
	s_subb_u32 s5, s5, s3
	s_delay_alu instid0(SALU_CYCLE_1) | instskip(NEXT) | instid1(VALU_DEP_1)
	v_cmp_gt_i64_e64 s5, 0x100, s[4:5]
	s_and_b32 s5, s5, exec_lo
	s_cselect_b32 s4, s4, 0x100
	s_delay_alu instid0(SALU_CYCLE_1) | instskip(SKIP_2) | instid1(SALU_CYCLE_1)
	v_cmp_gt_u32_e32 vcc_lo, s4, v0
	s_cmpk_eq_i32 s4, 0x100
	s_cselect_b32 s4, -1, 0
	s_or_b32 s4, s4, vcc_lo
	s_delay_alu instid0(SALU_CYCLE_1)
	s_and_saveexec_b32 s5, s4
	s_cbranch_execz .LBB891_2
; %bb.1:
	s_clause 0x1
	s_load_b128 s[4:7], s[0:1], 0x10
	s_load_b64 s[0:1], s[0:1], 0x8
	v_add_co_u32 v0, s2, s2, v0
	s_delay_alu instid0(VALU_DEP_1) | instskip(NEXT) | instid1(VALU_DEP_1)
	v_add_co_ci_u32_e64 v1, null, s3, 0, s2
	v_lshlrev_b64 v[0:1], 2, v[0:1]
	s_waitcnt lgkmcnt(0)
	s_delay_alu instid0(VALU_DEP_1) | instskip(NEXT) | instid1(VALU_DEP_2)
	v_add_co_u32 v2, vcc_lo, s6, v0
	v_add_co_ci_u32_e32 v3, vcc_lo, s7, v1, vcc_lo
	v_add_co_u32 v0, vcc_lo, s4, v0
	v_add_co_ci_u32_e32 v1, vcc_lo, s5, v1, vcc_lo
	v_dual_mov_b32 v4, s0 :: v_dual_mov_b32 v5, s1
	global_store_b32 v[0:1], v4, off
	global_store_b32 v[2:3], v5, off
.LBB891_2:
	s_nop 0
	s_sendmsg sendmsg(MSG_DEALLOC_VGPRS)
	s_endpgm
	.section	.rodata,"a",@progbits
	.p2align	6, 0x0
	.amdhsa_kernel _ZN6thrust23THRUST_200600_302600_NS11hip_rocprim14__parallel_for6kernelILj256ENS1_11__transform17unary_transform_fINS0_17constant_iteratorINS0_5tupleIjjNS0_9null_typeES8_S8_S8_S8_S8_S8_S8_EENS0_11use_defaultESA_EENS0_12zip_iteratorINS7_INS0_6detail15normal_iteratorINS0_10device_ptrIjEEEESH_S8_S8_S8_S8_S8_S8_S8_S8_EEEENS4_14no_stencil_tagENS0_8identityIS9_EENS4_21always_true_predicateEEExLj1EEEvT0_T1_SQ_
		.amdhsa_group_segment_fixed_size 0
		.amdhsa_private_segment_fixed_size 0
		.amdhsa_kernarg_size 56
		.amdhsa_user_sgpr_count 15
		.amdhsa_user_sgpr_dispatch_ptr 0
		.amdhsa_user_sgpr_queue_ptr 0
		.amdhsa_user_sgpr_kernarg_segment_ptr 1
		.amdhsa_user_sgpr_dispatch_id 0
		.amdhsa_user_sgpr_private_segment_size 0
		.amdhsa_wavefront_size32 1
		.amdhsa_uses_dynamic_stack 0
		.amdhsa_enable_private_segment 0
		.amdhsa_system_sgpr_workgroup_id_x 1
		.amdhsa_system_sgpr_workgroup_id_y 0
		.amdhsa_system_sgpr_workgroup_id_z 0
		.amdhsa_system_sgpr_workgroup_info 0
		.amdhsa_system_vgpr_workitem_id 0
		.amdhsa_next_free_vgpr 6
		.amdhsa_next_free_sgpr 16
		.amdhsa_reserve_vcc 1
		.amdhsa_float_round_mode_32 0
		.amdhsa_float_round_mode_16_64 0
		.amdhsa_float_denorm_mode_32 3
		.amdhsa_float_denorm_mode_16_64 3
		.amdhsa_dx10_clamp 1
		.amdhsa_ieee_mode 1
		.amdhsa_fp16_overflow 0
		.amdhsa_workgroup_processor_mode 1
		.amdhsa_memory_ordered 1
		.amdhsa_forward_progress 0
		.amdhsa_shared_vgpr_count 0
		.amdhsa_exception_fp_ieee_invalid_op 0
		.amdhsa_exception_fp_denorm_src 0
		.amdhsa_exception_fp_ieee_div_zero 0
		.amdhsa_exception_fp_ieee_overflow 0
		.amdhsa_exception_fp_ieee_underflow 0
		.amdhsa_exception_fp_ieee_inexact 0
		.amdhsa_exception_int_div_zero 0
	.end_amdhsa_kernel
	.section	.text._ZN6thrust23THRUST_200600_302600_NS11hip_rocprim14__parallel_for6kernelILj256ENS1_11__transform17unary_transform_fINS0_17constant_iteratorINS0_5tupleIjjNS0_9null_typeES8_S8_S8_S8_S8_S8_S8_EENS0_11use_defaultESA_EENS0_12zip_iteratorINS7_INS0_6detail15normal_iteratorINS0_10device_ptrIjEEEESH_S8_S8_S8_S8_S8_S8_S8_S8_EEEENS4_14no_stencil_tagENS0_8identityIS9_EENS4_21always_true_predicateEEExLj1EEEvT0_T1_SQ_,"axG",@progbits,_ZN6thrust23THRUST_200600_302600_NS11hip_rocprim14__parallel_for6kernelILj256ENS1_11__transform17unary_transform_fINS0_17constant_iteratorINS0_5tupleIjjNS0_9null_typeES8_S8_S8_S8_S8_S8_S8_EENS0_11use_defaultESA_EENS0_12zip_iteratorINS7_INS0_6detail15normal_iteratorINS0_10device_ptrIjEEEESH_S8_S8_S8_S8_S8_S8_S8_S8_EEEENS4_14no_stencil_tagENS0_8identityIS9_EENS4_21always_true_predicateEEExLj1EEEvT0_T1_SQ_,comdat
.Lfunc_end891:
	.size	_ZN6thrust23THRUST_200600_302600_NS11hip_rocprim14__parallel_for6kernelILj256ENS1_11__transform17unary_transform_fINS0_17constant_iteratorINS0_5tupleIjjNS0_9null_typeES8_S8_S8_S8_S8_S8_S8_EENS0_11use_defaultESA_EENS0_12zip_iteratorINS7_INS0_6detail15normal_iteratorINS0_10device_ptrIjEEEESH_S8_S8_S8_S8_S8_S8_S8_S8_EEEENS4_14no_stencil_tagENS0_8identityIS9_EENS4_21always_true_predicateEEExLj1EEEvT0_T1_SQ_, .Lfunc_end891-_ZN6thrust23THRUST_200600_302600_NS11hip_rocprim14__parallel_for6kernelILj256ENS1_11__transform17unary_transform_fINS0_17constant_iteratorINS0_5tupleIjjNS0_9null_typeES8_S8_S8_S8_S8_S8_S8_EENS0_11use_defaultESA_EENS0_12zip_iteratorINS7_INS0_6detail15normal_iteratorINS0_10device_ptrIjEEEESH_S8_S8_S8_S8_S8_S8_S8_S8_EEEENS4_14no_stencil_tagENS0_8identityIS9_EENS4_21always_true_predicateEEExLj1EEEvT0_T1_SQ_
                                        ; -- End function
	.section	.AMDGPU.csdata,"",@progbits
; Kernel info:
; codeLenInByte = 208
; NumSgprs: 18
; NumVgprs: 6
; ScratchSize: 0
; MemoryBound: 0
; FloatMode: 240
; IeeeMode: 1
; LDSByteSize: 0 bytes/workgroup (compile time only)
; SGPRBlocks: 2
; VGPRBlocks: 0
; NumSGPRsForWavesPerEU: 18
; NumVGPRsForWavesPerEU: 6
; Occupancy: 16
; WaveLimiterHint : 0
; COMPUTE_PGM_RSRC2:SCRATCH_EN: 0
; COMPUTE_PGM_RSRC2:USER_SGPR: 15
; COMPUTE_PGM_RSRC2:TRAP_HANDLER: 0
; COMPUTE_PGM_RSRC2:TGID_X_EN: 1
; COMPUTE_PGM_RSRC2:TGID_Y_EN: 0
; COMPUTE_PGM_RSRC2:TGID_Z_EN: 0
; COMPUTE_PGM_RSRC2:TIDIG_COMP_CNT: 0
	.section	.text._ZN6thrust23THRUST_200600_302600_NS11hip_rocprim14__parallel_for6kernelILj256ENS1_11__transform17unary_transform_fINS0_17constant_iteratorINS0_5tupleIttNS0_9null_typeES8_S8_S8_S8_S8_S8_S8_EENS0_11use_defaultESA_EENS0_12zip_iteratorINS7_INS0_6detail15normal_iteratorINS0_10device_ptrItEEEESH_S8_S8_S8_S8_S8_S8_S8_S8_EEEENS4_14no_stencil_tagENS0_8identityIS9_EENS4_21always_true_predicateEEExLj1EEEvT0_T1_SQ_,"axG",@progbits,_ZN6thrust23THRUST_200600_302600_NS11hip_rocprim14__parallel_for6kernelILj256ENS1_11__transform17unary_transform_fINS0_17constant_iteratorINS0_5tupleIttNS0_9null_typeES8_S8_S8_S8_S8_S8_S8_EENS0_11use_defaultESA_EENS0_12zip_iteratorINS7_INS0_6detail15normal_iteratorINS0_10device_ptrItEEEESH_S8_S8_S8_S8_S8_S8_S8_S8_EEEENS4_14no_stencil_tagENS0_8identityIS9_EENS4_21always_true_predicateEEExLj1EEEvT0_T1_SQ_,comdat
	.protected	_ZN6thrust23THRUST_200600_302600_NS11hip_rocprim14__parallel_for6kernelILj256ENS1_11__transform17unary_transform_fINS0_17constant_iteratorINS0_5tupleIttNS0_9null_typeES8_S8_S8_S8_S8_S8_S8_EENS0_11use_defaultESA_EENS0_12zip_iteratorINS7_INS0_6detail15normal_iteratorINS0_10device_ptrItEEEESH_S8_S8_S8_S8_S8_S8_S8_S8_EEEENS4_14no_stencil_tagENS0_8identityIS9_EENS4_21always_true_predicateEEExLj1EEEvT0_T1_SQ_ ; -- Begin function _ZN6thrust23THRUST_200600_302600_NS11hip_rocprim14__parallel_for6kernelILj256ENS1_11__transform17unary_transform_fINS0_17constant_iteratorINS0_5tupleIttNS0_9null_typeES8_S8_S8_S8_S8_S8_S8_EENS0_11use_defaultESA_EENS0_12zip_iteratorINS7_INS0_6detail15normal_iteratorINS0_10device_ptrItEEEESH_S8_S8_S8_S8_S8_S8_S8_S8_EEEENS4_14no_stencil_tagENS0_8identityIS9_EENS4_21always_true_predicateEEExLj1EEEvT0_T1_SQ_
	.globl	_ZN6thrust23THRUST_200600_302600_NS11hip_rocprim14__parallel_for6kernelILj256ENS1_11__transform17unary_transform_fINS0_17constant_iteratorINS0_5tupleIttNS0_9null_typeES8_S8_S8_S8_S8_S8_S8_EENS0_11use_defaultESA_EENS0_12zip_iteratorINS7_INS0_6detail15normal_iteratorINS0_10device_ptrItEEEESH_S8_S8_S8_S8_S8_S8_S8_S8_EEEENS4_14no_stencil_tagENS0_8identityIS9_EENS4_21always_true_predicateEEExLj1EEEvT0_T1_SQ_
	.p2align	8
	.type	_ZN6thrust23THRUST_200600_302600_NS11hip_rocprim14__parallel_for6kernelILj256ENS1_11__transform17unary_transform_fINS0_17constant_iteratorINS0_5tupleIttNS0_9null_typeES8_S8_S8_S8_S8_S8_S8_EENS0_11use_defaultESA_EENS0_12zip_iteratorINS7_INS0_6detail15normal_iteratorINS0_10device_ptrItEEEESH_S8_S8_S8_S8_S8_S8_S8_S8_EEEENS4_14no_stencil_tagENS0_8identityIS9_EENS4_21always_true_predicateEEExLj1EEEvT0_T1_SQ_,@function
_ZN6thrust23THRUST_200600_302600_NS11hip_rocprim14__parallel_for6kernelILj256ENS1_11__transform17unary_transform_fINS0_17constant_iteratorINS0_5tupleIttNS0_9null_typeES8_S8_S8_S8_S8_S8_S8_EENS0_11use_defaultESA_EENS0_12zip_iteratorINS7_INS0_6detail15normal_iteratorINS0_10device_ptrItEEEESH_S8_S8_S8_S8_S8_S8_S8_S8_EEEENS4_14no_stencil_tagENS0_8identityIS9_EENS4_21always_true_predicateEEExLj1EEEvT0_T1_SQ_: ; @_ZN6thrust23THRUST_200600_302600_NS11hip_rocprim14__parallel_for6kernelILj256ENS1_11__transform17unary_transform_fINS0_17constant_iteratorINS0_5tupleIttNS0_9null_typeES8_S8_S8_S8_S8_S8_S8_EENS0_11use_defaultESA_EENS0_12zip_iteratorINS7_INS0_6detail15normal_iteratorINS0_10device_ptrItEEEESH_S8_S8_S8_S8_S8_S8_S8_S8_EEEENS4_14no_stencil_tagENS0_8identityIS9_EENS4_21always_true_predicateEEExLj1EEEvT0_T1_SQ_
; %bb.0:
	s_load_b128 s[4:7], s[0:1], 0x28
	s_lshl_b32 s2, s15, 8
	s_waitcnt lgkmcnt(0)
	s_add_u32 s2, s2, s6
	s_addc_u32 s3, 0, s7
	s_sub_u32 s4, s4, s2
	s_subb_u32 s5, s5, s3
	s_delay_alu instid0(SALU_CYCLE_1) | instskip(NEXT) | instid1(VALU_DEP_1)
	v_cmp_gt_i64_e64 s5, 0x100, s[4:5]
	s_and_b32 s5, s5, exec_lo
	s_cselect_b32 s4, s4, 0x100
	s_delay_alu instid0(SALU_CYCLE_1) | instskip(SKIP_2) | instid1(SALU_CYCLE_1)
	v_cmp_gt_u32_e32 vcc_lo, s4, v0
	s_cmpk_eq_i32 s4, 0x100
	s_cselect_b32 s4, -1, 0
	s_or_b32 s4, s4, vcc_lo
	s_delay_alu instid0(SALU_CYCLE_1)
	s_and_saveexec_b32 s5, s4
	s_cbranch_execz .LBB892_2
; %bb.1:
	s_clause 0x1
	s_load_b128 s[4:7], s[0:1], 0x10
	s_load_b32 s0, s[0:1], 0x8
	v_add_co_u32 v0, s1, s2, v0
	s_delay_alu instid0(VALU_DEP_1) | instskip(NEXT) | instid1(VALU_DEP_1)
	v_add_co_ci_u32_e64 v1, null, s3, 0, s1
	v_lshlrev_b64 v[0:1], 1, v[0:1]
	s_waitcnt lgkmcnt(0)
	s_delay_alu instid0(VALU_DEP_1) | instskip(NEXT) | instid1(VALU_DEP_2)
	v_add_co_u32 v2, vcc_lo, s4, v0
	v_add_co_ci_u32_e32 v3, vcc_lo, s5, v1, vcc_lo
	v_add_co_u32 v0, vcc_lo, s6, v0
	v_mov_b32_e32 v4, s0
	v_add_co_ci_u32_e32 v1, vcc_lo, s7, v1, vcc_lo
	global_store_b16 v[2:3], v4, off
	global_store_d16_hi_b16 v[0:1], v4, off
.LBB892_2:
	s_nop 0
	s_sendmsg sendmsg(MSG_DEALLOC_VGPRS)
	s_endpgm
	.section	.rodata,"a",@progbits
	.p2align	6, 0x0
	.amdhsa_kernel _ZN6thrust23THRUST_200600_302600_NS11hip_rocprim14__parallel_for6kernelILj256ENS1_11__transform17unary_transform_fINS0_17constant_iteratorINS0_5tupleIttNS0_9null_typeES8_S8_S8_S8_S8_S8_S8_EENS0_11use_defaultESA_EENS0_12zip_iteratorINS7_INS0_6detail15normal_iteratorINS0_10device_ptrItEEEESH_S8_S8_S8_S8_S8_S8_S8_S8_EEEENS4_14no_stencil_tagENS0_8identityIS9_EENS4_21always_true_predicateEEExLj1EEEvT0_T1_SQ_
		.amdhsa_group_segment_fixed_size 0
		.amdhsa_private_segment_fixed_size 0
		.amdhsa_kernarg_size 56
		.amdhsa_user_sgpr_count 15
		.amdhsa_user_sgpr_dispatch_ptr 0
		.amdhsa_user_sgpr_queue_ptr 0
		.amdhsa_user_sgpr_kernarg_segment_ptr 1
		.amdhsa_user_sgpr_dispatch_id 0
		.amdhsa_user_sgpr_private_segment_size 0
		.amdhsa_wavefront_size32 1
		.amdhsa_uses_dynamic_stack 0
		.amdhsa_enable_private_segment 0
		.amdhsa_system_sgpr_workgroup_id_x 1
		.amdhsa_system_sgpr_workgroup_id_y 0
		.amdhsa_system_sgpr_workgroup_id_z 0
		.amdhsa_system_sgpr_workgroup_info 0
		.amdhsa_system_vgpr_workitem_id 0
		.amdhsa_next_free_vgpr 5
		.amdhsa_next_free_sgpr 16
		.amdhsa_reserve_vcc 1
		.amdhsa_float_round_mode_32 0
		.amdhsa_float_round_mode_16_64 0
		.amdhsa_float_denorm_mode_32 3
		.amdhsa_float_denorm_mode_16_64 3
		.amdhsa_dx10_clamp 1
		.amdhsa_ieee_mode 1
		.amdhsa_fp16_overflow 0
		.amdhsa_workgroup_processor_mode 1
		.amdhsa_memory_ordered 1
		.amdhsa_forward_progress 0
		.amdhsa_shared_vgpr_count 0
		.amdhsa_exception_fp_ieee_invalid_op 0
		.amdhsa_exception_fp_denorm_src 0
		.amdhsa_exception_fp_ieee_div_zero 0
		.amdhsa_exception_fp_ieee_overflow 0
		.amdhsa_exception_fp_ieee_underflow 0
		.amdhsa_exception_fp_ieee_inexact 0
		.amdhsa_exception_int_div_zero 0
	.end_amdhsa_kernel
	.section	.text._ZN6thrust23THRUST_200600_302600_NS11hip_rocprim14__parallel_for6kernelILj256ENS1_11__transform17unary_transform_fINS0_17constant_iteratorINS0_5tupleIttNS0_9null_typeES8_S8_S8_S8_S8_S8_S8_EENS0_11use_defaultESA_EENS0_12zip_iteratorINS7_INS0_6detail15normal_iteratorINS0_10device_ptrItEEEESH_S8_S8_S8_S8_S8_S8_S8_S8_EEEENS4_14no_stencil_tagENS0_8identityIS9_EENS4_21always_true_predicateEEExLj1EEEvT0_T1_SQ_,"axG",@progbits,_ZN6thrust23THRUST_200600_302600_NS11hip_rocprim14__parallel_for6kernelILj256ENS1_11__transform17unary_transform_fINS0_17constant_iteratorINS0_5tupleIttNS0_9null_typeES8_S8_S8_S8_S8_S8_S8_EENS0_11use_defaultESA_EENS0_12zip_iteratorINS7_INS0_6detail15normal_iteratorINS0_10device_ptrItEEEESH_S8_S8_S8_S8_S8_S8_S8_S8_EEEENS4_14no_stencil_tagENS0_8identityIS9_EENS4_21always_true_predicateEEExLj1EEEvT0_T1_SQ_,comdat
.Lfunc_end892:
	.size	_ZN6thrust23THRUST_200600_302600_NS11hip_rocprim14__parallel_for6kernelILj256ENS1_11__transform17unary_transform_fINS0_17constant_iteratorINS0_5tupleIttNS0_9null_typeES8_S8_S8_S8_S8_S8_S8_EENS0_11use_defaultESA_EENS0_12zip_iteratorINS7_INS0_6detail15normal_iteratorINS0_10device_ptrItEEEESH_S8_S8_S8_S8_S8_S8_S8_S8_EEEENS4_14no_stencil_tagENS0_8identityIS9_EENS4_21always_true_predicateEEExLj1EEEvT0_T1_SQ_, .Lfunc_end892-_ZN6thrust23THRUST_200600_302600_NS11hip_rocprim14__parallel_for6kernelILj256ENS1_11__transform17unary_transform_fINS0_17constant_iteratorINS0_5tupleIttNS0_9null_typeES8_S8_S8_S8_S8_S8_S8_EENS0_11use_defaultESA_EENS0_12zip_iteratorINS7_INS0_6detail15normal_iteratorINS0_10device_ptrItEEEESH_S8_S8_S8_S8_S8_S8_S8_S8_EEEENS4_14no_stencil_tagENS0_8identityIS9_EENS4_21always_true_predicateEEExLj1EEEvT0_T1_SQ_
                                        ; -- End function
	.section	.AMDGPU.csdata,"",@progbits
; Kernel info:
; codeLenInByte = 204
; NumSgprs: 18
; NumVgprs: 5
; ScratchSize: 0
; MemoryBound: 0
; FloatMode: 240
; IeeeMode: 1
; LDSByteSize: 0 bytes/workgroup (compile time only)
; SGPRBlocks: 2
; VGPRBlocks: 0
; NumSGPRsForWavesPerEU: 18
; NumVGPRsForWavesPerEU: 5
; Occupancy: 16
; WaveLimiterHint : 0
; COMPUTE_PGM_RSRC2:SCRATCH_EN: 0
; COMPUTE_PGM_RSRC2:USER_SGPR: 15
; COMPUTE_PGM_RSRC2:TRAP_HANDLER: 0
; COMPUTE_PGM_RSRC2:TGID_X_EN: 1
; COMPUTE_PGM_RSRC2:TGID_Y_EN: 0
; COMPUTE_PGM_RSRC2:TGID_Z_EN: 0
; COMPUTE_PGM_RSRC2:TIDIG_COMP_CNT: 0
	.section	.text._ZN6thrust23THRUST_200600_302600_NS11hip_rocprim14__parallel_for6kernelILj256ENS1_11__transform17unary_transform_fINS0_17constant_iteratorINS0_5tupleIxxNS0_9null_typeES8_S8_S8_S8_S8_S8_S8_EENS0_11use_defaultESA_EENS0_12zip_iteratorINS7_INS0_6detail15normal_iteratorINS0_10device_ptrIxEEEESH_S8_S8_S8_S8_S8_S8_S8_S8_EEEENS4_14no_stencil_tagENS0_8identityIS9_EENS4_21always_true_predicateEEExLj1EEEvT0_T1_SQ_,"axG",@progbits,_ZN6thrust23THRUST_200600_302600_NS11hip_rocprim14__parallel_for6kernelILj256ENS1_11__transform17unary_transform_fINS0_17constant_iteratorINS0_5tupleIxxNS0_9null_typeES8_S8_S8_S8_S8_S8_S8_EENS0_11use_defaultESA_EENS0_12zip_iteratorINS7_INS0_6detail15normal_iteratorINS0_10device_ptrIxEEEESH_S8_S8_S8_S8_S8_S8_S8_S8_EEEENS4_14no_stencil_tagENS0_8identityIS9_EENS4_21always_true_predicateEEExLj1EEEvT0_T1_SQ_,comdat
	.protected	_ZN6thrust23THRUST_200600_302600_NS11hip_rocprim14__parallel_for6kernelILj256ENS1_11__transform17unary_transform_fINS0_17constant_iteratorINS0_5tupleIxxNS0_9null_typeES8_S8_S8_S8_S8_S8_S8_EENS0_11use_defaultESA_EENS0_12zip_iteratorINS7_INS0_6detail15normal_iteratorINS0_10device_ptrIxEEEESH_S8_S8_S8_S8_S8_S8_S8_S8_EEEENS4_14no_stencil_tagENS0_8identityIS9_EENS4_21always_true_predicateEEExLj1EEEvT0_T1_SQ_ ; -- Begin function _ZN6thrust23THRUST_200600_302600_NS11hip_rocprim14__parallel_for6kernelILj256ENS1_11__transform17unary_transform_fINS0_17constant_iteratorINS0_5tupleIxxNS0_9null_typeES8_S8_S8_S8_S8_S8_S8_EENS0_11use_defaultESA_EENS0_12zip_iteratorINS7_INS0_6detail15normal_iteratorINS0_10device_ptrIxEEEESH_S8_S8_S8_S8_S8_S8_S8_S8_EEEENS4_14no_stencil_tagENS0_8identityIS9_EENS4_21always_true_predicateEEExLj1EEEvT0_T1_SQ_
	.globl	_ZN6thrust23THRUST_200600_302600_NS11hip_rocprim14__parallel_for6kernelILj256ENS1_11__transform17unary_transform_fINS0_17constant_iteratorINS0_5tupleIxxNS0_9null_typeES8_S8_S8_S8_S8_S8_S8_EENS0_11use_defaultESA_EENS0_12zip_iteratorINS7_INS0_6detail15normal_iteratorINS0_10device_ptrIxEEEESH_S8_S8_S8_S8_S8_S8_S8_S8_EEEENS4_14no_stencil_tagENS0_8identityIS9_EENS4_21always_true_predicateEEExLj1EEEvT0_T1_SQ_
	.p2align	8
	.type	_ZN6thrust23THRUST_200600_302600_NS11hip_rocprim14__parallel_for6kernelILj256ENS1_11__transform17unary_transform_fINS0_17constant_iteratorINS0_5tupleIxxNS0_9null_typeES8_S8_S8_S8_S8_S8_S8_EENS0_11use_defaultESA_EENS0_12zip_iteratorINS7_INS0_6detail15normal_iteratorINS0_10device_ptrIxEEEESH_S8_S8_S8_S8_S8_S8_S8_S8_EEEENS4_14no_stencil_tagENS0_8identityIS9_EENS4_21always_true_predicateEEExLj1EEEvT0_T1_SQ_,@function
_ZN6thrust23THRUST_200600_302600_NS11hip_rocprim14__parallel_for6kernelILj256ENS1_11__transform17unary_transform_fINS0_17constant_iteratorINS0_5tupleIxxNS0_9null_typeES8_S8_S8_S8_S8_S8_S8_EENS0_11use_defaultESA_EENS0_12zip_iteratorINS7_INS0_6detail15normal_iteratorINS0_10device_ptrIxEEEESH_S8_S8_S8_S8_S8_S8_S8_S8_EEEENS4_14no_stencil_tagENS0_8identityIS9_EENS4_21always_true_predicateEEExLj1EEEvT0_T1_SQ_: ; @_ZN6thrust23THRUST_200600_302600_NS11hip_rocprim14__parallel_for6kernelILj256ENS1_11__transform17unary_transform_fINS0_17constant_iteratorINS0_5tupleIxxNS0_9null_typeES8_S8_S8_S8_S8_S8_S8_EENS0_11use_defaultESA_EENS0_12zip_iteratorINS7_INS0_6detail15normal_iteratorINS0_10device_ptrIxEEEESH_S8_S8_S8_S8_S8_S8_S8_S8_EEEENS4_14no_stencil_tagENS0_8identityIS9_EENS4_21always_true_predicateEEExLj1EEEvT0_T1_SQ_
; %bb.0:
	s_load_b128 s[4:7], s[0:1], 0x30
	s_lshl_b32 s2, s15, 8
	s_waitcnt lgkmcnt(0)
	s_add_u32 s2, s2, s6
	s_addc_u32 s3, 0, s7
	s_sub_u32 s4, s4, s2
	s_subb_u32 s5, s5, s3
	s_delay_alu instid0(SALU_CYCLE_1) | instskip(NEXT) | instid1(VALU_DEP_1)
	v_cmp_gt_i64_e64 s5, 0x100, s[4:5]
	s_and_b32 s5, s5, exec_lo
	s_cselect_b32 s4, s4, 0x100
	s_delay_alu instid0(SALU_CYCLE_1) | instskip(SKIP_2) | instid1(SALU_CYCLE_1)
	v_cmp_gt_u32_e32 vcc_lo, s4, v0
	s_cmpk_eq_i32 s4, 0x100
	s_cselect_b32 s4, -1, 0
	s_or_b32 s4, s4, vcc_lo
	s_delay_alu instid0(SALU_CYCLE_1)
	s_and_saveexec_b32 s5, s4
	s_cbranch_execz .LBB893_2
; %bb.1:
	s_load_b256 s[4:11], s[0:1], 0x8
	v_add_co_u32 v0, s0, s2, v0
	s_delay_alu instid0(VALU_DEP_1) | instskip(NEXT) | instid1(VALU_DEP_1)
	v_add_co_ci_u32_e64 v1, null, s3, 0, s0
	v_lshlrev_b64 v[0:1], 3, v[0:1]
	s_waitcnt lgkmcnt(0)
	s_delay_alu instid0(VALU_DEP_1) | instskip(NEXT) | instid1(VALU_DEP_2)
	v_add_co_u32 v6, vcc_lo, s8, v0
	v_add_co_ci_u32_e32 v7, vcc_lo, s9, v1, vcc_lo
	v_add_co_u32 v0, vcc_lo, s10, v0
	v_dual_mov_b32 v2, s4 :: v_dual_mov_b32 v3, s5
	v_dual_mov_b32 v4, s6 :: v_dual_mov_b32 v5, s7
	v_add_co_ci_u32_e32 v1, vcc_lo, s11, v1, vcc_lo
	global_store_b64 v[6:7], v[2:3], off
	global_store_b64 v[0:1], v[4:5], off
.LBB893_2:
	s_nop 0
	s_sendmsg sendmsg(MSG_DEALLOC_VGPRS)
	s_endpgm
	.section	.rodata,"a",@progbits
	.p2align	6, 0x0
	.amdhsa_kernel _ZN6thrust23THRUST_200600_302600_NS11hip_rocprim14__parallel_for6kernelILj256ENS1_11__transform17unary_transform_fINS0_17constant_iteratorINS0_5tupleIxxNS0_9null_typeES8_S8_S8_S8_S8_S8_S8_EENS0_11use_defaultESA_EENS0_12zip_iteratorINS7_INS0_6detail15normal_iteratorINS0_10device_ptrIxEEEESH_S8_S8_S8_S8_S8_S8_S8_S8_EEEENS4_14no_stencil_tagENS0_8identityIS9_EENS4_21always_true_predicateEEExLj1EEEvT0_T1_SQ_
		.amdhsa_group_segment_fixed_size 0
		.amdhsa_private_segment_fixed_size 0
		.amdhsa_kernarg_size 64
		.amdhsa_user_sgpr_count 15
		.amdhsa_user_sgpr_dispatch_ptr 0
		.amdhsa_user_sgpr_queue_ptr 0
		.amdhsa_user_sgpr_kernarg_segment_ptr 1
		.amdhsa_user_sgpr_dispatch_id 0
		.amdhsa_user_sgpr_private_segment_size 0
		.amdhsa_wavefront_size32 1
		.amdhsa_uses_dynamic_stack 0
		.amdhsa_enable_private_segment 0
		.amdhsa_system_sgpr_workgroup_id_x 1
		.amdhsa_system_sgpr_workgroup_id_y 0
		.amdhsa_system_sgpr_workgroup_id_z 0
		.amdhsa_system_sgpr_workgroup_info 0
		.amdhsa_system_vgpr_workitem_id 0
		.amdhsa_next_free_vgpr 8
		.amdhsa_next_free_sgpr 16
		.amdhsa_reserve_vcc 1
		.amdhsa_float_round_mode_32 0
		.amdhsa_float_round_mode_16_64 0
		.amdhsa_float_denorm_mode_32 3
		.amdhsa_float_denorm_mode_16_64 3
		.amdhsa_dx10_clamp 1
		.amdhsa_ieee_mode 1
		.amdhsa_fp16_overflow 0
		.amdhsa_workgroup_processor_mode 1
		.amdhsa_memory_ordered 1
		.amdhsa_forward_progress 0
		.amdhsa_shared_vgpr_count 0
		.amdhsa_exception_fp_ieee_invalid_op 0
		.amdhsa_exception_fp_denorm_src 0
		.amdhsa_exception_fp_ieee_div_zero 0
		.amdhsa_exception_fp_ieee_overflow 0
		.amdhsa_exception_fp_ieee_underflow 0
		.amdhsa_exception_fp_ieee_inexact 0
		.amdhsa_exception_int_div_zero 0
	.end_amdhsa_kernel
	.section	.text._ZN6thrust23THRUST_200600_302600_NS11hip_rocprim14__parallel_for6kernelILj256ENS1_11__transform17unary_transform_fINS0_17constant_iteratorINS0_5tupleIxxNS0_9null_typeES8_S8_S8_S8_S8_S8_S8_EENS0_11use_defaultESA_EENS0_12zip_iteratorINS7_INS0_6detail15normal_iteratorINS0_10device_ptrIxEEEESH_S8_S8_S8_S8_S8_S8_S8_S8_EEEENS4_14no_stencil_tagENS0_8identityIS9_EENS4_21always_true_predicateEEExLj1EEEvT0_T1_SQ_,"axG",@progbits,_ZN6thrust23THRUST_200600_302600_NS11hip_rocprim14__parallel_for6kernelILj256ENS1_11__transform17unary_transform_fINS0_17constant_iteratorINS0_5tupleIxxNS0_9null_typeES8_S8_S8_S8_S8_S8_S8_EENS0_11use_defaultESA_EENS0_12zip_iteratorINS7_INS0_6detail15normal_iteratorINS0_10device_ptrIxEEEESH_S8_S8_S8_S8_S8_S8_S8_S8_EEEENS4_14no_stencil_tagENS0_8identityIS9_EENS4_21always_true_predicateEEExLj1EEEvT0_T1_SQ_,comdat
.Lfunc_end893:
	.size	_ZN6thrust23THRUST_200600_302600_NS11hip_rocprim14__parallel_for6kernelILj256ENS1_11__transform17unary_transform_fINS0_17constant_iteratorINS0_5tupleIxxNS0_9null_typeES8_S8_S8_S8_S8_S8_S8_EENS0_11use_defaultESA_EENS0_12zip_iteratorINS7_INS0_6detail15normal_iteratorINS0_10device_ptrIxEEEESH_S8_S8_S8_S8_S8_S8_S8_S8_EEEENS4_14no_stencil_tagENS0_8identityIS9_EENS4_21always_true_predicateEEExLj1EEEvT0_T1_SQ_, .Lfunc_end893-_ZN6thrust23THRUST_200600_302600_NS11hip_rocprim14__parallel_for6kernelILj256ENS1_11__transform17unary_transform_fINS0_17constant_iteratorINS0_5tupleIxxNS0_9null_typeES8_S8_S8_S8_S8_S8_S8_EENS0_11use_defaultESA_EENS0_12zip_iteratorINS7_INS0_6detail15normal_iteratorINS0_10device_ptrIxEEEESH_S8_S8_S8_S8_S8_S8_S8_S8_EEEENS4_14no_stencil_tagENS0_8identityIS9_EENS4_21always_true_predicateEEExLj1EEEvT0_T1_SQ_
                                        ; -- End function
	.section	.AMDGPU.csdata,"",@progbits
; Kernel info:
; codeLenInByte = 204
; NumSgprs: 18
; NumVgprs: 8
; ScratchSize: 0
; MemoryBound: 0
; FloatMode: 240
; IeeeMode: 1
; LDSByteSize: 0 bytes/workgroup (compile time only)
; SGPRBlocks: 2
; VGPRBlocks: 0
; NumSGPRsForWavesPerEU: 18
; NumVGPRsForWavesPerEU: 8
; Occupancy: 16
; WaveLimiterHint : 0
; COMPUTE_PGM_RSRC2:SCRATCH_EN: 0
; COMPUTE_PGM_RSRC2:USER_SGPR: 15
; COMPUTE_PGM_RSRC2:TRAP_HANDLER: 0
; COMPUTE_PGM_RSRC2:TGID_X_EN: 1
; COMPUTE_PGM_RSRC2:TGID_Y_EN: 0
; COMPUTE_PGM_RSRC2:TGID_Z_EN: 0
; COMPUTE_PGM_RSRC2:TIDIG_COMP_CNT: 0
	.section	.text._ZN6thrust23THRUST_200600_302600_NS11hip_rocprim14__parallel_for6kernelILj256ENS1_11__transform17unary_transform_fINS0_17constant_iteratorINS0_5tupleIiiNS0_9null_typeES8_S8_S8_S8_S8_S8_S8_EENS0_11use_defaultESA_EENS0_12zip_iteratorINS7_INS0_6detail15normal_iteratorINS0_10device_ptrIiEEEESH_S8_S8_S8_S8_S8_S8_S8_S8_EEEENS4_14no_stencil_tagENS0_8identityIS9_EENS4_21always_true_predicateEEExLj1EEEvT0_T1_SQ_,"axG",@progbits,_ZN6thrust23THRUST_200600_302600_NS11hip_rocprim14__parallel_for6kernelILj256ENS1_11__transform17unary_transform_fINS0_17constant_iteratorINS0_5tupleIiiNS0_9null_typeES8_S8_S8_S8_S8_S8_S8_EENS0_11use_defaultESA_EENS0_12zip_iteratorINS7_INS0_6detail15normal_iteratorINS0_10device_ptrIiEEEESH_S8_S8_S8_S8_S8_S8_S8_S8_EEEENS4_14no_stencil_tagENS0_8identityIS9_EENS4_21always_true_predicateEEExLj1EEEvT0_T1_SQ_,comdat
	.protected	_ZN6thrust23THRUST_200600_302600_NS11hip_rocprim14__parallel_for6kernelILj256ENS1_11__transform17unary_transform_fINS0_17constant_iteratorINS0_5tupleIiiNS0_9null_typeES8_S8_S8_S8_S8_S8_S8_EENS0_11use_defaultESA_EENS0_12zip_iteratorINS7_INS0_6detail15normal_iteratorINS0_10device_ptrIiEEEESH_S8_S8_S8_S8_S8_S8_S8_S8_EEEENS4_14no_stencil_tagENS0_8identityIS9_EENS4_21always_true_predicateEEExLj1EEEvT0_T1_SQ_ ; -- Begin function _ZN6thrust23THRUST_200600_302600_NS11hip_rocprim14__parallel_for6kernelILj256ENS1_11__transform17unary_transform_fINS0_17constant_iteratorINS0_5tupleIiiNS0_9null_typeES8_S8_S8_S8_S8_S8_S8_EENS0_11use_defaultESA_EENS0_12zip_iteratorINS7_INS0_6detail15normal_iteratorINS0_10device_ptrIiEEEESH_S8_S8_S8_S8_S8_S8_S8_S8_EEEENS4_14no_stencil_tagENS0_8identityIS9_EENS4_21always_true_predicateEEExLj1EEEvT0_T1_SQ_
	.globl	_ZN6thrust23THRUST_200600_302600_NS11hip_rocprim14__parallel_for6kernelILj256ENS1_11__transform17unary_transform_fINS0_17constant_iteratorINS0_5tupleIiiNS0_9null_typeES8_S8_S8_S8_S8_S8_S8_EENS0_11use_defaultESA_EENS0_12zip_iteratorINS7_INS0_6detail15normal_iteratorINS0_10device_ptrIiEEEESH_S8_S8_S8_S8_S8_S8_S8_S8_EEEENS4_14no_stencil_tagENS0_8identityIS9_EENS4_21always_true_predicateEEExLj1EEEvT0_T1_SQ_
	.p2align	8
	.type	_ZN6thrust23THRUST_200600_302600_NS11hip_rocprim14__parallel_for6kernelILj256ENS1_11__transform17unary_transform_fINS0_17constant_iteratorINS0_5tupleIiiNS0_9null_typeES8_S8_S8_S8_S8_S8_S8_EENS0_11use_defaultESA_EENS0_12zip_iteratorINS7_INS0_6detail15normal_iteratorINS0_10device_ptrIiEEEESH_S8_S8_S8_S8_S8_S8_S8_S8_EEEENS4_14no_stencil_tagENS0_8identityIS9_EENS4_21always_true_predicateEEExLj1EEEvT0_T1_SQ_,@function
_ZN6thrust23THRUST_200600_302600_NS11hip_rocprim14__parallel_for6kernelILj256ENS1_11__transform17unary_transform_fINS0_17constant_iteratorINS0_5tupleIiiNS0_9null_typeES8_S8_S8_S8_S8_S8_S8_EENS0_11use_defaultESA_EENS0_12zip_iteratorINS7_INS0_6detail15normal_iteratorINS0_10device_ptrIiEEEESH_S8_S8_S8_S8_S8_S8_S8_S8_EEEENS4_14no_stencil_tagENS0_8identityIS9_EENS4_21always_true_predicateEEExLj1EEEvT0_T1_SQ_: ; @_ZN6thrust23THRUST_200600_302600_NS11hip_rocprim14__parallel_for6kernelILj256ENS1_11__transform17unary_transform_fINS0_17constant_iteratorINS0_5tupleIiiNS0_9null_typeES8_S8_S8_S8_S8_S8_S8_EENS0_11use_defaultESA_EENS0_12zip_iteratorINS7_INS0_6detail15normal_iteratorINS0_10device_ptrIiEEEESH_S8_S8_S8_S8_S8_S8_S8_S8_EEEENS4_14no_stencil_tagENS0_8identityIS9_EENS4_21always_true_predicateEEExLj1EEEvT0_T1_SQ_
; %bb.0:
	s_load_b128 s[4:7], s[0:1], 0x28
	s_lshl_b32 s2, s15, 8
	s_waitcnt lgkmcnt(0)
	s_add_u32 s2, s2, s6
	s_addc_u32 s3, 0, s7
	s_sub_u32 s4, s4, s2
	s_subb_u32 s5, s5, s3
	s_delay_alu instid0(SALU_CYCLE_1) | instskip(NEXT) | instid1(VALU_DEP_1)
	v_cmp_gt_i64_e64 s5, 0x100, s[4:5]
	s_and_b32 s5, s5, exec_lo
	s_cselect_b32 s4, s4, 0x100
	s_delay_alu instid0(SALU_CYCLE_1) | instskip(SKIP_2) | instid1(SALU_CYCLE_1)
	v_cmp_gt_u32_e32 vcc_lo, s4, v0
	s_cmpk_eq_i32 s4, 0x100
	s_cselect_b32 s4, -1, 0
	s_or_b32 s4, s4, vcc_lo
	s_delay_alu instid0(SALU_CYCLE_1)
	s_and_saveexec_b32 s5, s4
	s_cbranch_execz .LBB894_2
; %bb.1:
	s_clause 0x1
	s_load_b128 s[4:7], s[0:1], 0x10
	s_load_b64 s[0:1], s[0:1], 0x8
	v_add_co_u32 v0, s2, s2, v0
	s_delay_alu instid0(VALU_DEP_1) | instskip(NEXT) | instid1(VALU_DEP_1)
	v_add_co_ci_u32_e64 v1, null, s3, 0, s2
	v_lshlrev_b64 v[0:1], 2, v[0:1]
	s_waitcnt lgkmcnt(0)
	s_delay_alu instid0(VALU_DEP_1) | instskip(NEXT) | instid1(VALU_DEP_2)
	v_add_co_u32 v2, vcc_lo, s6, v0
	v_add_co_ci_u32_e32 v3, vcc_lo, s7, v1, vcc_lo
	v_add_co_u32 v0, vcc_lo, s4, v0
	v_add_co_ci_u32_e32 v1, vcc_lo, s5, v1, vcc_lo
	v_dual_mov_b32 v4, s0 :: v_dual_mov_b32 v5, s1
	global_store_b32 v[0:1], v4, off
	global_store_b32 v[2:3], v5, off
.LBB894_2:
	s_nop 0
	s_sendmsg sendmsg(MSG_DEALLOC_VGPRS)
	s_endpgm
	.section	.rodata,"a",@progbits
	.p2align	6, 0x0
	.amdhsa_kernel _ZN6thrust23THRUST_200600_302600_NS11hip_rocprim14__parallel_for6kernelILj256ENS1_11__transform17unary_transform_fINS0_17constant_iteratorINS0_5tupleIiiNS0_9null_typeES8_S8_S8_S8_S8_S8_S8_EENS0_11use_defaultESA_EENS0_12zip_iteratorINS7_INS0_6detail15normal_iteratorINS0_10device_ptrIiEEEESH_S8_S8_S8_S8_S8_S8_S8_S8_EEEENS4_14no_stencil_tagENS0_8identityIS9_EENS4_21always_true_predicateEEExLj1EEEvT0_T1_SQ_
		.amdhsa_group_segment_fixed_size 0
		.amdhsa_private_segment_fixed_size 0
		.amdhsa_kernarg_size 56
		.amdhsa_user_sgpr_count 15
		.amdhsa_user_sgpr_dispatch_ptr 0
		.amdhsa_user_sgpr_queue_ptr 0
		.amdhsa_user_sgpr_kernarg_segment_ptr 1
		.amdhsa_user_sgpr_dispatch_id 0
		.amdhsa_user_sgpr_private_segment_size 0
		.amdhsa_wavefront_size32 1
		.amdhsa_uses_dynamic_stack 0
		.amdhsa_enable_private_segment 0
		.amdhsa_system_sgpr_workgroup_id_x 1
		.amdhsa_system_sgpr_workgroup_id_y 0
		.amdhsa_system_sgpr_workgroup_id_z 0
		.amdhsa_system_sgpr_workgroup_info 0
		.amdhsa_system_vgpr_workitem_id 0
		.amdhsa_next_free_vgpr 6
		.amdhsa_next_free_sgpr 16
		.amdhsa_reserve_vcc 1
		.amdhsa_float_round_mode_32 0
		.amdhsa_float_round_mode_16_64 0
		.amdhsa_float_denorm_mode_32 3
		.amdhsa_float_denorm_mode_16_64 3
		.amdhsa_dx10_clamp 1
		.amdhsa_ieee_mode 1
		.amdhsa_fp16_overflow 0
		.amdhsa_workgroup_processor_mode 1
		.amdhsa_memory_ordered 1
		.amdhsa_forward_progress 0
		.amdhsa_shared_vgpr_count 0
		.amdhsa_exception_fp_ieee_invalid_op 0
		.amdhsa_exception_fp_denorm_src 0
		.amdhsa_exception_fp_ieee_div_zero 0
		.amdhsa_exception_fp_ieee_overflow 0
		.amdhsa_exception_fp_ieee_underflow 0
		.amdhsa_exception_fp_ieee_inexact 0
		.amdhsa_exception_int_div_zero 0
	.end_amdhsa_kernel
	.section	.text._ZN6thrust23THRUST_200600_302600_NS11hip_rocprim14__parallel_for6kernelILj256ENS1_11__transform17unary_transform_fINS0_17constant_iteratorINS0_5tupleIiiNS0_9null_typeES8_S8_S8_S8_S8_S8_S8_EENS0_11use_defaultESA_EENS0_12zip_iteratorINS7_INS0_6detail15normal_iteratorINS0_10device_ptrIiEEEESH_S8_S8_S8_S8_S8_S8_S8_S8_EEEENS4_14no_stencil_tagENS0_8identityIS9_EENS4_21always_true_predicateEEExLj1EEEvT0_T1_SQ_,"axG",@progbits,_ZN6thrust23THRUST_200600_302600_NS11hip_rocprim14__parallel_for6kernelILj256ENS1_11__transform17unary_transform_fINS0_17constant_iteratorINS0_5tupleIiiNS0_9null_typeES8_S8_S8_S8_S8_S8_S8_EENS0_11use_defaultESA_EENS0_12zip_iteratorINS7_INS0_6detail15normal_iteratorINS0_10device_ptrIiEEEESH_S8_S8_S8_S8_S8_S8_S8_S8_EEEENS4_14no_stencil_tagENS0_8identityIS9_EENS4_21always_true_predicateEEExLj1EEEvT0_T1_SQ_,comdat
.Lfunc_end894:
	.size	_ZN6thrust23THRUST_200600_302600_NS11hip_rocprim14__parallel_for6kernelILj256ENS1_11__transform17unary_transform_fINS0_17constant_iteratorINS0_5tupleIiiNS0_9null_typeES8_S8_S8_S8_S8_S8_S8_EENS0_11use_defaultESA_EENS0_12zip_iteratorINS7_INS0_6detail15normal_iteratorINS0_10device_ptrIiEEEESH_S8_S8_S8_S8_S8_S8_S8_S8_EEEENS4_14no_stencil_tagENS0_8identityIS9_EENS4_21always_true_predicateEEExLj1EEEvT0_T1_SQ_, .Lfunc_end894-_ZN6thrust23THRUST_200600_302600_NS11hip_rocprim14__parallel_for6kernelILj256ENS1_11__transform17unary_transform_fINS0_17constant_iteratorINS0_5tupleIiiNS0_9null_typeES8_S8_S8_S8_S8_S8_S8_EENS0_11use_defaultESA_EENS0_12zip_iteratorINS7_INS0_6detail15normal_iteratorINS0_10device_ptrIiEEEESH_S8_S8_S8_S8_S8_S8_S8_S8_EEEENS4_14no_stencil_tagENS0_8identityIS9_EENS4_21always_true_predicateEEExLj1EEEvT0_T1_SQ_
                                        ; -- End function
	.section	.AMDGPU.csdata,"",@progbits
; Kernel info:
; codeLenInByte = 208
; NumSgprs: 18
; NumVgprs: 6
; ScratchSize: 0
; MemoryBound: 0
; FloatMode: 240
; IeeeMode: 1
; LDSByteSize: 0 bytes/workgroup (compile time only)
; SGPRBlocks: 2
; VGPRBlocks: 0
; NumSGPRsForWavesPerEU: 18
; NumVGPRsForWavesPerEU: 6
; Occupancy: 16
; WaveLimiterHint : 0
; COMPUTE_PGM_RSRC2:SCRATCH_EN: 0
; COMPUTE_PGM_RSRC2:USER_SGPR: 15
; COMPUTE_PGM_RSRC2:TRAP_HANDLER: 0
; COMPUTE_PGM_RSRC2:TGID_X_EN: 1
; COMPUTE_PGM_RSRC2:TGID_Y_EN: 0
; COMPUTE_PGM_RSRC2:TGID_Z_EN: 0
; COMPUTE_PGM_RSRC2:TIDIG_COMP_CNT: 0
	.section	.text._ZN6thrust23THRUST_200600_302600_NS11hip_rocprim14__parallel_for6kernelILj256ENS1_11__transform17unary_transform_fINS0_17constant_iteratorINS0_5tupleIssNS0_9null_typeES8_S8_S8_S8_S8_S8_S8_EENS0_11use_defaultESA_EENS0_12zip_iteratorINS7_INS0_6detail15normal_iteratorINS0_10device_ptrIsEEEESH_S8_S8_S8_S8_S8_S8_S8_S8_EEEENS4_14no_stencil_tagENS0_8identityIS9_EENS4_21always_true_predicateEEExLj1EEEvT0_T1_SQ_,"axG",@progbits,_ZN6thrust23THRUST_200600_302600_NS11hip_rocprim14__parallel_for6kernelILj256ENS1_11__transform17unary_transform_fINS0_17constant_iteratorINS0_5tupleIssNS0_9null_typeES8_S8_S8_S8_S8_S8_S8_EENS0_11use_defaultESA_EENS0_12zip_iteratorINS7_INS0_6detail15normal_iteratorINS0_10device_ptrIsEEEESH_S8_S8_S8_S8_S8_S8_S8_S8_EEEENS4_14no_stencil_tagENS0_8identityIS9_EENS4_21always_true_predicateEEExLj1EEEvT0_T1_SQ_,comdat
	.protected	_ZN6thrust23THRUST_200600_302600_NS11hip_rocprim14__parallel_for6kernelILj256ENS1_11__transform17unary_transform_fINS0_17constant_iteratorINS0_5tupleIssNS0_9null_typeES8_S8_S8_S8_S8_S8_S8_EENS0_11use_defaultESA_EENS0_12zip_iteratorINS7_INS0_6detail15normal_iteratorINS0_10device_ptrIsEEEESH_S8_S8_S8_S8_S8_S8_S8_S8_EEEENS4_14no_stencil_tagENS0_8identityIS9_EENS4_21always_true_predicateEEExLj1EEEvT0_T1_SQ_ ; -- Begin function _ZN6thrust23THRUST_200600_302600_NS11hip_rocprim14__parallel_for6kernelILj256ENS1_11__transform17unary_transform_fINS0_17constant_iteratorINS0_5tupleIssNS0_9null_typeES8_S8_S8_S8_S8_S8_S8_EENS0_11use_defaultESA_EENS0_12zip_iteratorINS7_INS0_6detail15normal_iteratorINS0_10device_ptrIsEEEESH_S8_S8_S8_S8_S8_S8_S8_S8_EEEENS4_14no_stencil_tagENS0_8identityIS9_EENS4_21always_true_predicateEEExLj1EEEvT0_T1_SQ_
	.globl	_ZN6thrust23THRUST_200600_302600_NS11hip_rocprim14__parallel_for6kernelILj256ENS1_11__transform17unary_transform_fINS0_17constant_iteratorINS0_5tupleIssNS0_9null_typeES8_S8_S8_S8_S8_S8_S8_EENS0_11use_defaultESA_EENS0_12zip_iteratorINS7_INS0_6detail15normal_iteratorINS0_10device_ptrIsEEEESH_S8_S8_S8_S8_S8_S8_S8_S8_EEEENS4_14no_stencil_tagENS0_8identityIS9_EENS4_21always_true_predicateEEExLj1EEEvT0_T1_SQ_
	.p2align	8
	.type	_ZN6thrust23THRUST_200600_302600_NS11hip_rocprim14__parallel_for6kernelILj256ENS1_11__transform17unary_transform_fINS0_17constant_iteratorINS0_5tupleIssNS0_9null_typeES8_S8_S8_S8_S8_S8_S8_EENS0_11use_defaultESA_EENS0_12zip_iteratorINS7_INS0_6detail15normal_iteratorINS0_10device_ptrIsEEEESH_S8_S8_S8_S8_S8_S8_S8_S8_EEEENS4_14no_stencil_tagENS0_8identityIS9_EENS4_21always_true_predicateEEExLj1EEEvT0_T1_SQ_,@function
_ZN6thrust23THRUST_200600_302600_NS11hip_rocprim14__parallel_for6kernelILj256ENS1_11__transform17unary_transform_fINS0_17constant_iteratorINS0_5tupleIssNS0_9null_typeES8_S8_S8_S8_S8_S8_S8_EENS0_11use_defaultESA_EENS0_12zip_iteratorINS7_INS0_6detail15normal_iteratorINS0_10device_ptrIsEEEESH_S8_S8_S8_S8_S8_S8_S8_S8_EEEENS4_14no_stencil_tagENS0_8identityIS9_EENS4_21always_true_predicateEEExLj1EEEvT0_T1_SQ_: ; @_ZN6thrust23THRUST_200600_302600_NS11hip_rocprim14__parallel_for6kernelILj256ENS1_11__transform17unary_transform_fINS0_17constant_iteratorINS0_5tupleIssNS0_9null_typeES8_S8_S8_S8_S8_S8_S8_EENS0_11use_defaultESA_EENS0_12zip_iteratorINS7_INS0_6detail15normal_iteratorINS0_10device_ptrIsEEEESH_S8_S8_S8_S8_S8_S8_S8_S8_EEEENS4_14no_stencil_tagENS0_8identityIS9_EENS4_21always_true_predicateEEExLj1EEEvT0_T1_SQ_
; %bb.0:
	s_load_b128 s[4:7], s[0:1], 0x28
	s_lshl_b32 s2, s15, 8
	s_waitcnt lgkmcnt(0)
	s_add_u32 s2, s2, s6
	s_addc_u32 s3, 0, s7
	s_sub_u32 s4, s4, s2
	s_subb_u32 s5, s5, s3
	s_delay_alu instid0(SALU_CYCLE_1) | instskip(NEXT) | instid1(VALU_DEP_1)
	v_cmp_gt_i64_e64 s5, 0x100, s[4:5]
	s_and_b32 s5, s5, exec_lo
	s_cselect_b32 s4, s4, 0x100
	s_delay_alu instid0(SALU_CYCLE_1) | instskip(SKIP_2) | instid1(SALU_CYCLE_1)
	v_cmp_gt_u32_e32 vcc_lo, s4, v0
	s_cmpk_eq_i32 s4, 0x100
	s_cselect_b32 s4, -1, 0
	s_or_b32 s4, s4, vcc_lo
	s_delay_alu instid0(SALU_CYCLE_1)
	s_and_saveexec_b32 s5, s4
	s_cbranch_execz .LBB895_2
; %bb.1:
	s_clause 0x1
	s_load_b128 s[4:7], s[0:1], 0x10
	s_load_b32 s0, s[0:1], 0x8
	v_add_co_u32 v0, s1, s2, v0
	s_delay_alu instid0(VALU_DEP_1) | instskip(NEXT) | instid1(VALU_DEP_1)
	v_add_co_ci_u32_e64 v1, null, s3, 0, s1
	v_lshlrev_b64 v[0:1], 1, v[0:1]
	s_waitcnt lgkmcnt(0)
	s_delay_alu instid0(VALU_DEP_1) | instskip(NEXT) | instid1(VALU_DEP_2)
	v_add_co_u32 v2, vcc_lo, s4, v0
	v_add_co_ci_u32_e32 v3, vcc_lo, s5, v1, vcc_lo
	v_add_co_u32 v0, vcc_lo, s6, v0
	v_mov_b32_e32 v4, s0
	v_add_co_ci_u32_e32 v1, vcc_lo, s7, v1, vcc_lo
	global_store_b16 v[2:3], v4, off
	global_store_d16_hi_b16 v[0:1], v4, off
.LBB895_2:
	s_nop 0
	s_sendmsg sendmsg(MSG_DEALLOC_VGPRS)
	s_endpgm
	.section	.rodata,"a",@progbits
	.p2align	6, 0x0
	.amdhsa_kernel _ZN6thrust23THRUST_200600_302600_NS11hip_rocprim14__parallel_for6kernelILj256ENS1_11__transform17unary_transform_fINS0_17constant_iteratorINS0_5tupleIssNS0_9null_typeES8_S8_S8_S8_S8_S8_S8_EENS0_11use_defaultESA_EENS0_12zip_iteratorINS7_INS0_6detail15normal_iteratorINS0_10device_ptrIsEEEESH_S8_S8_S8_S8_S8_S8_S8_S8_EEEENS4_14no_stencil_tagENS0_8identityIS9_EENS4_21always_true_predicateEEExLj1EEEvT0_T1_SQ_
		.amdhsa_group_segment_fixed_size 0
		.amdhsa_private_segment_fixed_size 0
		.amdhsa_kernarg_size 56
		.amdhsa_user_sgpr_count 15
		.amdhsa_user_sgpr_dispatch_ptr 0
		.amdhsa_user_sgpr_queue_ptr 0
		.amdhsa_user_sgpr_kernarg_segment_ptr 1
		.amdhsa_user_sgpr_dispatch_id 0
		.amdhsa_user_sgpr_private_segment_size 0
		.amdhsa_wavefront_size32 1
		.amdhsa_uses_dynamic_stack 0
		.amdhsa_enable_private_segment 0
		.amdhsa_system_sgpr_workgroup_id_x 1
		.amdhsa_system_sgpr_workgroup_id_y 0
		.amdhsa_system_sgpr_workgroup_id_z 0
		.amdhsa_system_sgpr_workgroup_info 0
		.amdhsa_system_vgpr_workitem_id 0
		.amdhsa_next_free_vgpr 5
		.amdhsa_next_free_sgpr 16
		.amdhsa_reserve_vcc 1
		.amdhsa_float_round_mode_32 0
		.amdhsa_float_round_mode_16_64 0
		.amdhsa_float_denorm_mode_32 3
		.amdhsa_float_denorm_mode_16_64 3
		.amdhsa_dx10_clamp 1
		.amdhsa_ieee_mode 1
		.amdhsa_fp16_overflow 0
		.amdhsa_workgroup_processor_mode 1
		.amdhsa_memory_ordered 1
		.amdhsa_forward_progress 0
		.amdhsa_shared_vgpr_count 0
		.amdhsa_exception_fp_ieee_invalid_op 0
		.amdhsa_exception_fp_denorm_src 0
		.amdhsa_exception_fp_ieee_div_zero 0
		.amdhsa_exception_fp_ieee_overflow 0
		.amdhsa_exception_fp_ieee_underflow 0
		.amdhsa_exception_fp_ieee_inexact 0
		.amdhsa_exception_int_div_zero 0
	.end_amdhsa_kernel
	.section	.text._ZN6thrust23THRUST_200600_302600_NS11hip_rocprim14__parallel_for6kernelILj256ENS1_11__transform17unary_transform_fINS0_17constant_iteratorINS0_5tupleIssNS0_9null_typeES8_S8_S8_S8_S8_S8_S8_EENS0_11use_defaultESA_EENS0_12zip_iteratorINS7_INS0_6detail15normal_iteratorINS0_10device_ptrIsEEEESH_S8_S8_S8_S8_S8_S8_S8_S8_EEEENS4_14no_stencil_tagENS0_8identityIS9_EENS4_21always_true_predicateEEExLj1EEEvT0_T1_SQ_,"axG",@progbits,_ZN6thrust23THRUST_200600_302600_NS11hip_rocprim14__parallel_for6kernelILj256ENS1_11__transform17unary_transform_fINS0_17constant_iteratorINS0_5tupleIssNS0_9null_typeES8_S8_S8_S8_S8_S8_S8_EENS0_11use_defaultESA_EENS0_12zip_iteratorINS7_INS0_6detail15normal_iteratorINS0_10device_ptrIsEEEESH_S8_S8_S8_S8_S8_S8_S8_S8_EEEENS4_14no_stencil_tagENS0_8identityIS9_EENS4_21always_true_predicateEEExLj1EEEvT0_T1_SQ_,comdat
.Lfunc_end895:
	.size	_ZN6thrust23THRUST_200600_302600_NS11hip_rocprim14__parallel_for6kernelILj256ENS1_11__transform17unary_transform_fINS0_17constant_iteratorINS0_5tupleIssNS0_9null_typeES8_S8_S8_S8_S8_S8_S8_EENS0_11use_defaultESA_EENS0_12zip_iteratorINS7_INS0_6detail15normal_iteratorINS0_10device_ptrIsEEEESH_S8_S8_S8_S8_S8_S8_S8_S8_EEEENS4_14no_stencil_tagENS0_8identityIS9_EENS4_21always_true_predicateEEExLj1EEEvT0_T1_SQ_, .Lfunc_end895-_ZN6thrust23THRUST_200600_302600_NS11hip_rocprim14__parallel_for6kernelILj256ENS1_11__transform17unary_transform_fINS0_17constant_iteratorINS0_5tupleIssNS0_9null_typeES8_S8_S8_S8_S8_S8_S8_EENS0_11use_defaultESA_EENS0_12zip_iteratorINS7_INS0_6detail15normal_iteratorINS0_10device_ptrIsEEEESH_S8_S8_S8_S8_S8_S8_S8_S8_EEEENS4_14no_stencil_tagENS0_8identityIS9_EENS4_21always_true_predicateEEExLj1EEEvT0_T1_SQ_
                                        ; -- End function
	.section	.AMDGPU.csdata,"",@progbits
; Kernel info:
; codeLenInByte = 204
; NumSgprs: 18
; NumVgprs: 5
; ScratchSize: 0
; MemoryBound: 0
; FloatMode: 240
; IeeeMode: 1
; LDSByteSize: 0 bytes/workgroup (compile time only)
; SGPRBlocks: 2
; VGPRBlocks: 0
; NumSGPRsForWavesPerEU: 18
; NumVGPRsForWavesPerEU: 5
; Occupancy: 16
; WaveLimiterHint : 0
; COMPUTE_PGM_RSRC2:SCRATCH_EN: 0
; COMPUTE_PGM_RSRC2:USER_SGPR: 15
; COMPUTE_PGM_RSRC2:TRAP_HANDLER: 0
; COMPUTE_PGM_RSRC2:TGID_X_EN: 1
; COMPUTE_PGM_RSRC2:TGID_Y_EN: 0
; COMPUTE_PGM_RSRC2:TGID_Z_EN: 0
; COMPUTE_PGM_RSRC2:TIDIG_COMP_CNT: 0
	.section	.text._ZN7rocprim17ROCPRIM_400000_NS6detail17trampoline_kernelINS0_14default_configENS1_25partition_config_selectorILNS1_17partition_subalgoE6EiNS0_10empty_typeEbEEZZNS1_14partition_implILS5_6ELb0ES3_mN6thrust23THRUST_200600_302600_NS10device_ptrIiEEPS6_SD_NS0_5tupleIJSC_S6_EEENSE_IJSD_SD_EEES6_PlJ7is_evenIiEEEE10hipError_tPvRmT3_T4_T5_T6_T7_T9_mT8_P12ihipStream_tbDpT10_ENKUlT_T0_E_clISt17integral_constantIbLb0EES13_EEDaSY_SZ_EUlSY_E_NS1_11comp_targetILNS1_3genE0ELNS1_11target_archE4294967295ELNS1_3gpuE0ELNS1_3repE0EEENS1_30default_config_static_selectorELNS0_4arch9wavefront6targetE0EEEvT1_,"axG",@progbits,_ZN7rocprim17ROCPRIM_400000_NS6detail17trampoline_kernelINS0_14default_configENS1_25partition_config_selectorILNS1_17partition_subalgoE6EiNS0_10empty_typeEbEEZZNS1_14partition_implILS5_6ELb0ES3_mN6thrust23THRUST_200600_302600_NS10device_ptrIiEEPS6_SD_NS0_5tupleIJSC_S6_EEENSE_IJSD_SD_EEES6_PlJ7is_evenIiEEEE10hipError_tPvRmT3_T4_T5_T6_T7_T9_mT8_P12ihipStream_tbDpT10_ENKUlT_T0_E_clISt17integral_constantIbLb0EES13_EEDaSY_SZ_EUlSY_E_NS1_11comp_targetILNS1_3genE0ELNS1_11target_archE4294967295ELNS1_3gpuE0ELNS1_3repE0EEENS1_30default_config_static_selectorELNS0_4arch9wavefront6targetE0EEEvT1_,comdat
	.protected	_ZN7rocprim17ROCPRIM_400000_NS6detail17trampoline_kernelINS0_14default_configENS1_25partition_config_selectorILNS1_17partition_subalgoE6EiNS0_10empty_typeEbEEZZNS1_14partition_implILS5_6ELb0ES3_mN6thrust23THRUST_200600_302600_NS10device_ptrIiEEPS6_SD_NS0_5tupleIJSC_S6_EEENSE_IJSD_SD_EEES6_PlJ7is_evenIiEEEE10hipError_tPvRmT3_T4_T5_T6_T7_T9_mT8_P12ihipStream_tbDpT10_ENKUlT_T0_E_clISt17integral_constantIbLb0EES13_EEDaSY_SZ_EUlSY_E_NS1_11comp_targetILNS1_3genE0ELNS1_11target_archE4294967295ELNS1_3gpuE0ELNS1_3repE0EEENS1_30default_config_static_selectorELNS0_4arch9wavefront6targetE0EEEvT1_ ; -- Begin function _ZN7rocprim17ROCPRIM_400000_NS6detail17trampoline_kernelINS0_14default_configENS1_25partition_config_selectorILNS1_17partition_subalgoE6EiNS0_10empty_typeEbEEZZNS1_14partition_implILS5_6ELb0ES3_mN6thrust23THRUST_200600_302600_NS10device_ptrIiEEPS6_SD_NS0_5tupleIJSC_S6_EEENSE_IJSD_SD_EEES6_PlJ7is_evenIiEEEE10hipError_tPvRmT3_T4_T5_T6_T7_T9_mT8_P12ihipStream_tbDpT10_ENKUlT_T0_E_clISt17integral_constantIbLb0EES13_EEDaSY_SZ_EUlSY_E_NS1_11comp_targetILNS1_3genE0ELNS1_11target_archE4294967295ELNS1_3gpuE0ELNS1_3repE0EEENS1_30default_config_static_selectorELNS0_4arch9wavefront6targetE0EEEvT1_
	.globl	_ZN7rocprim17ROCPRIM_400000_NS6detail17trampoline_kernelINS0_14default_configENS1_25partition_config_selectorILNS1_17partition_subalgoE6EiNS0_10empty_typeEbEEZZNS1_14partition_implILS5_6ELb0ES3_mN6thrust23THRUST_200600_302600_NS10device_ptrIiEEPS6_SD_NS0_5tupleIJSC_S6_EEENSE_IJSD_SD_EEES6_PlJ7is_evenIiEEEE10hipError_tPvRmT3_T4_T5_T6_T7_T9_mT8_P12ihipStream_tbDpT10_ENKUlT_T0_E_clISt17integral_constantIbLb0EES13_EEDaSY_SZ_EUlSY_E_NS1_11comp_targetILNS1_3genE0ELNS1_11target_archE4294967295ELNS1_3gpuE0ELNS1_3repE0EEENS1_30default_config_static_selectorELNS0_4arch9wavefront6targetE0EEEvT1_
	.p2align	8
	.type	_ZN7rocprim17ROCPRIM_400000_NS6detail17trampoline_kernelINS0_14default_configENS1_25partition_config_selectorILNS1_17partition_subalgoE6EiNS0_10empty_typeEbEEZZNS1_14partition_implILS5_6ELb0ES3_mN6thrust23THRUST_200600_302600_NS10device_ptrIiEEPS6_SD_NS0_5tupleIJSC_S6_EEENSE_IJSD_SD_EEES6_PlJ7is_evenIiEEEE10hipError_tPvRmT3_T4_T5_T6_T7_T9_mT8_P12ihipStream_tbDpT10_ENKUlT_T0_E_clISt17integral_constantIbLb0EES13_EEDaSY_SZ_EUlSY_E_NS1_11comp_targetILNS1_3genE0ELNS1_11target_archE4294967295ELNS1_3gpuE0ELNS1_3repE0EEENS1_30default_config_static_selectorELNS0_4arch9wavefront6targetE0EEEvT1_,@function
_ZN7rocprim17ROCPRIM_400000_NS6detail17trampoline_kernelINS0_14default_configENS1_25partition_config_selectorILNS1_17partition_subalgoE6EiNS0_10empty_typeEbEEZZNS1_14partition_implILS5_6ELb0ES3_mN6thrust23THRUST_200600_302600_NS10device_ptrIiEEPS6_SD_NS0_5tupleIJSC_S6_EEENSE_IJSD_SD_EEES6_PlJ7is_evenIiEEEE10hipError_tPvRmT3_T4_T5_T6_T7_T9_mT8_P12ihipStream_tbDpT10_ENKUlT_T0_E_clISt17integral_constantIbLb0EES13_EEDaSY_SZ_EUlSY_E_NS1_11comp_targetILNS1_3genE0ELNS1_11target_archE4294967295ELNS1_3gpuE0ELNS1_3repE0EEENS1_30default_config_static_selectorELNS0_4arch9wavefront6targetE0EEEvT1_: ; @_ZN7rocprim17ROCPRIM_400000_NS6detail17trampoline_kernelINS0_14default_configENS1_25partition_config_selectorILNS1_17partition_subalgoE6EiNS0_10empty_typeEbEEZZNS1_14partition_implILS5_6ELb0ES3_mN6thrust23THRUST_200600_302600_NS10device_ptrIiEEPS6_SD_NS0_5tupleIJSC_S6_EEENSE_IJSD_SD_EEES6_PlJ7is_evenIiEEEE10hipError_tPvRmT3_T4_T5_T6_T7_T9_mT8_P12ihipStream_tbDpT10_ENKUlT_T0_E_clISt17integral_constantIbLb0EES13_EEDaSY_SZ_EUlSY_E_NS1_11comp_targetILNS1_3genE0ELNS1_11target_archE4294967295ELNS1_3gpuE0ELNS1_3repE0EEENS1_30default_config_static_selectorELNS0_4arch9wavefront6targetE0EEEvT1_
; %bb.0:
	.section	.rodata,"a",@progbits
	.p2align	6, 0x0
	.amdhsa_kernel _ZN7rocprim17ROCPRIM_400000_NS6detail17trampoline_kernelINS0_14default_configENS1_25partition_config_selectorILNS1_17partition_subalgoE6EiNS0_10empty_typeEbEEZZNS1_14partition_implILS5_6ELb0ES3_mN6thrust23THRUST_200600_302600_NS10device_ptrIiEEPS6_SD_NS0_5tupleIJSC_S6_EEENSE_IJSD_SD_EEES6_PlJ7is_evenIiEEEE10hipError_tPvRmT3_T4_T5_T6_T7_T9_mT8_P12ihipStream_tbDpT10_ENKUlT_T0_E_clISt17integral_constantIbLb0EES13_EEDaSY_SZ_EUlSY_E_NS1_11comp_targetILNS1_3genE0ELNS1_11target_archE4294967295ELNS1_3gpuE0ELNS1_3repE0EEENS1_30default_config_static_selectorELNS0_4arch9wavefront6targetE0EEEvT1_
		.amdhsa_group_segment_fixed_size 0
		.amdhsa_private_segment_fixed_size 0
		.amdhsa_kernarg_size 112
		.amdhsa_user_sgpr_count 15
		.amdhsa_user_sgpr_dispatch_ptr 0
		.amdhsa_user_sgpr_queue_ptr 0
		.amdhsa_user_sgpr_kernarg_segment_ptr 1
		.amdhsa_user_sgpr_dispatch_id 0
		.amdhsa_user_sgpr_private_segment_size 0
		.amdhsa_wavefront_size32 1
		.amdhsa_uses_dynamic_stack 0
		.amdhsa_enable_private_segment 0
		.amdhsa_system_sgpr_workgroup_id_x 1
		.amdhsa_system_sgpr_workgroup_id_y 0
		.amdhsa_system_sgpr_workgroup_id_z 0
		.amdhsa_system_sgpr_workgroup_info 0
		.amdhsa_system_vgpr_workitem_id 0
		.amdhsa_next_free_vgpr 1
		.amdhsa_next_free_sgpr 1
		.amdhsa_reserve_vcc 0
		.amdhsa_float_round_mode_32 0
		.amdhsa_float_round_mode_16_64 0
		.amdhsa_float_denorm_mode_32 3
		.amdhsa_float_denorm_mode_16_64 3
		.amdhsa_dx10_clamp 1
		.amdhsa_ieee_mode 1
		.amdhsa_fp16_overflow 0
		.amdhsa_workgroup_processor_mode 1
		.amdhsa_memory_ordered 1
		.amdhsa_forward_progress 0
		.amdhsa_shared_vgpr_count 0
		.amdhsa_exception_fp_ieee_invalid_op 0
		.amdhsa_exception_fp_denorm_src 0
		.amdhsa_exception_fp_ieee_div_zero 0
		.amdhsa_exception_fp_ieee_overflow 0
		.amdhsa_exception_fp_ieee_underflow 0
		.amdhsa_exception_fp_ieee_inexact 0
		.amdhsa_exception_int_div_zero 0
	.end_amdhsa_kernel
	.section	.text._ZN7rocprim17ROCPRIM_400000_NS6detail17trampoline_kernelINS0_14default_configENS1_25partition_config_selectorILNS1_17partition_subalgoE6EiNS0_10empty_typeEbEEZZNS1_14partition_implILS5_6ELb0ES3_mN6thrust23THRUST_200600_302600_NS10device_ptrIiEEPS6_SD_NS0_5tupleIJSC_S6_EEENSE_IJSD_SD_EEES6_PlJ7is_evenIiEEEE10hipError_tPvRmT3_T4_T5_T6_T7_T9_mT8_P12ihipStream_tbDpT10_ENKUlT_T0_E_clISt17integral_constantIbLb0EES13_EEDaSY_SZ_EUlSY_E_NS1_11comp_targetILNS1_3genE0ELNS1_11target_archE4294967295ELNS1_3gpuE0ELNS1_3repE0EEENS1_30default_config_static_selectorELNS0_4arch9wavefront6targetE0EEEvT1_,"axG",@progbits,_ZN7rocprim17ROCPRIM_400000_NS6detail17trampoline_kernelINS0_14default_configENS1_25partition_config_selectorILNS1_17partition_subalgoE6EiNS0_10empty_typeEbEEZZNS1_14partition_implILS5_6ELb0ES3_mN6thrust23THRUST_200600_302600_NS10device_ptrIiEEPS6_SD_NS0_5tupleIJSC_S6_EEENSE_IJSD_SD_EEES6_PlJ7is_evenIiEEEE10hipError_tPvRmT3_T4_T5_T6_T7_T9_mT8_P12ihipStream_tbDpT10_ENKUlT_T0_E_clISt17integral_constantIbLb0EES13_EEDaSY_SZ_EUlSY_E_NS1_11comp_targetILNS1_3genE0ELNS1_11target_archE4294967295ELNS1_3gpuE0ELNS1_3repE0EEENS1_30default_config_static_selectorELNS0_4arch9wavefront6targetE0EEEvT1_,comdat
.Lfunc_end896:
	.size	_ZN7rocprim17ROCPRIM_400000_NS6detail17trampoline_kernelINS0_14default_configENS1_25partition_config_selectorILNS1_17partition_subalgoE6EiNS0_10empty_typeEbEEZZNS1_14partition_implILS5_6ELb0ES3_mN6thrust23THRUST_200600_302600_NS10device_ptrIiEEPS6_SD_NS0_5tupleIJSC_S6_EEENSE_IJSD_SD_EEES6_PlJ7is_evenIiEEEE10hipError_tPvRmT3_T4_T5_T6_T7_T9_mT8_P12ihipStream_tbDpT10_ENKUlT_T0_E_clISt17integral_constantIbLb0EES13_EEDaSY_SZ_EUlSY_E_NS1_11comp_targetILNS1_3genE0ELNS1_11target_archE4294967295ELNS1_3gpuE0ELNS1_3repE0EEENS1_30default_config_static_selectorELNS0_4arch9wavefront6targetE0EEEvT1_, .Lfunc_end896-_ZN7rocprim17ROCPRIM_400000_NS6detail17trampoline_kernelINS0_14default_configENS1_25partition_config_selectorILNS1_17partition_subalgoE6EiNS0_10empty_typeEbEEZZNS1_14partition_implILS5_6ELb0ES3_mN6thrust23THRUST_200600_302600_NS10device_ptrIiEEPS6_SD_NS0_5tupleIJSC_S6_EEENSE_IJSD_SD_EEES6_PlJ7is_evenIiEEEE10hipError_tPvRmT3_T4_T5_T6_T7_T9_mT8_P12ihipStream_tbDpT10_ENKUlT_T0_E_clISt17integral_constantIbLb0EES13_EEDaSY_SZ_EUlSY_E_NS1_11comp_targetILNS1_3genE0ELNS1_11target_archE4294967295ELNS1_3gpuE0ELNS1_3repE0EEENS1_30default_config_static_selectorELNS0_4arch9wavefront6targetE0EEEvT1_
                                        ; -- End function
	.section	.AMDGPU.csdata,"",@progbits
; Kernel info:
; codeLenInByte = 0
; NumSgprs: 0
; NumVgprs: 0
; ScratchSize: 0
; MemoryBound: 0
; FloatMode: 240
; IeeeMode: 1
; LDSByteSize: 0 bytes/workgroup (compile time only)
; SGPRBlocks: 0
; VGPRBlocks: 0
; NumSGPRsForWavesPerEU: 1
; NumVGPRsForWavesPerEU: 1
; Occupancy: 16
; WaveLimiterHint : 0
; COMPUTE_PGM_RSRC2:SCRATCH_EN: 0
; COMPUTE_PGM_RSRC2:USER_SGPR: 15
; COMPUTE_PGM_RSRC2:TRAP_HANDLER: 0
; COMPUTE_PGM_RSRC2:TGID_X_EN: 1
; COMPUTE_PGM_RSRC2:TGID_Y_EN: 0
; COMPUTE_PGM_RSRC2:TGID_Z_EN: 0
; COMPUTE_PGM_RSRC2:TIDIG_COMP_CNT: 0
	.section	.text._ZN7rocprim17ROCPRIM_400000_NS6detail17trampoline_kernelINS0_14default_configENS1_25partition_config_selectorILNS1_17partition_subalgoE6EiNS0_10empty_typeEbEEZZNS1_14partition_implILS5_6ELb0ES3_mN6thrust23THRUST_200600_302600_NS10device_ptrIiEEPS6_SD_NS0_5tupleIJSC_S6_EEENSE_IJSD_SD_EEES6_PlJ7is_evenIiEEEE10hipError_tPvRmT3_T4_T5_T6_T7_T9_mT8_P12ihipStream_tbDpT10_ENKUlT_T0_E_clISt17integral_constantIbLb0EES13_EEDaSY_SZ_EUlSY_E_NS1_11comp_targetILNS1_3genE5ELNS1_11target_archE942ELNS1_3gpuE9ELNS1_3repE0EEENS1_30default_config_static_selectorELNS0_4arch9wavefront6targetE0EEEvT1_,"axG",@progbits,_ZN7rocprim17ROCPRIM_400000_NS6detail17trampoline_kernelINS0_14default_configENS1_25partition_config_selectorILNS1_17partition_subalgoE6EiNS0_10empty_typeEbEEZZNS1_14partition_implILS5_6ELb0ES3_mN6thrust23THRUST_200600_302600_NS10device_ptrIiEEPS6_SD_NS0_5tupleIJSC_S6_EEENSE_IJSD_SD_EEES6_PlJ7is_evenIiEEEE10hipError_tPvRmT3_T4_T5_T6_T7_T9_mT8_P12ihipStream_tbDpT10_ENKUlT_T0_E_clISt17integral_constantIbLb0EES13_EEDaSY_SZ_EUlSY_E_NS1_11comp_targetILNS1_3genE5ELNS1_11target_archE942ELNS1_3gpuE9ELNS1_3repE0EEENS1_30default_config_static_selectorELNS0_4arch9wavefront6targetE0EEEvT1_,comdat
	.protected	_ZN7rocprim17ROCPRIM_400000_NS6detail17trampoline_kernelINS0_14default_configENS1_25partition_config_selectorILNS1_17partition_subalgoE6EiNS0_10empty_typeEbEEZZNS1_14partition_implILS5_6ELb0ES3_mN6thrust23THRUST_200600_302600_NS10device_ptrIiEEPS6_SD_NS0_5tupleIJSC_S6_EEENSE_IJSD_SD_EEES6_PlJ7is_evenIiEEEE10hipError_tPvRmT3_T4_T5_T6_T7_T9_mT8_P12ihipStream_tbDpT10_ENKUlT_T0_E_clISt17integral_constantIbLb0EES13_EEDaSY_SZ_EUlSY_E_NS1_11comp_targetILNS1_3genE5ELNS1_11target_archE942ELNS1_3gpuE9ELNS1_3repE0EEENS1_30default_config_static_selectorELNS0_4arch9wavefront6targetE0EEEvT1_ ; -- Begin function _ZN7rocprim17ROCPRIM_400000_NS6detail17trampoline_kernelINS0_14default_configENS1_25partition_config_selectorILNS1_17partition_subalgoE6EiNS0_10empty_typeEbEEZZNS1_14partition_implILS5_6ELb0ES3_mN6thrust23THRUST_200600_302600_NS10device_ptrIiEEPS6_SD_NS0_5tupleIJSC_S6_EEENSE_IJSD_SD_EEES6_PlJ7is_evenIiEEEE10hipError_tPvRmT3_T4_T5_T6_T7_T9_mT8_P12ihipStream_tbDpT10_ENKUlT_T0_E_clISt17integral_constantIbLb0EES13_EEDaSY_SZ_EUlSY_E_NS1_11comp_targetILNS1_3genE5ELNS1_11target_archE942ELNS1_3gpuE9ELNS1_3repE0EEENS1_30default_config_static_selectorELNS0_4arch9wavefront6targetE0EEEvT1_
	.globl	_ZN7rocprim17ROCPRIM_400000_NS6detail17trampoline_kernelINS0_14default_configENS1_25partition_config_selectorILNS1_17partition_subalgoE6EiNS0_10empty_typeEbEEZZNS1_14partition_implILS5_6ELb0ES3_mN6thrust23THRUST_200600_302600_NS10device_ptrIiEEPS6_SD_NS0_5tupleIJSC_S6_EEENSE_IJSD_SD_EEES6_PlJ7is_evenIiEEEE10hipError_tPvRmT3_T4_T5_T6_T7_T9_mT8_P12ihipStream_tbDpT10_ENKUlT_T0_E_clISt17integral_constantIbLb0EES13_EEDaSY_SZ_EUlSY_E_NS1_11comp_targetILNS1_3genE5ELNS1_11target_archE942ELNS1_3gpuE9ELNS1_3repE0EEENS1_30default_config_static_selectorELNS0_4arch9wavefront6targetE0EEEvT1_
	.p2align	8
	.type	_ZN7rocprim17ROCPRIM_400000_NS6detail17trampoline_kernelINS0_14default_configENS1_25partition_config_selectorILNS1_17partition_subalgoE6EiNS0_10empty_typeEbEEZZNS1_14partition_implILS5_6ELb0ES3_mN6thrust23THRUST_200600_302600_NS10device_ptrIiEEPS6_SD_NS0_5tupleIJSC_S6_EEENSE_IJSD_SD_EEES6_PlJ7is_evenIiEEEE10hipError_tPvRmT3_T4_T5_T6_T7_T9_mT8_P12ihipStream_tbDpT10_ENKUlT_T0_E_clISt17integral_constantIbLb0EES13_EEDaSY_SZ_EUlSY_E_NS1_11comp_targetILNS1_3genE5ELNS1_11target_archE942ELNS1_3gpuE9ELNS1_3repE0EEENS1_30default_config_static_selectorELNS0_4arch9wavefront6targetE0EEEvT1_,@function
_ZN7rocprim17ROCPRIM_400000_NS6detail17trampoline_kernelINS0_14default_configENS1_25partition_config_selectorILNS1_17partition_subalgoE6EiNS0_10empty_typeEbEEZZNS1_14partition_implILS5_6ELb0ES3_mN6thrust23THRUST_200600_302600_NS10device_ptrIiEEPS6_SD_NS0_5tupleIJSC_S6_EEENSE_IJSD_SD_EEES6_PlJ7is_evenIiEEEE10hipError_tPvRmT3_T4_T5_T6_T7_T9_mT8_P12ihipStream_tbDpT10_ENKUlT_T0_E_clISt17integral_constantIbLb0EES13_EEDaSY_SZ_EUlSY_E_NS1_11comp_targetILNS1_3genE5ELNS1_11target_archE942ELNS1_3gpuE9ELNS1_3repE0EEENS1_30default_config_static_selectorELNS0_4arch9wavefront6targetE0EEEvT1_: ; @_ZN7rocprim17ROCPRIM_400000_NS6detail17trampoline_kernelINS0_14default_configENS1_25partition_config_selectorILNS1_17partition_subalgoE6EiNS0_10empty_typeEbEEZZNS1_14partition_implILS5_6ELb0ES3_mN6thrust23THRUST_200600_302600_NS10device_ptrIiEEPS6_SD_NS0_5tupleIJSC_S6_EEENSE_IJSD_SD_EEES6_PlJ7is_evenIiEEEE10hipError_tPvRmT3_T4_T5_T6_T7_T9_mT8_P12ihipStream_tbDpT10_ENKUlT_T0_E_clISt17integral_constantIbLb0EES13_EEDaSY_SZ_EUlSY_E_NS1_11comp_targetILNS1_3genE5ELNS1_11target_archE942ELNS1_3gpuE9ELNS1_3repE0EEENS1_30default_config_static_selectorELNS0_4arch9wavefront6targetE0EEEvT1_
; %bb.0:
	.section	.rodata,"a",@progbits
	.p2align	6, 0x0
	.amdhsa_kernel _ZN7rocprim17ROCPRIM_400000_NS6detail17trampoline_kernelINS0_14default_configENS1_25partition_config_selectorILNS1_17partition_subalgoE6EiNS0_10empty_typeEbEEZZNS1_14partition_implILS5_6ELb0ES3_mN6thrust23THRUST_200600_302600_NS10device_ptrIiEEPS6_SD_NS0_5tupleIJSC_S6_EEENSE_IJSD_SD_EEES6_PlJ7is_evenIiEEEE10hipError_tPvRmT3_T4_T5_T6_T7_T9_mT8_P12ihipStream_tbDpT10_ENKUlT_T0_E_clISt17integral_constantIbLb0EES13_EEDaSY_SZ_EUlSY_E_NS1_11comp_targetILNS1_3genE5ELNS1_11target_archE942ELNS1_3gpuE9ELNS1_3repE0EEENS1_30default_config_static_selectorELNS0_4arch9wavefront6targetE0EEEvT1_
		.amdhsa_group_segment_fixed_size 0
		.amdhsa_private_segment_fixed_size 0
		.amdhsa_kernarg_size 112
		.amdhsa_user_sgpr_count 15
		.amdhsa_user_sgpr_dispatch_ptr 0
		.amdhsa_user_sgpr_queue_ptr 0
		.amdhsa_user_sgpr_kernarg_segment_ptr 1
		.amdhsa_user_sgpr_dispatch_id 0
		.amdhsa_user_sgpr_private_segment_size 0
		.amdhsa_wavefront_size32 1
		.amdhsa_uses_dynamic_stack 0
		.amdhsa_enable_private_segment 0
		.amdhsa_system_sgpr_workgroup_id_x 1
		.amdhsa_system_sgpr_workgroup_id_y 0
		.amdhsa_system_sgpr_workgroup_id_z 0
		.amdhsa_system_sgpr_workgroup_info 0
		.amdhsa_system_vgpr_workitem_id 0
		.amdhsa_next_free_vgpr 1
		.amdhsa_next_free_sgpr 1
		.amdhsa_reserve_vcc 0
		.amdhsa_float_round_mode_32 0
		.amdhsa_float_round_mode_16_64 0
		.amdhsa_float_denorm_mode_32 3
		.amdhsa_float_denorm_mode_16_64 3
		.amdhsa_dx10_clamp 1
		.amdhsa_ieee_mode 1
		.amdhsa_fp16_overflow 0
		.amdhsa_workgroup_processor_mode 1
		.amdhsa_memory_ordered 1
		.amdhsa_forward_progress 0
		.amdhsa_shared_vgpr_count 0
		.amdhsa_exception_fp_ieee_invalid_op 0
		.amdhsa_exception_fp_denorm_src 0
		.amdhsa_exception_fp_ieee_div_zero 0
		.amdhsa_exception_fp_ieee_overflow 0
		.amdhsa_exception_fp_ieee_underflow 0
		.amdhsa_exception_fp_ieee_inexact 0
		.amdhsa_exception_int_div_zero 0
	.end_amdhsa_kernel
	.section	.text._ZN7rocprim17ROCPRIM_400000_NS6detail17trampoline_kernelINS0_14default_configENS1_25partition_config_selectorILNS1_17partition_subalgoE6EiNS0_10empty_typeEbEEZZNS1_14partition_implILS5_6ELb0ES3_mN6thrust23THRUST_200600_302600_NS10device_ptrIiEEPS6_SD_NS0_5tupleIJSC_S6_EEENSE_IJSD_SD_EEES6_PlJ7is_evenIiEEEE10hipError_tPvRmT3_T4_T5_T6_T7_T9_mT8_P12ihipStream_tbDpT10_ENKUlT_T0_E_clISt17integral_constantIbLb0EES13_EEDaSY_SZ_EUlSY_E_NS1_11comp_targetILNS1_3genE5ELNS1_11target_archE942ELNS1_3gpuE9ELNS1_3repE0EEENS1_30default_config_static_selectorELNS0_4arch9wavefront6targetE0EEEvT1_,"axG",@progbits,_ZN7rocprim17ROCPRIM_400000_NS6detail17trampoline_kernelINS0_14default_configENS1_25partition_config_selectorILNS1_17partition_subalgoE6EiNS0_10empty_typeEbEEZZNS1_14partition_implILS5_6ELb0ES3_mN6thrust23THRUST_200600_302600_NS10device_ptrIiEEPS6_SD_NS0_5tupleIJSC_S6_EEENSE_IJSD_SD_EEES6_PlJ7is_evenIiEEEE10hipError_tPvRmT3_T4_T5_T6_T7_T9_mT8_P12ihipStream_tbDpT10_ENKUlT_T0_E_clISt17integral_constantIbLb0EES13_EEDaSY_SZ_EUlSY_E_NS1_11comp_targetILNS1_3genE5ELNS1_11target_archE942ELNS1_3gpuE9ELNS1_3repE0EEENS1_30default_config_static_selectorELNS0_4arch9wavefront6targetE0EEEvT1_,comdat
.Lfunc_end897:
	.size	_ZN7rocprim17ROCPRIM_400000_NS6detail17trampoline_kernelINS0_14default_configENS1_25partition_config_selectorILNS1_17partition_subalgoE6EiNS0_10empty_typeEbEEZZNS1_14partition_implILS5_6ELb0ES3_mN6thrust23THRUST_200600_302600_NS10device_ptrIiEEPS6_SD_NS0_5tupleIJSC_S6_EEENSE_IJSD_SD_EEES6_PlJ7is_evenIiEEEE10hipError_tPvRmT3_T4_T5_T6_T7_T9_mT8_P12ihipStream_tbDpT10_ENKUlT_T0_E_clISt17integral_constantIbLb0EES13_EEDaSY_SZ_EUlSY_E_NS1_11comp_targetILNS1_3genE5ELNS1_11target_archE942ELNS1_3gpuE9ELNS1_3repE0EEENS1_30default_config_static_selectorELNS0_4arch9wavefront6targetE0EEEvT1_, .Lfunc_end897-_ZN7rocprim17ROCPRIM_400000_NS6detail17trampoline_kernelINS0_14default_configENS1_25partition_config_selectorILNS1_17partition_subalgoE6EiNS0_10empty_typeEbEEZZNS1_14partition_implILS5_6ELb0ES3_mN6thrust23THRUST_200600_302600_NS10device_ptrIiEEPS6_SD_NS0_5tupleIJSC_S6_EEENSE_IJSD_SD_EEES6_PlJ7is_evenIiEEEE10hipError_tPvRmT3_T4_T5_T6_T7_T9_mT8_P12ihipStream_tbDpT10_ENKUlT_T0_E_clISt17integral_constantIbLb0EES13_EEDaSY_SZ_EUlSY_E_NS1_11comp_targetILNS1_3genE5ELNS1_11target_archE942ELNS1_3gpuE9ELNS1_3repE0EEENS1_30default_config_static_selectorELNS0_4arch9wavefront6targetE0EEEvT1_
                                        ; -- End function
	.section	.AMDGPU.csdata,"",@progbits
; Kernel info:
; codeLenInByte = 0
; NumSgprs: 0
; NumVgprs: 0
; ScratchSize: 0
; MemoryBound: 0
; FloatMode: 240
; IeeeMode: 1
; LDSByteSize: 0 bytes/workgroup (compile time only)
; SGPRBlocks: 0
; VGPRBlocks: 0
; NumSGPRsForWavesPerEU: 1
; NumVGPRsForWavesPerEU: 1
; Occupancy: 16
; WaveLimiterHint : 0
; COMPUTE_PGM_RSRC2:SCRATCH_EN: 0
; COMPUTE_PGM_RSRC2:USER_SGPR: 15
; COMPUTE_PGM_RSRC2:TRAP_HANDLER: 0
; COMPUTE_PGM_RSRC2:TGID_X_EN: 1
; COMPUTE_PGM_RSRC2:TGID_Y_EN: 0
; COMPUTE_PGM_RSRC2:TGID_Z_EN: 0
; COMPUTE_PGM_RSRC2:TIDIG_COMP_CNT: 0
	.section	.text._ZN7rocprim17ROCPRIM_400000_NS6detail17trampoline_kernelINS0_14default_configENS1_25partition_config_selectorILNS1_17partition_subalgoE6EiNS0_10empty_typeEbEEZZNS1_14partition_implILS5_6ELb0ES3_mN6thrust23THRUST_200600_302600_NS10device_ptrIiEEPS6_SD_NS0_5tupleIJSC_S6_EEENSE_IJSD_SD_EEES6_PlJ7is_evenIiEEEE10hipError_tPvRmT3_T4_T5_T6_T7_T9_mT8_P12ihipStream_tbDpT10_ENKUlT_T0_E_clISt17integral_constantIbLb0EES13_EEDaSY_SZ_EUlSY_E_NS1_11comp_targetILNS1_3genE4ELNS1_11target_archE910ELNS1_3gpuE8ELNS1_3repE0EEENS1_30default_config_static_selectorELNS0_4arch9wavefront6targetE0EEEvT1_,"axG",@progbits,_ZN7rocprim17ROCPRIM_400000_NS6detail17trampoline_kernelINS0_14default_configENS1_25partition_config_selectorILNS1_17partition_subalgoE6EiNS0_10empty_typeEbEEZZNS1_14partition_implILS5_6ELb0ES3_mN6thrust23THRUST_200600_302600_NS10device_ptrIiEEPS6_SD_NS0_5tupleIJSC_S6_EEENSE_IJSD_SD_EEES6_PlJ7is_evenIiEEEE10hipError_tPvRmT3_T4_T5_T6_T7_T9_mT8_P12ihipStream_tbDpT10_ENKUlT_T0_E_clISt17integral_constantIbLb0EES13_EEDaSY_SZ_EUlSY_E_NS1_11comp_targetILNS1_3genE4ELNS1_11target_archE910ELNS1_3gpuE8ELNS1_3repE0EEENS1_30default_config_static_selectorELNS0_4arch9wavefront6targetE0EEEvT1_,comdat
	.protected	_ZN7rocprim17ROCPRIM_400000_NS6detail17trampoline_kernelINS0_14default_configENS1_25partition_config_selectorILNS1_17partition_subalgoE6EiNS0_10empty_typeEbEEZZNS1_14partition_implILS5_6ELb0ES3_mN6thrust23THRUST_200600_302600_NS10device_ptrIiEEPS6_SD_NS0_5tupleIJSC_S6_EEENSE_IJSD_SD_EEES6_PlJ7is_evenIiEEEE10hipError_tPvRmT3_T4_T5_T6_T7_T9_mT8_P12ihipStream_tbDpT10_ENKUlT_T0_E_clISt17integral_constantIbLb0EES13_EEDaSY_SZ_EUlSY_E_NS1_11comp_targetILNS1_3genE4ELNS1_11target_archE910ELNS1_3gpuE8ELNS1_3repE0EEENS1_30default_config_static_selectorELNS0_4arch9wavefront6targetE0EEEvT1_ ; -- Begin function _ZN7rocprim17ROCPRIM_400000_NS6detail17trampoline_kernelINS0_14default_configENS1_25partition_config_selectorILNS1_17partition_subalgoE6EiNS0_10empty_typeEbEEZZNS1_14partition_implILS5_6ELb0ES3_mN6thrust23THRUST_200600_302600_NS10device_ptrIiEEPS6_SD_NS0_5tupleIJSC_S6_EEENSE_IJSD_SD_EEES6_PlJ7is_evenIiEEEE10hipError_tPvRmT3_T4_T5_T6_T7_T9_mT8_P12ihipStream_tbDpT10_ENKUlT_T0_E_clISt17integral_constantIbLb0EES13_EEDaSY_SZ_EUlSY_E_NS1_11comp_targetILNS1_3genE4ELNS1_11target_archE910ELNS1_3gpuE8ELNS1_3repE0EEENS1_30default_config_static_selectorELNS0_4arch9wavefront6targetE0EEEvT1_
	.globl	_ZN7rocprim17ROCPRIM_400000_NS6detail17trampoline_kernelINS0_14default_configENS1_25partition_config_selectorILNS1_17partition_subalgoE6EiNS0_10empty_typeEbEEZZNS1_14partition_implILS5_6ELb0ES3_mN6thrust23THRUST_200600_302600_NS10device_ptrIiEEPS6_SD_NS0_5tupleIJSC_S6_EEENSE_IJSD_SD_EEES6_PlJ7is_evenIiEEEE10hipError_tPvRmT3_T4_T5_T6_T7_T9_mT8_P12ihipStream_tbDpT10_ENKUlT_T0_E_clISt17integral_constantIbLb0EES13_EEDaSY_SZ_EUlSY_E_NS1_11comp_targetILNS1_3genE4ELNS1_11target_archE910ELNS1_3gpuE8ELNS1_3repE0EEENS1_30default_config_static_selectorELNS0_4arch9wavefront6targetE0EEEvT1_
	.p2align	8
	.type	_ZN7rocprim17ROCPRIM_400000_NS6detail17trampoline_kernelINS0_14default_configENS1_25partition_config_selectorILNS1_17partition_subalgoE6EiNS0_10empty_typeEbEEZZNS1_14partition_implILS5_6ELb0ES3_mN6thrust23THRUST_200600_302600_NS10device_ptrIiEEPS6_SD_NS0_5tupleIJSC_S6_EEENSE_IJSD_SD_EEES6_PlJ7is_evenIiEEEE10hipError_tPvRmT3_T4_T5_T6_T7_T9_mT8_P12ihipStream_tbDpT10_ENKUlT_T0_E_clISt17integral_constantIbLb0EES13_EEDaSY_SZ_EUlSY_E_NS1_11comp_targetILNS1_3genE4ELNS1_11target_archE910ELNS1_3gpuE8ELNS1_3repE0EEENS1_30default_config_static_selectorELNS0_4arch9wavefront6targetE0EEEvT1_,@function
_ZN7rocprim17ROCPRIM_400000_NS6detail17trampoline_kernelINS0_14default_configENS1_25partition_config_selectorILNS1_17partition_subalgoE6EiNS0_10empty_typeEbEEZZNS1_14partition_implILS5_6ELb0ES3_mN6thrust23THRUST_200600_302600_NS10device_ptrIiEEPS6_SD_NS0_5tupleIJSC_S6_EEENSE_IJSD_SD_EEES6_PlJ7is_evenIiEEEE10hipError_tPvRmT3_T4_T5_T6_T7_T9_mT8_P12ihipStream_tbDpT10_ENKUlT_T0_E_clISt17integral_constantIbLb0EES13_EEDaSY_SZ_EUlSY_E_NS1_11comp_targetILNS1_3genE4ELNS1_11target_archE910ELNS1_3gpuE8ELNS1_3repE0EEENS1_30default_config_static_selectorELNS0_4arch9wavefront6targetE0EEEvT1_: ; @_ZN7rocprim17ROCPRIM_400000_NS6detail17trampoline_kernelINS0_14default_configENS1_25partition_config_selectorILNS1_17partition_subalgoE6EiNS0_10empty_typeEbEEZZNS1_14partition_implILS5_6ELb0ES3_mN6thrust23THRUST_200600_302600_NS10device_ptrIiEEPS6_SD_NS0_5tupleIJSC_S6_EEENSE_IJSD_SD_EEES6_PlJ7is_evenIiEEEE10hipError_tPvRmT3_T4_T5_T6_T7_T9_mT8_P12ihipStream_tbDpT10_ENKUlT_T0_E_clISt17integral_constantIbLb0EES13_EEDaSY_SZ_EUlSY_E_NS1_11comp_targetILNS1_3genE4ELNS1_11target_archE910ELNS1_3gpuE8ELNS1_3repE0EEENS1_30default_config_static_selectorELNS0_4arch9wavefront6targetE0EEEvT1_
; %bb.0:
	.section	.rodata,"a",@progbits
	.p2align	6, 0x0
	.amdhsa_kernel _ZN7rocprim17ROCPRIM_400000_NS6detail17trampoline_kernelINS0_14default_configENS1_25partition_config_selectorILNS1_17partition_subalgoE6EiNS0_10empty_typeEbEEZZNS1_14partition_implILS5_6ELb0ES3_mN6thrust23THRUST_200600_302600_NS10device_ptrIiEEPS6_SD_NS0_5tupleIJSC_S6_EEENSE_IJSD_SD_EEES6_PlJ7is_evenIiEEEE10hipError_tPvRmT3_T4_T5_T6_T7_T9_mT8_P12ihipStream_tbDpT10_ENKUlT_T0_E_clISt17integral_constantIbLb0EES13_EEDaSY_SZ_EUlSY_E_NS1_11comp_targetILNS1_3genE4ELNS1_11target_archE910ELNS1_3gpuE8ELNS1_3repE0EEENS1_30default_config_static_selectorELNS0_4arch9wavefront6targetE0EEEvT1_
		.amdhsa_group_segment_fixed_size 0
		.amdhsa_private_segment_fixed_size 0
		.amdhsa_kernarg_size 112
		.amdhsa_user_sgpr_count 15
		.amdhsa_user_sgpr_dispatch_ptr 0
		.amdhsa_user_sgpr_queue_ptr 0
		.amdhsa_user_sgpr_kernarg_segment_ptr 1
		.amdhsa_user_sgpr_dispatch_id 0
		.amdhsa_user_sgpr_private_segment_size 0
		.amdhsa_wavefront_size32 1
		.amdhsa_uses_dynamic_stack 0
		.amdhsa_enable_private_segment 0
		.amdhsa_system_sgpr_workgroup_id_x 1
		.amdhsa_system_sgpr_workgroup_id_y 0
		.amdhsa_system_sgpr_workgroup_id_z 0
		.amdhsa_system_sgpr_workgroup_info 0
		.amdhsa_system_vgpr_workitem_id 0
		.amdhsa_next_free_vgpr 1
		.amdhsa_next_free_sgpr 1
		.amdhsa_reserve_vcc 0
		.amdhsa_float_round_mode_32 0
		.amdhsa_float_round_mode_16_64 0
		.amdhsa_float_denorm_mode_32 3
		.amdhsa_float_denorm_mode_16_64 3
		.amdhsa_dx10_clamp 1
		.amdhsa_ieee_mode 1
		.amdhsa_fp16_overflow 0
		.amdhsa_workgroup_processor_mode 1
		.amdhsa_memory_ordered 1
		.amdhsa_forward_progress 0
		.amdhsa_shared_vgpr_count 0
		.amdhsa_exception_fp_ieee_invalid_op 0
		.amdhsa_exception_fp_denorm_src 0
		.amdhsa_exception_fp_ieee_div_zero 0
		.amdhsa_exception_fp_ieee_overflow 0
		.amdhsa_exception_fp_ieee_underflow 0
		.amdhsa_exception_fp_ieee_inexact 0
		.amdhsa_exception_int_div_zero 0
	.end_amdhsa_kernel
	.section	.text._ZN7rocprim17ROCPRIM_400000_NS6detail17trampoline_kernelINS0_14default_configENS1_25partition_config_selectorILNS1_17partition_subalgoE6EiNS0_10empty_typeEbEEZZNS1_14partition_implILS5_6ELb0ES3_mN6thrust23THRUST_200600_302600_NS10device_ptrIiEEPS6_SD_NS0_5tupleIJSC_S6_EEENSE_IJSD_SD_EEES6_PlJ7is_evenIiEEEE10hipError_tPvRmT3_T4_T5_T6_T7_T9_mT8_P12ihipStream_tbDpT10_ENKUlT_T0_E_clISt17integral_constantIbLb0EES13_EEDaSY_SZ_EUlSY_E_NS1_11comp_targetILNS1_3genE4ELNS1_11target_archE910ELNS1_3gpuE8ELNS1_3repE0EEENS1_30default_config_static_selectorELNS0_4arch9wavefront6targetE0EEEvT1_,"axG",@progbits,_ZN7rocprim17ROCPRIM_400000_NS6detail17trampoline_kernelINS0_14default_configENS1_25partition_config_selectorILNS1_17partition_subalgoE6EiNS0_10empty_typeEbEEZZNS1_14partition_implILS5_6ELb0ES3_mN6thrust23THRUST_200600_302600_NS10device_ptrIiEEPS6_SD_NS0_5tupleIJSC_S6_EEENSE_IJSD_SD_EEES6_PlJ7is_evenIiEEEE10hipError_tPvRmT3_T4_T5_T6_T7_T9_mT8_P12ihipStream_tbDpT10_ENKUlT_T0_E_clISt17integral_constantIbLb0EES13_EEDaSY_SZ_EUlSY_E_NS1_11comp_targetILNS1_3genE4ELNS1_11target_archE910ELNS1_3gpuE8ELNS1_3repE0EEENS1_30default_config_static_selectorELNS0_4arch9wavefront6targetE0EEEvT1_,comdat
.Lfunc_end898:
	.size	_ZN7rocprim17ROCPRIM_400000_NS6detail17trampoline_kernelINS0_14default_configENS1_25partition_config_selectorILNS1_17partition_subalgoE6EiNS0_10empty_typeEbEEZZNS1_14partition_implILS5_6ELb0ES3_mN6thrust23THRUST_200600_302600_NS10device_ptrIiEEPS6_SD_NS0_5tupleIJSC_S6_EEENSE_IJSD_SD_EEES6_PlJ7is_evenIiEEEE10hipError_tPvRmT3_T4_T5_T6_T7_T9_mT8_P12ihipStream_tbDpT10_ENKUlT_T0_E_clISt17integral_constantIbLb0EES13_EEDaSY_SZ_EUlSY_E_NS1_11comp_targetILNS1_3genE4ELNS1_11target_archE910ELNS1_3gpuE8ELNS1_3repE0EEENS1_30default_config_static_selectorELNS0_4arch9wavefront6targetE0EEEvT1_, .Lfunc_end898-_ZN7rocprim17ROCPRIM_400000_NS6detail17trampoline_kernelINS0_14default_configENS1_25partition_config_selectorILNS1_17partition_subalgoE6EiNS0_10empty_typeEbEEZZNS1_14partition_implILS5_6ELb0ES3_mN6thrust23THRUST_200600_302600_NS10device_ptrIiEEPS6_SD_NS0_5tupleIJSC_S6_EEENSE_IJSD_SD_EEES6_PlJ7is_evenIiEEEE10hipError_tPvRmT3_T4_T5_T6_T7_T9_mT8_P12ihipStream_tbDpT10_ENKUlT_T0_E_clISt17integral_constantIbLb0EES13_EEDaSY_SZ_EUlSY_E_NS1_11comp_targetILNS1_3genE4ELNS1_11target_archE910ELNS1_3gpuE8ELNS1_3repE0EEENS1_30default_config_static_selectorELNS0_4arch9wavefront6targetE0EEEvT1_
                                        ; -- End function
	.section	.AMDGPU.csdata,"",@progbits
; Kernel info:
; codeLenInByte = 0
; NumSgprs: 0
; NumVgprs: 0
; ScratchSize: 0
; MemoryBound: 0
; FloatMode: 240
; IeeeMode: 1
; LDSByteSize: 0 bytes/workgroup (compile time only)
; SGPRBlocks: 0
; VGPRBlocks: 0
; NumSGPRsForWavesPerEU: 1
; NumVGPRsForWavesPerEU: 1
; Occupancy: 16
; WaveLimiterHint : 0
; COMPUTE_PGM_RSRC2:SCRATCH_EN: 0
; COMPUTE_PGM_RSRC2:USER_SGPR: 15
; COMPUTE_PGM_RSRC2:TRAP_HANDLER: 0
; COMPUTE_PGM_RSRC2:TGID_X_EN: 1
; COMPUTE_PGM_RSRC2:TGID_Y_EN: 0
; COMPUTE_PGM_RSRC2:TGID_Z_EN: 0
; COMPUTE_PGM_RSRC2:TIDIG_COMP_CNT: 0
	.section	.text._ZN7rocprim17ROCPRIM_400000_NS6detail17trampoline_kernelINS0_14default_configENS1_25partition_config_selectorILNS1_17partition_subalgoE6EiNS0_10empty_typeEbEEZZNS1_14partition_implILS5_6ELb0ES3_mN6thrust23THRUST_200600_302600_NS10device_ptrIiEEPS6_SD_NS0_5tupleIJSC_S6_EEENSE_IJSD_SD_EEES6_PlJ7is_evenIiEEEE10hipError_tPvRmT3_T4_T5_T6_T7_T9_mT8_P12ihipStream_tbDpT10_ENKUlT_T0_E_clISt17integral_constantIbLb0EES13_EEDaSY_SZ_EUlSY_E_NS1_11comp_targetILNS1_3genE3ELNS1_11target_archE908ELNS1_3gpuE7ELNS1_3repE0EEENS1_30default_config_static_selectorELNS0_4arch9wavefront6targetE0EEEvT1_,"axG",@progbits,_ZN7rocprim17ROCPRIM_400000_NS6detail17trampoline_kernelINS0_14default_configENS1_25partition_config_selectorILNS1_17partition_subalgoE6EiNS0_10empty_typeEbEEZZNS1_14partition_implILS5_6ELb0ES3_mN6thrust23THRUST_200600_302600_NS10device_ptrIiEEPS6_SD_NS0_5tupleIJSC_S6_EEENSE_IJSD_SD_EEES6_PlJ7is_evenIiEEEE10hipError_tPvRmT3_T4_T5_T6_T7_T9_mT8_P12ihipStream_tbDpT10_ENKUlT_T0_E_clISt17integral_constantIbLb0EES13_EEDaSY_SZ_EUlSY_E_NS1_11comp_targetILNS1_3genE3ELNS1_11target_archE908ELNS1_3gpuE7ELNS1_3repE0EEENS1_30default_config_static_selectorELNS0_4arch9wavefront6targetE0EEEvT1_,comdat
	.protected	_ZN7rocprim17ROCPRIM_400000_NS6detail17trampoline_kernelINS0_14default_configENS1_25partition_config_selectorILNS1_17partition_subalgoE6EiNS0_10empty_typeEbEEZZNS1_14partition_implILS5_6ELb0ES3_mN6thrust23THRUST_200600_302600_NS10device_ptrIiEEPS6_SD_NS0_5tupleIJSC_S6_EEENSE_IJSD_SD_EEES6_PlJ7is_evenIiEEEE10hipError_tPvRmT3_T4_T5_T6_T7_T9_mT8_P12ihipStream_tbDpT10_ENKUlT_T0_E_clISt17integral_constantIbLb0EES13_EEDaSY_SZ_EUlSY_E_NS1_11comp_targetILNS1_3genE3ELNS1_11target_archE908ELNS1_3gpuE7ELNS1_3repE0EEENS1_30default_config_static_selectorELNS0_4arch9wavefront6targetE0EEEvT1_ ; -- Begin function _ZN7rocprim17ROCPRIM_400000_NS6detail17trampoline_kernelINS0_14default_configENS1_25partition_config_selectorILNS1_17partition_subalgoE6EiNS0_10empty_typeEbEEZZNS1_14partition_implILS5_6ELb0ES3_mN6thrust23THRUST_200600_302600_NS10device_ptrIiEEPS6_SD_NS0_5tupleIJSC_S6_EEENSE_IJSD_SD_EEES6_PlJ7is_evenIiEEEE10hipError_tPvRmT3_T4_T5_T6_T7_T9_mT8_P12ihipStream_tbDpT10_ENKUlT_T0_E_clISt17integral_constantIbLb0EES13_EEDaSY_SZ_EUlSY_E_NS1_11comp_targetILNS1_3genE3ELNS1_11target_archE908ELNS1_3gpuE7ELNS1_3repE0EEENS1_30default_config_static_selectorELNS0_4arch9wavefront6targetE0EEEvT1_
	.globl	_ZN7rocprim17ROCPRIM_400000_NS6detail17trampoline_kernelINS0_14default_configENS1_25partition_config_selectorILNS1_17partition_subalgoE6EiNS0_10empty_typeEbEEZZNS1_14partition_implILS5_6ELb0ES3_mN6thrust23THRUST_200600_302600_NS10device_ptrIiEEPS6_SD_NS0_5tupleIJSC_S6_EEENSE_IJSD_SD_EEES6_PlJ7is_evenIiEEEE10hipError_tPvRmT3_T4_T5_T6_T7_T9_mT8_P12ihipStream_tbDpT10_ENKUlT_T0_E_clISt17integral_constantIbLb0EES13_EEDaSY_SZ_EUlSY_E_NS1_11comp_targetILNS1_3genE3ELNS1_11target_archE908ELNS1_3gpuE7ELNS1_3repE0EEENS1_30default_config_static_selectorELNS0_4arch9wavefront6targetE0EEEvT1_
	.p2align	8
	.type	_ZN7rocprim17ROCPRIM_400000_NS6detail17trampoline_kernelINS0_14default_configENS1_25partition_config_selectorILNS1_17partition_subalgoE6EiNS0_10empty_typeEbEEZZNS1_14partition_implILS5_6ELb0ES3_mN6thrust23THRUST_200600_302600_NS10device_ptrIiEEPS6_SD_NS0_5tupleIJSC_S6_EEENSE_IJSD_SD_EEES6_PlJ7is_evenIiEEEE10hipError_tPvRmT3_T4_T5_T6_T7_T9_mT8_P12ihipStream_tbDpT10_ENKUlT_T0_E_clISt17integral_constantIbLb0EES13_EEDaSY_SZ_EUlSY_E_NS1_11comp_targetILNS1_3genE3ELNS1_11target_archE908ELNS1_3gpuE7ELNS1_3repE0EEENS1_30default_config_static_selectorELNS0_4arch9wavefront6targetE0EEEvT1_,@function
_ZN7rocprim17ROCPRIM_400000_NS6detail17trampoline_kernelINS0_14default_configENS1_25partition_config_selectorILNS1_17partition_subalgoE6EiNS0_10empty_typeEbEEZZNS1_14partition_implILS5_6ELb0ES3_mN6thrust23THRUST_200600_302600_NS10device_ptrIiEEPS6_SD_NS0_5tupleIJSC_S6_EEENSE_IJSD_SD_EEES6_PlJ7is_evenIiEEEE10hipError_tPvRmT3_T4_T5_T6_T7_T9_mT8_P12ihipStream_tbDpT10_ENKUlT_T0_E_clISt17integral_constantIbLb0EES13_EEDaSY_SZ_EUlSY_E_NS1_11comp_targetILNS1_3genE3ELNS1_11target_archE908ELNS1_3gpuE7ELNS1_3repE0EEENS1_30default_config_static_selectorELNS0_4arch9wavefront6targetE0EEEvT1_: ; @_ZN7rocprim17ROCPRIM_400000_NS6detail17trampoline_kernelINS0_14default_configENS1_25partition_config_selectorILNS1_17partition_subalgoE6EiNS0_10empty_typeEbEEZZNS1_14partition_implILS5_6ELb0ES3_mN6thrust23THRUST_200600_302600_NS10device_ptrIiEEPS6_SD_NS0_5tupleIJSC_S6_EEENSE_IJSD_SD_EEES6_PlJ7is_evenIiEEEE10hipError_tPvRmT3_T4_T5_T6_T7_T9_mT8_P12ihipStream_tbDpT10_ENKUlT_T0_E_clISt17integral_constantIbLb0EES13_EEDaSY_SZ_EUlSY_E_NS1_11comp_targetILNS1_3genE3ELNS1_11target_archE908ELNS1_3gpuE7ELNS1_3repE0EEENS1_30default_config_static_selectorELNS0_4arch9wavefront6targetE0EEEvT1_
; %bb.0:
	.section	.rodata,"a",@progbits
	.p2align	6, 0x0
	.amdhsa_kernel _ZN7rocprim17ROCPRIM_400000_NS6detail17trampoline_kernelINS0_14default_configENS1_25partition_config_selectorILNS1_17partition_subalgoE6EiNS0_10empty_typeEbEEZZNS1_14partition_implILS5_6ELb0ES3_mN6thrust23THRUST_200600_302600_NS10device_ptrIiEEPS6_SD_NS0_5tupleIJSC_S6_EEENSE_IJSD_SD_EEES6_PlJ7is_evenIiEEEE10hipError_tPvRmT3_T4_T5_T6_T7_T9_mT8_P12ihipStream_tbDpT10_ENKUlT_T0_E_clISt17integral_constantIbLb0EES13_EEDaSY_SZ_EUlSY_E_NS1_11comp_targetILNS1_3genE3ELNS1_11target_archE908ELNS1_3gpuE7ELNS1_3repE0EEENS1_30default_config_static_selectorELNS0_4arch9wavefront6targetE0EEEvT1_
		.amdhsa_group_segment_fixed_size 0
		.amdhsa_private_segment_fixed_size 0
		.amdhsa_kernarg_size 112
		.amdhsa_user_sgpr_count 15
		.amdhsa_user_sgpr_dispatch_ptr 0
		.amdhsa_user_sgpr_queue_ptr 0
		.amdhsa_user_sgpr_kernarg_segment_ptr 1
		.amdhsa_user_sgpr_dispatch_id 0
		.amdhsa_user_sgpr_private_segment_size 0
		.amdhsa_wavefront_size32 1
		.amdhsa_uses_dynamic_stack 0
		.amdhsa_enable_private_segment 0
		.amdhsa_system_sgpr_workgroup_id_x 1
		.amdhsa_system_sgpr_workgroup_id_y 0
		.amdhsa_system_sgpr_workgroup_id_z 0
		.amdhsa_system_sgpr_workgroup_info 0
		.amdhsa_system_vgpr_workitem_id 0
		.amdhsa_next_free_vgpr 1
		.amdhsa_next_free_sgpr 1
		.amdhsa_reserve_vcc 0
		.amdhsa_float_round_mode_32 0
		.amdhsa_float_round_mode_16_64 0
		.amdhsa_float_denorm_mode_32 3
		.amdhsa_float_denorm_mode_16_64 3
		.amdhsa_dx10_clamp 1
		.amdhsa_ieee_mode 1
		.amdhsa_fp16_overflow 0
		.amdhsa_workgroup_processor_mode 1
		.amdhsa_memory_ordered 1
		.amdhsa_forward_progress 0
		.amdhsa_shared_vgpr_count 0
		.amdhsa_exception_fp_ieee_invalid_op 0
		.amdhsa_exception_fp_denorm_src 0
		.amdhsa_exception_fp_ieee_div_zero 0
		.amdhsa_exception_fp_ieee_overflow 0
		.amdhsa_exception_fp_ieee_underflow 0
		.amdhsa_exception_fp_ieee_inexact 0
		.amdhsa_exception_int_div_zero 0
	.end_amdhsa_kernel
	.section	.text._ZN7rocprim17ROCPRIM_400000_NS6detail17trampoline_kernelINS0_14default_configENS1_25partition_config_selectorILNS1_17partition_subalgoE6EiNS0_10empty_typeEbEEZZNS1_14partition_implILS5_6ELb0ES3_mN6thrust23THRUST_200600_302600_NS10device_ptrIiEEPS6_SD_NS0_5tupleIJSC_S6_EEENSE_IJSD_SD_EEES6_PlJ7is_evenIiEEEE10hipError_tPvRmT3_T4_T5_T6_T7_T9_mT8_P12ihipStream_tbDpT10_ENKUlT_T0_E_clISt17integral_constantIbLb0EES13_EEDaSY_SZ_EUlSY_E_NS1_11comp_targetILNS1_3genE3ELNS1_11target_archE908ELNS1_3gpuE7ELNS1_3repE0EEENS1_30default_config_static_selectorELNS0_4arch9wavefront6targetE0EEEvT1_,"axG",@progbits,_ZN7rocprim17ROCPRIM_400000_NS6detail17trampoline_kernelINS0_14default_configENS1_25partition_config_selectorILNS1_17partition_subalgoE6EiNS0_10empty_typeEbEEZZNS1_14partition_implILS5_6ELb0ES3_mN6thrust23THRUST_200600_302600_NS10device_ptrIiEEPS6_SD_NS0_5tupleIJSC_S6_EEENSE_IJSD_SD_EEES6_PlJ7is_evenIiEEEE10hipError_tPvRmT3_T4_T5_T6_T7_T9_mT8_P12ihipStream_tbDpT10_ENKUlT_T0_E_clISt17integral_constantIbLb0EES13_EEDaSY_SZ_EUlSY_E_NS1_11comp_targetILNS1_3genE3ELNS1_11target_archE908ELNS1_3gpuE7ELNS1_3repE0EEENS1_30default_config_static_selectorELNS0_4arch9wavefront6targetE0EEEvT1_,comdat
.Lfunc_end899:
	.size	_ZN7rocprim17ROCPRIM_400000_NS6detail17trampoline_kernelINS0_14default_configENS1_25partition_config_selectorILNS1_17partition_subalgoE6EiNS0_10empty_typeEbEEZZNS1_14partition_implILS5_6ELb0ES3_mN6thrust23THRUST_200600_302600_NS10device_ptrIiEEPS6_SD_NS0_5tupleIJSC_S6_EEENSE_IJSD_SD_EEES6_PlJ7is_evenIiEEEE10hipError_tPvRmT3_T4_T5_T6_T7_T9_mT8_P12ihipStream_tbDpT10_ENKUlT_T0_E_clISt17integral_constantIbLb0EES13_EEDaSY_SZ_EUlSY_E_NS1_11comp_targetILNS1_3genE3ELNS1_11target_archE908ELNS1_3gpuE7ELNS1_3repE0EEENS1_30default_config_static_selectorELNS0_4arch9wavefront6targetE0EEEvT1_, .Lfunc_end899-_ZN7rocprim17ROCPRIM_400000_NS6detail17trampoline_kernelINS0_14default_configENS1_25partition_config_selectorILNS1_17partition_subalgoE6EiNS0_10empty_typeEbEEZZNS1_14partition_implILS5_6ELb0ES3_mN6thrust23THRUST_200600_302600_NS10device_ptrIiEEPS6_SD_NS0_5tupleIJSC_S6_EEENSE_IJSD_SD_EEES6_PlJ7is_evenIiEEEE10hipError_tPvRmT3_T4_T5_T6_T7_T9_mT8_P12ihipStream_tbDpT10_ENKUlT_T0_E_clISt17integral_constantIbLb0EES13_EEDaSY_SZ_EUlSY_E_NS1_11comp_targetILNS1_3genE3ELNS1_11target_archE908ELNS1_3gpuE7ELNS1_3repE0EEENS1_30default_config_static_selectorELNS0_4arch9wavefront6targetE0EEEvT1_
                                        ; -- End function
	.section	.AMDGPU.csdata,"",@progbits
; Kernel info:
; codeLenInByte = 0
; NumSgprs: 0
; NumVgprs: 0
; ScratchSize: 0
; MemoryBound: 0
; FloatMode: 240
; IeeeMode: 1
; LDSByteSize: 0 bytes/workgroup (compile time only)
; SGPRBlocks: 0
; VGPRBlocks: 0
; NumSGPRsForWavesPerEU: 1
; NumVGPRsForWavesPerEU: 1
; Occupancy: 16
; WaveLimiterHint : 0
; COMPUTE_PGM_RSRC2:SCRATCH_EN: 0
; COMPUTE_PGM_RSRC2:USER_SGPR: 15
; COMPUTE_PGM_RSRC2:TRAP_HANDLER: 0
; COMPUTE_PGM_RSRC2:TGID_X_EN: 1
; COMPUTE_PGM_RSRC2:TGID_Y_EN: 0
; COMPUTE_PGM_RSRC2:TGID_Z_EN: 0
; COMPUTE_PGM_RSRC2:TIDIG_COMP_CNT: 0
	.section	.text._ZN7rocprim17ROCPRIM_400000_NS6detail17trampoline_kernelINS0_14default_configENS1_25partition_config_selectorILNS1_17partition_subalgoE6EiNS0_10empty_typeEbEEZZNS1_14partition_implILS5_6ELb0ES3_mN6thrust23THRUST_200600_302600_NS10device_ptrIiEEPS6_SD_NS0_5tupleIJSC_S6_EEENSE_IJSD_SD_EEES6_PlJ7is_evenIiEEEE10hipError_tPvRmT3_T4_T5_T6_T7_T9_mT8_P12ihipStream_tbDpT10_ENKUlT_T0_E_clISt17integral_constantIbLb0EES13_EEDaSY_SZ_EUlSY_E_NS1_11comp_targetILNS1_3genE2ELNS1_11target_archE906ELNS1_3gpuE6ELNS1_3repE0EEENS1_30default_config_static_selectorELNS0_4arch9wavefront6targetE0EEEvT1_,"axG",@progbits,_ZN7rocprim17ROCPRIM_400000_NS6detail17trampoline_kernelINS0_14default_configENS1_25partition_config_selectorILNS1_17partition_subalgoE6EiNS0_10empty_typeEbEEZZNS1_14partition_implILS5_6ELb0ES3_mN6thrust23THRUST_200600_302600_NS10device_ptrIiEEPS6_SD_NS0_5tupleIJSC_S6_EEENSE_IJSD_SD_EEES6_PlJ7is_evenIiEEEE10hipError_tPvRmT3_T4_T5_T6_T7_T9_mT8_P12ihipStream_tbDpT10_ENKUlT_T0_E_clISt17integral_constantIbLb0EES13_EEDaSY_SZ_EUlSY_E_NS1_11comp_targetILNS1_3genE2ELNS1_11target_archE906ELNS1_3gpuE6ELNS1_3repE0EEENS1_30default_config_static_selectorELNS0_4arch9wavefront6targetE0EEEvT1_,comdat
	.protected	_ZN7rocprim17ROCPRIM_400000_NS6detail17trampoline_kernelINS0_14default_configENS1_25partition_config_selectorILNS1_17partition_subalgoE6EiNS0_10empty_typeEbEEZZNS1_14partition_implILS5_6ELb0ES3_mN6thrust23THRUST_200600_302600_NS10device_ptrIiEEPS6_SD_NS0_5tupleIJSC_S6_EEENSE_IJSD_SD_EEES6_PlJ7is_evenIiEEEE10hipError_tPvRmT3_T4_T5_T6_T7_T9_mT8_P12ihipStream_tbDpT10_ENKUlT_T0_E_clISt17integral_constantIbLb0EES13_EEDaSY_SZ_EUlSY_E_NS1_11comp_targetILNS1_3genE2ELNS1_11target_archE906ELNS1_3gpuE6ELNS1_3repE0EEENS1_30default_config_static_selectorELNS0_4arch9wavefront6targetE0EEEvT1_ ; -- Begin function _ZN7rocprim17ROCPRIM_400000_NS6detail17trampoline_kernelINS0_14default_configENS1_25partition_config_selectorILNS1_17partition_subalgoE6EiNS0_10empty_typeEbEEZZNS1_14partition_implILS5_6ELb0ES3_mN6thrust23THRUST_200600_302600_NS10device_ptrIiEEPS6_SD_NS0_5tupleIJSC_S6_EEENSE_IJSD_SD_EEES6_PlJ7is_evenIiEEEE10hipError_tPvRmT3_T4_T5_T6_T7_T9_mT8_P12ihipStream_tbDpT10_ENKUlT_T0_E_clISt17integral_constantIbLb0EES13_EEDaSY_SZ_EUlSY_E_NS1_11comp_targetILNS1_3genE2ELNS1_11target_archE906ELNS1_3gpuE6ELNS1_3repE0EEENS1_30default_config_static_selectorELNS0_4arch9wavefront6targetE0EEEvT1_
	.globl	_ZN7rocprim17ROCPRIM_400000_NS6detail17trampoline_kernelINS0_14default_configENS1_25partition_config_selectorILNS1_17partition_subalgoE6EiNS0_10empty_typeEbEEZZNS1_14partition_implILS5_6ELb0ES3_mN6thrust23THRUST_200600_302600_NS10device_ptrIiEEPS6_SD_NS0_5tupleIJSC_S6_EEENSE_IJSD_SD_EEES6_PlJ7is_evenIiEEEE10hipError_tPvRmT3_T4_T5_T6_T7_T9_mT8_P12ihipStream_tbDpT10_ENKUlT_T0_E_clISt17integral_constantIbLb0EES13_EEDaSY_SZ_EUlSY_E_NS1_11comp_targetILNS1_3genE2ELNS1_11target_archE906ELNS1_3gpuE6ELNS1_3repE0EEENS1_30default_config_static_selectorELNS0_4arch9wavefront6targetE0EEEvT1_
	.p2align	8
	.type	_ZN7rocprim17ROCPRIM_400000_NS6detail17trampoline_kernelINS0_14default_configENS1_25partition_config_selectorILNS1_17partition_subalgoE6EiNS0_10empty_typeEbEEZZNS1_14partition_implILS5_6ELb0ES3_mN6thrust23THRUST_200600_302600_NS10device_ptrIiEEPS6_SD_NS0_5tupleIJSC_S6_EEENSE_IJSD_SD_EEES6_PlJ7is_evenIiEEEE10hipError_tPvRmT3_T4_T5_T6_T7_T9_mT8_P12ihipStream_tbDpT10_ENKUlT_T0_E_clISt17integral_constantIbLb0EES13_EEDaSY_SZ_EUlSY_E_NS1_11comp_targetILNS1_3genE2ELNS1_11target_archE906ELNS1_3gpuE6ELNS1_3repE0EEENS1_30default_config_static_selectorELNS0_4arch9wavefront6targetE0EEEvT1_,@function
_ZN7rocprim17ROCPRIM_400000_NS6detail17trampoline_kernelINS0_14default_configENS1_25partition_config_selectorILNS1_17partition_subalgoE6EiNS0_10empty_typeEbEEZZNS1_14partition_implILS5_6ELb0ES3_mN6thrust23THRUST_200600_302600_NS10device_ptrIiEEPS6_SD_NS0_5tupleIJSC_S6_EEENSE_IJSD_SD_EEES6_PlJ7is_evenIiEEEE10hipError_tPvRmT3_T4_T5_T6_T7_T9_mT8_P12ihipStream_tbDpT10_ENKUlT_T0_E_clISt17integral_constantIbLb0EES13_EEDaSY_SZ_EUlSY_E_NS1_11comp_targetILNS1_3genE2ELNS1_11target_archE906ELNS1_3gpuE6ELNS1_3repE0EEENS1_30default_config_static_selectorELNS0_4arch9wavefront6targetE0EEEvT1_: ; @_ZN7rocprim17ROCPRIM_400000_NS6detail17trampoline_kernelINS0_14default_configENS1_25partition_config_selectorILNS1_17partition_subalgoE6EiNS0_10empty_typeEbEEZZNS1_14partition_implILS5_6ELb0ES3_mN6thrust23THRUST_200600_302600_NS10device_ptrIiEEPS6_SD_NS0_5tupleIJSC_S6_EEENSE_IJSD_SD_EEES6_PlJ7is_evenIiEEEE10hipError_tPvRmT3_T4_T5_T6_T7_T9_mT8_P12ihipStream_tbDpT10_ENKUlT_T0_E_clISt17integral_constantIbLb0EES13_EEDaSY_SZ_EUlSY_E_NS1_11comp_targetILNS1_3genE2ELNS1_11target_archE906ELNS1_3gpuE6ELNS1_3repE0EEENS1_30default_config_static_selectorELNS0_4arch9wavefront6targetE0EEEvT1_
; %bb.0:
	.section	.rodata,"a",@progbits
	.p2align	6, 0x0
	.amdhsa_kernel _ZN7rocprim17ROCPRIM_400000_NS6detail17trampoline_kernelINS0_14default_configENS1_25partition_config_selectorILNS1_17partition_subalgoE6EiNS0_10empty_typeEbEEZZNS1_14partition_implILS5_6ELb0ES3_mN6thrust23THRUST_200600_302600_NS10device_ptrIiEEPS6_SD_NS0_5tupleIJSC_S6_EEENSE_IJSD_SD_EEES6_PlJ7is_evenIiEEEE10hipError_tPvRmT3_T4_T5_T6_T7_T9_mT8_P12ihipStream_tbDpT10_ENKUlT_T0_E_clISt17integral_constantIbLb0EES13_EEDaSY_SZ_EUlSY_E_NS1_11comp_targetILNS1_3genE2ELNS1_11target_archE906ELNS1_3gpuE6ELNS1_3repE0EEENS1_30default_config_static_selectorELNS0_4arch9wavefront6targetE0EEEvT1_
		.amdhsa_group_segment_fixed_size 0
		.amdhsa_private_segment_fixed_size 0
		.amdhsa_kernarg_size 112
		.amdhsa_user_sgpr_count 15
		.amdhsa_user_sgpr_dispatch_ptr 0
		.amdhsa_user_sgpr_queue_ptr 0
		.amdhsa_user_sgpr_kernarg_segment_ptr 1
		.amdhsa_user_sgpr_dispatch_id 0
		.amdhsa_user_sgpr_private_segment_size 0
		.amdhsa_wavefront_size32 1
		.amdhsa_uses_dynamic_stack 0
		.amdhsa_enable_private_segment 0
		.amdhsa_system_sgpr_workgroup_id_x 1
		.amdhsa_system_sgpr_workgroup_id_y 0
		.amdhsa_system_sgpr_workgroup_id_z 0
		.amdhsa_system_sgpr_workgroup_info 0
		.amdhsa_system_vgpr_workitem_id 0
		.amdhsa_next_free_vgpr 1
		.amdhsa_next_free_sgpr 1
		.amdhsa_reserve_vcc 0
		.amdhsa_float_round_mode_32 0
		.amdhsa_float_round_mode_16_64 0
		.amdhsa_float_denorm_mode_32 3
		.amdhsa_float_denorm_mode_16_64 3
		.amdhsa_dx10_clamp 1
		.amdhsa_ieee_mode 1
		.amdhsa_fp16_overflow 0
		.amdhsa_workgroup_processor_mode 1
		.amdhsa_memory_ordered 1
		.amdhsa_forward_progress 0
		.amdhsa_shared_vgpr_count 0
		.amdhsa_exception_fp_ieee_invalid_op 0
		.amdhsa_exception_fp_denorm_src 0
		.amdhsa_exception_fp_ieee_div_zero 0
		.amdhsa_exception_fp_ieee_overflow 0
		.amdhsa_exception_fp_ieee_underflow 0
		.amdhsa_exception_fp_ieee_inexact 0
		.amdhsa_exception_int_div_zero 0
	.end_amdhsa_kernel
	.section	.text._ZN7rocprim17ROCPRIM_400000_NS6detail17trampoline_kernelINS0_14default_configENS1_25partition_config_selectorILNS1_17partition_subalgoE6EiNS0_10empty_typeEbEEZZNS1_14partition_implILS5_6ELb0ES3_mN6thrust23THRUST_200600_302600_NS10device_ptrIiEEPS6_SD_NS0_5tupleIJSC_S6_EEENSE_IJSD_SD_EEES6_PlJ7is_evenIiEEEE10hipError_tPvRmT3_T4_T5_T6_T7_T9_mT8_P12ihipStream_tbDpT10_ENKUlT_T0_E_clISt17integral_constantIbLb0EES13_EEDaSY_SZ_EUlSY_E_NS1_11comp_targetILNS1_3genE2ELNS1_11target_archE906ELNS1_3gpuE6ELNS1_3repE0EEENS1_30default_config_static_selectorELNS0_4arch9wavefront6targetE0EEEvT1_,"axG",@progbits,_ZN7rocprim17ROCPRIM_400000_NS6detail17trampoline_kernelINS0_14default_configENS1_25partition_config_selectorILNS1_17partition_subalgoE6EiNS0_10empty_typeEbEEZZNS1_14partition_implILS5_6ELb0ES3_mN6thrust23THRUST_200600_302600_NS10device_ptrIiEEPS6_SD_NS0_5tupleIJSC_S6_EEENSE_IJSD_SD_EEES6_PlJ7is_evenIiEEEE10hipError_tPvRmT3_T4_T5_T6_T7_T9_mT8_P12ihipStream_tbDpT10_ENKUlT_T0_E_clISt17integral_constantIbLb0EES13_EEDaSY_SZ_EUlSY_E_NS1_11comp_targetILNS1_3genE2ELNS1_11target_archE906ELNS1_3gpuE6ELNS1_3repE0EEENS1_30default_config_static_selectorELNS0_4arch9wavefront6targetE0EEEvT1_,comdat
.Lfunc_end900:
	.size	_ZN7rocprim17ROCPRIM_400000_NS6detail17trampoline_kernelINS0_14default_configENS1_25partition_config_selectorILNS1_17partition_subalgoE6EiNS0_10empty_typeEbEEZZNS1_14partition_implILS5_6ELb0ES3_mN6thrust23THRUST_200600_302600_NS10device_ptrIiEEPS6_SD_NS0_5tupleIJSC_S6_EEENSE_IJSD_SD_EEES6_PlJ7is_evenIiEEEE10hipError_tPvRmT3_T4_T5_T6_T7_T9_mT8_P12ihipStream_tbDpT10_ENKUlT_T0_E_clISt17integral_constantIbLb0EES13_EEDaSY_SZ_EUlSY_E_NS1_11comp_targetILNS1_3genE2ELNS1_11target_archE906ELNS1_3gpuE6ELNS1_3repE0EEENS1_30default_config_static_selectorELNS0_4arch9wavefront6targetE0EEEvT1_, .Lfunc_end900-_ZN7rocprim17ROCPRIM_400000_NS6detail17trampoline_kernelINS0_14default_configENS1_25partition_config_selectorILNS1_17partition_subalgoE6EiNS0_10empty_typeEbEEZZNS1_14partition_implILS5_6ELb0ES3_mN6thrust23THRUST_200600_302600_NS10device_ptrIiEEPS6_SD_NS0_5tupleIJSC_S6_EEENSE_IJSD_SD_EEES6_PlJ7is_evenIiEEEE10hipError_tPvRmT3_T4_T5_T6_T7_T9_mT8_P12ihipStream_tbDpT10_ENKUlT_T0_E_clISt17integral_constantIbLb0EES13_EEDaSY_SZ_EUlSY_E_NS1_11comp_targetILNS1_3genE2ELNS1_11target_archE906ELNS1_3gpuE6ELNS1_3repE0EEENS1_30default_config_static_selectorELNS0_4arch9wavefront6targetE0EEEvT1_
                                        ; -- End function
	.section	.AMDGPU.csdata,"",@progbits
; Kernel info:
; codeLenInByte = 0
; NumSgprs: 0
; NumVgprs: 0
; ScratchSize: 0
; MemoryBound: 0
; FloatMode: 240
; IeeeMode: 1
; LDSByteSize: 0 bytes/workgroup (compile time only)
; SGPRBlocks: 0
; VGPRBlocks: 0
; NumSGPRsForWavesPerEU: 1
; NumVGPRsForWavesPerEU: 1
; Occupancy: 15
; WaveLimiterHint : 0
; COMPUTE_PGM_RSRC2:SCRATCH_EN: 0
; COMPUTE_PGM_RSRC2:USER_SGPR: 15
; COMPUTE_PGM_RSRC2:TRAP_HANDLER: 0
; COMPUTE_PGM_RSRC2:TGID_X_EN: 1
; COMPUTE_PGM_RSRC2:TGID_Y_EN: 0
; COMPUTE_PGM_RSRC2:TGID_Z_EN: 0
; COMPUTE_PGM_RSRC2:TIDIG_COMP_CNT: 0
	.section	.text._ZN7rocprim17ROCPRIM_400000_NS6detail17trampoline_kernelINS0_14default_configENS1_25partition_config_selectorILNS1_17partition_subalgoE6EiNS0_10empty_typeEbEEZZNS1_14partition_implILS5_6ELb0ES3_mN6thrust23THRUST_200600_302600_NS10device_ptrIiEEPS6_SD_NS0_5tupleIJSC_S6_EEENSE_IJSD_SD_EEES6_PlJ7is_evenIiEEEE10hipError_tPvRmT3_T4_T5_T6_T7_T9_mT8_P12ihipStream_tbDpT10_ENKUlT_T0_E_clISt17integral_constantIbLb0EES13_EEDaSY_SZ_EUlSY_E_NS1_11comp_targetILNS1_3genE10ELNS1_11target_archE1200ELNS1_3gpuE4ELNS1_3repE0EEENS1_30default_config_static_selectorELNS0_4arch9wavefront6targetE0EEEvT1_,"axG",@progbits,_ZN7rocprim17ROCPRIM_400000_NS6detail17trampoline_kernelINS0_14default_configENS1_25partition_config_selectorILNS1_17partition_subalgoE6EiNS0_10empty_typeEbEEZZNS1_14partition_implILS5_6ELb0ES3_mN6thrust23THRUST_200600_302600_NS10device_ptrIiEEPS6_SD_NS0_5tupleIJSC_S6_EEENSE_IJSD_SD_EEES6_PlJ7is_evenIiEEEE10hipError_tPvRmT3_T4_T5_T6_T7_T9_mT8_P12ihipStream_tbDpT10_ENKUlT_T0_E_clISt17integral_constantIbLb0EES13_EEDaSY_SZ_EUlSY_E_NS1_11comp_targetILNS1_3genE10ELNS1_11target_archE1200ELNS1_3gpuE4ELNS1_3repE0EEENS1_30default_config_static_selectorELNS0_4arch9wavefront6targetE0EEEvT1_,comdat
	.protected	_ZN7rocprim17ROCPRIM_400000_NS6detail17trampoline_kernelINS0_14default_configENS1_25partition_config_selectorILNS1_17partition_subalgoE6EiNS0_10empty_typeEbEEZZNS1_14partition_implILS5_6ELb0ES3_mN6thrust23THRUST_200600_302600_NS10device_ptrIiEEPS6_SD_NS0_5tupleIJSC_S6_EEENSE_IJSD_SD_EEES6_PlJ7is_evenIiEEEE10hipError_tPvRmT3_T4_T5_T6_T7_T9_mT8_P12ihipStream_tbDpT10_ENKUlT_T0_E_clISt17integral_constantIbLb0EES13_EEDaSY_SZ_EUlSY_E_NS1_11comp_targetILNS1_3genE10ELNS1_11target_archE1200ELNS1_3gpuE4ELNS1_3repE0EEENS1_30default_config_static_selectorELNS0_4arch9wavefront6targetE0EEEvT1_ ; -- Begin function _ZN7rocprim17ROCPRIM_400000_NS6detail17trampoline_kernelINS0_14default_configENS1_25partition_config_selectorILNS1_17partition_subalgoE6EiNS0_10empty_typeEbEEZZNS1_14partition_implILS5_6ELb0ES3_mN6thrust23THRUST_200600_302600_NS10device_ptrIiEEPS6_SD_NS0_5tupleIJSC_S6_EEENSE_IJSD_SD_EEES6_PlJ7is_evenIiEEEE10hipError_tPvRmT3_T4_T5_T6_T7_T9_mT8_P12ihipStream_tbDpT10_ENKUlT_T0_E_clISt17integral_constantIbLb0EES13_EEDaSY_SZ_EUlSY_E_NS1_11comp_targetILNS1_3genE10ELNS1_11target_archE1200ELNS1_3gpuE4ELNS1_3repE0EEENS1_30default_config_static_selectorELNS0_4arch9wavefront6targetE0EEEvT1_
	.globl	_ZN7rocprim17ROCPRIM_400000_NS6detail17trampoline_kernelINS0_14default_configENS1_25partition_config_selectorILNS1_17partition_subalgoE6EiNS0_10empty_typeEbEEZZNS1_14partition_implILS5_6ELb0ES3_mN6thrust23THRUST_200600_302600_NS10device_ptrIiEEPS6_SD_NS0_5tupleIJSC_S6_EEENSE_IJSD_SD_EEES6_PlJ7is_evenIiEEEE10hipError_tPvRmT3_T4_T5_T6_T7_T9_mT8_P12ihipStream_tbDpT10_ENKUlT_T0_E_clISt17integral_constantIbLb0EES13_EEDaSY_SZ_EUlSY_E_NS1_11comp_targetILNS1_3genE10ELNS1_11target_archE1200ELNS1_3gpuE4ELNS1_3repE0EEENS1_30default_config_static_selectorELNS0_4arch9wavefront6targetE0EEEvT1_
	.p2align	8
	.type	_ZN7rocprim17ROCPRIM_400000_NS6detail17trampoline_kernelINS0_14default_configENS1_25partition_config_selectorILNS1_17partition_subalgoE6EiNS0_10empty_typeEbEEZZNS1_14partition_implILS5_6ELb0ES3_mN6thrust23THRUST_200600_302600_NS10device_ptrIiEEPS6_SD_NS0_5tupleIJSC_S6_EEENSE_IJSD_SD_EEES6_PlJ7is_evenIiEEEE10hipError_tPvRmT3_T4_T5_T6_T7_T9_mT8_P12ihipStream_tbDpT10_ENKUlT_T0_E_clISt17integral_constantIbLb0EES13_EEDaSY_SZ_EUlSY_E_NS1_11comp_targetILNS1_3genE10ELNS1_11target_archE1200ELNS1_3gpuE4ELNS1_3repE0EEENS1_30default_config_static_selectorELNS0_4arch9wavefront6targetE0EEEvT1_,@function
_ZN7rocprim17ROCPRIM_400000_NS6detail17trampoline_kernelINS0_14default_configENS1_25partition_config_selectorILNS1_17partition_subalgoE6EiNS0_10empty_typeEbEEZZNS1_14partition_implILS5_6ELb0ES3_mN6thrust23THRUST_200600_302600_NS10device_ptrIiEEPS6_SD_NS0_5tupleIJSC_S6_EEENSE_IJSD_SD_EEES6_PlJ7is_evenIiEEEE10hipError_tPvRmT3_T4_T5_T6_T7_T9_mT8_P12ihipStream_tbDpT10_ENKUlT_T0_E_clISt17integral_constantIbLb0EES13_EEDaSY_SZ_EUlSY_E_NS1_11comp_targetILNS1_3genE10ELNS1_11target_archE1200ELNS1_3gpuE4ELNS1_3repE0EEENS1_30default_config_static_selectorELNS0_4arch9wavefront6targetE0EEEvT1_: ; @_ZN7rocprim17ROCPRIM_400000_NS6detail17trampoline_kernelINS0_14default_configENS1_25partition_config_selectorILNS1_17partition_subalgoE6EiNS0_10empty_typeEbEEZZNS1_14partition_implILS5_6ELb0ES3_mN6thrust23THRUST_200600_302600_NS10device_ptrIiEEPS6_SD_NS0_5tupleIJSC_S6_EEENSE_IJSD_SD_EEES6_PlJ7is_evenIiEEEE10hipError_tPvRmT3_T4_T5_T6_T7_T9_mT8_P12ihipStream_tbDpT10_ENKUlT_T0_E_clISt17integral_constantIbLb0EES13_EEDaSY_SZ_EUlSY_E_NS1_11comp_targetILNS1_3genE10ELNS1_11target_archE1200ELNS1_3gpuE4ELNS1_3repE0EEENS1_30default_config_static_selectorELNS0_4arch9wavefront6targetE0EEEvT1_
; %bb.0:
	.section	.rodata,"a",@progbits
	.p2align	6, 0x0
	.amdhsa_kernel _ZN7rocprim17ROCPRIM_400000_NS6detail17trampoline_kernelINS0_14default_configENS1_25partition_config_selectorILNS1_17partition_subalgoE6EiNS0_10empty_typeEbEEZZNS1_14partition_implILS5_6ELb0ES3_mN6thrust23THRUST_200600_302600_NS10device_ptrIiEEPS6_SD_NS0_5tupleIJSC_S6_EEENSE_IJSD_SD_EEES6_PlJ7is_evenIiEEEE10hipError_tPvRmT3_T4_T5_T6_T7_T9_mT8_P12ihipStream_tbDpT10_ENKUlT_T0_E_clISt17integral_constantIbLb0EES13_EEDaSY_SZ_EUlSY_E_NS1_11comp_targetILNS1_3genE10ELNS1_11target_archE1200ELNS1_3gpuE4ELNS1_3repE0EEENS1_30default_config_static_selectorELNS0_4arch9wavefront6targetE0EEEvT1_
		.amdhsa_group_segment_fixed_size 0
		.amdhsa_private_segment_fixed_size 0
		.amdhsa_kernarg_size 112
		.amdhsa_user_sgpr_count 15
		.amdhsa_user_sgpr_dispatch_ptr 0
		.amdhsa_user_sgpr_queue_ptr 0
		.amdhsa_user_sgpr_kernarg_segment_ptr 1
		.amdhsa_user_sgpr_dispatch_id 0
		.amdhsa_user_sgpr_private_segment_size 0
		.amdhsa_wavefront_size32 1
		.amdhsa_uses_dynamic_stack 0
		.amdhsa_enable_private_segment 0
		.amdhsa_system_sgpr_workgroup_id_x 1
		.amdhsa_system_sgpr_workgroup_id_y 0
		.amdhsa_system_sgpr_workgroup_id_z 0
		.amdhsa_system_sgpr_workgroup_info 0
		.amdhsa_system_vgpr_workitem_id 0
		.amdhsa_next_free_vgpr 1
		.amdhsa_next_free_sgpr 1
		.amdhsa_reserve_vcc 0
		.amdhsa_float_round_mode_32 0
		.amdhsa_float_round_mode_16_64 0
		.amdhsa_float_denorm_mode_32 3
		.amdhsa_float_denorm_mode_16_64 3
		.amdhsa_dx10_clamp 1
		.amdhsa_ieee_mode 1
		.amdhsa_fp16_overflow 0
		.amdhsa_workgroup_processor_mode 1
		.amdhsa_memory_ordered 1
		.amdhsa_forward_progress 0
		.amdhsa_shared_vgpr_count 0
		.amdhsa_exception_fp_ieee_invalid_op 0
		.amdhsa_exception_fp_denorm_src 0
		.amdhsa_exception_fp_ieee_div_zero 0
		.amdhsa_exception_fp_ieee_overflow 0
		.amdhsa_exception_fp_ieee_underflow 0
		.amdhsa_exception_fp_ieee_inexact 0
		.amdhsa_exception_int_div_zero 0
	.end_amdhsa_kernel
	.section	.text._ZN7rocprim17ROCPRIM_400000_NS6detail17trampoline_kernelINS0_14default_configENS1_25partition_config_selectorILNS1_17partition_subalgoE6EiNS0_10empty_typeEbEEZZNS1_14partition_implILS5_6ELb0ES3_mN6thrust23THRUST_200600_302600_NS10device_ptrIiEEPS6_SD_NS0_5tupleIJSC_S6_EEENSE_IJSD_SD_EEES6_PlJ7is_evenIiEEEE10hipError_tPvRmT3_T4_T5_T6_T7_T9_mT8_P12ihipStream_tbDpT10_ENKUlT_T0_E_clISt17integral_constantIbLb0EES13_EEDaSY_SZ_EUlSY_E_NS1_11comp_targetILNS1_3genE10ELNS1_11target_archE1200ELNS1_3gpuE4ELNS1_3repE0EEENS1_30default_config_static_selectorELNS0_4arch9wavefront6targetE0EEEvT1_,"axG",@progbits,_ZN7rocprim17ROCPRIM_400000_NS6detail17trampoline_kernelINS0_14default_configENS1_25partition_config_selectorILNS1_17partition_subalgoE6EiNS0_10empty_typeEbEEZZNS1_14partition_implILS5_6ELb0ES3_mN6thrust23THRUST_200600_302600_NS10device_ptrIiEEPS6_SD_NS0_5tupleIJSC_S6_EEENSE_IJSD_SD_EEES6_PlJ7is_evenIiEEEE10hipError_tPvRmT3_T4_T5_T6_T7_T9_mT8_P12ihipStream_tbDpT10_ENKUlT_T0_E_clISt17integral_constantIbLb0EES13_EEDaSY_SZ_EUlSY_E_NS1_11comp_targetILNS1_3genE10ELNS1_11target_archE1200ELNS1_3gpuE4ELNS1_3repE0EEENS1_30default_config_static_selectorELNS0_4arch9wavefront6targetE0EEEvT1_,comdat
.Lfunc_end901:
	.size	_ZN7rocprim17ROCPRIM_400000_NS6detail17trampoline_kernelINS0_14default_configENS1_25partition_config_selectorILNS1_17partition_subalgoE6EiNS0_10empty_typeEbEEZZNS1_14partition_implILS5_6ELb0ES3_mN6thrust23THRUST_200600_302600_NS10device_ptrIiEEPS6_SD_NS0_5tupleIJSC_S6_EEENSE_IJSD_SD_EEES6_PlJ7is_evenIiEEEE10hipError_tPvRmT3_T4_T5_T6_T7_T9_mT8_P12ihipStream_tbDpT10_ENKUlT_T0_E_clISt17integral_constantIbLb0EES13_EEDaSY_SZ_EUlSY_E_NS1_11comp_targetILNS1_3genE10ELNS1_11target_archE1200ELNS1_3gpuE4ELNS1_3repE0EEENS1_30default_config_static_selectorELNS0_4arch9wavefront6targetE0EEEvT1_, .Lfunc_end901-_ZN7rocprim17ROCPRIM_400000_NS6detail17trampoline_kernelINS0_14default_configENS1_25partition_config_selectorILNS1_17partition_subalgoE6EiNS0_10empty_typeEbEEZZNS1_14partition_implILS5_6ELb0ES3_mN6thrust23THRUST_200600_302600_NS10device_ptrIiEEPS6_SD_NS0_5tupleIJSC_S6_EEENSE_IJSD_SD_EEES6_PlJ7is_evenIiEEEE10hipError_tPvRmT3_T4_T5_T6_T7_T9_mT8_P12ihipStream_tbDpT10_ENKUlT_T0_E_clISt17integral_constantIbLb0EES13_EEDaSY_SZ_EUlSY_E_NS1_11comp_targetILNS1_3genE10ELNS1_11target_archE1200ELNS1_3gpuE4ELNS1_3repE0EEENS1_30default_config_static_selectorELNS0_4arch9wavefront6targetE0EEEvT1_
                                        ; -- End function
	.section	.AMDGPU.csdata,"",@progbits
; Kernel info:
; codeLenInByte = 0
; NumSgprs: 0
; NumVgprs: 0
; ScratchSize: 0
; MemoryBound: 0
; FloatMode: 240
; IeeeMode: 1
; LDSByteSize: 0 bytes/workgroup (compile time only)
; SGPRBlocks: 0
; VGPRBlocks: 0
; NumSGPRsForWavesPerEU: 1
; NumVGPRsForWavesPerEU: 1
; Occupancy: 15
; WaveLimiterHint : 0
; COMPUTE_PGM_RSRC2:SCRATCH_EN: 0
; COMPUTE_PGM_RSRC2:USER_SGPR: 15
; COMPUTE_PGM_RSRC2:TRAP_HANDLER: 0
; COMPUTE_PGM_RSRC2:TGID_X_EN: 1
; COMPUTE_PGM_RSRC2:TGID_Y_EN: 0
; COMPUTE_PGM_RSRC2:TGID_Z_EN: 0
; COMPUTE_PGM_RSRC2:TIDIG_COMP_CNT: 0
	.section	.text._ZN7rocprim17ROCPRIM_400000_NS6detail17trampoline_kernelINS0_14default_configENS1_25partition_config_selectorILNS1_17partition_subalgoE6EiNS0_10empty_typeEbEEZZNS1_14partition_implILS5_6ELb0ES3_mN6thrust23THRUST_200600_302600_NS10device_ptrIiEEPS6_SD_NS0_5tupleIJSC_S6_EEENSE_IJSD_SD_EEES6_PlJ7is_evenIiEEEE10hipError_tPvRmT3_T4_T5_T6_T7_T9_mT8_P12ihipStream_tbDpT10_ENKUlT_T0_E_clISt17integral_constantIbLb0EES13_EEDaSY_SZ_EUlSY_E_NS1_11comp_targetILNS1_3genE9ELNS1_11target_archE1100ELNS1_3gpuE3ELNS1_3repE0EEENS1_30default_config_static_selectorELNS0_4arch9wavefront6targetE0EEEvT1_,"axG",@progbits,_ZN7rocprim17ROCPRIM_400000_NS6detail17trampoline_kernelINS0_14default_configENS1_25partition_config_selectorILNS1_17partition_subalgoE6EiNS0_10empty_typeEbEEZZNS1_14partition_implILS5_6ELb0ES3_mN6thrust23THRUST_200600_302600_NS10device_ptrIiEEPS6_SD_NS0_5tupleIJSC_S6_EEENSE_IJSD_SD_EEES6_PlJ7is_evenIiEEEE10hipError_tPvRmT3_T4_T5_T6_T7_T9_mT8_P12ihipStream_tbDpT10_ENKUlT_T0_E_clISt17integral_constantIbLb0EES13_EEDaSY_SZ_EUlSY_E_NS1_11comp_targetILNS1_3genE9ELNS1_11target_archE1100ELNS1_3gpuE3ELNS1_3repE0EEENS1_30default_config_static_selectorELNS0_4arch9wavefront6targetE0EEEvT1_,comdat
	.protected	_ZN7rocprim17ROCPRIM_400000_NS6detail17trampoline_kernelINS0_14default_configENS1_25partition_config_selectorILNS1_17partition_subalgoE6EiNS0_10empty_typeEbEEZZNS1_14partition_implILS5_6ELb0ES3_mN6thrust23THRUST_200600_302600_NS10device_ptrIiEEPS6_SD_NS0_5tupleIJSC_S6_EEENSE_IJSD_SD_EEES6_PlJ7is_evenIiEEEE10hipError_tPvRmT3_T4_T5_T6_T7_T9_mT8_P12ihipStream_tbDpT10_ENKUlT_T0_E_clISt17integral_constantIbLb0EES13_EEDaSY_SZ_EUlSY_E_NS1_11comp_targetILNS1_3genE9ELNS1_11target_archE1100ELNS1_3gpuE3ELNS1_3repE0EEENS1_30default_config_static_selectorELNS0_4arch9wavefront6targetE0EEEvT1_ ; -- Begin function _ZN7rocprim17ROCPRIM_400000_NS6detail17trampoline_kernelINS0_14default_configENS1_25partition_config_selectorILNS1_17partition_subalgoE6EiNS0_10empty_typeEbEEZZNS1_14partition_implILS5_6ELb0ES3_mN6thrust23THRUST_200600_302600_NS10device_ptrIiEEPS6_SD_NS0_5tupleIJSC_S6_EEENSE_IJSD_SD_EEES6_PlJ7is_evenIiEEEE10hipError_tPvRmT3_T4_T5_T6_T7_T9_mT8_P12ihipStream_tbDpT10_ENKUlT_T0_E_clISt17integral_constantIbLb0EES13_EEDaSY_SZ_EUlSY_E_NS1_11comp_targetILNS1_3genE9ELNS1_11target_archE1100ELNS1_3gpuE3ELNS1_3repE0EEENS1_30default_config_static_selectorELNS0_4arch9wavefront6targetE0EEEvT1_
	.globl	_ZN7rocprim17ROCPRIM_400000_NS6detail17trampoline_kernelINS0_14default_configENS1_25partition_config_selectorILNS1_17partition_subalgoE6EiNS0_10empty_typeEbEEZZNS1_14partition_implILS5_6ELb0ES3_mN6thrust23THRUST_200600_302600_NS10device_ptrIiEEPS6_SD_NS0_5tupleIJSC_S6_EEENSE_IJSD_SD_EEES6_PlJ7is_evenIiEEEE10hipError_tPvRmT3_T4_T5_T6_T7_T9_mT8_P12ihipStream_tbDpT10_ENKUlT_T0_E_clISt17integral_constantIbLb0EES13_EEDaSY_SZ_EUlSY_E_NS1_11comp_targetILNS1_3genE9ELNS1_11target_archE1100ELNS1_3gpuE3ELNS1_3repE0EEENS1_30default_config_static_selectorELNS0_4arch9wavefront6targetE0EEEvT1_
	.p2align	8
	.type	_ZN7rocprim17ROCPRIM_400000_NS6detail17trampoline_kernelINS0_14default_configENS1_25partition_config_selectorILNS1_17partition_subalgoE6EiNS0_10empty_typeEbEEZZNS1_14partition_implILS5_6ELb0ES3_mN6thrust23THRUST_200600_302600_NS10device_ptrIiEEPS6_SD_NS0_5tupleIJSC_S6_EEENSE_IJSD_SD_EEES6_PlJ7is_evenIiEEEE10hipError_tPvRmT3_T4_T5_T6_T7_T9_mT8_P12ihipStream_tbDpT10_ENKUlT_T0_E_clISt17integral_constantIbLb0EES13_EEDaSY_SZ_EUlSY_E_NS1_11comp_targetILNS1_3genE9ELNS1_11target_archE1100ELNS1_3gpuE3ELNS1_3repE0EEENS1_30default_config_static_selectorELNS0_4arch9wavefront6targetE0EEEvT1_,@function
_ZN7rocprim17ROCPRIM_400000_NS6detail17trampoline_kernelINS0_14default_configENS1_25partition_config_selectorILNS1_17partition_subalgoE6EiNS0_10empty_typeEbEEZZNS1_14partition_implILS5_6ELb0ES3_mN6thrust23THRUST_200600_302600_NS10device_ptrIiEEPS6_SD_NS0_5tupleIJSC_S6_EEENSE_IJSD_SD_EEES6_PlJ7is_evenIiEEEE10hipError_tPvRmT3_T4_T5_T6_T7_T9_mT8_P12ihipStream_tbDpT10_ENKUlT_T0_E_clISt17integral_constantIbLb0EES13_EEDaSY_SZ_EUlSY_E_NS1_11comp_targetILNS1_3genE9ELNS1_11target_archE1100ELNS1_3gpuE3ELNS1_3repE0EEENS1_30default_config_static_selectorELNS0_4arch9wavefront6targetE0EEEvT1_: ; @_ZN7rocprim17ROCPRIM_400000_NS6detail17trampoline_kernelINS0_14default_configENS1_25partition_config_selectorILNS1_17partition_subalgoE6EiNS0_10empty_typeEbEEZZNS1_14partition_implILS5_6ELb0ES3_mN6thrust23THRUST_200600_302600_NS10device_ptrIiEEPS6_SD_NS0_5tupleIJSC_S6_EEENSE_IJSD_SD_EEES6_PlJ7is_evenIiEEEE10hipError_tPvRmT3_T4_T5_T6_T7_T9_mT8_P12ihipStream_tbDpT10_ENKUlT_T0_E_clISt17integral_constantIbLb0EES13_EEDaSY_SZ_EUlSY_E_NS1_11comp_targetILNS1_3genE9ELNS1_11target_archE1100ELNS1_3gpuE3ELNS1_3repE0EEENS1_30default_config_static_selectorELNS0_4arch9wavefront6targetE0EEEvT1_
; %bb.0:
	s_clause 0x3
	s_load_b128 s[8:11], s[0:1], 0x8
	s_load_b128 s[4:7], s[0:1], 0x40
	s_load_b32 s14, s[0:1], 0x68
	s_load_b64 s[12:13], s[0:1], 0x50
	v_lshlrev_b32_e32 v17, 2, v0
	s_waitcnt lgkmcnt(0)
	s_lshl_b64 s[16:17], s[10:11], 2
	s_load_b64 s[2:3], s[6:7], 0x0
	s_mul_i32 s6, s14, 0x700
	s_add_u32 s8, s8, s16
	s_addc_u32 s9, s9, s17
	s_add_i32 s7, s6, s10
	s_add_i32 s16, s14, -1
	s_sub_i32 s14, s12, s7
	s_add_u32 s6, s10, s6
	s_addc_u32 s7, s11, 0
	s_cmp_eq_u32 s15, s16
	v_cmp_ge_u64_e64 s11, s[6:7], s[12:13]
	s_cselect_b32 s10, -1, 0
	s_mov_b32 s7, 0
	s_mul_i32 s6, s15, 0x700
	s_mov_b32 s16, -1
	s_lshl_b64 s[6:7], s[6:7], 2
	s_and_b32 s11, s10, s11
	s_delay_alu instid0(SALU_CYCLE_1)
	s_xor_b32 s11, s11, -1
	s_add_u32 s12, s8, s6
	s_addc_u32 s13, s9, s7
	s_and_b32 vcc_lo, exec_lo, s11
	s_cbranch_vccz .LBB902_2
; %bb.1:
	v_add_co_u32 v1, s6, s12, v17
	s_delay_alu instid0(VALU_DEP_1) | instskip(SKIP_1) | instid1(VALU_DEP_2)
	v_add_co_ci_u32_e64 v2, null, s13, 0, s6
	s_mov_b32 s16, 0
	v_add_co_u32 v3, vcc_lo, 0x1000, v1
	s_delay_alu instid0(VALU_DEP_2)
	v_add_co_ci_u32_e32 v4, vcc_lo, 0, v2, vcc_lo
	s_clause 0xd
	flat_load_b32 v5, v[1:2]
	flat_load_b32 v6, v[1:2] offset:512
	flat_load_b32 v7, v[1:2] offset:1024
	;; [unrolled: 1-line block ×7, first 2 shown]
	flat_load_b32 v2, v[3:4]
	flat_load_b32 v12, v[3:4] offset:512
	flat_load_b32 v13, v[3:4] offset:1024
	;; [unrolled: 1-line block ×5, first 2 shown]
	s_waitcnt vmcnt(12) lgkmcnt(0)
	ds_store_2addr_stride64_b32 v17, v5, v6 offset1:2
	s_waitcnt vmcnt(10)
	ds_store_2addr_stride64_b32 v17, v7, v8 offset0:4 offset1:6
	s_waitcnt vmcnt(8)
	ds_store_2addr_stride64_b32 v17, v9, v10 offset0:8 offset1:10
	;; [unrolled: 2-line block ×6, first 2 shown]
	s_waitcnt lgkmcnt(0)
	s_barrier
.LBB902_2:
	s_clause 0x1
	s_load_b64 s[6:7], s[0:1], 0x28
	s_load_b64 s[8:9], s[0:1], 0x60
	s_and_not1_b32 vcc_lo, exec_lo, s16
	s_add_i32 s0, s14, 0x700
	s_cbranch_vccnz .LBB902_32
; %bb.3:
	s_mov_b32 s1, exec_lo
                                        ; implicit-def: $vgpr1_vgpr2_vgpr3_vgpr4_vgpr5_vgpr6_vgpr7_vgpr8_vgpr9_vgpr10_vgpr11_vgpr12_vgpr13_vgpr14_vgpr15_vgpr16
	v_cmpx_gt_u32_e64 s0, v0
	s_cbranch_execz .LBB902_5
; %bb.4:
	v_add_co_u32 v1, s14, s12, v17
	s_delay_alu instid0(VALU_DEP_1)
	v_add_co_ci_u32_e64 v2, null, s13, 0, s14
	flat_load_b32 v1, v[1:2]
.LBB902_5:
	s_or_b32 exec_lo, exec_lo, s1
	v_or_b32_e32 v15, 0x80, v0
	s_mov_b32 s1, exec_lo
	s_delay_alu instid0(VALU_DEP_1)
	v_cmpx_gt_u32_e64 s0, v15
	s_cbranch_execz .LBB902_7
; %bb.6:
	v_add_co_u32 v15, s14, s12, v17
	s_delay_alu instid0(VALU_DEP_1)
	v_add_co_ci_u32_e64 v16, null, s13, 0, s14
	flat_load_b32 v2, v[15:16] offset:512
.LBB902_7:
	s_or_b32 exec_lo, exec_lo, s1
	v_or_b32_e32 v15, 0x100, v0
	s_mov_b32 s1, exec_lo
	s_delay_alu instid0(VALU_DEP_1)
	v_cmpx_gt_u32_e64 s0, v15
	s_cbranch_execz .LBB902_9
; %bb.8:
	v_add_co_u32 v15, s14, s12, v17
	s_delay_alu instid0(VALU_DEP_1)
	v_add_co_ci_u32_e64 v16, null, s13, 0, s14
	flat_load_b32 v3, v[15:16] offset:1024
.LBB902_9:
	;; [unrolled: 12-line block ×7, first 2 shown]
	s_or_b32 exec_lo, exec_lo, s1
	v_or_b32_e32 v15, 0x400, v0
	s_mov_b32 s1, exec_lo
	s_delay_alu instid0(VALU_DEP_1)
	v_cmpx_gt_u32_e64 s0, v15
	s_cbranch_execz .LBB902_21
; %bb.20:
	v_lshlrev_b32_e32 v9, 2, v15
	s_delay_alu instid0(VALU_DEP_1) | instskip(NEXT) | instid1(VALU_DEP_1)
	v_add_co_u32 v15, s14, s12, v9
	v_add_co_ci_u32_e64 v16, null, s13, 0, s14
	flat_load_b32 v9, v[15:16]
.LBB902_21:
	s_or_b32 exec_lo, exec_lo, s1
	v_or_b32_e32 v15, 0x480, v0
	s_mov_b32 s1, exec_lo
	s_delay_alu instid0(VALU_DEP_1)
	v_cmpx_gt_u32_e64 s0, v15
	s_cbranch_execz .LBB902_23
; %bb.22:
	v_lshlrev_b32_e32 v10, 2, v15
	s_delay_alu instid0(VALU_DEP_1) | instskip(NEXT) | instid1(VALU_DEP_1)
	v_add_co_u32 v15, s14, s12, v10
	v_add_co_ci_u32_e64 v16, null, s13, 0, s14
	flat_load_b32 v10, v[15:16]
.LBB902_23:
	;; [unrolled: 13-line block ×6, first 2 shown]
	s_or_b32 exec_lo, exec_lo, s1
	s_waitcnt vmcnt(0) lgkmcnt(0)
	ds_store_2addr_stride64_b32 v17, v1, v2 offset1:2
	ds_store_2addr_stride64_b32 v17, v3, v4 offset0:4 offset1:6
	ds_store_2addr_stride64_b32 v17, v5, v6 offset0:8 offset1:10
	;; [unrolled: 1-line block ×6, first 2 shown]
	s_waitcnt lgkmcnt(0)
	s_barrier
.LBB902_32:
	v_mul_u32_u24_e32 v12, 14, v0
	s_waitcnt lgkmcnt(0)
	buffer_gl0_inv
	s_and_not1_b32 vcc_lo, exec_lo, s11
	v_lshlrev_b32_e32 v61, 2, v12
	ds_load_2addr_b64 v[41:44], v61 offset1:1
	ds_load_2addr_b64 v[37:40], v61 offset0:2 offset1:3
	ds_load_2addr_b64 v[33:36], v61 offset0:4 offset1:5
	ds_load_b64 v[49:50], v61 offset:48
	s_waitcnt lgkmcnt(0)
	s_barrier
	buffer_gl0_inv
	v_xor_b32_e32 v13, -1, v41
	v_xor_b32_e32 v14, -1, v42
	;; [unrolled: 1-line block ×14, first 2 shown]
	s_cbranch_vccnz .LBB902_34
; %bb.33:
	v_and_b32_e32 v16, 1, v14
	v_and_b32_e32 v17, 1, v13
	;; [unrolled: 1-line block ×5, first 2 shown]
	v_lshlrev_b16 v16, 8, v16
	v_and_b32_e32 v26, 1, v6
	v_and_b32_e32 v18, 1, v15
	;; [unrolled: 1-line block ×4, first 2 shown]
	v_or_b32_e32 v16, v17, v16
	v_and_b32_e32 v17, 1, v4
	v_and_b32_e32 v24, 1, v3
	;; [unrolled: 1-line block ×3, first 2 shown]
	v_lshlrev_b16 v19, 8, v19
	v_lshlrev_b16 v21, 8, v21
	;; [unrolled: 1-line block ×5, first 2 shown]
	v_or_b32_e32 v18, v18, v19
	v_or_b32_e32 v19, v20, v21
	;; [unrolled: 1-line block ×5, first 2 shown]
	v_and_b32_e32 v16, 0xffff, v16
	v_lshlrev_b32_e32 v18, 16, v18
	v_and_b32_e32 v19, 0xffff, v19
	v_lshlrev_b32_e32 v20, 16, v20
	;; [unrolled: 2-line block ×3, first 2 shown]
	v_and_b32_e32 v54, 1, v1
	v_and_b32_e32 v53, 1, v2
	v_or_b32_e32 v59, v16, v18
	v_or_b32_e32 v56, v19, v20
	;; [unrolled: 1-line block ×3, first 2 shown]
	s_cbranch_execz .LBB902_35
	s_branch .LBB902_36
.LBB902_34:
                                        ; implicit-def: $vgpr53
                                        ; implicit-def: $vgpr54
                                        ; implicit-def: $vgpr55
                                        ; implicit-def: $vgpr56
                                        ; implicit-def: $vgpr59
.LBB902_35:
	v_or_b32_e32 v16, 1, v12
	v_cmp_gt_u32_e32 vcc_lo, s0, v12
	v_add_nc_u32_e32 v17, 2, v12
	v_add_nc_u32_e32 v18, 3, v12
	;; [unrolled: 1-line block ×4, first 2 shown]
	v_cndmask_b32_e64 v27, 0, 1, vcc_lo
	v_cmp_gt_u32_e32 vcc_lo, s0, v16
	v_add_nc_u32_e32 v21, 6, v12
	v_add_nc_u32_e32 v22, 7, v12
	;; [unrolled: 1-line block ×4, first 2 shown]
	v_cndmask_b32_e64 v16, 0, 1, vcc_lo
	v_cmp_gt_u32_e32 vcc_lo, s0, v17
	v_add_nc_u32_e32 v25, 10, v12
	v_add_nc_u32_e32 v26, 11, v12
	;; [unrolled: 1-line block ×3, first 2 shown]
	v_and_b32_e32 v14, v16, v14
	v_cndmask_b32_e64 v17, 0, 1, vcc_lo
	v_cmp_gt_u32_e32 vcc_lo, s0, v18
	v_add_nc_u32_e32 v12, 13, v12
	v_and_b32_e32 v13, v27, v13
	v_lshlrev_b16 v14, 8, v14
	v_and_b32_e32 v15, v17, v15
	v_cndmask_b32_e64 v16, 0, 1, vcc_lo
	v_cmp_gt_u32_e32 vcc_lo, s0, v19
	s_delay_alu instid0(VALU_DEP_4) | instskip(NEXT) | instid1(VALU_DEP_3)
	v_or_b32_e32 v13, v13, v14
	v_and_b32_e32 v7, v16, v7
	v_cndmask_b32_e64 v17, 0, 1, vcc_lo
	v_cmp_gt_u32_e32 vcc_lo, s0, v20
	s_delay_alu instid0(VALU_DEP_4) | instskip(NEXT) | instid1(VALU_DEP_4)
	v_and_b32_e32 v13, 0xffff, v13
	v_lshlrev_b16 v7, 8, v7
	s_delay_alu instid0(VALU_DEP_4) | instskip(SKIP_2) | instid1(VALU_DEP_4)
	v_and_b32_e32 v8, v17, v8
	v_cndmask_b32_e64 v18, 0, 1, vcc_lo
	v_cmp_gt_u32_e32 vcc_lo, s0, v21
	v_or_b32_e32 v7, v15, v7
	s_delay_alu instid0(VALU_DEP_3) | instskip(SKIP_2) | instid1(VALU_DEP_3)
	v_and_b32_e32 v9, v18, v9
	v_cndmask_b32_e64 v19, 0, 1, vcc_lo
	v_cmp_gt_u32_e32 vcc_lo, s0, v22
	v_lshlrev_b16 v9, 8, v9
	s_delay_alu instid0(VALU_DEP_3) | instskip(SKIP_2) | instid1(VALU_DEP_4)
	v_and_b32_e32 v10, v19, v10
	v_cndmask_b32_e64 v20, 0, 1, vcc_lo
	v_cmp_gt_u32_e32 vcc_lo, s0, v23
	v_or_b32_e32 v8, v8, v9
	s_delay_alu instid0(VALU_DEP_3) | instskip(SKIP_2) | instid1(VALU_DEP_3)
	v_and_b32_e32 v11, v20, v11
	v_cndmask_b32_e64 v16, 0, 1, vcc_lo
	v_cmp_gt_u32_e32 vcc_lo, s0, v24
	v_lshlrev_b16 v11, 8, v11
	s_delay_alu instid0(VALU_DEP_3) | instskip(SKIP_2) | instid1(VALU_DEP_4)
	;; [unrolled: 10-line block ×3, first 2 shown]
	v_and_b32_e32 v5, v18, v5
	v_cndmask_b32_e64 v19, 0, 1, vcc_lo
	v_cmp_gt_u32_e32 vcc_lo, s0, v28
	v_or_b32_e32 v3, v3, v4
	s_delay_alu instid0(VALU_DEP_3) | instskip(SKIP_2) | instid1(VALU_DEP_4)
	v_and_b32_e32 v6, v19, v6
	v_cndmask_b32_e64 v14, 0, 1, vcc_lo
	v_cmp_gt_u32_e32 vcc_lo, s0, v12
	v_and_b32_e32 v3, 0xffff, v3
	s_delay_alu instid0(VALU_DEP_4) | instskip(NEXT) | instid1(VALU_DEP_4)
	v_lshlrev_b16 v6, 8, v6
	v_and_b32_e32 v54, v14, v1
	v_cndmask_b32_e64 v12, 0, 1, vcc_lo
	s_delay_alu instid0(VALU_DEP_3)
	v_or_b32_e32 v4, v5, v6
	v_lshlrev_b32_e32 v5, 16, v7
	v_and_b32_e32 v6, 0xffff, v8
	v_lshlrev_b32_e32 v7, 16, v9
	v_and_b32_e32 v53, v12, v2
	v_lshlrev_b32_e32 v4, 16, v4
	v_or_b32_e32 v59, v13, v5
	s_delay_alu instid0(VALU_DEP_4) | instskip(NEXT) | instid1(VALU_DEP_3)
	v_or_b32_e32 v56, v6, v7
	v_or_b32_e32 v55, v3, v4
.LBB902_36:
	s_delay_alu instid0(VALU_DEP_3)
	v_dual_mov_b32 v2, 0 :: v_dual_and_b32 v63, 0xff, v59
	v_bfe_u32 v64, v59, 8, 8
	v_bfe_u32 v65, v59, 16, 8
	v_lshrrev_b32_e32 v60, 24, v59
	v_and_b32_e32 v66, 0xff, v56
	v_bfe_u32 v67, v56, 8, 8
	v_add_co_u32 v1, s0, v64, v63
	s_delay_alu instid0(VALU_DEP_1) | instskip(SKIP_1) | instid1(VALU_DEP_3)
	v_add_co_ci_u32_e64 v3, null, 0, 0, s0
	v_bfe_u32 v68, v56, 16, 8
	v_add_co_u32 v1, vcc_lo, v1, v65
	s_delay_alu instid0(VALU_DEP_3) | instskip(SKIP_1) | instid1(VALU_DEP_3)
	v_add_co_ci_u32_e32 v3, vcc_lo, 0, v3, vcc_lo
	v_lshrrev_b32_e32 v58, 24, v56
	v_add_co_u32 v1, vcc_lo, v1, v60
	s_delay_alu instid0(VALU_DEP_3) | instskip(SKIP_1) | instid1(VALU_DEP_3)
	v_add_co_ci_u32_e32 v3, vcc_lo, 0, v3, vcc_lo
	v_and_b32_e32 v69, 0xff, v55
	v_add_co_u32 v1, vcc_lo, v1, v66
	s_delay_alu instid0(VALU_DEP_3) | instskip(SKIP_1) | instid1(VALU_DEP_3)
	v_add_co_ci_u32_e32 v3, vcc_lo, 0, v3, vcc_lo
	v_bfe_u32 v70, v55, 8, 8
	v_add_co_u32 v1, vcc_lo, v1, v67
	s_delay_alu instid0(VALU_DEP_3) | instskip(SKIP_1) | instid1(VALU_DEP_3)
	v_add_co_ci_u32_e32 v3, vcc_lo, 0, v3, vcc_lo
	v_bfe_u32 v71, v55, 16, 8
	v_add_co_u32 v1, vcc_lo, v1, v68
	s_delay_alu instid0(VALU_DEP_3) | instskip(SKIP_1) | instid1(VALU_DEP_3)
	v_add_co_ci_u32_e32 v3, vcc_lo, 0, v3, vcc_lo
	v_lshrrev_b32_e32 v57, 24, v55
	v_add_co_u32 v1, vcc_lo, v1, v58
	s_delay_alu instid0(VALU_DEP_3) | instskip(SKIP_1) | instid1(VALU_DEP_3)
	v_add_co_ci_u32_e32 v3, vcc_lo, 0, v3, vcc_lo
	v_and_b32_e32 v62, 0xff, v54
	v_add_co_u32 v1, vcc_lo, v1, v69
	s_delay_alu instid0(VALU_DEP_3) | instskip(SKIP_1) | instid1(VALU_DEP_3)
	v_add_co_ci_u32_e32 v3, vcc_lo, 0, v3, vcc_lo
	v_mbcnt_lo_u32_b32 v72, -1, 0
	v_add_co_u32 v1, vcc_lo, v1, v70
	s_delay_alu instid0(VALU_DEP_3) | instskip(SKIP_1) | instid1(VALU_DEP_3)
	v_add_co_ci_u32_e32 v3, vcc_lo, 0, v3, vcc_lo
	v_and_b32_e32 v4, 0xff, v53
	v_add_co_u32 v1, vcc_lo, v1, v71
	s_delay_alu instid0(VALU_DEP_3) | instskip(SKIP_1) | instid1(VALU_DEP_3)
	v_add_co_ci_u32_e32 v3, vcc_lo, 0, v3, vcc_lo
	v_and_b32_e32 v73, 15, v72
	v_add_co_u32 v1, vcc_lo, v1, v57
	s_delay_alu instid0(VALU_DEP_3) | instskip(NEXT) | instid1(VALU_DEP_3)
	v_add_co_ci_u32_e32 v3, vcc_lo, 0, v3, vcc_lo
	v_cmp_ne_u32_e64 s0, 0, v73
	s_delay_alu instid0(VALU_DEP_3) | instskip(NEXT) | instid1(VALU_DEP_3)
	v_add_co_u32 v1, vcc_lo, v1, v62
	v_add_co_ci_u32_e32 v3, vcc_lo, 0, v3, vcc_lo
	s_cmp_lg_u32 s15, 0
	s_delay_alu instid0(VALU_DEP_2) | instskip(NEXT) | instid1(VALU_DEP_2)
	v_add_co_u32 v51, vcc_lo, v1, v4
	v_add_co_ci_u32_e32 v52, vcc_lo, 0, v3, vcc_lo
	s_mov_b32 s1, -1
	s_cbranch_scc0 .LBB902_96
; %bb.37:
	s_delay_alu instid0(VALU_DEP_2)
	v_mov_b32_e32 v3, v51
	v_mov_b32_dpp v1, v51 row_shr:1 row_mask:0xf bank_mask:0xf
	v_mov_b32_dpp v6, v2 row_shr:1 row_mask:0xf bank_mask:0xf
	v_dual_mov_b32 v5, v51 :: v_dual_mov_b32 v4, v52
	s_and_saveexec_b32 s1, s0
; %bb.38:
	s_delay_alu instid0(VALU_DEP_3) | instskip(SKIP_1) | instid1(VALU_DEP_2)
	v_add_co_u32 v5, vcc_lo, v51, v1
	v_add_co_ci_u32_e32 v2, vcc_lo, 0, v52, vcc_lo
	v_add_co_u32 v1, vcc_lo, 0, v5
	s_delay_alu instid0(VALU_DEP_2) | instskip(NEXT) | instid1(VALU_DEP_1)
	v_add_co_ci_u32_e32 v2, vcc_lo, v6, v2, vcc_lo
	v_dual_mov_b32 v4, v2 :: v_dual_mov_b32 v3, v1
; %bb.39:
	s_or_b32 exec_lo, exec_lo, s1
	v_mov_b32_dpp v1, v5 row_shr:2 row_mask:0xf bank_mask:0xf
	v_mov_b32_dpp v6, v2 row_shr:2 row_mask:0xf bank_mask:0xf
	s_mov_b32 s1, exec_lo
	v_cmpx_lt_u32_e32 1, v73
; %bb.40:
	s_delay_alu instid0(VALU_DEP_3) | instskip(SKIP_1) | instid1(VALU_DEP_2)
	v_add_co_u32 v5, vcc_lo, v3, v1
	v_add_co_ci_u32_e32 v2, vcc_lo, 0, v4, vcc_lo
	v_add_co_u32 v1, vcc_lo, 0, v5
	s_delay_alu instid0(VALU_DEP_2) | instskip(NEXT) | instid1(VALU_DEP_1)
	v_add_co_ci_u32_e32 v2, vcc_lo, v6, v2, vcc_lo
	v_dual_mov_b32 v4, v2 :: v_dual_mov_b32 v3, v1
; %bb.41:
	s_or_b32 exec_lo, exec_lo, s1
	v_mov_b32_dpp v1, v5 row_shr:4 row_mask:0xf bank_mask:0xf
	v_mov_b32_dpp v6, v2 row_shr:4 row_mask:0xf bank_mask:0xf
	s_mov_b32 s1, exec_lo
	v_cmpx_lt_u32_e32 3, v73
	;; [unrolled: 14-line block ×3, first 2 shown]
; %bb.44:
	s_delay_alu instid0(VALU_DEP_3) | instskip(SKIP_1) | instid1(VALU_DEP_2)
	v_add_co_u32 v5, vcc_lo, v3, v6
	v_add_co_ci_u32_e32 v2, vcc_lo, 0, v4, vcc_lo
	v_add_co_u32 v3, vcc_lo, 0, v5
	s_delay_alu instid0(VALU_DEP_2) | instskip(NEXT) | instid1(VALU_DEP_1)
	v_add_co_ci_u32_e32 v4, vcc_lo, v1, v2, vcc_lo
	v_mov_b32_e32 v2, v4
; %bb.45:
	s_or_b32 exec_lo, exec_lo, s1
	ds_swizzle_b32 v1, v5 offset:swizzle(BROADCAST,32,15)
	ds_swizzle_b32 v6, v2 offset:swizzle(BROADCAST,32,15)
	v_and_b32_e32 v7, 16, v72
	s_mov_b32 s1, exec_lo
	s_delay_alu instid0(VALU_DEP_1)
	v_cmpx_ne_u32_e32 0, v7
	s_cbranch_execz .LBB902_47
; %bb.46:
	s_waitcnt lgkmcnt(1)
	v_add_co_u32 v5, vcc_lo, v3, v1
	v_add_co_ci_u32_e32 v2, vcc_lo, 0, v4, vcc_lo
	s_delay_alu instid0(VALU_DEP_2) | instskip(SKIP_1) | instid1(VALU_DEP_2)
	v_add_co_u32 v1, vcc_lo, 0, v5
	s_waitcnt lgkmcnt(0)
	v_add_co_ci_u32_e32 v2, vcc_lo, v6, v2, vcc_lo
	s_delay_alu instid0(VALU_DEP_1)
	v_dual_mov_b32 v4, v2 :: v_dual_mov_b32 v3, v1
.LBB902_47:
	s_or_b32 exec_lo, exec_lo, s1
	s_waitcnt lgkmcnt(0)
	v_or_b32_e32 v6, 31, v0
	v_lshrrev_b32_e32 v1, 5, v0
	s_mov_b32 s1, exec_lo
	s_delay_alu instid0(VALU_DEP_2)
	v_cmpx_eq_u32_e64 v6, v0
	s_cbranch_execz .LBB902_49
; %bb.48:
	s_delay_alu instid0(VALU_DEP_2)
	v_lshlrev_b32_e32 v6, 3, v1
	ds_store_b64 v6, v[3:4]
.LBB902_49:
	s_or_b32 exec_lo, exec_lo, s1
	s_delay_alu instid0(SALU_CYCLE_1)
	s_mov_b32 s1, exec_lo
	s_waitcnt lgkmcnt(0)
	s_barrier
	buffer_gl0_inv
	v_cmpx_gt_u32_e32 4, v0
	s_cbranch_execz .LBB902_55
; %bb.50:
	v_lshlrev_b32_e32 v6, 3, v0
	s_mov_b32 s12, exec_lo
	ds_load_b64 v[3:4], v6
	s_waitcnt lgkmcnt(0)
	v_dual_mov_b32 v8, v3 :: v_dual_and_b32 v7, 3, v72
	v_mov_b32_dpp v10, v3 row_shr:1 row_mask:0xf bank_mask:0xf
	v_mov_b32_dpp v9, v4 row_shr:1 row_mask:0xf bank_mask:0xf
	s_delay_alu instid0(VALU_DEP_3)
	v_cmpx_ne_u32_e32 0, v7
; %bb.51:
	s_delay_alu instid0(VALU_DEP_3) | instskip(SKIP_1) | instid1(VALU_DEP_2)
	v_add_co_u32 v8, vcc_lo, v3, v10
	v_add_co_ci_u32_e32 v4, vcc_lo, 0, v4, vcc_lo
	v_add_co_u32 v3, vcc_lo, 0, v8
	s_delay_alu instid0(VALU_DEP_2)
	v_add_co_ci_u32_e32 v4, vcc_lo, v9, v4, vcc_lo
; %bb.52:
	s_or_b32 exec_lo, exec_lo, s12
	v_mov_b32_dpp v9, v8 row_shr:2 row_mask:0xf bank_mask:0xf
	s_delay_alu instid0(VALU_DEP_2)
	v_mov_b32_dpp v8, v4 row_shr:2 row_mask:0xf bank_mask:0xf
	s_mov_b32 s12, exec_lo
	v_cmpx_lt_u32_e32 1, v7
; %bb.53:
	s_delay_alu instid0(VALU_DEP_3) | instskip(SKIP_1) | instid1(VALU_DEP_2)
	v_add_co_u32 v3, vcc_lo, v3, v9
	v_add_co_ci_u32_e32 v4, vcc_lo, 0, v4, vcc_lo
	v_add_co_u32 v3, vcc_lo, v3, 0
	s_delay_alu instid0(VALU_DEP_2)
	v_add_co_ci_u32_e32 v4, vcc_lo, v4, v8, vcc_lo
; %bb.54:
	s_or_b32 exec_lo, exec_lo, s12
	ds_store_b64 v6, v[3:4]
.LBB902_55:
	s_or_b32 exec_lo, exec_lo, s1
	v_cmp_gt_u32_e32 vcc_lo, 32, v0
	s_mov_b32 s12, exec_lo
	s_waitcnt lgkmcnt(0)
	s_barrier
	buffer_gl0_inv
                                        ; implicit-def: $vgpr9_vgpr10
	v_cmpx_lt_u32_e32 31, v0
	s_cbranch_execz .LBB902_57
; %bb.56:
	v_lshl_add_u32 v1, v1, 3, -8
	ds_load_b64 v[9:10], v1
	s_waitcnt lgkmcnt(0)
	v_add_co_u32 v5, s1, v5, v9
	s_delay_alu instid0(VALU_DEP_1)
	v_add_co_ci_u32_e64 v2, s1, v2, v10, s1
.LBB902_57:
	s_or_b32 exec_lo, exec_lo, s12
	v_add_nc_u32_e32 v1, -1, v72
	s_delay_alu instid0(VALU_DEP_1) | instskip(NEXT) | instid1(VALU_DEP_1)
	v_cmp_gt_i32_e64 s1, 0, v1
	v_cndmask_b32_e64 v1, v1, v72, s1
	v_cmp_eq_u32_e64 s1, 0, v72
	s_delay_alu instid0(VALU_DEP_2)
	v_lshlrev_b32_e32 v1, 2, v1
	ds_bpermute_b32 v15, v1, v5
	ds_bpermute_b32 v16, v1, v2
	s_and_saveexec_b32 s12, vcc_lo
	s_cbranch_execz .LBB902_95
; %bb.58:
	v_mov_b32_e32 v4, 0
	ds_load_b64 v[1:2], v4 offset:24
	s_and_saveexec_b32 s13, s1
	s_cbranch_execz .LBB902_60
; %bb.59:
	s_add_i32 s16, s15, 32
	s_mov_b32 s17, 0
	s_delay_alu instid0(SALU_CYCLE_1) | instskip(NEXT) | instid1(SALU_CYCLE_1)
	s_lshl_b64 s[16:17], s[16:17], 4
	s_add_u32 s16, s8, s16
	s_addc_u32 s17, s9, s17
	v_mov_b32_e32 v5, s16
	v_dual_mov_b32 v3, 1 :: v_dual_mov_b32 v6, s17
	s_waitcnt lgkmcnt(0)
	;;#ASMSTART
	global_store_dwordx4 v[5:6], v[1:4] off	
s_waitcnt vmcnt(0)
	;;#ASMEND
.LBB902_60:
	s_or_b32 exec_lo, exec_lo, s13
	v_xad_u32 v11, v72, -1, s15
	s_mov_b32 s14, 0
	s_mov_b32 s13, exec_lo
	s_delay_alu instid0(VALU_DEP_1) | instskip(NEXT) | instid1(VALU_DEP_1)
	v_add_nc_u32_e32 v3, 32, v11
	v_lshlrev_b64 v[3:4], 4, v[3:4]
	s_delay_alu instid0(VALU_DEP_1) | instskip(NEXT) | instid1(VALU_DEP_2)
	v_add_co_u32 v3, vcc_lo, s8, v3
	v_add_co_ci_u32_e32 v4, vcc_lo, s9, v4, vcc_lo
	;;#ASMSTART
	global_load_dwordx4 v[5:8], v[3:4] off glc	
s_waitcnt vmcnt(0)
	;;#ASMEND
	v_and_b32_e32 v8, 0xff, v6
	v_and_b32_e32 v12, 0xff00, v6
	v_or3_b32 v5, v5, 0, 0
	v_and_b32_e32 v13, 0xff000000, v6
	v_and_b32_e32 v6, 0xff0000, v6
	s_delay_alu instid0(VALU_DEP_4) | instskip(SKIP_2) | instid1(VALU_DEP_3)
	v_or3_b32 v8, 0, v8, v12
	v_and_b32_e32 v12, 0xff, v7
	v_or3_b32 v5, v5, 0, 0
	v_or3_b32 v6, v8, v6, v13
	s_delay_alu instid0(VALU_DEP_3)
	v_cmpx_eq_u16_e32 0, v12
	s_cbranch_execz .LBB902_63
.LBB902_61:                             ; =>This Inner Loop Header: Depth=1
	;;#ASMSTART
	global_load_dwordx4 v[5:8], v[3:4] off glc	
s_waitcnt vmcnt(0)
	;;#ASMEND
	v_and_b32_e32 v8, 0xff, v7
	s_delay_alu instid0(VALU_DEP_1) | instskip(SKIP_1) | instid1(SALU_CYCLE_1)
	v_cmp_ne_u16_e32 vcc_lo, 0, v8
	s_or_b32 s14, vcc_lo, s14
	s_and_not1_b32 exec_lo, exec_lo, s14
	s_cbranch_execnz .LBB902_61
; %bb.62:
	s_or_b32 exec_lo, exec_lo, s14
.LBB902_63:
	s_delay_alu instid0(SALU_CYCLE_1)
	s_or_b32 exec_lo, exec_lo, s13
	v_cmp_ne_u32_e32 vcc_lo, 31, v72
	v_and_b32_e32 v4, 0xff, v7
	v_lshlrev_b32_e64 v18, v72, -1
	s_mov_b32 s13, exec_lo
	v_add_co_ci_u32_e32 v3, vcc_lo, 0, v72, vcc_lo
	s_delay_alu instid0(VALU_DEP_3) | instskip(NEXT) | instid1(VALU_DEP_2)
	v_cmp_eq_u16_e32 vcc_lo, 2, v4
	v_dual_mov_b32 v4, v5 :: v_dual_lshlrev_b32 v17, 2, v3
	v_and_or_b32 v3, vcc_lo, v18, 0x80000000
	ds_bpermute_b32 v12, v17, v5
	ds_bpermute_b32 v8, v17, v6
	v_ctz_i32_b32_e32 v3, v3
	s_delay_alu instid0(VALU_DEP_1)
	v_cmpx_lt_u32_e64 v72, v3
	s_cbranch_execz .LBB902_65
; %bb.64:
	s_waitcnt lgkmcnt(1)
	v_add_co_u32 v4, vcc_lo, v5, v12
	v_add_co_ci_u32_e32 v6, vcc_lo, 0, v6, vcc_lo
	s_delay_alu instid0(VALU_DEP_2) | instskip(SKIP_1) | instid1(VALU_DEP_2)
	v_add_co_u32 v5, vcc_lo, 0, v4
	s_waitcnt lgkmcnt(0)
	v_add_co_ci_u32_e32 v6, vcc_lo, v8, v6, vcc_lo
.LBB902_65:
	s_or_b32 exec_lo, exec_lo, s13
	v_cmp_gt_u32_e32 vcc_lo, 30, v72
	v_add_nc_u32_e32 v20, 2, v72
	s_mov_b32 s13, exec_lo
	s_waitcnt lgkmcnt(0)
	v_cndmask_b32_e64 v8, 0, 1, vcc_lo
	s_delay_alu instid0(VALU_DEP_1) | instskip(NEXT) | instid1(VALU_DEP_1)
	v_lshlrev_b32_e32 v8, 1, v8
	v_add_lshl_u32 v19, v8, v72, 2
	ds_bpermute_b32 v12, v19, v4
	ds_bpermute_b32 v8, v19, v6
	v_cmpx_le_u32_e64 v20, v3
	s_cbranch_execz .LBB902_67
; %bb.66:
	s_waitcnt lgkmcnt(1)
	v_add_co_u32 v4, vcc_lo, v5, v12
	v_add_co_ci_u32_e32 v6, vcc_lo, 0, v6, vcc_lo
	s_delay_alu instid0(VALU_DEP_2) | instskip(SKIP_1) | instid1(VALU_DEP_2)
	v_add_co_u32 v5, vcc_lo, 0, v4
	s_waitcnt lgkmcnt(0)
	v_add_co_ci_u32_e32 v6, vcc_lo, v8, v6, vcc_lo
.LBB902_67:
	s_or_b32 exec_lo, exec_lo, s13
	v_cmp_gt_u32_e32 vcc_lo, 28, v72
	v_add_nc_u32_e32 v22, 4, v72
	s_mov_b32 s13, exec_lo
	s_waitcnt lgkmcnt(0)
	v_cndmask_b32_e64 v8, 0, 1, vcc_lo
	s_delay_alu instid0(VALU_DEP_1) | instskip(NEXT) | instid1(VALU_DEP_1)
	v_lshlrev_b32_e32 v8, 2, v8
	v_add_lshl_u32 v21, v8, v72, 2
	ds_bpermute_b32 v12, v21, v4
	ds_bpermute_b32 v8, v21, v6
	v_cmpx_le_u32_e64 v22, v3
	;; [unrolled: 22-line block ×4, first 2 shown]
	s_cbranch_execz .LBB902_73
; %bb.72:
	s_waitcnt lgkmcnt(1)
	v_add_co_u32 v3, vcc_lo, v5, v8
	v_add_co_ci_u32_e32 v6, vcc_lo, 0, v6, vcc_lo
	s_delay_alu instid0(VALU_DEP_2) | instskip(SKIP_1) | instid1(VALU_DEP_2)
	v_add_co_u32 v5, vcc_lo, v3, 0
	s_waitcnt lgkmcnt(0)
	v_add_co_ci_u32_e32 v6, vcc_lo, v6, v4, vcc_lo
.LBB902_73:
	s_or_b32 exec_lo, exec_lo, s13
	v_mov_b32_e32 v12, 0
	s_branch .LBB902_75
.LBB902_74:                             ;   in Loop: Header=BB902_75 Depth=1
	s_or_b32 exec_lo, exec_lo, s13
	v_add_co_u32 v5, vcc_lo, v5, v3
	v_subrev_nc_u32_e32 v11, 32, v11
	v_add_co_ci_u32_e32 v6, vcc_lo, v6, v4, vcc_lo
.LBB902_75:                             ; =>This Loop Header: Depth=1
                                        ;     Child Loop BB902_78 Depth 2
	v_and_b32_e32 v3, 0xff, v7
	s_delay_alu instid0(VALU_DEP_1) | instskip(SKIP_2) | instid1(VALU_DEP_1)
	v_cmp_ne_u16_e32 vcc_lo, 2, v3
	v_cndmask_b32_e64 v3, 0, 1, vcc_lo
	;;#ASMSTART
	;;#ASMEND
	v_cmp_ne_u32_e32 vcc_lo, 0, v3
	s_waitcnt lgkmcnt(0)
	v_dual_mov_b32 v3, v5 :: v_dual_mov_b32 v4, v6
	s_cmp_lg_u32 vcc_lo, exec_lo
	s_cbranch_scc1 .LBB902_90
; %bb.76:                               ;   in Loop: Header=BB902_75 Depth=1
	v_lshlrev_b64 v[5:6], 4, v[11:12]
	s_mov_b32 s13, exec_lo
	s_delay_alu instid0(VALU_DEP_1) | instskip(NEXT) | instid1(VALU_DEP_2)
	v_add_co_u32 v13, vcc_lo, s8, v5
	v_add_co_ci_u32_e32 v14, vcc_lo, s9, v6, vcc_lo
	;;#ASMSTART
	global_load_dwordx4 v[5:8], v[13:14] off glc	
s_waitcnt vmcnt(0)
	;;#ASMEND
	v_and_b32_e32 v8, 0xff, v6
	v_and_b32_e32 v27, 0xff00, v6
	v_or3_b32 v5, v5, 0, 0
	v_and_b32_e32 v28, 0xff000000, v6
	v_and_b32_e32 v6, 0xff0000, v6
	s_delay_alu instid0(VALU_DEP_4) | instskip(SKIP_2) | instid1(VALU_DEP_3)
	v_or3_b32 v8, 0, v8, v27
	v_and_b32_e32 v27, 0xff, v7
	v_or3_b32 v5, v5, 0, 0
	v_or3_b32 v6, v8, v6, v28
	s_delay_alu instid0(VALU_DEP_3)
	v_cmpx_eq_u16_e32 0, v27
	s_cbranch_execz .LBB902_80
; %bb.77:                               ;   in Loop: Header=BB902_75 Depth=1
	s_mov_b32 s14, 0
.LBB902_78:                             ;   Parent Loop BB902_75 Depth=1
                                        ; =>  This Inner Loop Header: Depth=2
	;;#ASMSTART
	global_load_dwordx4 v[5:8], v[13:14] off glc	
s_waitcnt vmcnt(0)
	;;#ASMEND
	v_and_b32_e32 v8, 0xff, v7
	s_delay_alu instid0(VALU_DEP_1) | instskip(SKIP_1) | instid1(SALU_CYCLE_1)
	v_cmp_ne_u16_e32 vcc_lo, 0, v8
	s_or_b32 s14, vcc_lo, s14
	s_and_not1_b32 exec_lo, exec_lo, s14
	s_cbranch_execnz .LBB902_78
; %bb.79:                               ;   in Loop: Header=BB902_75 Depth=1
	s_or_b32 exec_lo, exec_lo, s14
.LBB902_80:                             ;   in Loop: Header=BB902_75 Depth=1
	s_delay_alu instid0(SALU_CYCLE_1)
	s_or_b32 exec_lo, exec_lo, s13
	v_dual_mov_b32 v13, v5 :: v_dual_and_b32 v8, 0xff, v7
	ds_bpermute_b32 v27, v17, v5
	ds_bpermute_b32 v14, v17, v6
	s_mov_b32 s13, exec_lo
	v_cmp_eq_u16_e32 vcc_lo, 2, v8
	v_and_or_b32 v8, vcc_lo, v18, 0x80000000
	s_delay_alu instid0(VALU_DEP_1) | instskip(NEXT) | instid1(VALU_DEP_1)
	v_ctz_i32_b32_e32 v8, v8
	v_cmpx_lt_u32_e64 v72, v8
	s_cbranch_execz .LBB902_82
; %bb.81:                               ;   in Loop: Header=BB902_75 Depth=1
	s_waitcnt lgkmcnt(1)
	v_add_co_u32 v13, vcc_lo, v5, v27
	v_add_co_ci_u32_e32 v6, vcc_lo, 0, v6, vcc_lo
	s_delay_alu instid0(VALU_DEP_2) | instskip(SKIP_1) | instid1(VALU_DEP_2)
	v_add_co_u32 v5, vcc_lo, 0, v13
	s_waitcnt lgkmcnt(0)
	v_add_co_ci_u32_e32 v6, vcc_lo, v14, v6, vcc_lo
.LBB902_82:                             ;   in Loop: Header=BB902_75 Depth=1
	s_or_b32 exec_lo, exec_lo, s13
	s_waitcnt lgkmcnt(1)
	ds_bpermute_b32 v27, v19, v13
	s_waitcnt lgkmcnt(1)
	ds_bpermute_b32 v14, v19, v6
	s_mov_b32 s13, exec_lo
	v_cmpx_le_u32_e64 v20, v8
	s_cbranch_execz .LBB902_84
; %bb.83:                               ;   in Loop: Header=BB902_75 Depth=1
	s_waitcnt lgkmcnt(1)
	v_add_co_u32 v13, vcc_lo, v5, v27
	v_add_co_ci_u32_e32 v6, vcc_lo, 0, v6, vcc_lo
	s_delay_alu instid0(VALU_DEP_2) | instskip(SKIP_1) | instid1(VALU_DEP_2)
	v_add_co_u32 v5, vcc_lo, 0, v13
	s_waitcnt lgkmcnt(0)
	v_add_co_ci_u32_e32 v6, vcc_lo, v14, v6, vcc_lo
.LBB902_84:                             ;   in Loop: Header=BB902_75 Depth=1
	s_or_b32 exec_lo, exec_lo, s13
	s_waitcnt lgkmcnt(1)
	ds_bpermute_b32 v27, v21, v13
	s_waitcnt lgkmcnt(1)
	ds_bpermute_b32 v14, v21, v6
	s_mov_b32 s13, exec_lo
	v_cmpx_le_u32_e64 v22, v8
	;; [unrolled: 17-line block ×3, first 2 shown]
	s_cbranch_execz .LBB902_88
; %bb.87:                               ;   in Loop: Header=BB902_75 Depth=1
	s_waitcnt lgkmcnt(1)
	v_add_co_u32 v13, vcc_lo, v5, v27
	v_add_co_ci_u32_e32 v6, vcc_lo, 0, v6, vcc_lo
	s_delay_alu instid0(VALU_DEP_2) | instskip(SKIP_1) | instid1(VALU_DEP_2)
	v_add_co_u32 v5, vcc_lo, 0, v13
	s_waitcnt lgkmcnt(0)
	v_add_co_ci_u32_e32 v6, vcc_lo, v14, v6, vcc_lo
.LBB902_88:                             ;   in Loop: Header=BB902_75 Depth=1
	s_or_b32 exec_lo, exec_lo, s13
	s_waitcnt lgkmcnt(0)
	ds_bpermute_b32 v14, v25, v13
	ds_bpermute_b32 v13, v25, v6
	s_mov_b32 s13, exec_lo
	v_cmpx_le_u32_e64 v26, v8
	s_cbranch_execz .LBB902_74
; %bb.89:                               ;   in Loop: Header=BB902_75 Depth=1
	s_waitcnt lgkmcnt(1)
	v_add_co_u32 v5, vcc_lo, v5, v14
	v_add_co_ci_u32_e32 v6, vcc_lo, 0, v6, vcc_lo
	s_delay_alu instid0(VALU_DEP_2) | instskip(SKIP_1) | instid1(VALU_DEP_2)
	v_add_co_u32 v5, vcc_lo, v5, 0
	s_waitcnt lgkmcnt(0)
	v_add_co_ci_u32_e32 v6, vcc_lo, v6, v13, vcc_lo
	s_branch .LBB902_74
.LBB902_90:                             ;   in Loop: Header=BB902_75 Depth=1
                                        ; implicit-def: $vgpr5_vgpr6
	s_cbranch_execz .LBB902_75
; %bb.91:
	s_and_saveexec_b32 s13, s1
	s_cbranch_execz .LBB902_93
; %bb.92:
	s_add_i32 s14, s15, 32
	s_mov_b32 s15, 0
	v_add_co_u32 v5, vcc_lo, v3, v1
	s_lshl_b64 s[14:15], s[14:15], 4
	v_dual_mov_b32 v7, 2 :: v_dual_mov_b32 v8, 0
	s_add_u32 s14, s8, s14
	s_addc_u32 s15, s9, s15
	v_add_co_ci_u32_e32 v6, vcc_lo, v4, v2, vcc_lo
	v_dual_mov_b32 v11, s14 :: v_dual_mov_b32 v12, s15
	;;#ASMSTART
	global_store_dwordx4 v[11:12], v[5:8] off	
s_waitcnt vmcnt(0)
	;;#ASMEND
	ds_store_b128 v8, v[1:4] offset:7168
.LBB902_93:
	s_or_b32 exec_lo, exec_lo, s13
	v_cmp_eq_u32_e32 vcc_lo, 0, v0
	s_and_b32 exec_lo, exec_lo, vcc_lo
	s_cbranch_execz .LBB902_95
; %bb.94:
	v_mov_b32_e32 v1, 0
	ds_store_b64 v1, v[3:4] offset:24
.LBB902_95:
	s_or_b32 exec_lo, exec_lo, s12
	s_waitcnt lgkmcnt(0)
	v_cndmask_b32_e64 v4, v16, v10, s1
	v_cmp_ne_u32_e32 vcc_lo, 0, v0
	v_mov_b32_e32 v21, 0
	s_barrier
	buffer_gl0_inv
	v_cndmask_b32_e32 v4, 0, v4, vcc_lo
	ds_load_b64 v[1:2], v21 offset:24
	v_cndmask_b32_e64 v3, v15, v9, s1
	s_waitcnt lgkmcnt(0)
	s_barrier
	buffer_gl0_inv
	ds_load_b128 v[45:48], v21 offset:7168
	v_cndmask_b32_e32 v3, 0, v3, vcc_lo
	s_delay_alu instid0(VALU_DEP_1) | instskip(SKIP_1) | instid1(VALU_DEP_2)
	v_add_co_u32 v1, vcc_lo, v1, v3
	v_add_co_ci_u32_e32 v2, vcc_lo, v2, v4, vcc_lo
	v_add_co_u32 v3, vcc_lo, v1, v63
	s_delay_alu instid0(VALU_DEP_2) | instskip(NEXT) | instid1(VALU_DEP_2)
	v_add_co_ci_u32_e32 v4, vcc_lo, 0, v2, vcc_lo
	v_add_co_u32 v5, vcc_lo, v3, v64
	s_delay_alu instid0(VALU_DEP_2) | instskip(NEXT) | instid1(VALU_DEP_2)
	;; [unrolled: 3-line block ×12, first 2 shown]
	v_add_co_ci_u32_e32 v26, vcc_lo, 0, v24, vcc_lo
	v_add_co_u32 v27, vcc_lo, v25, v62
	s_delay_alu instid0(VALU_DEP_2)
	v_add_co_ci_u32_e32 v28, vcc_lo, 0, v26, vcc_lo
	s_branch .LBB902_120
.LBB902_96:
                                        ; implicit-def: $vgpr47_vgpr48
                                        ; implicit-def: $vgpr1_vgpr2_vgpr3_vgpr4_vgpr5_vgpr6_vgpr7_vgpr8_vgpr9_vgpr10_vgpr11_vgpr12_vgpr13_vgpr14_vgpr15_vgpr16_vgpr17_vgpr18_vgpr19_vgpr20_vgpr21_vgpr22_vgpr23_vgpr24_vgpr25_vgpr26_vgpr27_vgpr28_vgpr29_vgpr30_vgpr31_vgpr32
	s_and_b32 vcc_lo, exec_lo, s1
	s_cbranch_vccz .LBB902_120
; %bb.97:
	v_dual_mov_b32 v2, 0 :: v_dual_mov_b32 v3, v51
	v_mov_b32_dpp v4, v51 row_shr:1 row_mask:0xf bank_mask:0xf
	s_delay_alu instid0(VALU_DEP_2)
	v_mov_b32_dpp v1, v2 row_shr:1 row_mask:0xf bank_mask:0xf
	s_and_saveexec_b32 s1, s0
; %bb.98:
	s_delay_alu instid0(VALU_DEP_2) | instskip(SKIP_1) | instid1(VALU_DEP_2)
	v_add_co_u32 v3, vcc_lo, v51, v4
	v_add_co_ci_u32_e32 v2, vcc_lo, 0, v52, vcc_lo
	v_add_co_u32 v51, vcc_lo, 0, v3
	s_delay_alu instid0(VALU_DEP_2) | instskip(NEXT) | instid1(VALU_DEP_1)
	v_add_co_ci_u32_e32 v52, vcc_lo, v1, v2, vcc_lo
	v_mov_b32_e32 v2, v52
; %bb.99:
	s_or_b32 exec_lo, exec_lo, s1
	v_mov_b32_dpp v1, v3 row_shr:2 row_mask:0xf bank_mask:0xf
	s_delay_alu instid0(VALU_DEP_2)
	v_mov_b32_dpp v4, v2 row_shr:2 row_mask:0xf bank_mask:0xf
	s_mov_b32 s0, exec_lo
	v_cmpx_lt_u32_e32 1, v73
; %bb.100:
	s_delay_alu instid0(VALU_DEP_3) | instskip(SKIP_1) | instid1(VALU_DEP_2)
	v_add_co_u32 v3, vcc_lo, v51, v1
	v_add_co_ci_u32_e32 v2, vcc_lo, 0, v52, vcc_lo
	v_add_co_u32 v1, vcc_lo, 0, v3
	s_delay_alu instid0(VALU_DEP_2) | instskip(NEXT) | instid1(VALU_DEP_1)
	v_add_co_ci_u32_e32 v2, vcc_lo, v4, v2, vcc_lo
	v_dual_mov_b32 v52, v2 :: v_dual_mov_b32 v51, v1
; %bb.101:
	s_or_b32 exec_lo, exec_lo, s0
	v_mov_b32_dpp v1, v3 row_shr:4 row_mask:0xf bank_mask:0xf
	v_mov_b32_dpp v4, v2 row_shr:4 row_mask:0xf bank_mask:0xf
	s_mov_b32 s0, exec_lo
	v_cmpx_lt_u32_e32 3, v73
; %bb.102:
	s_delay_alu instid0(VALU_DEP_3) | instskip(SKIP_1) | instid1(VALU_DEP_2)
	v_add_co_u32 v3, vcc_lo, v51, v1
	v_add_co_ci_u32_e32 v2, vcc_lo, 0, v52, vcc_lo
	v_add_co_u32 v1, vcc_lo, 0, v3
	s_delay_alu instid0(VALU_DEP_2) | instskip(NEXT) | instid1(VALU_DEP_1)
	v_add_co_ci_u32_e32 v2, vcc_lo, v4, v2, vcc_lo
	v_dual_mov_b32 v52, v2 :: v_dual_mov_b32 v51, v1
; %bb.103:
	s_or_b32 exec_lo, exec_lo, s0
	v_mov_b32_dpp v4, v3 row_shr:8 row_mask:0xf bank_mask:0xf
	v_mov_b32_dpp v1, v2 row_shr:8 row_mask:0xf bank_mask:0xf
	s_mov_b32 s0, exec_lo
	v_cmpx_lt_u32_e32 7, v73
; %bb.104:
	s_delay_alu instid0(VALU_DEP_3) | instskip(SKIP_1) | instid1(VALU_DEP_2)
	v_add_co_u32 v3, vcc_lo, v51, v4
	v_add_co_ci_u32_e32 v2, vcc_lo, 0, v52, vcc_lo
	v_add_co_u32 v51, vcc_lo, 0, v3
	s_delay_alu instid0(VALU_DEP_2) | instskip(NEXT) | instid1(VALU_DEP_1)
	v_add_co_ci_u32_e32 v52, vcc_lo, v1, v2, vcc_lo
	v_mov_b32_e32 v2, v52
; %bb.105:
	s_or_b32 exec_lo, exec_lo, s0
	ds_swizzle_b32 v3, v3 offset:swizzle(BROADCAST,32,15)
	ds_swizzle_b32 v1, v2 offset:swizzle(BROADCAST,32,15)
	v_and_b32_e32 v2, 16, v72
	s_mov_b32 s0, exec_lo
	s_delay_alu instid0(VALU_DEP_1)
	v_cmpx_ne_u32_e32 0, v2
	s_cbranch_execz .LBB902_107
; %bb.106:
	s_waitcnt lgkmcnt(1)
	v_add_co_u32 v2, vcc_lo, v51, v3
	v_add_co_ci_u32_e32 v3, vcc_lo, 0, v52, vcc_lo
	s_delay_alu instid0(VALU_DEP_2) | instskip(SKIP_1) | instid1(VALU_DEP_2)
	v_add_co_u32 v51, vcc_lo, v2, 0
	s_waitcnt lgkmcnt(0)
	v_add_co_ci_u32_e32 v52, vcc_lo, v3, v1, vcc_lo
.LBB902_107:
	s_or_b32 exec_lo, exec_lo, s0
	s_waitcnt lgkmcnt(0)
	v_or_b32_e32 v1, 31, v0
	v_lshrrev_b32_e32 v3, 5, v0
	s_mov_b32 s0, exec_lo
	s_delay_alu instid0(VALU_DEP_2)
	v_cmpx_eq_u32_e64 v1, v0
	s_cbranch_execz .LBB902_109
; %bb.108:
	s_delay_alu instid0(VALU_DEP_2)
	v_lshlrev_b32_e32 v1, 3, v3
	ds_store_b64 v1, v[51:52]
.LBB902_109:
	s_or_b32 exec_lo, exec_lo, s0
	s_delay_alu instid0(SALU_CYCLE_1)
	s_mov_b32 s0, exec_lo
	s_waitcnt lgkmcnt(0)
	s_barrier
	buffer_gl0_inv
	v_cmpx_gt_u32_e32 4, v0
	s_cbranch_execz .LBB902_115
; %bb.110:
	v_mad_i32_i24 v1, 0xffffffd0, v0, v61
	s_mov_b32 s1, exec_lo
	ds_load_b64 v[1:2], v1
	s_waitcnt lgkmcnt(0)
	v_dual_mov_b32 v5, v1 :: v_dual_and_b32 v4, 3, v72
	v_mov_b32_dpp v7, v1 row_shr:1 row_mask:0xf bank_mask:0xf
	v_mov_b32_dpp v6, v2 row_shr:1 row_mask:0xf bank_mask:0xf
	s_delay_alu instid0(VALU_DEP_3)
	v_cmpx_ne_u32_e32 0, v4
; %bb.111:
	s_delay_alu instid0(VALU_DEP_3) | instskip(SKIP_1) | instid1(VALU_DEP_2)
	v_add_co_u32 v5, vcc_lo, v1, v7
	v_add_co_ci_u32_e32 v2, vcc_lo, 0, v2, vcc_lo
	v_add_co_u32 v1, vcc_lo, 0, v5
	s_delay_alu instid0(VALU_DEP_2)
	v_add_co_ci_u32_e32 v2, vcc_lo, v6, v2, vcc_lo
; %bb.112:
	s_or_b32 exec_lo, exec_lo, s1
	v_mul_i32_i24_e32 v6, 0xffffffd0, v0
	v_mov_b32_dpp v7, v5 row_shr:2 row_mask:0xf bank_mask:0xf
	s_delay_alu instid0(VALU_DEP_3)
	v_mov_b32_dpp v5, v2 row_shr:2 row_mask:0xf bank_mask:0xf
	s_mov_b32 s1, exec_lo
	v_cmpx_lt_u32_e32 1, v4
; %bb.113:
	s_delay_alu instid0(VALU_DEP_3) | instskip(SKIP_1) | instid1(VALU_DEP_2)
	v_add_co_u32 v1, vcc_lo, v1, v7
	v_add_co_ci_u32_e32 v2, vcc_lo, 0, v2, vcc_lo
	v_add_co_u32 v1, vcc_lo, v1, 0
	s_delay_alu instid0(VALU_DEP_2)
	v_add_co_ci_u32_e32 v2, vcc_lo, v2, v5, vcc_lo
; %bb.114:
	s_or_b32 exec_lo, exec_lo, s1
	v_add_nc_u32_e32 v4, v61, v6
	ds_store_b64 v4, v[1:2]
.LBB902_115:
	s_or_b32 exec_lo, exec_lo, s0
	v_mov_b32_e32 v1, 0
	v_mov_b32_e32 v2, 0
	s_mov_b32 s0, exec_lo
	s_waitcnt lgkmcnt(0)
	s_barrier
	buffer_gl0_inv
	v_cmpx_lt_u32_e32 31, v0
	s_cbranch_execz .LBB902_117
; %bb.116:
	v_lshl_add_u32 v1, v3, 3, -8
	ds_load_b64 v[1:2], v1
.LBB902_117:
	s_or_b32 exec_lo, exec_lo, s0
	v_dual_mov_b32 v48, 0 :: v_dual_add_nc_u32 v3, -1, v72
	s_delay_alu instid0(VALU_DEP_1) | instskip(SKIP_2) | instid1(VALU_DEP_1)
	v_cmp_gt_i32_e32 vcc_lo, 0, v3
	ds_load_b64 v[45:46], v48 offset:24
	v_cndmask_b32_e32 v3, v3, v72, vcc_lo
	v_lshlrev_b32_e32 v4, 2, v3
	s_waitcnt lgkmcnt(1)
	v_add_co_u32 v3, vcc_lo, v1, v51
	v_add_co_ci_u32_e32 v5, vcc_lo, v2, v52, vcc_lo
	v_cmp_eq_u32_e32 vcc_lo, 0, v0
	ds_bpermute_b32 v3, v4, v3
	ds_bpermute_b32 v4, v4, v5
	s_and_saveexec_b32 s0, vcc_lo
	s_cbranch_execz .LBB902_119
; %bb.118:
	s_add_u32 s8, s8, 0x200
	s_addc_u32 s9, s9, 0
	v_mov_b32_e32 v5, s8
	v_dual_mov_b32 v47, 2 :: v_dual_mov_b32 v6, s9
	s_waitcnt lgkmcnt(2)
	;;#ASMSTART
	global_store_dwordx4 v[5:6], v[45:48] off	
s_waitcnt vmcnt(0)
	;;#ASMEND
.LBB902_119:
	s_or_b32 exec_lo, exec_lo, s0
	v_cmp_eq_u32_e64 s0, 0, v72
	v_mov_b32_e32 v47, 0
	v_mov_b32_e32 v48, 0
	s_waitcnt lgkmcnt(0)
	s_barrier
	v_cndmask_b32_e64 v1, v3, v1, s0
	v_cndmask_b32_e64 v2, v4, v2, s0
	buffer_gl0_inv
	v_cndmask_b32_e64 v1, v1, 0, vcc_lo
	v_cndmask_b32_e64 v2, v2, 0, vcc_lo
	s_delay_alu instid0(VALU_DEP_2) | instskip(NEXT) | instid1(VALU_DEP_2)
	v_add_co_u32 v3, vcc_lo, v1, v63
	v_add_co_ci_u32_e32 v4, vcc_lo, 0, v2, vcc_lo
	s_delay_alu instid0(VALU_DEP_2) | instskip(NEXT) | instid1(VALU_DEP_2)
	v_add_co_u32 v5, vcc_lo, v3, v64
	v_add_co_ci_u32_e32 v6, vcc_lo, 0, v4, vcc_lo
	;; [unrolled: 3-line block ×13, first 2 shown]
.LBB902_120:
	s_waitcnt lgkmcnt(0)
	v_cmp_gt_u64_e32 vcc_lo, 0x81, v[45:46]
	v_lshrrev_b32_e32 v51, 16, v56
	v_lshrrev_b32_e32 v52, 8, v56
	;; [unrolled: 1-line block ×6, first 2 shown]
	s_mov_b32 s0, -1
	s_cbranch_vccnz .LBB902_124
; %bb.121:
	s_and_b32 vcc_lo, exec_lo, s0
	s_cbranch_vccnz .LBB902_167
.LBB902_122:
	v_cmp_eq_u32_e32 vcc_lo, 0, v0
	s_and_b32 s0, vcc_lo, s10
	s_delay_alu instid0(SALU_CYCLE_1)
	s_and_saveexec_b32 s1, s0
	s_cbranch_execnz .LBB902_199
.LBB902_123:
	s_nop 0
	s_sendmsg sendmsg(MSG_DEALLOC_VGPRS)
	s_endpgm
.LBB902_124:
	v_add_co_u32 v29, vcc_lo, v47, v45
	v_add_co_ci_u32_e32 v30, vcc_lo, v48, v46, vcc_lo
	s_lshl_b64 s[0:1], s[2:3], 2
	s_delay_alu instid0(SALU_CYCLE_1) | instskip(NEXT) | instid1(VALU_DEP_1)
	s_add_u32 s0, s6, s0
	v_cmp_lt_u64_e32 vcc_lo, v[1:2], v[29:30]
	s_addc_u32 s1, s7, s1
	s_or_b32 s9, s11, vcc_lo
	s_delay_alu instid0(SALU_CYCLE_1)
	s_and_saveexec_b32 s8, s9
	s_cbranch_execz .LBB902_127
; %bb.125:
	v_and_b32_e32 v63, 1, v59
	s_delay_alu instid0(VALU_DEP_1)
	v_cmp_eq_u32_e32 vcc_lo, 1, v63
	s_and_b32 exec_lo, exec_lo, vcc_lo
	s_cbranch_execz .LBB902_127
; %bb.126:
	v_lshlrev_b64 v[63:64], 2, v[1:2]
	s_delay_alu instid0(VALU_DEP_1) | instskip(NEXT) | instid1(VALU_DEP_2)
	v_add_co_u32 v63, vcc_lo, s0, v63
	v_add_co_ci_u32_e32 v64, vcc_lo, s1, v64, vcc_lo
	global_store_b32 v[63:64], v41, off
.LBB902_127:
	s_or_b32 exec_lo, exec_lo, s8
	v_cmp_lt_u64_e32 vcc_lo, v[3:4], v[29:30]
	s_or_b32 s9, s11, vcc_lo
	s_delay_alu instid0(SALU_CYCLE_1)
	s_and_saveexec_b32 s8, s9
	s_cbranch_execz .LBB902_130
; %bb.128:
	v_and_b32_e32 v2, 1, v62
	s_delay_alu instid0(VALU_DEP_1)
	v_cmp_eq_u32_e32 vcc_lo, 1, v2
	s_and_b32 exec_lo, exec_lo, vcc_lo
	s_cbranch_execz .LBB902_130
; %bb.129:
	v_lshlrev_b64 v[63:64], 2, v[3:4]
	s_delay_alu instid0(VALU_DEP_1) | instskip(NEXT) | instid1(VALU_DEP_2)
	v_add_co_u32 v63, vcc_lo, s0, v63
	v_add_co_ci_u32_e32 v64, vcc_lo, s1, v64, vcc_lo
	global_store_b32 v[63:64], v42, off
.LBB902_130:
	s_or_b32 exec_lo, exec_lo, s8
	v_cmp_lt_u64_e32 vcc_lo, v[5:6], v[29:30]
	s_or_b32 s9, s11, vcc_lo
	s_delay_alu instid0(SALU_CYCLE_1)
	s_and_saveexec_b32 s8, s9
	s_cbranch_execz .LBB902_133
; %bb.131:
	v_and_b32_e32 v2, 1, v61
	s_delay_alu instid0(VALU_DEP_1)
	v_cmp_eq_u32_e32 vcc_lo, 1, v2
	s_and_b32 exec_lo, exec_lo, vcc_lo
	s_cbranch_execz .LBB902_133
; %bb.132:
	v_lshlrev_b64 v[63:64], 2, v[5:6]
	s_delay_alu instid0(VALU_DEP_1) | instskip(NEXT) | instid1(VALU_DEP_2)
	v_add_co_u32 v63, vcc_lo, s0, v63
	v_add_co_ci_u32_e32 v64, vcc_lo, s1, v64, vcc_lo
	global_store_b32 v[63:64], v43, off
.LBB902_133:
	s_or_b32 exec_lo, exec_lo, s8
	v_cmp_lt_u64_e32 vcc_lo, v[7:8], v[29:30]
	s_or_b32 s9, s11, vcc_lo
	s_delay_alu instid0(SALU_CYCLE_1)
	s_and_saveexec_b32 s8, s9
	s_cbranch_execz .LBB902_136
; %bb.134:
	v_and_b32_e32 v2, 1, v60
	s_delay_alu instid0(VALU_DEP_1)
	v_cmp_eq_u32_e32 vcc_lo, 1, v2
	s_and_b32 exec_lo, exec_lo, vcc_lo
	s_cbranch_execz .LBB902_136
; %bb.135:
	v_lshlrev_b64 v[63:64], 2, v[7:8]
	s_delay_alu instid0(VALU_DEP_1) | instskip(NEXT) | instid1(VALU_DEP_2)
	v_add_co_u32 v63, vcc_lo, s0, v63
	v_add_co_ci_u32_e32 v64, vcc_lo, s1, v64, vcc_lo
	global_store_b32 v[63:64], v44, off
.LBB902_136:
	s_or_b32 exec_lo, exec_lo, s8
	v_cmp_lt_u64_e32 vcc_lo, v[9:10], v[29:30]
	s_or_b32 s9, s11, vcc_lo
	s_delay_alu instid0(SALU_CYCLE_1)
	s_and_saveexec_b32 s8, s9
	s_cbranch_execz .LBB902_139
; %bb.137:
	v_and_b32_e32 v2, 1, v56
	s_delay_alu instid0(VALU_DEP_1)
	v_cmp_eq_u32_e32 vcc_lo, 1, v2
	s_and_b32 exec_lo, exec_lo, vcc_lo
	s_cbranch_execz .LBB902_139
; %bb.138:
	v_lshlrev_b64 v[63:64], 2, v[9:10]
	s_delay_alu instid0(VALU_DEP_1) | instskip(NEXT) | instid1(VALU_DEP_2)
	v_add_co_u32 v63, vcc_lo, s0, v63
	v_add_co_ci_u32_e32 v64, vcc_lo, s1, v64, vcc_lo
	global_store_b32 v[63:64], v37, off
.LBB902_139:
	s_or_b32 exec_lo, exec_lo, s8
	v_cmp_lt_u64_e32 vcc_lo, v[11:12], v[29:30]
	s_or_b32 s9, s11, vcc_lo
	s_delay_alu instid0(SALU_CYCLE_1)
	s_and_saveexec_b32 s8, s9
	s_cbranch_execz .LBB902_142
; %bb.140:
	v_and_b32_e32 v2, 1, v52
	s_delay_alu instid0(VALU_DEP_1)
	v_cmp_eq_u32_e32 vcc_lo, 1, v2
	s_and_b32 exec_lo, exec_lo, vcc_lo
	s_cbranch_execz .LBB902_142
; %bb.141:
	v_lshlrev_b64 v[63:64], 2, v[11:12]
	s_delay_alu instid0(VALU_DEP_1) | instskip(NEXT) | instid1(VALU_DEP_2)
	v_add_co_u32 v63, vcc_lo, s0, v63
	v_add_co_ci_u32_e32 v64, vcc_lo, s1, v64, vcc_lo
	global_store_b32 v[63:64], v38, off
.LBB902_142:
	s_or_b32 exec_lo, exec_lo, s8
	v_cmp_lt_u64_e32 vcc_lo, v[13:14], v[29:30]
	s_or_b32 s9, s11, vcc_lo
	s_delay_alu instid0(SALU_CYCLE_1)
	s_and_saveexec_b32 s8, s9
	s_cbranch_execz .LBB902_145
; %bb.143:
	v_and_b32_e32 v2, 1, v51
	s_delay_alu instid0(VALU_DEP_1)
	v_cmp_eq_u32_e32 vcc_lo, 1, v2
	s_and_b32 exec_lo, exec_lo, vcc_lo
	s_cbranch_execz .LBB902_145
; %bb.144:
	v_lshlrev_b64 v[63:64], 2, v[13:14]
	s_delay_alu instid0(VALU_DEP_1) | instskip(NEXT) | instid1(VALU_DEP_2)
	v_add_co_u32 v63, vcc_lo, s0, v63
	v_add_co_ci_u32_e32 v64, vcc_lo, s1, v64, vcc_lo
	global_store_b32 v[63:64], v39, off
.LBB902_145:
	s_or_b32 exec_lo, exec_lo, s8
	v_cmp_lt_u64_e32 vcc_lo, v[15:16], v[29:30]
	s_or_b32 s9, s11, vcc_lo
	s_delay_alu instid0(SALU_CYCLE_1)
	s_and_saveexec_b32 s8, s9
	s_cbranch_execz .LBB902_148
; %bb.146:
	v_and_b32_e32 v2, 1, v58
	s_delay_alu instid0(VALU_DEP_1)
	v_cmp_eq_u32_e32 vcc_lo, 1, v2
	s_and_b32 exec_lo, exec_lo, vcc_lo
	s_cbranch_execz .LBB902_148
; %bb.147:
	v_lshlrev_b64 v[63:64], 2, v[15:16]
	s_delay_alu instid0(VALU_DEP_1) | instskip(NEXT) | instid1(VALU_DEP_2)
	v_add_co_u32 v63, vcc_lo, s0, v63
	v_add_co_ci_u32_e32 v64, vcc_lo, s1, v64, vcc_lo
	global_store_b32 v[63:64], v40, off
.LBB902_148:
	s_or_b32 exec_lo, exec_lo, s8
	v_cmp_lt_u64_e32 vcc_lo, v[17:18], v[29:30]
	s_or_b32 s9, s11, vcc_lo
	s_delay_alu instid0(SALU_CYCLE_1)
	s_and_saveexec_b32 s8, s9
	s_cbranch_execz .LBB902_151
; %bb.149:
	v_and_b32_e32 v2, 1, v55
	s_delay_alu instid0(VALU_DEP_1)
	v_cmp_eq_u32_e32 vcc_lo, 1, v2
	s_and_b32 exec_lo, exec_lo, vcc_lo
	s_cbranch_execz .LBB902_151
; %bb.150:
	v_lshlrev_b64 v[63:64], 2, v[17:18]
	s_delay_alu instid0(VALU_DEP_1) | instskip(NEXT) | instid1(VALU_DEP_2)
	v_add_co_u32 v63, vcc_lo, s0, v63
	v_add_co_ci_u32_e32 v64, vcc_lo, s1, v64, vcc_lo
	global_store_b32 v[63:64], v33, off
.LBB902_151:
	s_or_b32 exec_lo, exec_lo, s8
	v_cmp_lt_u64_e32 vcc_lo, v[19:20], v[29:30]
	s_or_b32 s9, s11, vcc_lo
	s_delay_alu instid0(SALU_CYCLE_1)
	s_and_saveexec_b32 s8, s9
	s_cbranch_execz .LBB902_154
; %bb.152:
	v_and_b32_e32 v2, 1, v32
	s_delay_alu instid0(VALU_DEP_1)
	v_cmp_eq_u32_e32 vcc_lo, 1, v2
	s_and_b32 exec_lo, exec_lo, vcc_lo
	s_cbranch_execz .LBB902_154
; %bb.153:
	v_lshlrev_b64 v[63:64], 2, v[19:20]
	s_delay_alu instid0(VALU_DEP_1) | instskip(NEXT) | instid1(VALU_DEP_2)
	v_add_co_u32 v63, vcc_lo, s0, v63
	v_add_co_ci_u32_e32 v64, vcc_lo, s1, v64, vcc_lo
	global_store_b32 v[63:64], v34, off
.LBB902_154:
	s_or_b32 exec_lo, exec_lo, s8
	v_cmp_lt_u64_e32 vcc_lo, v[21:22], v[29:30]
	s_or_b32 s9, s11, vcc_lo
	s_delay_alu instid0(SALU_CYCLE_1)
	s_and_saveexec_b32 s8, s9
	s_cbranch_execz .LBB902_157
; %bb.155:
	v_and_b32_e32 v2, 1, v31
	s_delay_alu instid0(VALU_DEP_1)
	v_cmp_eq_u32_e32 vcc_lo, 1, v2
	s_and_b32 exec_lo, exec_lo, vcc_lo
	s_cbranch_execz .LBB902_157
; %bb.156:
	v_lshlrev_b64 v[63:64], 2, v[21:22]
	s_delay_alu instid0(VALU_DEP_1) | instskip(NEXT) | instid1(VALU_DEP_2)
	v_add_co_u32 v63, vcc_lo, s0, v63
	v_add_co_ci_u32_e32 v64, vcc_lo, s1, v64, vcc_lo
	global_store_b32 v[63:64], v35, off
.LBB902_157:
	s_or_b32 exec_lo, exec_lo, s8
	v_cmp_lt_u64_e32 vcc_lo, v[23:24], v[29:30]
	s_or_b32 s9, s11, vcc_lo
	s_delay_alu instid0(SALU_CYCLE_1)
	s_and_saveexec_b32 s8, s9
	s_cbranch_execz .LBB902_160
; %bb.158:
	v_and_b32_e32 v2, 1, v57
	s_delay_alu instid0(VALU_DEP_1)
	v_cmp_eq_u32_e32 vcc_lo, 1, v2
	s_and_b32 exec_lo, exec_lo, vcc_lo
	s_cbranch_execz .LBB902_160
; %bb.159:
	v_lshlrev_b64 v[63:64], 2, v[23:24]
	s_delay_alu instid0(VALU_DEP_1) | instskip(NEXT) | instid1(VALU_DEP_2)
	v_add_co_u32 v63, vcc_lo, s0, v63
	v_add_co_ci_u32_e32 v64, vcc_lo, s1, v64, vcc_lo
	global_store_b32 v[63:64], v36, off
.LBB902_160:
	s_or_b32 exec_lo, exec_lo, s8
	v_cmp_lt_u64_e32 vcc_lo, v[25:26], v[29:30]
	s_or_b32 s9, s11, vcc_lo
	s_delay_alu instid0(SALU_CYCLE_1)
	s_and_saveexec_b32 s8, s9
	s_cbranch_execz .LBB902_163
; %bb.161:
	v_and_b32_e32 v2, 1, v54
	s_delay_alu instid0(VALU_DEP_1)
	v_cmp_eq_u32_e32 vcc_lo, 1, v2
	s_and_b32 exec_lo, exec_lo, vcc_lo
	s_cbranch_execz .LBB902_163
; %bb.162:
	v_lshlrev_b64 v[63:64], 2, v[25:26]
	s_delay_alu instid0(VALU_DEP_1) | instskip(NEXT) | instid1(VALU_DEP_2)
	v_add_co_u32 v63, vcc_lo, s0, v63
	v_add_co_ci_u32_e32 v64, vcc_lo, s1, v64, vcc_lo
	global_store_b32 v[63:64], v49, off
.LBB902_163:
	s_or_b32 exec_lo, exec_lo, s8
	v_cmp_lt_u64_e32 vcc_lo, v[27:28], v[29:30]
	s_or_b32 s9, s11, vcc_lo
	s_delay_alu instid0(SALU_CYCLE_1)
	s_and_saveexec_b32 s8, s9
	s_cbranch_execz .LBB902_166
; %bb.164:
	v_and_b32_e32 v2, 1, v53
	s_delay_alu instid0(VALU_DEP_1)
	v_cmp_eq_u32_e32 vcc_lo, 1, v2
	s_and_b32 exec_lo, exec_lo, vcc_lo
	s_cbranch_execz .LBB902_166
; %bb.165:
	v_lshlrev_b64 v[28:29], 2, v[27:28]
	s_delay_alu instid0(VALU_DEP_1) | instskip(NEXT) | instid1(VALU_DEP_2)
	v_add_co_u32 v28, vcc_lo, s0, v28
	v_add_co_ci_u32_e32 v29, vcc_lo, s1, v29, vcc_lo
	global_store_b32 v[28:29], v50, off
.LBB902_166:
	s_or_b32 exec_lo, exec_lo, s8
	s_branch .LBB902_122
.LBB902_167:
	v_and_b32_e32 v2, 1, v59
	s_mov_b32 s0, exec_lo
	s_delay_alu instid0(VALU_DEP_1)
	v_cmpx_eq_u32_e32 1, v2
	s_cbranch_execz .LBB902_169
; %bb.168:
	v_sub_nc_u32_e32 v1, v1, v47
	s_delay_alu instid0(VALU_DEP_1)
	v_lshlrev_b32_e32 v1, 2, v1
	ds_store_b32 v1, v41
.LBB902_169:
	s_or_b32 exec_lo, exec_lo, s0
	v_and_b32_e32 v1, 1, v62
	s_mov_b32 s0, exec_lo
	s_delay_alu instid0(VALU_DEP_1)
	v_cmpx_eq_u32_e32 1, v1
	s_cbranch_execz .LBB902_171
; %bb.170:
	v_sub_nc_u32_e32 v1, v3, v47
	s_delay_alu instid0(VALU_DEP_1)
	v_lshlrev_b32_e32 v1, 2, v1
	ds_store_b32 v1, v42
.LBB902_171:
	s_or_b32 exec_lo, exec_lo, s0
	;; [unrolled: 12-line block ×14, first 2 shown]
	v_mov_b32_e32 v3, 0
	s_mov_b32 s1, exec_lo
	s_waitcnt lgkmcnt(0)
	s_waitcnt_vscnt null, 0x0
	s_barrier
	buffer_gl0_inv
	v_mov_b32_e32 v1, v3
	s_delay_alu instid0(VALU_DEP_1)
	v_cmpx_gt_u64_e64 v[45:46], v[0:1]
	s_cbranch_execz .LBB902_198
; %bb.196:
	v_lshlrev_b64 v[4:5], 2, v[47:48]
	s_lshl_b64 s[8:9], s[2:3], 2
	v_or_b32_e32 v2, 0x80, v0
	s_delay_alu instid0(VALU_DEP_2) | instskip(NEXT) | instid1(VALU_DEP_3)
	v_add_co_u32 v4, vcc_lo, s6, v4
	v_add_co_ci_u32_e32 v5, vcc_lo, s7, v5, vcc_lo
	s_mov_b32 s6, 0
	s_delay_alu instid0(VALU_DEP_2) | instskip(NEXT) | instid1(VALU_DEP_2)
	v_add_co_u32 v6, vcc_lo, v4, s8
	v_add_co_ci_u32_e32 v7, vcc_lo, s9, v5, vcc_lo
	v_dual_mov_b32 v5, v1 :: v_dual_mov_b32 v4, v0
	.p2align	6
.LBB902_197:                            ; =>This Inner Loop Header: Depth=1
	s_delay_alu instid0(VALU_DEP_1) | instskip(NEXT) | instid1(VALU_DEP_2)
	v_lshlrev_b32_e32 v1, 2, v4
	v_lshlrev_b64 v[8:9], 2, v[4:5]
	v_dual_mov_b32 v5, v3 :: v_dual_mov_b32 v4, v2
	v_cmp_le_u64_e32 vcc_lo, v[45:46], v[2:3]
	v_add_nc_u32_e32 v2, 0x80, v2
	ds_load_b32 v1, v1
	v_add_co_u32 v8, s0, v6, v8
	s_delay_alu instid0(VALU_DEP_1)
	v_add_co_ci_u32_e64 v9, s0, v7, v9, s0
	s_or_b32 s6, vcc_lo, s6
	s_waitcnt lgkmcnt(0)
	global_store_b32 v[8:9], v1, off
	s_and_not1_b32 exec_lo, exec_lo, s6
	s_cbranch_execnz .LBB902_197
.LBB902_198:
	s_or_b32 exec_lo, exec_lo, s1
	v_cmp_eq_u32_e32 vcc_lo, 0, v0
	s_and_b32 s0, vcc_lo, s10
	s_delay_alu instid0(SALU_CYCLE_1)
	s_and_saveexec_b32 s1, s0
	s_cbranch_execz .LBB902_123
.LBB902_199:
	v_add_co_u32 v0, vcc_lo, v47, v45
	v_add_co_ci_u32_e32 v1, vcc_lo, v48, v46, vcc_lo
	v_mov_b32_e32 v2, 0
	s_delay_alu instid0(VALU_DEP_3) | instskip(NEXT) | instid1(VALU_DEP_3)
	v_add_co_u32 v0, vcc_lo, v0, s2
	v_add_co_ci_u32_e32 v1, vcc_lo, s3, v1, vcc_lo
	global_store_b64 v2, v[0:1], s[4:5]
	s_nop 0
	s_sendmsg sendmsg(MSG_DEALLOC_VGPRS)
	s_endpgm
	.section	.rodata,"a",@progbits
	.p2align	6, 0x0
	.amdhsa_kernel _ZN7rocprim17ROCPRIM_400000_NS6detail17trampoline_kernelINS0_14default_configENS1_25partition_config_selectorILNS1_17partition_subalgoE6EiNS0_10empty_typeEbEEZZNS1_14partition_implILS5_6ELb0ES3_mN6thrust23THRUST_200600_302600_NS10device_ptrIiEEPS6_SD_NS0_5tupleIJSC_S6_EEENSE_IJSD_SD_EEES6_PlJ7is_evenIiEEEE10hipError_tPvRmT3_T4_T5_T6_T7_T9_mT8_P12ihipStream_tbDpT10_ENKUlT_T0_E_clISt17integral_constantIbLb0EES13_EEDaSY_SZ_EUlSY_E_NS1_11comp_targetILNS1_3genE9ELNS1_11target_archE1100ELNS1_3gpuE3ELNS1_3repE0EEENS1_30default_config_static_selectorELNS0_4arch9wavefront6targetE0EEEvT1_
		.amdhsa_group_segment_fixed_size 7184
		.amdhsa_private_segment_fixed_size 0
		.amdhsa_kernarg_size 112
		.amdhsa_user_sgpr_count 15
		.amdhsa_user_sgpr_dispatch_ptr 0
		.amdhsa_user_sgpr_queue_ptr 0
		.amdhsa_user_sgpr_kernarg_segment_ptr 1
		.amdhsa_user_sgpr_dispatch_id 0
		.amdhsa_user_sgpr_private_segment_size 0
		.amdhsa_wavefront_size32 1
		.amdhsa_uses_dynamic_stack 0
		.amdhsa_enable_private_segment 0
		.amdhsa_system_sgpr_workgroup_id_x 1
		.amdhsa_system_sgpr_workgroup_id_y 0
		.amdhsa_system_sgpr_workgroup_id_z 0
		.amdhsa_system_sgpr_workgroup_info 0
		.amdhsa_system_vgpr_workitem_id 0
		.amdhsa_next_free_vgpr 74
		.amdhsa_next_free_sgpr 18
		.amdhsa_reserve_vcc 1
		.amdhsa_float_round_mode_32 0
		.amdhsa_float_round_mode_16_64 0
		.amdhsa_float_denorm_mode_32 3
		.amdhsa_float_denorm_mode_16_64 3
		.amdhsa_dx10_clamp 1
		.amdhsa_ieee_mode 1
		.amdhsa_fp16_overflow 0
		.amdhsa_workgroup_processor_mode 1
		.amdhsa_memory_ordered 1
		.amdhsa_forward_progress 0
		.amdhsa_shared_vgpr_count 0
		.amdhsa_exception_fp_ieee_invalid_op 0
		.amdhsa_exception_fp_denorm_src 0
		.amdhsa_exception_fp_ieee_div_zero 0
		.amdhsa_exception_fp_ieee_overflow 0
		.amdhsa_exception_fp_ieee_underflow 0
		.amdhsa_exception_fp_ieee_inexact 0
		.amdhsa_exception_int_div_zero 0
	.end_amdhsa_kernel
	.section	.text._ZN7rocprim17ROCPRIM_400000_NS6detail17trampoline_kernelINS0_14default_configENS1_25partition_config_selectorILNS1_17partition_subalgoE6EiNS0_10empty_typeEbEEZZNS1_14partition_implILS5_6ELb0ES3_mN6thrust23THRUST_200600_302600_NS10device_ptrIiEEPS6_SD_NS0_5tupleIJSC_S6_EEENSE_IJSD_SD_EEES6_PlJ7is_evenIiEEEE10hipError_tPvRmT3_T4_T5_T6_T7_T9_mT8_P12ihipStream_tbDpT10_ENKUlT_T0_E_clISt17integral_constantIbLb0EES13_EEDaSY_SZ_EUlSY_E_NS1_11comp_targetILNS1_3genE9ELNS1_11target_archE1100ELNS1_3gpuE3ELNS1_3repE0EEENS1_30default_config_static_selectorELNS0_4arch9wavefront6targetE0EEEvT1_,"axG",@progbits,_ZN7rocprim17ROCPRIM_400000_NS6detail17trampoline_kernelINS0_14default_configENS1_25partition_config_selectorILNS1_17partition_subalgoE6EiNS0_10empty_typeEbEEZZNS1_14partition_implILS5_6ELb0ES3_mN6thrust23THRUST_200600_302600_NS10device_ptrIiEEPS6_SD_NS0_5tupleIJSC_S6_EEENSE_IJSD_SD_EEES6_PlJ7is_evenIiEEEE10hipError_tPvRmT3_T4_T5_T6_T7_T9_mT8_P12ihipStream_tbDpT10_ENKUlT_T0_E_clISt17integral_constantIbLb0EES13_EEDaSY_SZ_EUlSY_E_NS1_11comp_targetILNS1_3genE9ELNS1_11target_archE1100ELNS1_3gpuE3ELNS1_3repE0EEENS1_30default_config_static_selectorELNS0_4arch9wavefront6targetE0EEEvT1_,comdat
.Lfunc_end902:
	.size	_ZN7rocprim17ROCPRIM_400000_NS6detail17trampoline_kernelINS0_14default_configENS1_25partition_config_selectorILNS1_17partition_subalgoE6EiNS0_10empty_typeEbEEZZNS1_14partition_implILS5_6ELb0ES3_mN6thrust23THRUST_200600_302600_NS10device_ptrIiEEPS6_SD_NS0_5tupleIJSC_S6_EEENSE_IJSD_SD_EEES6_PlJ7is_evenIiEEEE10hipError_tPvRmT3_T4_T5_T6_T7_T9_mT8_P12ihipStream_tbDpT10_ENKUlT_T0_E_clISt17integral_constantIbLb0EES13_EEDaSY_SZ_EUlSY_E_NS1_11comp_targetILNS1_3genE9ELNS1_11target_archE1100ELNS1_3gpuE3ELNS1_3repE0EEENS1_30default_config_static_selectorELNS0_4arch9wavefront6targetE0EEEvT1_, .Lfunc_end902-_ZN7rocprim17ROCPRIM_400000_NS6detail17trampoline_kernelINS0_14default_configENS1_25partition_config_selectorILNS1_17partition_subalgoE6EiNS0_10empty_typeEbEEZZNS1_14partition_implILS5_6ELb0ES3_mN6thrust23THRUST_200600_302600_NS10device_ptrIiEEPS6_SD_NS0_5tupleIJSC_S6_EEENSE_IJSD_SD_EEES6_PlJ7is_evenIiEEEE10hipError_tPvRmT3_T4_T5_T6_T7_T9_mT8_P12ihipStream_tbDpT10_ENKUlT_T0_E_clISt17integral_constantIbLb0EES13_EEDaSY_SZ_EUlSY_E_NS1_11comp_targetILNS1_3genE9ELNS1_11target_archE1100ELNS1_3gpuE3ELNS1_3repE0EEENS1_30default_config_static_selectorELNS0_4arch9wavefront6targetE0EEEvT1_
                                        ; -- End function
	.section	.AMDGPU.csdata,"",@progbits
; Kernel info:
; codeLenInByte = 8524
; NumSgprs: 20
; NumVgprs: 74
; ScratchSize: 0
; MemoryBound: 0
; FloatMode: 240
; IeeeMode: 1
; LDSByteSize: 7184 bytes/workgroup (compile time only)
; SGPRBlocks: 2
; VGPRBlocks: 9
; NumSGPRsForWavesPerEU: 20
; NumVGPRsForWavesPerEU: 74
; Occupancy: 16
; WaveLimiterHint : 1
; COMPUTE_PGM_RSRC2:SCRATCH_EN: 0
; COMPUTE_PGM_RSRC2:USER_SGPR: 15
; COMPUTE_PGM_RSRC2:TRAP_HANDLER: 0
; COMPUTE_PGM_RSRC2:TGID_X_EN: 1
; COMPUTE_PGM_RSRC2:TGID_Y_EN: 0
; COMPUTE_PGM_RSRC2:TGID_Z_EN: 0
; COMPUTE_PGM_RSRC2:TIDIG_COMP_CNT: 0
	.section	.text._ZN7rocprim17ROCPRIM_400000_NS6detail17trampoline_kernelINS0_14default_configENS1_25partition_config_selectorILNS1_17partition_subalgoE6EiNS0_10empty_typeEbEEZZNS1_14partition_implILS5_6ELb0ES3_mN6thrust23THRUST_200600_302600_NS10device_ptrIiEEPS6_SD_NS0_5tupleIJSC_S6_EEENSE_IJSD_SD_EEES6_PlJ7is_evenIiEEEE10hipError_tPvRmT3_T4_T5_T6_T7_T9_mT8_P12ihipStream_tbDpT10_ENKUlT_T0_E_clISt17integral_constantIbLb0EES13_EEDaSY_SZ_EUlSY_E_NS1_11comp_targetILNS1_3genE8ELNS1_11target_archE1030ELNS1_3gpuE2ELNS1_3repE0EEENS1_30default_config_static_selectorELNS0_4arch9wavefront6targetE0EEEvT1_,"axG",@progbits,_ZN7rocprim17ROCPRIM_400000_NS6detail17trampoline_kernelINS0_14default_configENS1_25partition_config_selectorILNS1_17partition_subalgoE6EiNS0_10empty_typeEbEEZZNS1_14partition_implILS5_6ELb0ES3_mN6thrust23THRUST_200600_302600_NS10device_ptrIiEEPS6_SD_NS0_5tupleIJSC_S6_EEENSE_IJSD_SD_EEES6_PlJ7is_evenIiEEEE10hipError_tPvRmT3_T4_T5_T6_T7_T9_mT8_P12ihipStream_tbDpT10_ENKUlT_T0_E_clISt17integral_constantIbLb0EES13_EEDaSY_SZ_EUlSY_E_NS1_11comp_targetILNS1_3genE8ELNS1_11target_archE1030ELNS1_3gpuE2ELNS1_3repE0EEENS1_30default_config_static_selectorELNS0_4arch9wavefront6targetE0EEEvT1_,comdat
	.protected	_ZN7rocprim17ROCPRIM_400000_NS6detail17trampoline_kernelINS0_14default_configENS1_25partition_config_selectorILNS1_17partition_subalgoE6EiNS0_10empty_typeEbEEZZNS1_14partition_implILS5_6ELb0ES3_mN6thrust23THRUST_200600_302600_NS10device_ptrIiEEPS6_SD_NS0_5tupleIJSC_S6_EEENSE_IJSD_SD_EEES6_PlJ7is_evenIiEEEE10hipError_tPvRmT3_T4_T5_T6_T7_T9_mT8_P12ihipStream_tbDpT10_ENKUlT_T0_E_clISt17integral_constantIbLb0EES13_EEDaSY_SZ_EUlSY_E_NS1_11comp_targetILNS1_3genE8ELNS1_11target_archE1030ELNS1_3gpuE2ELNS1_3repE0EEENS1_30default_config_static_selectorELNS0_4arch9wavefront6targetE0EEEvT1_ ; -- Begin function _ZN7rocprim17ROCPRIM_400000_NS6detail17trampoline_kernelINS0_14default_configENS1_25partition_config_selectorILNS1_17partition_subalgoE6EiNS0_10empty_typeEbEEZZNS1_14partition_implILS5_6ELb0ES3_mN6thrust23THRUST_200600_302600_NS10device_ptrIiEEPS6_SD_NS0_5tupleIJSC_S6_EEENSE_IJSD_SD_EEES6_PlJ7is_evenIiEEEE10hipError_tPvRmT3_T4_T5_T6_T7_T9_mT8_P12ihipStream_tbDpT10_ENKUlT_T0_E_clISt17integral_constantIbLb0EES13_EEDaSY_SZ_EUlSY_E_NS1_11comp_targetILNS1_3genE8ELNS1_11target_archE1030ELNS1_3gpuE2ELNS1_3repE0EEENS1_30default_config_static_selectorELNS0_4arch9wavefront6targetE0EEEvT1_
	.globl	_ZN7rocprim17ROCPRIM_400000_NS6detail17trampoline_kernelINS0_14default_configENS1_25partition_config_selectorILNS1_17partition_subalgoE6EiNS0_10empty_typeEbEEZZNS1_14partition_implILS5_6ELb0ES3_mN6thrust23THRUST_200600_302600_NS10device_ptrIiEEPS6_SD_NS0_5tupleIJSC_S6_EEENSE_IJSD_SD_EEES6_PlJ7is_evenIiEEEE10hipError_tPvRmT3_T4_T5_T6_T7_T9_mT8_P12ihipStream_tbDpT10_ENKUlT_T0_E_clISt17integral_constantIbLb0EES13_EEDaSY_SZ_EUlSY_E_NS1_11comp_targetILNS1_3genE8ELNS1_11target_archE1030ELNS1_3gpuE2ELNS1_3repE0EEENS1_30default_config_static_selectorELNS0_4arch9wavefront6targetE0EEEvT1_
	.p2align	8
	.type	_ZN7rocprim17ROCPRIM_400000_NS6detail17trampoline_kernelINS0_14default_configENS1_25partition_config_selectorILNS1_17partition_subalgoE6EiNS0_10empty_typeEbEEZZNS1_14partition_implILS5_6ELb0ES3_mN6thrust23THRUST_200600_302600_NS10device_ptrIiEEPS6_SD_NS0_5tupleIJSC_S6_EEENSE_IJSD_SD_EEES6_PlJ7is_evenIiEEEE10hipError_tPvRmT3_T4_T5_T6_T7_T9_mT8_P12ihipStream_tbDpT10_ENKUlT_T0_E_clISt17integral_constantIbLb0EES13_EEDaSY_SZ_EUlSY_E_NS1_11comp_targetILNS1_3genE8ELNS1_11target_archE1030ELNS1_3gpuE2ELNS1_3repE0EEENS1_30default_config_static_selectorELNS0_4arch9wavefront6targetE0EEEvT1_,@function
_ZN7rocprim17ROCPRIM_400000_NS6detail17trampoline_kernelINS0_14default_configENS1_25partition_config_selectorILNS1_17partition_subalgoE6EiNS0_10empty_typeEbEEZZNS1_14partition_implILS5_6ELb0ES3_mN6thrust23THRUST_200600_302600_NS10device_ptrIiEEPS6_SD_NS0_5tupleIJSC_S6_EEENSE_IJSD_SD_EEES6_PlJ7is_evenIiEEEE10hipError_tPvRmT3_T4_T5_T6_T7_T9_mT8_P12ihipStream_tbDpT10_ENKUlT_T0_E_clISt17integral_constantIbLb0EES13_EEDaSY_SZ_EUlSY_E_NS1_11comp_targetILNS1_3genE8ELNS1_11target_archE1030ELNS1_3gpuE2ELNS1_3repE0EEENS1_30default_config_static_selectorELNS0_4arch9wavefront6targetE0EEEvT1_: ; @_ZN7rocprim17ROCPRIM_400000_NS6detail17trampoline_kernelINS0_14default_configENS1_25partition_config_selectorILNS1_17partition_subalgoE6EiNS0_10empty_typeEbEEZZNS1_14partition_implILS5_6ELb0ES3_mN6thrust23THRUST_200600_302600_NS10device_ptrIiEEPS6_SD_NS0_5tupleIJSC_S6_EEENSE_IJSD_SD_EEES6_PlJ7is_evenIiEEEE10hipError_tPvRmT3_T4_T5_T6_T7_T9_mT8_P12ihipStream_tbDpT10_ENKUlT_T0_E_clISt17integral_constantIbLb0EES13_EEDaSY_SZ_EUlSY_E_NS1_11comp_targetILNS1_3genE8ELNS1_11target_archE1030ELNS1_3gpuE2ELNS1_3repE0EEENS1_30default_config_static_selectorELNS0_4arch9wavefront6targetE0EEEvT1_
; %bb.0:
	.section	.rodata,"a",@progbits
	.p2align	6, 0x0
	.amdhsa_kernel _ZN7rocprim17ROCPRIM_400000_NS6detail17trampoline_kernelINS0_14default_configENS1_25partition_config_selectorILNS1_17partition_subalgoE6EiNS0_10empty_typeEbEEZZNS1_14partition_implILS5_6ELb0ES3_mN6thrust23THRUST_200600_302600_NS10device_ptrIiEEPS6_SD_NS0_5tupleIJSC_S6_EEENSE_IJSD_SD_EEES6_PlJ7is_evenIiEEEE10hipError_tPvRmT3_T4_T5_T6_T7_T9_mT8_P12ihipStream_tbDpT10_ENKUlT_T0_E_clISt17integral_constantIbLb0EES13_EEDaSY_SZ_EUlSY_E_NS1_11comp_targetILNS1_3genE8ELNS1_11target_archE1030ELNS1_3gpuE2ELNS1_3repE0EEENS1_30default_config_static_selectorELNS0_4arch9wavefront6targetE0EEEvT1_
		.amdhsa_group_segment_fixed_size 0
		.amdhsa_private_segment_fixed_size 0
		.amdhsa_kernarg_size 112
		.amdhsa_user_sgpr_count 15
		.amdhsa_user_sgpr_dispatch_ptr 0
		.amdhsa_user_sgpr_queue_ptr 0
		.amdhsa_user_sgpr_kernarg_segment_ptr 1
		.amdhsa_user_sgpr_dispatch_id 0
		.amdhsa_user_sgpr_private_segment_size 0
		.amdhsa_wavefront_size32 1
		.amdhsa_uses_dynamic_stack 0
		.amdhsa_enable_private_segment 0
		.amdhsa_system_sgpr_workgroup_id_x 1
		.amdhsa_system_sgpr_workgroup_id_y 0
		.amdhsa_system_sgpr_workgroup_id_z 0
		.amdhsa_system_sgpr_workgroup_info 0
		.amdhsa_system_vgpr_workitem_id 0
		.amdhsa_next_free_vgpr 1
		.amdhsa_next_free_sgpr 1
		.amdhsa_reserve_vcc 0
		.amdhsa_float_round_mode_32 0
		.amdhsa_float_round_mode_16_64 0
		.amdhsa_float_denorm_mode_32 3
		.amdhsa_float_denorm_mode_16_64 3
		.amdhsa_dx10_clamp 1
		.amdhsa_ieee_mode 1
		.amdhsa_fp16_overflow 0
		.amdhsa_workgroup_processor_mode 1
		.amdhsa_memory_ordered 1
		.amdhsa_forward_progress 0
		.amdhsa_shared_vgpr_count 0
		.amdhsa_exception_fp_ieee_invalid_op 0
		.amdhsa_exception_fp_denorm_src 0
		.amdhsa_exception_fp_ieee_div_zero 0
		.amdhsa_exception_fp_ieee_overflow 0
		.amdhsa_exception_fp_ieee_underflow 0
		.amdhsa_exception_fp_ieee_inexact 0
		.amdhsa_exception_int_div_zero 0
	.end_amdhsa_kernel
	.section	.text._ZN7rocprim17ROCPRIM_400000_NS6detail17trampoline_kernelINS0_14default_configENS1_25partition_config_selectorILNS1_17partition_subalgoE6EiNS0_10empty_typeEbEEZZNS1_14partition_implILS5_6ELb0ES3_mN6thrust23THRUST_200600_302600_NS10device_ptrIiEEPS6_SD_NS0_5tupleIJSC_S6_EEENSE_IJSD_SD_EEES6_PlJ7is_evenIiEEEE10hipError_tPvRmT3_T4_T5_T6_T7_T9_mT8_P12ihipStream_tbDpT10_ENKUlT_T0_E_clISt17integral_constantIbLb0EES13_EEDaSY_SZ_EUlSY_E_NS1_11comp_targetILNS1_3genE8ELNS1_11target_archE1030ELNS1_3gpuE2ELNS1_3repE0EEENS1_30default_config_static_selectorELNS0_4arch9wavefront6targetE0EEEvT1_,"axG",@progbits,_ZN7rocprim17ROCPRIM_400000_NS6detail17trampoline_kernelINS0_14default_configENS1_25partition_config_selectorILNS1_17partition_subalgoE6EiNS0_10empty_typeEbEEZZNS1_14partition_implILS5_6ELb0ES3_mN6thrust23THRUST_200600_302600_NS10device_ptrIiEEPS6_SD_NS0_5tupleIJSC_S6_EEENSE_IJSD_SD_EEES6_PlJ7is_evenIiEEEE10hipError_tPvRmT3_T4_T5_T6_T7_T9_mT8_P12ihipStream_tbDpT10_ENKUlT_T0_E_clISt17integral_constantIbLb0EES13_EEDaSY_SZ_EUlSY_E_NS1_11comp_targetILNS1_3genE8ELNS1_11target_archE1030ELNS1_3gpuE2ELNS1_3repE0EEENS1_30default_config_static_selectorELNS0_4arch9wavefront6targetE0EEEvT1_,comdat
.Lfunc_end903:
	.size	_ZN7rocprim17ROCPRIM_400000_NS6detail17trampoline_kernelINS0_14default_configENS1_25partition_config_selectorILNS1_17partition_subalgoE6EiNS0_10empty_typeEbEEZZNS1_14partition_implILS5_6ELb0ES3_mN6thrust23THRUST_200600_302600_NS10device_ptrIiEEPS6_SD_NS0_5tupleIJSC_S6_EEENSE_IJSD_SD_EEES6_PlJ7is_evenIiEEEE10hipError_tPvRmT3_T4_T5_T6_T7_T9_mT8_P12ihipStream_tbDpT10_ENKUlT_T0_E_clISt17integral_constantIbLb0EES13_EEDaSY_SZ_EUlSY_E_NS1_11comp_targetILNS1_3genE8ELNS1_11target_archE1030ELNS1_3gpuE2ELNS1_3repE0EEENS1_30default_config_static_selectorELNS0_4arch9wavefront6targetE0EEEvT1_, .Lfunc_end903-_ZN7rocprim17ROCPRIM_400000_NS6detail17trampoline_kernelINS0_14default_configENS1_25partition_config_selectorILNS1_17partition_subalgoE6EiNS0_10empty_typeEbEEZZNS1_14partition_implILS5_6ELb0ES3_mN6thrust23THRUST_200600_302600_NS10device_ptrIiEEPS6_SD_NS0_5tupleIJSC_S6_EEENSE_IJSD_SD_EEES6_PlJ7is_evenIiEEEE10hipError_tPvRmT3_T4_T5_T6_T7_T9_mT8_P12ihipStream_tbDpT10_ENKUlT_T0_E_clISt17integral_constantIbLb0EES13_EEDaSY_SZ_EUlSY_E_NS1_11comp_targetILNS1_3genE8ELNS1_11target_archE1030ELNS1_3gpuE2ELNS1_3repE0EEENS1_30default_config_static_selectorELNS0_4arch9wavefront6targetE0EEEvT1_
                                        ; -- End function
	.section	.AMDGPU.csdata,"",@progbits
; Kernel info:
; codeLenInByte = 0
; NumSgprs: 0
; NumVgprs: 0
; ScratchSize: 0
; MemoryBound: 0
; FloatMode: 240
; IeeeMode: 1
; LDSByteSize: 0 bytes/workgroup (compile time only)
; SGPRBlocks: 0
; VGPRBlocks: 0
; NumSGPRsForWavesPerEU: 1
; NumVGPRsForWavesPerEU: 1
; Occupancy: 16
; WaveLimiterHint : 0
; COMPUTE_PGM_RSRC2:SCRATCH_EN: 0
; COMPUTE_PGM_RSRC2:USER_SGPR: 15
; COMPUTE_PGM_RSRC2:TRAP_HANDLER: 0
; COMPUTE_PGM_RSRC2:TGID_X_EN: 1
; COMPUTE_PGM_RSRC2:TGID_Y_EN: 0
; COMPUTE_PGM_RSRC2:TGID_Z_EN: 0
; COMPUTE_PGM_RSRC2:TIDIG_COMP_CNT: 0
	.section	.text._ZN7rocprim17ROCPRIM_400000_NS6detail17trampoline_kernelINS0_14default_configENS1_25partition_config_selectorILNS1_17partition_subalgoE6EiNS0_10empty_typeEbEEZZNS1_14partition_implILS5_6ELb0ES3_mN6thrust23THRUST_200600_302600_NS10device_ptrIiEEPS6_SD_NS0_5tupleIJSC_S6_EEENSE_IJSD_SD_EEES6_PlJ7is_evenIiEEEE10hipError_tPvRmT3_T4_T5_T6_T7_T9_mT8_P12ihipStream_tbDpT10_ENKUlT_T0_E_clISt17integral_constantIbLb1EES13_EEDaSY_SZ_EUlSY_E_NS1_11comp_targetILNS1_3genE0ELNS1_11target_archE4294967295ELNS1_3gpuE0ELNS1_3repE0EEENS1_30default_config_static_selectorELNS0_4arch9wavefront6targetE0EEEvT1_,"axG",@progbits,_ZN7rocprim17ROCPRIM_400000_NS6detail17trampoline_kernelINS0_14default_configENS1_25partition_config_selectorILNS1_17partition_subalgoE6EiNS0_10empty_typeEbEEZZNS1_14partition_implILS5_6ELb0ES3_mN6thrust23THRUST_200600_302600_NS10device_ptrIiEEPS6_SD_NS0_5tupleIJSC_S6_EEENSE_IJSD_SD_EEES6_PlJ7is_evenIiEEEE10hipError_tPvRmT3_T4_T5_T6_T7_T9_mT8_P12ihipStream_tbDpT10_ENKUlT_T0_E_clISt17integral_constantIbLb1EES13_EEDaSY_SZ_EUlSY_E_NS1_11comp_targetILNS1_3genE0ELNS1_11target_archE4294967295ELNS1_3gpuE0ELNS1_3repE0EEENS1_30default_config_static_selectorELNS0_4arch9wavefront6targetE0EEEvT1_,comdat
	.protected	_ZN7rocprim17ROCPRIM_400000_NS6detail17trampoline_kernelINS0_14default_configENS1_25partition_config_selectorILNS1_17partition_subalgoE6EiNS0_10empty_typeEbEEZZNS1_14partition_implILS5_6ELb0ES3_mN6thrust23THRUST_200600_302600_NS10device_ptrIiEEPS6_SD_NS0_5tupleIJSC_S6_EEENSE_IJSD_SD_EEES6_PlJ7is_evenIiEEEE10hipError_tPvRmT3_T4_T5_T6_T7_T9_mT8_P12ihipStream_tbDpT10_ENKUlT_T0_E_clISt17integral_constantIbLb1EES13_EEDaSY_SZ_EUlSY_E_NS1_11comp_targetILNS1_3genE0ELNS1_11target_archE4294967295ELNS1_3gpuE0ELNS1_3repE0EEENS1_30default_config_static_selectorELNS0_4arch9wavefront6targetE0EEEvT1_ ; -- Begin function _ZN7rocprim17ROCPRIM_400000_NS6detail17trampoline_kernelINS0_14default_configENS1_25partition_config_selectorILNS1_17partition_subalgoE6EiNS0_10empty_typeEbEEZZNS1_14partition_implILS5_6ELb0ES3_mN6thrust23THRUST_200600_302600_NS10device_ptrIiEEPS6_SD_NS0_5tupleIJSC_S6_EEENSE_IJSD_SD_EEES6_PlJ7is_evenIiEEEE10hipError_tPvRmT3_T4_T5_T6_T7_T9_mT8_P12ihipStream_tbDpT10_ENKUlT_T0_E_clISt17integral_constantIbLb1EES13_EEDaSY_SZ_EUlSY_E_NS1_11comp_targetILNS1_3genE0ELNS1_11target_archE4294967295ELNS1_3gpuE0ELNS1_3repE0EEENS1_30default_config_static_selectorELNS0_4arch9wavefront6targetE0EEEvT1_
	.globl	_ZN7rocprim17ROCPRIM_400000_NS6detail17trampoline_kernelINS0_14default_configENS1_25partition_config_selectorILNS1_17partition_subalgoE6EiNS0_10empty_typeEbEEZZNS1_14partition_implILS5_6ELb0ES3_mN6thrust23THRUST_200600_302600_NS10device_ptrIiEEPS6_SD_NS0_5tupleIJSC_S6_EEENSE_IJSD_SD_EEES6_PlJ7is_evenIiEEEE10hipError_tPvRmT3_T4_T5_T6_T7_T9_mT8_P12ihipStream_tbDpT10_ENKUlT_T0_E_clISt17integral_constantIbLb1EES13_EEDaSY_SZ_EUlSY_E_NS1_11comp_targetILNS1_3genE0ELNS1_11target_archE4294967295ELNS1_3gpuE0ELNS1_3repE0EEENS1_30default_config_static_selectorELNS0_4arch9wavefront6targetE0EEEvT1_
	.p2align	8
	.type	_ZN7rocprim17ROCPRIM_400000_NS6detail17trampoline_kernelINS0_14default_configENS1_25partition_config_selectorILNS1_17partition_subalgoE6EiNS0_10empty_typeEbEEZZNS1_14partition_implILS5_6ELb0ES3_mN6thrust23THRUST_200600_302600_NS10device_ptrIiEEPS6_SD_NS0_5tupleIJSC_S6_EEENSE_IJSD_SD_EEES6_PlJ7is_evenIiEEEE10hipError_tPvRmT3_T4_T5_T6_T7_T9_mT8_P12ihipStream_tbDpT10_ENKUlT_T0_E_clISt17integral_constantIbLb1EES13_EEDaSY_SZ_EUlSY_E_NS1_11comp_targetILNS1_3genE0ELNS1_11target_archE4294967295ELNS1_3gpuE0ELNS1_3repE0EEENS1_30default_config_static_selectorELNS0_4arch9wavefront6targetE0EEEvT1_,@function
_ZN7rocprim17ROCPRIM_400000_NS6detail17trampoline_kernelINS0_14default_configENS1_25partition_config_selectorILNS1_17partition_subalgoE6EiNS0_10empty_typeEbEEZZNS1_14partition_implILS5_6ELb0ES3_mN6thrust23THRUST_200600_302600_NS10device_ptrIiEEPS6_SD_NS0_5tupleIJSC_S6_EEENSE_IJSD_SD_EEES6_PlJ7is_evenIiEEEE10hipError_tPvRmT3_T4_T5_T6_T7_T9_mT8_P12ihipStream_tbDpT10_ENKUlT_T0_E_clISt17integral_constantIbLb1EES13_EEDaSY_SZ_EUlSY_E_NS1_11comp_targetILNS1_3genE0ELNS1_11target_archE4294967295ELNS1_3gpuE0ELNS1_3repE0EEENS1_30default_config_static_selectorELNS0_4arch9wavefront6targetE0EEEvT1_: ; @_ZN7rocprim17ROCPRIM_400000_NS6detail17trampoline_kernelINS0_14default_configENS1_25partition_config_selectorILNS1_17partition_subalgoE6EiNS0_10empty_typeEbEEZZNS1_14partition_implILS5_6ELb0ES3_mN6thrust23THRUST_200600_302600_NS10device_ptrIiEEPS6_SD_NS0_5tupleIJSC_S6_EEENSE_IJSD_SD_EEES6_PlJ7is_evenIiEEEE10hipError_tPvRmT3_T4_T5_T6_T7_T9_mT8_P12ihipStream_tbDpT10_ENKUlT_T0_E_clISt17integral_constantIbLb1EES13_EEDaSY_SZ_EUlSY_E_NS1_11comp_targetILNS1_3genE0ELNS1_11target_archE4294967295ELNS1_3gpuE0ELNS1_3repE0EEENS1_30default_config_static_selectorELNS0_4arch9wavefront6targetE0EEEvT1_
; %bb.0:
	.section	.rodata,"a",@progbits
	.p2align	6, 0x0
	.amdhsa_kernel _ZN7rocprim17ROCPRIM_400000_NS6detail17trampoline_kernelINS0_14default_configENS1_25partition_config_selectorILNS1_17partition_subalgoE6EiNS0_10empty_typeEbEEZZNS1_14partition_implILS5_6ELb0ES3_mN6thrust23THRUST_200600_302600_NS10device_ptrIiEEPS6_SD_NS0_5tupleIJSC_S6_EEENSE_IJSD_SD_EEES6_PlJ7is_evenIiEEEE10hipError_tPvRmT3_T4_T5_T6_T7_T9_mT8_P12ihipStream_tbDpT10_ENKUlT_T0_E_clISt17integral_constantIbLb1EES13_EEDaSY_SZ_EUlSY_E_NS1_11comp_targetILNS1_3genE0ELNS1_11target_archE4294967295ELNS1_3gpuE0ELNS1_3repE0EEENS1_30default_config_static_selectorELNS0_4arch9wavefront6targetE0EEEvT1_
		.amdhsa_group_segment_fixed_size 0
		.amdhsa_private_segment_fixed_size 0
		.amdhsa_kernarg_size 128
		.amdhsa_user_sgpr_count 15
		.amdhsa_user_sgpr_dispatch_ptr 0
		.amdhsa_user_sgpr_queue_ptr 0
		.amdhsa_user_sgpr_kernarg_segment_ptr 1
		.amdhsa_user_sgpr_dispatch_id 0
		.amdhsa_user_sgpr_private_segment_size 0
		.amdhsa_wavefront_size32 1
		.amdhsa_uses_dynamic_stack 0
		.amdhsa_enable_private_segment 0
		.amdhsa_system_sgpr_workgroup_id_x 1
		.amdhsa_system_sgpr_workgroup_id_y 0
		.amdhsa_system_sgpr_workgroup_id_z 0
		.amdhsa_system_sgpr_workgroup_info 0
		.amdhsa_system_vgpr_workitem_id 0
		.amdhsa_next_free_vgpr 1
		.amdhsa_next_free_sgpr 1
		.amdhsa_reserve_vcc 0
		.amdhsa_float_round_mode_32 0
		.amdhsa_float_round_mode_16_64 0
		.amdhsa_float_denorm_mode_32 3
		.amdhsa_float_denorm_mode_16_64 3
		.amdhsa_dx10_clamp 1
		.amdhsa_ieee_mode 1
		.amdhsa_fp16_overflow 0
		.amdhsa_workgroup_processor_mode 1
		.amdhsa_memory_ordered 1
		.amdhsa_forward_progress 0
		.amdhsa_shared_vgpr_count 0
		.amdhsa_exception_fp_ieee_invalid_op 0
		.amdhsa_exception_fp_denorm_src 0
		.amdhsa_exception_fp_ieee_div_zero 0
		.amdhsa_exception_fp_ieee_overflow 0
		.amdhsa_exception_fp_ieee_underflow 0
		.amdhsa_exception_fp_ieee_inexact 0
		.amdhsa_exception_int_div_zero 0
	.end_amdhsa_kernel
	.section	.text._ZN7rocprim17ROCPRIM_400000_NS6detail17trampoline_kernelINS0_14default_configENS1_25partition_config_selectorILNS1_17partition_subalgoE6EiNS0_10empty_typeEbEEZZNS1_14partition_implILS5_6ELb0ES3_mN6thrust23THRUST_200600_302600_NS10device_ptrIiEEPS6_SD_NS0_5tupleIJSC_S6_EEENSE_IJSD_SD_EEES6_PlJ7is_evenIiEEEE10hipError_tPvRmT3_T4_T5_T6_T7_T9_mT8_P12ihipStream_tbDpT10_ENKUlT_T0_E_clISt17integral_constantIbLb1EES13_EEDaSY_SZ_EUlSY_E_NS1_11comp_targetILNS1_3genE0ELNS1_11target_archE4294967295ELNS1_3gpuE0ELNS1_3repE0EEENS1_30default_config_static_selectorELNS0_4arch9wavefront6targetE0EEEvT1_,"axG",@progbits,_ZN7rocprim17ROCPRIM_400000_NS6detail17trampoline_kernelINS0_14default_configENS1_25partition_config_selectorILNS1_17partition_subalgoE6EiNS0_10empty_typeEbEEZZNS1_14partition_implILS5_6ELb0ES3_mN6thrust23THRUST_200600_302600_NS10device_ptrIiEEPS6_SD_NS0_5tupleIJSC_S6_EEENSE_IJSD_SD_EEES6_PlJ7is_evenIiEEEE10hipError_tPvRmT3_T4_T5_T6_T7_T9_mT8_P12ihipStream_tbDpT10_ENKUlT_T0_E_clISt17integral_constantIbLb1EES13_EEDaSY_SZ_EUlSY_E_NS1_11comp_targetILNS1_3genE0ELNS1_11target_archE4294967295ELNS1_3gpuE0ELNS1_3repE0EEENS1_30default_config_static_selectorELNS0_4arch9wavefront6targetE0EEEvT1_,comdat
.Lfunc_end904:
	.size	_ZN7rocprim17ROCPRIM_400000_NS6detail17trampoline_kernelINS0_14default_configENS1_25partition_config_selectorILNS1_17partition_subalgoE6EiNS0_10empty_typeEbEEZZNS1_14partition_implILS5_6ELb0ES3_mN6thrust23THRUST_200600_302600_NS10device_ptrIiEEPS6_SD_NS0_5tupleIJSC_S6_EEENSE_IJSD_SD_EEES6_PlJ7is_evenIiEEEE10hipError_tPvRmT3_T4_T5_T6_T7_T9_mT8_P12ihipStream_tbDpT10_ENKUlT_T0_E_clISt17integral_constantIbLb1EES13_EEDaSY_SZ_EUlSY_E_NS1_11comp_targetILNS1_3genE0ELNS1_11target_archE4294967295ELNS1_3gpuE0ELNS1_3repE0EEENS1_30default_config_static_selectorELNS0_4arch9wavefront6targetE0EEEvT1_, .Lfunc_end904-_ZN7rocprim17ROCPRIM_400000_NS6detail17trampoline_kernelINS0_14default_configENS1_25partition_config_selectorILNS1_17partition_subalgoE6EiNS0_10empty_typeEbEEZZNS1_14partition_implILS5_6ELb0ES3_mN6thrust23THRUST_200600_302600_NS10device_ptrIiEEPS6_SD_NS0_5tupleIJSC_S6_EEENSE_IJSD_SD_EEES6_PlJ7is_evenIiEEEE10hipError_tPvRmT3_T4_T5_T6_T7_T9_mT8_P12ihipStream_tbDpT10_ENKUlT_T0_E_clISt17integral_constantIbLb1EES13_EEDaSY_SZ_EUlSY_E_NS1_11comp_targetILNS1_3genE0ELNS1_11target_archE4294967295ELNS1_3gpuE0ELNS1_3repE0EEENS1_30default_config_static_selectorELNS0_4arch9wavefront6targetE0EEEvT1_
                                        ; -- End function
	.section	.AMDGPU.csdata,"",@progbits
; Kernel info:
; codeLenInByte = 0
; NumSgprs: 0
; NumVgprs: 0
; ScratchSize: 0
; MemoryBound: 0
; FloatMode: 240
; IeeeMode: 1
; LDSByteSize: 0 bytes/workgroup (compile time only)
; SGPRBlocks: 0
; VGPRBlocks: 0
; NumSGPRsForWavesPerEU: 1
; NumVGPRsForWavesPerEU: 1
; Occupancy: 16
; WaveLimiterHint : 0
; COMPUTE_PGM_RSRC2:SCRATCH_EN: 0
; COMPUTE_PGM_RSRC2:USER_SGPR: 15
; COMPUTE_PGM_RSRC2:TRAP_HANDLER: 0
; COMPUTE_PGM_RSRC2:TGID_X_EN: 1
; COMPUTE_PGM_RSRC2:TGID_Y_EN: 0
; COMPUTE_PGM_RSRC2:TGID_Z_EN: 0
; COMPUTE_PGM_RSRC2:TIDIG_COMP_CNT: 0
	.section	.text._ZN7rocprim17ROCPRIM_400000_NS6detail17trampoline_kernelINS0_14default_configENS1_25partition_config_selectorILNS1_17partition_subalgoE6EiNS0_10empty_typeEbEEZZNS1_14partition_implILS5_6ELb0ES3_mN6thrust23THRUST_200600_302600_NS10device_ptrIiEEPS6_SD_NS0_5tupleIJSC_S6_EEENSE_IJSD_SD_EEES6_PlJ7is_evenIiEEEE10hipError_tPvRmT3_T4_T5_T6_T7_T9_mT8_P12ihipStream_tbDpT10_ENKUlT_T0_E_clISt17integral_constantIbLb1EES13_EEDaSY_SZ_EUlSY_E_NS1_11comp_targetILNS1_3genE5ELNS1_11target_archE942ELNS1_3gpuE9ELNS1_3repE0EEENS1_30default_config_static_selectorELNS0_4arch9wavefront6targetE0EEEvT1_,"axG",@progbits,_ZN7rocprim17ROCPRIM_400000_NS6detail17trampoline_kernelINS0_14default_configENS1_25partition_config_selectorILNS1_17partition_subalgoE6EiNS0_10empty_typeEbEEZZNS1_14partition_implILS5_6ELb0ES3_mN6thrust23THRUST_200600_302600_NS10device_ptrIiEEPS6_SD_NS0_5tupleIJSC_S6_EEENSE_IJSD_SD_EEES6_PlJ7is_evenIiEEEE10hipError_tPvRmT3_T4_T5_T6_T7_T9_mT8_P12ihipStream_tbDpT10_ENKUlT_T0_E_clISt17integral_constantIbLb1EES13_EEDaSY_SZ_EUlSY_E_NS1_11comp_targetILNS1_3genE5ELNS1_11target_archE942ELNS1_3gpuE9ELNS1_3repE0EEENS1_30default_config_static_selectorELNS0_4arch9wavefront6targetE0EEEvT1_,comdat
	.protected	_ZN7rocprim17ROCPRIM_400000_NS6detail17trampoline_kernelINS0_14default_configENS1_25partition_config_selectorILNS1_17partition_subalgoE6EiNS0_10empty_typeEbEEZZNS1_14partition_implILS5_6ELb0ES3_mN6thrust23THRUST_200600_302600_NS10device_ptrIiEEPS6_SD_NS0_5tupleIJSC_S6_EEENSE_IJSD_SD_EEES6_PlJ7is_evenIiEEEE10hipError_tPvRmT3_T4_T5_T6_T7_T9_mT8_P12ihipStream_tbDpT10_ENKUlT_T0_E_clISt17integral_constantIbLb1EES13_EEDaSY_SZ_EUlSY_E_NS1_11comp_targetILNS1_3genE5ELNS1_11target_archE942ELNS1_3gpuE9ELNS1_3repE0EEENS1_30default_config_static_selectorELNS0_4arch9wavefront6targetE0EEEvT1_ ; -- Begin function _ZN7rocprim17ROCPRIM_400000_NS6detail17trampoline_kernelINS0_14default_configENS1_25partition_config_selectorILNS1_17partition_subalgoE6EiNS0_10empty_typeEbEEZZNS1_14partition_implILS5_6ELb0ES3_mN6thrust23THRUST_200600_302600_NS10device_ptrIiEEPS6_SD_NS0_5tupleIJSC_S6_EEENSE_IJSD_SD_EEES6_PlJ7is_evenIiEEEE10hipError_tPvRmT3_T4_T5_T6_T7_T9_mT8_P12ihipStream_tbDpT10_ENKUlT_T0_E_clISt17integral_constantIbLb1EES13_EEDaSY_SZ_EUlSY_E_NS1_11comp_targetILNS1_3genE5ELNS1_11target_archE942ELNS1_3gpuE9ELNS1_3repE0EEENS1_30default_config_static_selectorELNS0_4arch9wavefront6targetE0EEEvT1_
	.globl	_ZN7rocprim17ROCPRIM_400000_NS6detail17trampoline_kernelINS0_14default_configENS1_25partition_config_selectorILNS1_17partition_subalgoE6EiNS0_10empty_typeEbEEZZNS1_14partition_implILS5_6ELb0ES3_mN6thrust23THRUST_200600_302600_NS10device_ptrIiEEPS6_SD_NS0_5tupleIJSC_S6_EEENSE_IJSD_SD_EEES6_PlJ7is_evenIiEEEE10hipError_tPvRmT3_T4_T5_T6_T7_T9_mT8_P12ihipStream_tbDpT10_ENKUlT_T0_E_clISt17integral_constantIbLb1EES13_EEDaSY_SZ_EUlSY_E_NS1_11comp_targetILNS1_3genE5ELNS1_11target_archE942ELNS1_3gpuE9ELNS1_3repE0EEENS1_30default_config_static_selectorELNS0_4arch9wavefront6targetE0EEEvT1_
	.p2align	8
	.type	_ZN7rocprim17ROCPRIM_400000_NS6detail17trampoline_kernelINS0_14default_configENS1_25partition_config_selectorILNS1_17partition_subalgoE6EiNS0_10empty_typeEbEEZZNS1_14partition_implILS5_6ELb0ES3_mN6thrust23THRUST_200600_302600_NS10device_ptrIiEEPS6_SD_NS0_5tupleIJSC_S6_EEENSE_IJSD_SD_EEES6_PlJ7is_evenIiEEEE10hipError_tPvRmT3_T4_T5_T6_T7_T9_mT8_P12ihipStream_tbDpT10_ENKUlT_T0_E_clISt17integral_constantIbLb1EES13_EEDaSY_SZ_EUlSY_E_NS1_11comp_targetILNS1_3genE5ELNS1_11target_archE942ELNS1_3gpuE9ELNS1_3repE0EEENS1_30default_config_static_selectorELNS0_4arch9wavefront6targetE0EEEvT1_,@function
_ZN7rocprim17ROCPRIM_400000_NS6detail17trampoline_kernelINS0_14default_configENS1_25partition_config_selectorILNS1_17partition_subalgoE6EiNS0_10empty_typeEbEEZZNS1_14partition_implILS5_6ELb0ES3_mN6thrust23THRUST_200600_302600_NS10device_ptrIiEEPS6_SD_NS0_5tupleIJSC_S6_EEENSE_IJSD_SD_EEES6_PlJ7is_evenIiEEEE10hipError_tPvRmT3_T4_T5_T6_T7_T9_mT8_P12ihipStream_tbDpT10_ENKUlT_T0_E_clISt17integral_constantIbLb1EES13_EEDaSY_SZ_EUlSY_E_NS1_11comp_targetILNS1_3genE5ELNS1_11target_archE942ELNS1_3gpuE9ELNS1_3repE0EEENS1_30default_config_static_selectorELNS0_4arch9wavefront6targetE0EEEvT1_: ; @_ZN7rocprim17ROCPRIM_400000_NS6detail17trampoline_kernelINS0_14default_configENS1_25partition_config_selectorILNS1_17partition_subalgoE6EiNS0_10empty_typeEbEEZZNS1_14partition_implILS5_6ELb0ES3_mN6thrust23THRUST_200600_302600_NS10device_ptrIiEEPS6_SD_NS0_5tupleIJSC_S6_EEENSE_IJSD_SD_EEES6_PlJ7is_evenIiEEEE10hipError_tPvRmT3_T4_T5_T6_T7_T9_mT8_P12ihipStream_tbDpT10_ENKUlT_T0_E_clISt17integral_constantIbLb1EES13_EEDaSY_SZ_EUlSY_E_NS1_11comp_targetILNS1_3genE5ELNS1_11target_archE942ELNS1_3gpuE9ELNS1_3repE0EEENS1_30default_config_static_selectorELNS0_4arch9wavefront6targetE0EEEvT1_
; %bb.0:
	.section	.rodata,"a",@progbits
	.p2align	6, 0x0
	.amdhsa_kernel _ZN7rocprim17ROCPRIM_400000_NS6detail17trampoline_kernelINS0_14default_configENS1_25partition_config_selectorILNS1_17partition_subalgoE6EiNS0_10empty_typeEbEEZZNS1_14partition_implILS5_6ELb0ES3_mN6thrust23THRUST_200600_302600_NS10device_ptrIiEEPS6_SD_NS0_5tupleIJSC_S6_EEENSE_IJSD_SD_EEES6_PlJ7is_evenIiEEEE10hipError_tPvRmT3_T4_T5_T6_T7_T9_mT8_P12ihipStream_tbDpT10_ENKUlT_T0_E_clISt17integral_constantIbLb1EES13_EEDaSY_SZ_EUlSY_E_NS1_11comp_targetILNS1_3genE5ELNS1_11target_archE942ELNS1_3gpuE9ELNS1_3repE0EEENS1_30default_config_static_selectorELNS0_4arch9wavefront6targetE0EEEvT1_
		.amdhsa_group_segment_fixed_size 0
		.amdhsa_private_segment_fixed_size 0
		.amdhsa_kernarg_size 128
		.amdhsa_user_sgpr_count 15
		.amdhsa_user_sgpr_dispatch_ptr 0
		.amdhsa_user_sgpr_queue_ptr 0
		.amdhsa_user_sgpr_kernarg_segment_ptr 1
		.amdhsa_user_sgpr_dispatch_id 0
		.amdhsa_user_sgpr_private_segment_size 0
		.amdhsa_wavefront_size32 1
		.amdhsa_uses_dynamic_stack 0
		.amdhsa_enable_private_segment 0
		.amdhsa_system_sgpr_workgroup_id_x 1
		.amdhsa_system_sgpr_workgroup_id_y 0
		.amdhsa_system_sgpr_workgroup_id_z 0
		.amdhsa_system_sgpr_workgroup_info 0
		.amdhsa_system_vgpr_workitem_id 0
		.amdhsa_next_free_vgpr 1
		.amdhsa_next_free_sgpr 1
		.amdhsa_reserve_vcc 0
		.amdhsa_float_round_mode_32 0
		.amdhsa_float_round_mode_16_64 0
		.amdhsa_float_denorm_mode_32 3
		.amdhsa_float_denorm_mode_16_64 3
		.amdhsa_dx10_clamp 1
		.amdhsa_ieee_mode 1
		.amdhsa_fp16_overflow 0
		.amdhsa_workgroup_processor_mode 1
		.amdhsa_memory_ordered 1
		.amdhsa_forward_progress 0
		.amdhsa_shared_vgpr_count 0
		.amdhsa_exception_fp_ieee_invalid_op 0
		.amdhsa_exception_fp_denorm_src 0
		.amdhsa_exception_fp_ieee_div_zero 0
		.amdhsa_exception_fp_ieee_overflow 0
		.amdhsa_exception_fp_ieee_underflow 0
		.amdhsa_exception_fp_ieee_inexact 0
		.amdhsa_exception_int_div_zero 0
	.end_amdhsa_kernel
	.section	.text._ZN7rocprim17ROCPRIM_400000_NS6detail17trampoline_kernelINS0_14default_configENS1_25partition_config_selectorILNS1_17partition_subalgoE6EiNS0_10empty_typeEbEEZZNS1_14partition_implILS5_6ELb0ES3_mN6thrust23THRUST_200600_302600_NS10device_ptrIiEEPS6_SD_NS0_5tupleIJSC_S6_EEENSE_IJSD_SD_EEES6_PlJ7is_evenIiEEEE10hipError_tPvRmT3_T4_T5_T6_T7_T9_mT8_P12ihipStream_tbDpT10_ENKUlT_T0_E_clISt17integral_constantIbLb1EES13_EEDaSY_SZ_EUlSY_E_NS1_11comp_targetILNS1_3genE5ELNS1_11target_archE942ELNS1_3gpuE9ELNS1_3repE0EEENS1_30default_config_static_selectorELNS0_4arch9wavefront6targetE0EEEvT1_,"axG",@progbits,_ZN7rocprim17ROCPRIM_400000_NS6detail17trampoline_kernelINS0_14default_configENS1_25partition_config_selectorILNS1_17partition_subalgoE6EiNS0_10empty_typeEbEEZZNS1_14partition_implILS5_6ELb0ES3_mN6thrust23THRUST_200600_302600_NS10device_ptrIiEEPS6_SD_NS0_5tupleIJSC_S6_EEENSE_IJSD_SD_EEES6_PlJ7is_evenIiEEEE10hipError_tPvRmT3_T4_T5_T6_T7_T9_mT8_P12ihipStream_tbDpT10_ENKUlT_T0_E_clISt17integral_constantIbLb1EES13_EEDaSY_SZ_EUlSY_E_NS1_11comp_targetILNS1_3genE5ELNS1_11target_archE942ELNS1_3gpuE9ELNS1_3repE0EEENS1_30default_config_static_selectorELNS0_4arch9wavefront6targetE0EEEvT1_,comdat
.Lfunc_end905:
	.size	_ZN7rocprim17ROCPRIM_400000_NS6detail17trampoline_kernelINS0_14default_configENS1_25partition_config_selectorILNS1_17partition_subalgoE6EiNS0_10empty_typeEbEEZZNS1_14partition_implILS5_6ELb0ES3_mN6thrust23THRUST_200600_302600_NS10device_ptrIiEEPS6_SD_NS0_5tupleIJSC_S6_EEENSE_IJSD_SD_EEES6_PlJ7is_evenIiEEEE10hipError_tPvRmT3_T4_T5_T6_T7_T9_mT8_P12ihipStream_tbDpT10_ENKUlT_T0_E_clISt17integral_constantIbLb1EES13_EEDaSY_SZ_EUlSY_E_NS1_11comp_targetILNS1_3genE5ELNS1_11target_archE942ELNS1_3gpuE9ELNS1_3repE0EEENS1_30default_config_static_selectorELNS0_4arch9wavefront6targetE0EEEvT1_, .Lfunc_end905-_ZN7rocprim17ROCPRIM_400000_NS6detail17trampoline_kernelINS0_14default_configENS1_25partition_config_selectorILNS1_17partition_subalgoE6EiNS0_10empty_typeEbEEZZNS1_14partition_implILS5_6ELb0ES3_mN6thrust23THRUST_200600_302600_NS10device_ptrIiEEPS6_SD_NS0_5tupleIJSC_S6_EEENSE_IJSD_SD_EEES6_PlJ7is_evenIiEEEE10hipError_tPvRmT3_T4_T5_T6_T7_T9_mT8_P12ihipStream_tbDpT10_ENKUlT_T0_E_clISt17integral_constantIbLb1EES13_EEDaSY_SZ_EUlSY_E_NS1_11comp_targetILNS1_3genE5ELNS1_11target_archE942ELNS1_3gpuE9ELNS1_3repE0EEENS1_30default_config_static_selectorELNS0_4arch9wavefront6targetE0EEEvT1_
                                        ; -- End function
	.section	.AMDGPU.csdata,"",@progbits
; Kernel info:
; codeLenInByte = 0
; NumSgprs: 0
; NumVgprs: 0
; ScratchSize: 0
; MemoryBound: 0
; FloatMode: 240
; IeeeMode: 1
; LDSByteSize: 0 bytes/workgroup (compile time only)
; SGPRBlocks: 0
; VGPRBlocks: 0
; NumSGPRsForWavesPerEU: 1
; NumVGPRsForWavesPerEU: 1
; Occupancy: 16
; WaveLimiterHint : 0
; COMPUTE_PGM_RSRC2:SCRATCH_EN: 0
; COMPUTE_PGM_RSRC2:USER_SGPR: 15
; COMPUTE_PGM_RSRC2:TRAP_HANDLER: 0
; COMPUTE_PGM_RSRC2:TGID_X_EN: 1
; COMPUTE_PGM_RSRC2:TGID_Y_EN: 0
; COMPUTE_PGM_RSRC2:TGID_Z_EN: 0
; COMPUTE_PGM_RSRC2:TIDIG_COMP_CNT: 0
	.section	.text._ZN7rocprim17ROCPRIM_400000_NS6detail17trampoline_kernelINS0_14default_configENS1_25partition_config_selectorILNS1_17partition_subalgoE6EiNS0_10empty_typeEbEEZZNS1_14partition_implILS5_6ELb0ES3_mN6thrust23THRUST_200600_302600_NS10device_ptrIiEEPS6_SD_NS0_5tupleIJSC_S6_EEENSE_IJSD_SD_EEES6_PlJ7is_evenIiEEEE10hipError_tPvRmT3_T4_T5_T6_T7_T9_mT8_P12ihipStream_tbDpT10_ENKUlT_T0_E_clISt17integral_constantIbLb1EES13_EEDaSY_SZ_EUlSY_E_NS1_11comp_targetILNS1_3genE4ELNS1_11target_archE910ELNS1_3gpuE8ELNS1_3repE0EEENS1_30default_config_static_selectorELNS0_4arch9wavefront6targetE0EEEvT1_,"axG",@progbits,_ZN7rocprim17ROCPRIM_400000_NS6detail17trampoline_kernelINS0_14default_configENS1_25partition_config_selectorILNS1_17partition_subalgoE6EiNS0_10empty_typeEbEEZZNS1_14partition_implILS5_6ELb0ES3_mN6thrust23THRUST_200600_302600_NS10device_ptrIiEEPS6_SD_NS0_5tupleIJSC_S6_EEENSE_IJSD_SD_EEES6_PlJ7is_evenIiEEEE10hipError_tPvRmT3_T4_T5_T6_T7_T9_mT8_P12ihipStream_tbDpT10_ENKUlT_T0_E_clISt17integral_constantIbLb1EES13_EEDaSY_SZ_EUlSY_E_NS1_11comp_targetILNS1_3genE4ELNS1_11target_archE910ELNS1_3gpuE8ELNS1_3repE0EEENS1_30default_config_static_selectorELNS0_4arch9wavefront6targetE0EEEvT1_,comdat
	.protected	_ZN7rocprim17ROCPRIM_400000_NS6detail17trampoline_kernelINS0_14default_configENS1_25partition_config_selectorILNS1_17partition_subalgoE6EiNS0_10empty_typeEbEEZZNS1_14partition_implILS5_6ELb0ES3_mN6thrust23THRUST_200600_302600_NS10device_ptrIiEEPS6_SD_NS0_5tupleIJSC_S6_EEENSE_IJSD_SD_EEES6_PlJ7is_evenIiEEEE10hipError_tPvRmT3_T4_T5_T6_T7_T9_mT8_P12ihipStream_tbDpT10_ENKUlT_T0_E_clISt17integral_constantIbLb1EES13_EEDaSY_SZ_EUlSY_E_NS1_11comp_targetILNS1_3genE4ELNS1_11target_archE910ELNS1_3gpuE8ELNS1_3repE0EEENS1_30default_config_static_selectorELNS0_4arch9wavefront6targetE0EEEvT1_ ; -- Begin function _ZN7rocprim17ROCPRIM_400000_NS6detail17trampoline_kernelINS0_14default_configENS1_25partition_config_selectorILNS1_17partition_subalgoE6EiNS0_10empty_typeEbEEZZNS1_14partition_implILS5_6ELb0ES3_mN6thrust23THRUST_200600_302600_NS10device_ptrIiEEPS6_SD_NS0_5tupleIJSC_S6_EEENSE_IJSD_SD_EEES6_PlJ7is_evenIiEEEE10hipError_tPvRmT3_T4_T5_T6_T7_T9_mT8_P12ihipStream_tbDpT10_ENKUlT_T0_E_clISt17integral_constantIbLb1EES13_EEDaSY_SZ_EUlSY_E_NS1_11comp_targetILNS1_3genE4ELNS1_11target_archE910ELNS1_3gpuE8ELNS1_3repE0EEENS1_30default_config_static_selectorELNS0_4arch9wavefront6targetE0EEEvT1_
	.globl	_ZN7rocprim17ROCPRIM_400000_NS6detail17trampoline_kernelINS0_14default_configENS1_25partition_config_selectorILNS1_17partition_subalgoE6EiNS0_10empty_typeEbEEZZNS1_14partition_implILS5_6ELb0ES3_mN6thrust23THRUST_200600_302600_NS10device_ptrIiEEPS6_SD_NS0_5tupleIJSC_S6_EEENSE_IJSD_SD_EEES6_PlJ7is_evenIiEEEE10hipError_tPvRmT3_T4_T5_T6_T7_T9_mT8_P12ihipStream_tbDpT10_ENKUlT_T0_E_clISt17integral_constantIbLb1EES13_EEDaSY_SZ_EUlSY_E_NS1_11comp_targetILNS1_3genE4ELNS1_11target_archE910ELNS1_3gpuE8ELNS1_3repE0EEENS1_30default_config_static_selectorELNS0_4arch9wavefront6targetE0EEEvT1_
	.p2align	8
	.type	_ZN7rocprim17ROCPRIM_400000_NS6detail17trampoline_kernelINS0_14default_configENS1_25partition_config_selectorILNS1_17partition_subalgoE6EiNS0_10empty_typeEbEEZZNS1_14partition_implILS5_6ELb0ES3_mN6thrust23THRUST_200600_302600_NS10device_ptrIiEEPS6_SD_NS0_5tupleIJSC_S6_EEENSE_IJSD_SD_EEES6_PlJ7is_evenIiEEEE10hipError_tPvRmT3_T4_T5_T6_T7_T9_mT8_P12ihipStream_tbDpT10_ENKUlT_T0_E_clISt17integral_constantIbLb1EES13_EEDaSY_SZ_EUlSY_E_NS1_11comp_targetILNS1_3genE4ELNS1_11target_archE910ELNS1_3gpuE8ELNS1_3repE0EEENS1_30default_config_static_selectorELNS0_4arch9wavefront6targetE0EEEvT1_,@function
_ZN7rocprim17ROCPRIM_400000_NS6detail17trampoline_kernelINS0_14default_configENS1_25partition_config_selectorILNS1_17partition_subalgoE6EiNS0_10empty_typeEbEEZZNS1_14partition_implILS5_6ELb0ES3_mN6thrust23THRUST_200600_302600_NS10device_ptrIiEEPS6_SD_NS0_5tupleIJSC_S6_EEENSE_IJSD_SD_EEES6_PlJ7is_evenIiEEEE10hipError_tPvRmT3_T4_T5_T6_T7_T9_mT8_P12ihipStream_tbDpT10_ENKUlT_T0_E_clISt17integral_constantIbLb1EES13_EEDaSY_SZ_EUlSY_E_NS1_11comp_targetILNS1_3genE4ELNS1_11target_archE910ELNS1_3gpuE8ELNS1_3repE0EEENS1_30default_config_static_selectorELNS0_4arch9wavefront6targetE0EEEvT1_: ; @_ZN7rocprim17ROCPRIM_400000_NS6detail17trampoline_kernelINS0_14default_configENS1_25partition_config_selectorILNS1_17partition_subalgoE6EiNS0_10empty_typeEbEEZZNS1_14partition_implILS5_6ELb0ES3_mN6thrust23THRUST_200600_302600_NS10device_ptrIiEEPS6_SD_NS0_5tupleIJSC_S6_EEENSE_IJSD_SD_EEES6_PlJ7is_evenIiEEEE10hipError_tPvRmT3_T4_T5_T6_T7_T9_mT8_P12ihipStream_tbDpT10_ENKUlT_T0_E_clISt17integral_constantIbLb1EES13_EEDaSY_SZ_EUlSY_E_NS1_11comp_targetILNS1_3genE4ELNS1_11target_archE910ELNS1_3gpuE8ELNS1_3repE0EEENS1_30default_config_static_selectorELNS0_4arch9wavefront6targetE0EEEvT1_
; %bb.0:
	.section	.rodata,"a",@progbits
	.p2align	6, 0x0
	.amdhsa_kernel _ZN7rocprim17ROCPRIM_400000_NS6detail17trampoline_kernelINS0_14default_configENS1_25partition_config_selectorILNS1_17partition_subalgoE6EiNS0_10empty_typeEbEEZZNS1_14partition_implILS5_6ELb0ES3_mN6thrust23THRUST_200600_302600_NS10device_ptrIiEEPS6_SD_NS0_5tupleIJSC_S6_EEENSE_IJSD_SD_EEES6_PlJ7is_evenIiEEEE10hipError_tPvRmT3_T4_T5_T6_T7_T9_mT8_P12ihipStream_tbDpT10_ENKUlT_T0_E_clISt17integral_constantIbLb1EES13_EEDaSY_SZ_EUlSY_E_NS1_11comp_targetILNS1_3genE4ELNS1_11target_archE910ELNS1_3gpuE8ELNS1_3repE0EEENS1_30default_config_static_selectorELNS0_4arch9wavefront6targetE0EEEvT1_
		.amdhsa_group_segment_fixed_size 0
		.amdhsa_private_segment_fixed_size 0
		.amdhsa_kernarg_size 128
		.amdhsa_user_sgpr_count 15
		.amdhsa_user_sgpr_dispatch_ptr 0
		.amdhsa_user_sgpr_queue_ptr 0
		.amdhsa_user_sgpr_kernarg_segment_ptr 1
		.amdhsa_user_sgpr_dispatch_id 0
		.amdhsa_user_sgpr_private_segment_size 0
		.amdhsa_wavefront_size32 1
		.amdhsa_uses_dynamic_stack 0
		.amdhsa_enable_private_segment 0
		.amdhsa_system_sgpr_workgroup_id_x 1
		.amdhsa_system_sgpr_workgroup_id_y 0
		.amdhsa_system_sgpr_workgroup_id_z 0
		.amdhsa_system_sgpr_workgroup_info 0
		.amdhsa_system_vgpr_workitem_id 0
		.amdhsa_next_free_vgpr 1
		.amdhsa_next_free_sgpr 1
		.amdhsa_reserve_vcc 0
		.amdhsa_float_round_mode_32 0
		.amdhsa_float_round_mode_16_64 0
		.amdhsa_float_denorm_mode_32 3
		.amdhsa_float_denorm_mode_16_64 3
		.amdhsa_dx10_clamp 1
		.amdhsa_ieee_mode 1
		.amdhsa_fp16_overflow 0
		.amdhsa_workgroup_processor_mode 1
		.amdhsa_memory_ordered 1
		.amdhsa_forward_progress 0
		.amdhsa_shared_vgpr_count 0
		.amdhsa_exception_fp_ieee_invalid_op 0
		.amdhsa_exception_fp_denorm_src 0
		.amdhsa_exception_fp_ieee_div_zero 0
		.amdhsa_exception_fp_ieee_overflow 0
		.amdhsa_exception_fp_ieee_underflow 0
		.amdhsa_exception_fp_ieee_inexact 0
		.amdhsa_exception_int_div_zero 0
	.end_amdhsa_kernel
	.section	.text._ZN7rocprim17ROCPRIM_400000_NS6detail17trampoline_kernelINS0_14default_configENS1_25partition_config_selectorILNS1_17partition_subalgoE6EiNS0_10empty_typeEbEEZZNS1_14partition_implILS5_6ELb0ES3_mN6thrust23THRUST_200600_302600_NS10device_ptrIiEEPS6_SD_NS0_5tupleIJSC_S6_EEENSE_IJSD_SD_EEES6_PlJ7is_evenIiEEEE10hipError_tPvRmT3_T4_T5_T6_T7_T9_mT8_P12ihipStream_tbDpT10_ENKUlT_T0_E_clISt17integral_constantIbLb1EES13_EEDaSY_SZ_EUlSY_E_NS1_11comp_targetILNS1_3genE4ELNS1_11target_archE910ELNS1_3gpuE8ELNS1_3repE0EEENS1_30default_config_static_selectorELNS0_4arch9wavefront6targetE0EEEvT1_,"axG",@progbits,_ZN7rocprim17ROCPRIM_400000_NS6detail17trampoline_kernelINS0_14default_configENS1_25partition_config_selectorILNS1_17partition_subalgoE6EiNS0_10empty_typeEbEEZZNS1_14partition_implILS5_6ELb0ES3_mN6thrust23THRUST_200600_302600_NS10device_ptrIiEEPS6_SD_NS0_5tupleIJSC_S6_EEENSE_IJSD_SD_EEES6_PlJ7is_evenIiEEEE10hipError_tPvRmT3_T4_T5_T6_T7_T9_mT8_P12ihipStream_tbDpT10_ENKUlT_T0_E_clISt17integral_constantIbLb1EES13_EEDaSY_SZ_EUlSY_E_NS1_11comp_targetILNS1_3genE4ELNS1_11target_archE910ELNS1_3gpuE8ELNS1_3repE0EEENS1_30default_config_static_selectorELNS0_4arch9wavefront6targetE0EEEvT1_,comdat
.Lfunc_end906:
	.size	_ZN7rocprim17ROCPRIM_400000_NS6detail17trampoline_kernelINS0_14default_configENS1_25partition_config_selectorILNS1_17partition_subalgoE6EiNS0_10empty_typeEbEEZZNS1_14partition_implILS5_6ELb0ES3_mN6thrust23THRUST_200600_302600_NS10device_ptrIiEEPS6_SD_NS0_5tupleIJSC_S6_EEENSE_IJSD_SD_EEES6_PlJ7is_evenIiEEEE10hipError_tPvRmT3_T4_T5_T6_T7_T9_mT8_P12ihipStream_tbDpT10_ENKUlT_T0_E_clISt17integral_constantIbLb1EES13_EEDaSY_SZ_EUlSY_E_NS1_11comp_targetILNS1_3genE4ELNS1_11target_archE910ELNS1_3gpuE8ELNS1_3repE0EEENS1_30default_config_static_selectorELNS0_4arch9wavefront6targetE0EEEvT1_, .Lfunc_end906-_ZN7rocprim17ROCPRIM_400000_NS6detail17trampoline_kernelINS0_14default_configENS1_25partition_config_selectorILNS1_17partition_subalgoE6EiNS0_10empty_typeEbEEZZNS1_14partition_implILS5_6ELb0ES3_mN6thrust23THRUST_200600_302600_NS10device_ptrIiEEPS6_SD_NS0_5tupleIJSC_S6_EEENSE_IJSD_SD_EEES6_PlJ7is_evenIiEEEE10hipError_tPvRmT3_T4_T5_T6_T7_T9_mT8_P12ihipStream_tbDpT10_ENKUlT_T0_E_clISt17integral_constantIbLb1EES13_EEDaSY_SZ_EUlSY_E_NS1_11comp_targetILNS1_3genE4ELNS1_11target_archE910ELNS1_3gpuE8ELNS1_3repE0EEENS1_30default_config_static_selectorELNS0_4arch9wavefront6targetE0EEEvT1_
                                        ; -- End function
	.section	.AMDGPU.csdata,"",@progbits
; Kernel info:
; codeLenInByte = 0
; NumSgprs: 0
; NumVgprs: 0
; ScratchSize: 0
; MemoryBound: 0
; FloatMode: 240
; IeeeMode: 1
; LDSByteSize: 0 bytes/workgroup (compile time only)
; SGPRBlocks: 0
; VGPRBlocks: 0
; NumSGPRsForWavesPerEU: 1
; NumVGPRsForWavesPerEU: 1
; Occupancy: 16
; WaveLimiterHint : 0
; COMPUTE_PGM_RSRC2:SCRATCH_EN: 0
; COMPUTE_PGM_RSRC2:USER_SGPR: 15
; COMPUTE_PGM_RSRC2:TRAP_HANDLER: 0
; COMPUTE_PGM_RSRC2:TGID_X_EN: 1
; COMPUTE_PGM_RSRC2:TGID_Y_EN: 0
; COMPUTE_PGM_RSRC2:TGID_Z_EN: 0
; COMPUTE_PGM_RSRC2:TIDIG_COMP_CNT: 0
	.section	.text._ZN7rocprim17ROCPRIM_400000_NS6detail17trampoline_kernelINS0_14default_configENS1_25partition_config_selectorILNS1_17partition_subalgoE6EiNS0_10empty_typeEbEEZZNS1_14partition_implILS5_6ELb0ES3_mN6thrust23THRUST_200600_302600_NS10device_ptrIiEEPS6_SD_NS0_5tupleIJSC_S6_EEENSE_IJSD_SD_EEES6_PlJ7is_evenIiEEEE10hipError_tPvRmT3_T4_T5_T6_T7_T9_mT8_P12ihipStream_tbDpT10_ENKUlT_T0_E_clISt17integral_constantIbLb1EES13_EEDaSY_SZ_EUlSY_E_NS1_11comp_targetILNS1_3genE3ELNS1_11target_archE908ELNS1_3gpuE7ELNS1_3repE0EEENS1_30default_config_static_selectorELNS0_4arch9wavefront6targetE0EEEvT1_,"axG",@progbits,_ZN7rocprim17ROCPRIM_400000_NS6detail17trampoline_kernelINS0_14default_configENS1_25partition_config_selectorILNS1_17partition_subalgoE6EiNS0_10empty_typeEbEEZZNS1_14partition_implILS5_6ELb0ES3_mN6thrust23THRUST_200600_302600_NS10device_ptrIiEEPS6_SD_NS0_5tupleIJSC_S6_EEENSE_IJSD_SD_EEES6_PlJ7is_evenIiEEEE10hipError_tPvRmT3_T4_T5_T6_T7_T9_mT8_P12ihipStream_tbDpT10_ENKUlT_T0_E_clISt17integral_constantIbLb1EES13_EEDaSY_SZ_EUlSY_E_NS1_11comp_targetILNS1_3genE3ELNS1_11target_archE908ELNS1_3gpuE7ELNS1_3repE0EEENS1_30default_config_static_selectorELNS0_4arch9wavefront6targetE0EEEvT1_,comdat
	.protected	_ZN7rocprim17ROCPRIM_400000_NS6detail17trampoline_kernelINS0_14default_configENS1_25partition_config_selectorILNS1_17partition_subalgoE6EiNS0_10empty_typeEbEEZZNS1_14partition_implILS5_6ELb0ES3_mN6thrust23THRUST_200600_302600_NS10device_ptrIiEEPS6_SD_NS0_5tupleIJSC_S6_EEENSE_IJSD_SD_EEES6_PlJ7is_evenIiEEEE10hipError_tPvRmT3_T4_T5_T6_T7_T9_mT8_P12ihipStream_tbDpT10_ENKUlT_T0_E_clISt17integral_constantIbLb1EES13_EEDaSY_SZ_EUlSY_E_NS1_11comp_targetILNS1_3genE3ELNS1_11target_archE908ELNS1_3gpuE7ELNS1_3repE0EEENS1_30default_config_static_selectorELNS0_4arch9wavefront6targetE0EEEvT1_ ; -- Begin function _ZN7rocprim17ROCPRIM_400000_NS6detail17trampoline_kernelINS0_14default_configENS1_25partition_config_selectorILNS1_17partition_subalgoE6EiNS0_10empty_typeEbEEZZNS1_14partition_implILS5_6ELb0ES3_mN6thrust23THRUST_200600_302600_NS10device_ptrIiEEPS6_SD_NS0_5tupleIJSC_S6_EEENSE_IJSD_SD_EEES6_PlJ7is_evenIiEEEE10hipError_tPvRmT3_T4_T5_T6_T7_T9_mT8_P12ihipStream_tbDpT10_ENKUlT_T0_E_clISt17integral_constantIbLb1EES13_EEDaSY_SZ_EUlSY_E_NS1_11comp_targetILNS1_3genE3ELNS1_11target_archE908ELNS1_3gpuE7ELNS1_3repE0EEENS1_30default_config_static_selectorELNS0_4arch9wavefront6targetE0EEEvT1_
	.globl	_ZN7rocprim17ROCPRIM_400000_NS6detail17trampoline_kernelINS0_14default_configENS1_25partition_config_selectorILNS1_17partition_subalgoE6EiNS0_10empty_typeEbEEZZNS1_14partition_implILS5_6ELb0ES3_mN6thrust23THRUST_200600_302600_NS10device_ptrIiEEPS6_SD_NS0_5tupleIJSC_S6_EEENSE_IJSD_SD_EEES6_PlJ7is_evenIiEEEE10hipError_tPvRmT3_T4_T5_T6_T7_T9_mT8_P12ihipStream_tbDpT10_ENKUlT_T0_E_clISt17integral_constantIbLb1EES13_EEDaSY_SZ_EUlSY_E_NS1_11comp_targetILNS1_3genE3ELNS1_11target_archE908ELNS1_3gpuE7ELNS1_3repE0EEENS1_30default_config_static_selectorELNS0_4arch9wavefront6targetE0EEEvT1_
	.p2align	8
	.type	_ZN7rocprim17ROCPRIM_400000_NS6detail17trampoline_kernelINS0_14default_configENS1_25partition_config_selectorILNS1_17partition_subalgoE6EiNS0_10empty_typeEbEEZZNS1_14partition_implILS5_6ELb0ES3_mN6thrust23THRUST_200600_302600_NS10device_ptrIiEEPS6_SD_NS0_5tupleIJSC_S6_EEENSE_IJSD_SD_EEES6_PlJ7is_evenIiEEEE10hipError_tPvRmT3_T4_T5_T6_T7_T9_mT8_P12ihipStream_tbDpT10_ENKUlT_T0_E_clISt17integral_constantIbLb1EES13_EEDaSY_SZ_EUlSY_E_NS1_11comp_targetILNS1_3genE3ELNS1_11target_archE908ELNS1_3gpuE7ELNS1_3repE0EEENS1_30default_config_static_selectorELNS0_4arch9wavefront6targetE0EEEvT1_,@function
_ZN7rocprim17ROCPRIM_400000_NS6detail17trampoline_kernelINS0_14default_configENS1_25partition_config_selectorILNS1_17partition_subalgoE6EiNS0_10empty_typeEbEEZZNS1_14partition_implILS5_6ELb0ES3_mN6thrust23THRUST_200600_302600_NS10device_ptrIiEEPS6_SD_NS0_5tupleIJSC_S6_EEENSE_IJSD_SD_EEES6_PlJ7is_evenIiEEEE10hipError_tPvRmT3_T4_T5_T6_T7_T9_mT8_P12ihipStream_tbDpT10_ENKUlT_T0_E_clISt17integral_constantIbLb1EES13_EEDaSY_SZ_EUlSY_E_NS1_11comp_targetILNS1_3genE3ELNS1_11target_archE908ELNS1_3gpuE7ELNS1_3repE0EEENS1_30default_config_static_selectorELNS0_4arch9wavefront6targetE0EEEvT1_: ; @_ZN7rocprim17ROCPRIM_400000_NS6detail17trampoline_kernelINS0_14default_configENS1_25partition_config_selectorILNS1_17partition_subalgoE6EiNS0_10empty_typeEbEEZZNS1_14partition_implILS5_6ELb0ES3_mN6thrust23THRUST_200600_302600_NS10device_ptrIiEEPS6_SD_NS0_5tupleIJSC_S6_EEENSE_IJSD_SD_EEES6_PlJ7is_evenIiEEEE10hipError_tPvRmT3_T4_T5_T6_T7_T9_mT8_P12ihipStream_tbDpT10_ENKUlT_T0_E_clISt17integral_constantIbLb1EES13_EEDaSY_SZ_EUlSY_E_NS1_11comp_targetILNS1_3genE3ELNS1_11target_archE908ELNS1_3gpuE7ELNS1_3repE0EEENS1_30default_config_static_selectorELNS0_4arch9wavefront6targetE0EEEvT1_
; %bb.0:
	.section	.rodata,"a",@progbits
	.p2align	6, 0x0
	.amdhsa_kernel _ZN7rocprim17ROCPRIM_400000_NS6detail17trampoline_kernelINS0_14default_configENS1_25partition_config_selectorILNS1_17partition_subalgoE6EiNS0_10empty_typeEbEEZZNS1_14partition_implILS5_6ELb0ES3_mN6thrust23THRUST_200600_302600_NS10device_ptrIiEEPS6_SD_NS0_5tupleIJSC_S6_EEENSE_IJSD_SD_EEES6_PlJ7is_evenIiEEEE10hipError_tPvRmT3_T4_T5_T6_T7_T9_mT8_P12ihipStream_tbDpT10_ENKUlT_T0_E_clISt17integral_constantIbLb1EES13_EEDaSY_SZ_EUlSY_E_NS1_11comp_targetILNS1_3genE3ELNS1_11target_archE908ELNS1_3gpuE7ELNS1_3repE0EEENS1_30default_config_static_selectorELNS0_4arch9wavefront6targetE0EEEvT1_
		.amdhsa_group_segment_fixed_size 0
		.amdhsa_private_segment_fixed_size 0
		.amdhsa_kernarg_size 128
		.amdhsa_user_sgpr_count 15
		.amdhsa_user_sgpr_dispatch_ptr 0
		.amdhsa_user_sgpr_queue_ptr 0
		.amdhsa_user_sgpr_kernarg_segment_ptr 1
		.amdhsa_user_sgpr_dispatch_id 0
		.amdhsa_user_sgpr_private_segment_size 0
		.amdhsa_wavefront_size32 1
		.amdhsa_uses_dynamic_stack 0
		.amdhsa_enable_private_segment 0
		.amdhsa_system_sgpr_workgroup_id_x 1
		.amdhsa_system_sgpr_workgroup_id_y 0
		.amdhsa_system_sgpr_workgroup_id_z 0
		.amdhsa_system_sgpr_workgroup_info 0
		.amdhsa_system_vgpr_workitem_id 0
		.amdhsa_next_free_vgpr 1
		.amdhsa_next_free_sgpr 1
		.amdhsa_reserve_vcc 0
		.amdhsa_float_round_mode_32 0
		.amdhsa_float_round_mode_16_64 0
		.amdhsa_float_denorm_mode_32 3
		.amdhsa_float_denorm_mode_16_64 3
		.amdhsa_dx10_clamp 1
		.amdhsa_ieee_mode 1
		.amdhsa_fp16_overflow 0
		.amdhsa_workgroup_processor_mode 1
		.amdhsa_memory_ordered 1
		.amdhsa_forward_progress 0
		.amdhsa_shared_vgpr_count 0
		.amdhsa_exception_fp_ieee_invalid_op 0
		.amdhsa_exception_fp_denorm_src 0
		.amdhsa_exception_fp_ieee_div_zero 0
		.amdhsa_exception_fp_ieee_overflow 0
		.amdhsa_exception_fp_ieee_underflow 0
		.amdhsa_exception_fp_ieee_inexact 0
		.amdhsa_exception_int_div_zero 0
	.end_amdhsa_kernel
	.section	.text._ZN7rocprim17ROCPRIM_400000_NS6detail17trampoline_kernelINS0_14default_configENS1_25partition_config_selectorILNS1_17partition_subalgoE6EiNS0_10empty_typeEbEEZZNS1_14partition_implILS5_6ELb0ES3_mN6thrust23THRUST_200600_302600_NS10device_ptrIiEEPS6_SD_NS0_5tupleIJSC_S6_EEENSE_IJSD_SD_EEES6_PlJ7is_evenIiEEEE10hipError_tPvRmT3_T4_T5_T6_T7_T9_mT8_P12ihipStream_tbDpT10_ENKUlT_T0_E_clISt17integral_constantIbLb1EES13_EEDaSY_SZ_EUlSY_E_NS1_11comp_targetILNS1_3genE3ELNS1_11target_archE908ELNS1_3gpuE7ELNS1_3repE0EEENS1_30default_config_static_selectorELNS0_4arch9wavefront6targetE0EEEvT1_,"axG",@progbits,_ZN7rocprim17ROCPRIM_400000_NS6detail17trampoline_kernelINS0_14default_configENS1_25partition_config_selectorILNS1_17partition_subalgoE6EiNS0_10empty_typeEbEEZZNS1_14partition_implILS5_6ELb0ES3_mN6thrust23THRUST_200600_302600_NS10device_ptrIiEEPS6_SD_NS0_5tupleIJSC_S6_EEENSE_IJSD_SD_EEES6_PlJ7is_evenIiEEEE10hipError_tPvRmT3_T4_T5_T6_T7_T9_mT8_P12ihipStream_tbDpT10_ENKUlT_T0_E_clISt17integral_constantIbLb1EES13_EEDaSY_SZ_EUlSY_E_NS1_11comp_targetILNS1_3genE3ELNS1_11target_archE908ELNS1_3gpuE7ELNS1_3repE0EEENS1_30default_config_static_selectorELNS0_4arch9wavefront6targetE0EEEvT1_,comdat
.Lfunc_end907:
	.size	_ZN7rocprim17ROCPRIM_400000_NS6detail17trampoline_kernelINS0_14default_configENS1_25partition_config_selectorILNS1_17partition_subalgoE6EiNS0_10empty_typeEbEEZZNS1_14partition_implILS5_6ELb0ES3_mN6thrust23THRUST_200600_302600_NS10device_ptrIiEEPS6_SD_NS0_5tupleIJSC_S6_EEENSE_IJSD_SD_EEES6_PlJ7is_evenIiEEEE10hipError_tPvRmT3_T4_T5_T6_T7_T9_mT8_P12ihipStream_tbDpT10_ENKUlT_T0_E_clISt17integral_constantIbLb1EES13_EEDaSY_SZ_EUlSY_E_NS1_11comp_targetILNS1_3genE3ELNS1_11target_archE908ELNS1_3gpuE7ELNS1_3repE0EEENS1_30default_config_static_selectorELNS0_4arch9wavefront6targetE0EEEvT1_, .Lfunc_end907-_ZN7rocprim17ROCPRIM_400000_NS6detail17trampoline_kernelINS0_14default_configENS1_25partition_config_selectorILNS1_17partition_subalgoE6EiNS0_10empty_typeEbEEZZNS1_14partition_implILS5_6ELb0ES3_mN6thrust23THRUST_200600_302600_NS10device_ptrIiEEPS6_SD_NS0_5tupleIJSC_S6_EEENSE_IJSD_SD_EEES6_PlJ7is_evenIiEEEE10hipError_tPvRmT3_T4_T5_T6_T7_T9_mT8_P12ihipStream_tbDpT10_ENKUlT_T0_E_clISt17integral_constantIbLb1EES13_EEDaSY_SZ_EUlSY_E_NS1_11comp_targetILNS1_3genE3ELNS1_11target_archE908ELNS1_3gpuE7ELNS1_3repE0EEENS1_30default_config_static_selectorELNS0_4arch9wavefront6targetE0EEEvT1_
                                        ; -- End function
	.section	.AMDGPU.csdata,"",@progbits
; Kernel info:
; codeLenInByte = 0
; NumSgprs: 0
; NumVgprs: 0
; ScratchSize: 0
; MemoryBound: 0
; FloatMode: 240
; IeeeMode: 1
; LDSByteSize: 0 bytes/workgroup (compile time only)
; SGPRBlocks: 0
; VGPRBlocks: 0
; NumSGPRsForWavesPerEU: 1
; NumVGPRsForWavesPerEU: 1
; Occupancy: 16
; WaveLimiterHint : 0
; COMPUTE_PGM_RSRC2:SCRATCH_EN: 0
; COMPUTE_PGM_RSRC2:USER_SGPR: 15
; COMPUTE_PGM_RSRC2:TRAP_HANDLER: 0
; COMPUTE_PGM_RSRC2:TGID_X_EN: 1
; COMPUTE_PGM_RSRC2:TGID_Y_EN: 0
; COMPUTE_PGM_RSRC2:TGID_Z_EN: 0
; COMPUTE_PGM_RSRC2:TIDIG_COMP_CNT: 0
	.section	.text._ZN7rocprim17ROCPRIM_400000_NS6detail17trampoline_kernelINS0_14default_configENS1_25partition_config_selectorILNS1_17partition_subalgoE6EiNS0_10empty_typeEbEEZZNS1_14partition_implILS5_6ELb0ES3_mN6thrust23THRUST_200600_302600_NS10device_ptrIiEEPS6_SD_NS0_5tupleIJSC_S6_EEENSE_IJSD_SD_EEES6_PlJ7is_evenIiEEEE10hipError_tPvRmT3_T4_T5_T6_T7_T9_mT8_P12ihipStream_tbDpT10_ENKUlT_T0_E_clISt17integral_constantIbLb1EES13_EEDaSY_SZ_EUlSY_E_NS1_11comp_targetILNS1_3genE2ELNS1_11target_archE906ELNS1_3gpuE6ELNS1_3repE0EEENS1_30default_config_static_selectorELNS0_4arch9wavefront6targetE0EEEvT1_,"axG",@progbits,_ZN7rocprim17ROCPRIM_400000_NS6detail17trampoline_kernelINS0_14default_configENS1_25partition_config_selectorILNS1_17partition_subalgoE6EiNS0_10empty_typeEbEEZZNS1_14partition_implILS5_6ELb0ES3_mN6thrust23THRUST_200600_302600_NS10device_ptrIiEEPS6_SD_NS0_5tupleIJSC_S6_EEENSE_IJSD_SD_EEES6_PlJ7is_evenIiEEEE10hipError_tPvRmT3_T4_T5_T6_T7_T9_mT8_P12ihipStream_tbDpT10_ENKUlT_T0_E_clISt17integral_constantIbLb1EES13_EEDaSY_SZ_EUlSY_E_NS1_11comp_targetILNS1_3genE2ELNS1_11target_archE906ELNS1_3gpuE6ELNS1_3repE0EEENS1_30default_config_static_selectorELNS0_4arch9wavefront6targetE0EEEvT1_,comdat
	.protected	_ZN7rocprim17ROCPRIM_400000_NS6detail17trampoline_kernelINS0_14default_configENS1_25partition_config_selectorILNS1_17partition_subalgoE6EiNS0_10empty_typeEbEEZZNS1_14partition_implILS5_6ELb0ES3_mN6thrust23THRUST_200600_302600_NS10device_ptrIiEEPS6_SD_NS0_5tupleIJSC_S6_EEENSE_IJSD_SD_EEES6_PlJ7is_evenIiEEEE10hipError_tPvRmT3_T4_T5_T6_T7_T9_mT8_P12ihipStream_tbDpT10_ENKUlT_T0_E_clISt17integral_constantIbLb1EES13_EEDaSY_SZ_EUlSY_E_NS1_11comp_targetILNS1_3genE2ELNS1_11target_archE906ELNS1_3gpuE6ELNS1_3repE0EEENS1_30default_config_static_selectorELNS0_4arch9wavefront6targetE0EEEvT1_ ; -- Begin function _ZN7rocprim17ROCPRIM_400000_NS6detail17trampoline_kernelINS0_14default_configENS1_25partition_config_selectorILNS1_17partition_subalgoE6EiNS0_10empty_typeEbEEZZNS1_14partition_implILS5_6ELb0ES3_mN6thrust23THRUST_200600_302600_NS10device_ptrIiEEPS6_SD_NS0_5tupleIJSC_S6_EEENSE_IJSD_SD_EEES6_PlJ7is_evenIiEEEE10hipError_tPvRmT3_T4_T5_T6_T7_T9_mT8_P12ihipStream_tbDpT10_ENKUlT_T0_E_clISt17integral_constantIbLb1EES13_EEDaSY_SZ_EUlSY_E_NS1_11comp_targetILNS1_3genE2ELNS1_11target_archE906ELNS1_3gpuE6ELNS1_3repE0EEENS1_30default_config_static_selectorELNS0_4arch9wavefront6targetE0EEEvT1_
	.globl	_ZN7rocprim17ROCPRIM_400000_NS6detail17trampoline_kernelINS0_14default_configENS1_25partition_config_selectorILNS1_17partition_subalgoE6EiNS0_10empty_typeEbEEZZNS1_14partition_implILS5_6ELb0ES3_mN6thrust23THRUST_200600_302600_NS10device_ptrIiEEPS6_SD_NS0_5tupleIJSC_S6_EEENSE_IJSD_SD_EEES6_PlJ7is_evenIiEEEE10hipError_tPvRmT3_T4_T5_T6_T7_T9_mT8_P12ihipStream_tbDpT10_ENKUlT_T0_E_clISt17integral_constantIbLb1EES13_EEDaSY_SZ_EUlSY_E_NS1_11comp_targetILNS1_3genE2ELNS1_11target_archE906ELNS1_3gpuE6ELNS1_3repE0EEENS1_30default_config_static_selectorELNS0_4arch9wavefront6targetE0EEEvT1_
	.p2align	8
	.type	_ZN7rocprim17ROCPRIM_400000_NS6detail17trampoline_kernelINS0_14default_configENS1_25partition_config_selectorILNS1_17partition_subalgoE6EiNS0_10empty_typeEbEEZZNS1_14partition_implILS5_6ELb0ES3_mN6thrust23THRUST_200600_302600_NS10device_ptrIiEEPS6_SD_NS0_5tupleIJSC_S6_EEENSE_IJSD_SD_EEES6_PlJ7is_evenIiEEEE10hipError_tPvRmT3_T4_T5_T6_T7_T9_mT8_P12ihipStream_tbDpT10_ENKUlT_T0_E_clISt17integral_constantIbLb1EES13_EEDaSY_SZ_EUlSY_E_NS1_11comp_targetILNS1_3genE2ELNS1_11target_archE906ELNS1_3gpuE6ELNS1_3repE0EEENS1_30default_config_static_selectorELNS0_4arch9wavefront6targetE0EEEvT1_,@function
_ZN7rocprim17ROCPRIM_400000_NS6detail17trampoline_kernelINS0_14default_configENS1_25partition_config_selectorILNS1_17partition_subalgoE6EiNS0_10empty_typeEbEEZZNS1_14partition_implILS5_6ELb0ES3_mN6thrust23THRUST_200600_302600_NS10device_ptrIiEEPS6_SD_NS0_5tupleIJSC_S6_EEENSE_IJSD_SD_EEES6_PlJ7is_evenIiEEEE10hipError_tPvRmT3_T4_T5_T6_T7_T9_mT8_P12ihipStream_tbDpT10_ENKUlT_T0_E_clISt17integral_constantIbLb1EES13_EEDaSY_SZ_EUlSY_E_NS1_11comp_targetILNS1_3genE2ELNS1_11target_archE906ELNS1_3gpuE6ELNS1_3repE0EEENS1_30default_config_static_selectorELNS0_4arch9wavefront6targetE0EEEvT1_: ; @_ZN7rocprim17ROCPRIM_400000_NS6detail17trampoline_kernelINS0_14default_configENS1_25partition_config_selectorILNS1_17partition_subalgoE6EiNS0_10empty_typeEbEEZZNS1_14partition_implILS5_6ELb0ES3_mN6thrust23THRUST_200600_302600_NS10device_ptrIiEEPS6_SD_NS0_5tupleIJSC_S6_EEENSE_IJSD_SD_EEES6_PlJ7is_evenIiEEEE10hipError_tPvRmT3_T4_T5_T6_T7_T9_mT8_P12ihipStream_tbDpT10_ENKUlT_T0_E_clISt17integral_constantIbLb1EES13_EEDaSY_SZ_EUlSY_E_NS1_11comp_targetILNS1_3genE2ELNS1_11target_archE906ELNS1_3gpuE6ELNS1_3repE0EEENS1_30default_config_static_selectorELNS0_4arch9wavefront6targetE0EEEvT1_
; %bb.0:
	.section	.rodata,"a",@progbits
	.p2align	6, 0x0
	.amdhsa_kernel _ZN7rocprim17ROCPRIM_400000_NS6detail17trampoline_kernelINS0_14default_configENS1_25partition_config_selectorILNS1_17partition_subalgoE6EiNS0_10empty_typeEbEEZZNS1_14partition_implILS5_6ELb0ES3_mN6thrust23THRUST_200600_302600_NS10device_ptrIiEEPS6_SD_NS0_5tupleIJSC_S6_EEENSE_IJSD_SD_EEES6_PlJ7is_evenIiEEEE10hipError_tPvRmT3_T4_T5_T6_T7_T9_mT8_P12ihipStream_tbDpT10_ENKUlT_T0_E_clISt17integral_constantIbLb1EES13_EEDaSY_SZ_EUlSY_E_NS1_11comp_targetILNS1_3genE2ELNS1_11target_archE906ELNS1_3gpuE6ELNS1_3repE0EEENS1_30default_config_static_selectorELNS0_4arch9wavefront6targetE0EEEvT1_
		.amdhsa_group_segment_fixed_size 0
		.amdhsa_private_segment_fixed_size 0
		.amdhsa_kernarg_size 128
		.amdhsa_user_sgpr_count 15
		.amdhsa_user_sgpr_dispatch_ptr 0
		.amdhsa_user_sgpr_queue_ptr 0
		.amdhsa_user_sgpr_kernarg_segment_ptr 1
		.amdhsa_user_sgpr_dispatch_id 0
		.amdhsa_user_sgpr_private_segment_size 0
		.amdhsa_wavefront_size32 1
		.amdhsa_uses_dynamic_stack 0
		.amdhsa_enable_private_segment 0
		.amdhsa_system_sgpr_workgroup_id_x 1
		.amdhsa_system_sgpr_workgroup_id_y 0
		.amdhsa_system_sgpr_workgroup_id_z 0
		.amdhsa_system_sgpr_workgroup_info 0
		.amdhsa_system_vgpr_workitem_id 0
		.amdhsa_next_free_vgpr 1
		.amdhsa_next_free_sgpr 1
		.amdhsa_reserve_vcc 0
		.amdhsa_float_round_mode_32 0
		.amdhsa_float_round_mode_16_64 0
		.amdhsa_float_denorm_mode_32 3
		.amdhsa_float_denorm_mode_16_64 3
		.amdhsa_dx10_clamp 1
		.amdhsa_ieee_mode 1
		.amdhsa_fp16_overflow 0
		.amdhsa_workgroup_processor_mode 1
		.amdhsa_memory_ordered 1
		.amdhsa_forward_progress 0
		.amdhsa_shared_vgpr_count 0
		.amdhsa_exception_fp_ieee_invalid_op 0
		.amdhsa_exception_fp_denorm_src 0
		.amdhsa_exception_fp_ieee_div_zero 0
		.amdhsa_exception_fp_ieee_overflow 0
		.amdhsa_exception_fp_ieee_underflow 0
		.amdhsa_exception_fp_ieee_inexact 0
		.amdhsa_exception_int_div_zero 0
	.end_amdhsa_kernel
	.section	.text._ZN7rocprim17ROCPRIM_400000_NS6detail17trampoline_kernelINS0_14default_configENS1_25partition_config_selectorILNS1_17partition_subalgoE6EiNS0_10empty_typeEbEEZZNS1_14partition_implILS5_6ELb0ES3_mN6thrust23THRUST_200600_302600_NS10device_ptrIiEEPS6_SD_NS0_5tupleIJSC_S6_EEENSE_IJSD_SD_EEES6_PlJ7is_evenIiEEEE10hipError_tPvRmT3_T4_T5_T6_T7_T9_mT8_P12ihipStream_tbDpT10_ENKUlT_T0_E_clISt17integral_constantIbLb1EES13_EEDaSY_SZ_EUlSY_E_NS1_11comp_targetILNS1_3genE2ELNS1_11target_archE906ELNS1_3gpuE6ELNS1_3repE0EEENS1_30default_config_static_selectorELNS0_4arch9wavefront6targetE0EEEvT1_,"axG",@progbits,_ZN7rocprim17ROCPRIM_400000_NS6detail17trampoline_kernelINS0_14default_configENS1_25partition_config_selectorILNS1_17partition_subalgoE6EiNS0_10empty_typeEbEEZZNS1_14partition_implILS5_6ELb0ES3_mN6thrust23THRUST_200600_302600_NS10device_ptrIiEEPS6_SD_NS0_5tupleIJSC_S6_EEENSE_IJSD_SD_EEES6_PlJ7is_evenIiEEEE10hipError_tPvRmT3_T4_T5_T6_T7_T9_mT8_P12ihipStream_tbDpT10_ENKUlT_T0_E_clISt17integral_constantIbLb1EES13_EEDaSY_SZ_EUlSY_E_NS1_11comp_targetILNS1_3genE2ELNS1_11target_archE906ELNS1_3gpuE6ELNS1_3repE0EEENS1_30default_config_static_selectorELNS0_4arch9wavefront6targetE0EEEvT1_,comdat
.Lfunc_end908:
	.size	_ZN7rocprim17ROCPRIM_400000_NS6detail17trampoline_kernelINS0_14default_configENS1_25partition_config_selectorILNS1_17partition_subalgoE6EiNS0_10empty_typeEbEEZZNS1_14partition_implILS5_6ELb0ES3_mN6thrust23THRUST_200600_302600_NS10device_ptrIiEEPS6_SD_NS0_5tupleIJSC_S6_EEENSE_IJSD_SD_EEES6_PlJ7is_evenIiEEEE10hipError_tPvRmT3_T4_T5_T6_T7_T9_mT8_P12ihipStream_tbDpT10_ENKUlT_T0_E_clISt17integral_constantIbLb1EES13_EEDaSY_SZ_EUlSY_E_NS1_11comp_targetILNS1_3genE2ELNS1_11target_archE906ELNS1_3gpuE6ELNS1_3repE0EEENS1_30default_config_static_selectorELNS0_4arch9wavefront6targetE0EEEvT1_, .Lfunc_end908-_ZN7rocprim17ROCPRIM_400000_NS6detail17trampoline_kernelINS0_14default_configENS1_25partition_config_selectorILNS1_17partition_subalgoE6EiNS0_10empty_typeEbEEZZNS1_14partition_implILS5_6ELb0ES3_mN6thrust23THRUST_200600_302600_NS10device_ptrIiEEPS6_SD_NS0_5tupleIJSC_S6_EEENSE_IJSD_SD_EEES6_PlJ7is_evenIiEEEE10hipError_tPvRmT3_T4_T5_T6_T7_T9_mT8_P12ihipStream_tbDpT10_ENKUlT_T0_E_clISt17integral_constantIbLb1EES13_EEDaSY_SZ_EUlSY_E_NS1_11comp_targetILNS1_3genE2ELNS1_11target_archE906ELNS1_3gpuE6ELNS1_3repE0EEENS1_30default_config_static_selectorELNS0_4arch9wavefront6targetE0EEEvT1_
                                        ; -- End function
	.section	.AMDGPU.csdata,"",@progbits
; Kernel info:
; codeLenInByte = 0
; NumSgprs: 0
; NumVgprs: 0
; ScratchSize: 0
; MemoryBound: 0
; FloatMode: 240
; IeeeMode: 1
; LDSByteSize: 0 bytes/workgroup (compile time only)
; SGPRBlocks: 0
; VGPRBlocks: 0
; NumSGPRsForWavesPerEU: 1
; NumVGPRsForWavesPerEU: 1
; Occupancy: 15
; WaveLimiterHint : 0
; COMPUTE_PGM_RSRC2:SCRATCH_EN: 0
; COMPUTE_PGM_RSRC2:USER_SGPR: 15
; COMPUTE_PGM_RSRC2:TRAP_HANDLER: 0
; COMPUTE_PGM_RSRC2:TGID_X_EN: 1
; COMPUTE_PGM_RSRC2:TGID_Y_EN: 0
; COMPUTE_PGM_RSRC2:TGID_Z_EN: 0
; COMPUTE_PGM_RSRC2:TIDIG_COMP_CNT: 0
	.section	.text._ZN7rocprim17ROCPRIM_400000_NS6detail17trampoline_kernelINS0_14default_configENS1_25partition_config_selectorILNS1_17partition_subalgoE6EiNS0_10empty_typeEbEEZZNS1_14partition_implILS5_6ELb0ES3_mN6thrust23THRUST_200600_302600_NS10device_ptrIiEEPS6_SD_NS0_5tupleIJSC_S6_EEENSE_IJSD_SD_EEES6_PlJ7is_evenIiEEEE10hipError_tPvRmT3_T4_T5_T6_T7_T9_mT8_P12ihipStream_tbDpT10_ENKUlT_T0_E_clISt17integral_constantIbLb1EES13_EEDaSY_SZ_EUlSY_E_NS1_11comp_targetILNS1_3genE10ELNS1_11target_archE1200ELNS1_3gpuE4ELNS1_3repE0EEENS1_30default_config_static_selectorELNS0_4arch9wavefront6targetE0EEEvT1_,"axG",@progbits,_ZN7rocprim17ROCPRIM_400000_NS6detail17trampoline_kernelINS0_14default_configENS1_25partition_config_selectorILNS1_17partition_subalgoE6EiNS0_10empty_typeEbEEZZNS1_14partition_implILS5_6ELb0ES3_mN6thrust23THRUST_200600_302600_NS10device_ptrIiEEPS6_SD_NS0_5tupleIJSC_S6_EEENSE_IJSD_SD_EEES6_PlJ7is_evenIiEEEE10hipError_tPvRmT3_T4_T5_T6_T7_T9_mT8_P12ihipStream_tbDpT10_ENKUlT_T0_E_clISt17integral_constantIbLb1EES13_EEDaSY_SZ_EUlSY_E_NS1_11comp_targetILNS1_3genE10ELNS1_11target_archE1200ELNS1_3gpuE4ELNS1_3repE0EEENS1_30default_config_static_selectorELNS0_4arch9wavefront6targetE0EEEvT1_,comdat
	.protected	_ZN7rocprim17ROCPRIM_400000_NS6detail17trampoline_kernelINS0_14default_configENS1_25partition_config_selectorILNS1_17partition_subalgoE6EiNS0_10empty_typeEbEEZZNS1_14partition_implILS5_6ELb0ES3_mN6thrust23THRUST_200600_302600_NS10device_ptrIiEEPS6_SD_NS0_5tupleIJSC_S6_EEENSE_IJSD_SD_EEES6_PlJ7is_evenIiEEEE10hipError_tPvRmT3_T4_T5_T6_T7_T9_mT8_P12ihipStream_tbDpT10_ENKUlT_T0_E_clISt17integral_constantIbLb1EES13_EEDaSY_SZ_EUlSY_E_NS1_11comp_targetILNS1_3genE10ELNS1_11target_archE1200ELNS1_3gpuE4ELNS1_3repE0EEENS1_30default_config_static_selectorELNS0_4arch9wavefront6targetE0EEEvT1_ ; -- Begin function _ZN7rocprim17ROCPRIM_400000_NS6detail17trampoline_kernelINS0_14default_configENS1_25partition_config_selectorILNS1_17partition_subalgoE6EiNS0_10empty_typeEbEEZZNS1_14partition_implILS5_6ELb0ES3_mN6thrust23THRUST_200600_302600_NS10device_ptrIiEEPS6_SD_NS0_5tupleIJSC_S6_EEENSE_IJSD_SD_EEES6_PlJ7is_evenIiEEEE10hipError_tPvRmT3_T4_T5_T6_T7_T9_mT8_P12ihipStream_tbDpT10_ENKUlT_T0_E_clISt17integral_constantIbLb1EES13_EEDaSY_SZ_EUlSY_E_NS1_11comp_targetILNS1_3genE10ELNS1_11target_archE1200ELNS1_3gpuE4ELNS1_3repE0EEENS1_30default_config_static_selectorELNS0_4arch9wavefront6targetE0EEEvT1_
	.globl	_ZN7rocprim17ROCPRIM_400000_NS6detail17trampoline_kernelINS0_14default_configENS1_25partition_config_selectorILNS1_17partition_subalgoE6EiNS0_10empty_typeEbEEZZNS1_14partition_implILS5_6ELb0ES3_mN6thrust23THRUST_200600_302600_NS10device_ptrIiEEPS6_SD_NS0_5tupleIJSC_S6_EEENSE_IJSD_SD_EEES6_PlJ7is_evenIiEEEE10hipError_tPvRmT3_T4_T5_T6_T7_T9_mT8_P12ihipStream_tbDpT10_ENKUlT_T0_E_clISt17integral_constantIbLb1EES13_EEDaSY_SZ_EUlSY_E_NS1_11comp_targetILNS1_3genE10ELNS1_11target_archE1200ELNS1_3gpuE4ELNS1_3repE0EEENS1_30default_config_static_selectorELNS0_4arch9wavefront6targetE0EEEvT1_
	.p2align	8
	.type	_ZN7rocprim17ROCPRIM_400000_NS6detail17trampoline_kernelINS0_14default_configENS1_25partition_config_selectorILNS1_17partition_subalgoE6EiNS0_10empty_typeEbEEZZNS1_14partition_implILS5_6ELb0ES3_mN6thrust23THRUST_200600_302600_NS10device_ptrIiEEPS6_SD_NS0_5tupleIJSC_S6_EEENSE_IJSD_SD_EEES6_PlJ7is_evenIiEEEE10hipError_tPvRmT3_T4_T5_T6_T7_T9_mT8_P12ihipStream_tbDpT10_ENKUlT_T0_E_clISt17integral_constantIbLb1EES13_EEDaSY_SZ_EUlSY_E_NS1_11comp_targetILNS1_3genE10ELNS1_11target_archE1200ELNS1_3gpuE4ELNS1_3repE0EEENS1_30default_config_static_selectorELNS0_4arch9wavefront6targetE0EEEvT1_,@function
_ZN7rocprim17ROCPRIM_400000_NS6detail17trampoline_kernelINS0_14default_configENS1_25partition_config_selectorILNS1_17partition_subalgoE6EiNS0_10empty_typeEbEEZZNS1_14partition_implILS5_6ELb0ES3_mN6thrust23THRUST_200600_302600_NS10device_ptrIiEEPS6_SD_NS0_5tupleIJSC_S6_EEENSE_IJSD_SD_EEES6_PlJ7is_evenIiEEEE10hipError_tPvRmT3_T4_T5_T6_T7_T9_mT8_P12ihipStream_tbDpT10_ENKUlT_T0_E_clISt17integral_constantIbLb1EES13_EEDaSY_SZ_EUlSY_E_NS1_11comp_targetILNS1_3genE10ELNS1_11target_archE1200ELNS1_3gpuE4ELNS1_3repE0EEENS1_30default_config_static_selectorELNS0_4arch9wavefront6targetE0EEEvT1_: ; @_ZN7rocprim17ROCPRIM_400000_NS6detail17trampoline_kernelINS0_14default_configENS1_25partition_config_selectorILNS1_17partition_subalgoE6EiNS0_10empty_typeEbEEZZNS1_14partition_implILS5_6ELb0ES3_mN6thrust23THRUST_200600_302600_NS10device_ptrIiEEPS6_SD_NS0_5tupleIJSC_S6_EEENSE_IJSD_SD_EEES6_PlJ7is_evenIiEEEE10hipError_tPvRmT3_T4_T5_T6_T7_T9_mT8_P12ihipStream_tbDpT10_ENKUlT_T0_E_clISt17integral_constantIbLb1EES13_EEDaSY_SZ_EUlSY_E_NS1_11comp_targetILNS1_3genE10ELNS1_11target_archE1200ELNS1_3gpuE4ELNS1_3repE0EEENS1_30default_config_static_selectorELNS0_4arch9wavefront6targetE0EEEvT1_
; %bb.0:
	.section	.rodata,"a",@progbits
	.p2align	6, 0x0
	.amdhsa_kernel _ZN7rocprim17ROCPRIM_400000_NS6detail17trampoline_kernelINS0_14default_configENS1_25partition_config_selectorILNS1_17partition_subalgoE6EiNS0_10empty_typeEbEEZZNS1_14partition_implILS5_6ELb0ES3_mN6thrust23THRUST_200600_302600_NS10device_ptrIiEEPS6_SD_NS0_5tupleIJSC_S6_EEENSE_IJSD_SD_EEES6_PlJ7is_evenIiEEEE10hipError_tPvRmT3_T4_T5_T6_T7_T9_mT8_P12ihipStream_tbDpT10_ENKUlT_T0_E_clISt17integral_constantIbLb1EES13_EEDaSY_SZ_EUlSY_E_NS1_11comp_targetILNS1_3genE10ELNS1_11target_archE1200ELNS1_3gpuE4ELNS1_3repE0EEENS1_30default_config_static_selectorELNS0_4arch9wavefront6targetE0EEEvT1_
		.amdhsa_group_segment_fixed_size 0
		.amdhsa_private_segment_fixed_size 0
		.amdhsa_kernarg_size 128
		.amdhsa_user_sgpr_count 15
		.amdhsa_user_sgpr_dispatch_ptr 0
		.amdhsa_user_sgpr_queue_ptr 0
		.amdhsa_user_sgpr_kernarg_segment_ptr 1
		.amdhsa_user_sgpr_dispatch_id 0
		.amdhsa_user_sgpr_private_segment_size 0
		.amdhsa_wavefront_size32 1
		.amdhsa_uses_dynamic_stack 0
		.amdhsa_enable_private_segment 0
		.amdhsa_system_sgpr_workgroup_id_x 1
		.amdhsa_system_sgpr_workgroup_id_y 0
		.amdhsa_system_sgpr_workgroup_id_z 0
		.amdhsa_system_sgpr_workgroup_info 0
		.amdhsa_system_vgpr_workitem_id 0
		.amdhsa_next_free_vgpr 1
		.amdhsa_next_free_sgpr 1
		.amdhsa_reserve_vcc 0
		.amdhsa_float_round_mode_32 0
		.amdhsa_float_round_mode_16_64 0
		.amdhsa_float_denorm_mode_32 3
		.amdhsa_float_denorm_mode_16_64 3
		.amdhsa_dx10_clamp 1
		.amdhsa_ieee_mode 1
		.amdhsa_fp16_overflow 0
		.amdhsa_workgroup_processor_mode 1
		.amdhsa_memory_ordered 1
		.amdhsa_forward_progress 0
		.amdhsa_shared_vgpr_count 0
		.amdhsa_exception_fp_ieee_invalid_op 0
		.amdhsa_exception_fp_denorm_src 0
		.amdhsa_exception_fp_ieee_div_zero 0
		.amdhsa_exception_fp_ieee_overflow 0
		.amdhsa_exception_fp_ieee_underflow 0
		.amdhsa_exception_fp_ieee_inexact 0
		.amdhsa_exception_int_div_zero 0
	.end_amdhsa_kernel
	.section	.text._ZN7rocprim17ROCPRIM_400000_NS6detail17trampoline_kernelINS0_14default_configENS1_25partition_config_selectorILNS1_17partition_subalgoE6EiNS0_10empty_typeEbEEZZNS1_14partition_implILS5_6ELb0ES3_mN6thrust23THRUST_200600_302600_NS10device_ptrIiEEPS6_SD_NS0_5tupleIJSC_S6_EEENSE_IJSD_SD_EEES6_PlJ7is_evenIiEEEE10hipError_tPvRmT3_T4_T5_T6_T7_T9_mT8_P12ihipStream_tbDpT10_ENKUlT_T0_E_clISt17integral_constantIbLb1EES13_EEDaSY_SZ_EUlSY_E_NS1_11comp_targetILNS1_3genE10ELNS1_11target_archE1200ELNS1_3gpuE4ELNS1_3repE0EEENS1_30default_config_static_selectorELNS0_4arch9wavefront6targetE0EEEvT1_,"axG",@progbits,_ZN7rocprim17ROCPRIM_400000_NS6detail17trampoline_kernelINS0_14default_configENS1_25partition_config_selectorILNS1_17partition_subalgoE6EiNS0_10empty_typeEbEEZZNS1_14partition_implILS5_6ELb0ES3_mN6thrust23THRUST_200600_302600_NS10device_ptrIiEEPS6_SD_NS0_5tupleIJSC_S6_EEENSE_IJSD_SD_EEES6_PlJ7is_evenIiEEEE10hipError_tPvRmT3_T4_T5_T6_T7_T9_mT8_P12ihipStream_tbDpT10_ENKUlT_T0_E_clISt17integral_constantIbLb1EES13_EEDaSY_SZ_EUlSY_E_NS1_11comp_targetILNS1_3genE10ELNS1_11target_archE1200ELNS1_3gpuE4ELNS1_3repE0EEENS1_30default_config_static_selectorELNS0_4arch9wavefront6targetE0EEEvT1_,comdat
.Lfunc_end909:
	.size	_ZN7rocprim17ROCPRIM_400000_NS6detail17trampoline_kernelINS0_14default_configENS1_25partition_config_selectorILNS1_17partition_subalgoE6EiNS0_10empty_typeEbEEZZNS1_14partition_implILS5_6ELb0ES3_mN6thrust23THRUST_200600_302600_NS10device_ptrIiEEPS6_SD_NS0_5tupleIJSC_S6_EEENSE_IJSD_SD_EEES6_PlJ7is_evenIiEEEE10hipError_tPvRmT3_T4_T5_T6_T7_T9_mT8_P12ihipStream_tbDpT10_ENKUlT_T0_E_clISt17integral_constantIbLb1EES13_EEDaSY_SZ_EUlSY_E_NS1_11comp_targetILNS1_3genE10ELNS1_11target_archE1200ELNS1_3gpuE4ELNS1_3repE0EEENS1_30default_config_static_selectorELNS0_4arch9wavefront6targetE0EEEvT1_, .Lfunc_end909-_ZN7rocprim17ROCPRIM_400000_NS6detail17trampoline_kernelINS0_14default_configENS1_25partition_config_selectorILNS1_17partition_subalgoE6EiNS0_10empty_typeEbEEZZNS1_14partition_implILS5_6ELb0ES3_mN6thrust23THRUST_200600_302600_NS10device_ptrIiEEPS6_SD_NS0_5tupleIJSC_S6_EEENSE_IJSD_SD_EEES6_PlJ7is_evenIiEEEE10hipError_tPvRmT3_T4_T5_T6_T7_T9_mT8_P12ihipStream_tbDpT10_ENKUlT_T0_E_clISt17integral_constantIbLb1EES13_EEDaSY_SZ_EUlSY_E_NS1_11comp_targetILNS1_3genE10ELNS1_11target_archE1200ELNS1_3gpuE4ELNS1_3repE0EEENS1_30default_config_static_selectorELNS0_4arch9wavefront6targetE0EEEvT1_
                                        ; -- End function
	.section	.AMDGPU.csdata,"",@progbits
; Kernel info:
; codeLenInByte = 0
; NumSgprs: 0
; NumVgprs: 0
; ScratchSize: 0
; MemoryBound: 0
; FloatMode: 240
; IeeeMode: 1
; LDSByteSize: 0 bytes/workgroup (compile time only)
; SGPRBlocks: 0
; VGPRBlocks: 0
; NumSGPRsForWavesPerEU: 1
; NumVGPRsForWavesPerEU: 1
; Occupancy: 15
; WaveLimiterHint : 0
; COMPUTE_PGM_RSRC2:SCRATCH_EN: 0
; COMPUTE_PGM_RSRC2:USER_SGPR: 15
; COMPUTE_PGM_RSRC2:TRAP_HANDLER: 0
; COMPUTE_PGM_RSRC2:TGID_X_EN: 1
; COMPUTE_PGM_RSRC2:TGID_Y_EN: 0
; COMPUTE_PGM_RSRC2:TGID_Z_EN: 0
; COMPUTE_PGM_RSRC2:TIDIG_COMP_CNT: 0
	.section	.text._ZN7rocprim17ROCPRIM_400000_NS6detail17trampoline_kernelINS0_14default_configENS1_25partition_config_selectorILNS1_17partition_subalgoE6EiNS0_10empty_typeEbEEZZNS1_14partition_implILS5_6ELb0ES3_mN6thrust23THRUST_200600_302600_NS10device_ptrIiEEPS6_SD_NS0_5tupleIJSC_S6_EEENSE_IJSD_SD_EEES6_PlJ7is_evenIiEEEE10hipError_tPvRmT3_T4_T5_T6_T7_T9_mT8_P12ihipStream_tbDpT10_ENKUlT_T0_E_clISt17integral_constantIbLb1EES13_EEDaSY_SZ_EUlSY_E_NS1_11comp_targetILNS1_3genE9ELNS1_11target_archE1100ELNS1_3gpuE3ELNS1_3repE0EEENS1_30default_config_static_selectorELNS0_4arch9wavefront6targetE0EEEvT1_,"axG",@progbits,_ZN7rocprim17ROCPRIM_400000_NS6detail17trampoline_kernelINS0_14default_configENS1_25partition_config_selectorILNS1_17partition_subalgoE6EiNS0_10empty_typeEbEEZZNS1_14partition_implILS5_6ELb0ES3_mN6thrust23THRUST_200600_302600_NS10device_ptrIiEEPS6_SD_NS0_5tupleIJSC_S6_EEENSE_IJSD_SD_EEES6_PlJ7is_evenIiEEEE10hipError_tPvRmT3_T4_T5_T6_T7_T9_mT8_P12ihipStream_tbDpT10_ENKUlT_T0_E_clISt17integral_constantIbLb1EES13_EEDaSY_SZ_EUlSY_E_NS1_11comp_targetILNS1_3genE9ELNS1_11target_archE1100ELNS1_3gpuE3ELNS1_3repE0EEENS1_30default_config_static_selectorELNS0_4arch9wavefront6targetE0EEEvT1_,comdat
	.protected	_ZN7rocprim17ROCPRIM_400000_NS6detail17trampoline_kernelINS0_14default_configENS1_25partition_config_selectorILNS1_17partition_subalgoE6EiNS0_10empty_typeEbEEZZNS1_14partition_implILS5_6ELb0ES3_mN6thrust23THRUST_200600_302600_NS10device_ptrIiEEPS6_SD_NS0_5tupleIJSC_S6_EEENSE_IJSD_SD_EEES6_PlJ7is_evenIiEEEE10hipError_tPvRmT3_T4_T5_T6_T7_T9_mT8_P12ihipStream_tbDpT10_ENKUlT_T0_E_clISt17integral_constantIbLb1EES13_EEDaSY_SZ_EUlSY_E_NS1_11comp_targetILNS1_3genE9ELNS1_11target_archE1100ELNS1_3gpuE3ELNS1_3repE0EEENS1_30default_config_static_selectorELNS0_4arch9wavefront6targetE0EEEvT1_ ; -- Begin function _ZN7rocprim17ROCPRIM_400000_NS6detail17trampoline_kernelINS0_14default_configENS1_25partition_config_selectorILNS1_17partition_subalgoE6EiNS0_10empty_typeEbEEZZNS1_14partition_implILS5_6ELb0ES3_mN6thrust23THRUST_200600_302600_NS10device_ptrIiEEPS6_SD_NS0_5tupleIJSC_S6_EEENSE_IJSD_SD_EEES6_PlJ7is_evenIiEEEE10hipError_tPvRmT3_T4_T5_T6_T7_T9_mT8_P12ihipStream_tbDpT10_ENKUlT_T0_E_clISt17integral_constantIbLb1EES13_EEDaSY_SZ_EUlSY_E_NS1_11comp_targetILNS1_3genE9ELNS1_11target_archE1100ELNS1_3gpuE3ELNS1_3repE0EEENS1_30default_config_static_selectorELNS0_4arch9wavefront6targetE0EEEvT1_
	.globl	_ZN7rocprim17ROCPRIM_400000_NS6detail17trampoline_kernelINS0_14default_configENS1_25partition_config_selectorILNS1_17partition_subalgoE6EiNS0_10empty_typeEbEEZZNS1_14partition_implILS5_6ELb0ES3_mN6thrust23THRUST_200600_302600_NS10device_ptrIiEEPS6_SD_NS0_5tupleIJSC_S6_EEENSE_IJSD_SD_EEES6_PlJ7is_evenIiEEEE10hipError_tPvRmT3_T4_T5_T6_T7_T9_mT8_P12ihipStream_tbDpT10_ENKUlT_T0_E_clISt17integral_constantIbLb1EES13_EEDaSY_SZ_EUlSY_E_NS1_11comp_targetILNS1_3genE9ELNS1_11target_archE1100ELNS1_3gpuE3ELNS1_3repE0EEENS1_30default_config_static_selectorELNS0_4arch9wavefront6targetE0EEEvT1_
	.p2align	8
	.type	_ZN7rocprim17ROCPRIM_400000_NS6detail17trampoline_kernelINS0_14default_configENS1_25partition_config_selectorILNS1_17partition_subalgoE6EiNS0_10empty_typeEbEEZZNS1_14partition_implILS5_6ELb0ES3_mN6thrust23THRUST_200600_302600_NS10device_ptrIiEEPS6_SD_NS0_5tupleIJSC_S6_EEENSE_IJSD_SD_EEES6_PlJ7is_evenIiEEEE10hipError_tPvRmT3_T4_T5_T6_T7_T9_mT8_P12ihipStream_tbDpT10_ENKUlT_T0_E_clISt17integral_constantIbLb1EES13_EEDaSY_SZ_EUlSY_E_NS1_11comp_targetILNS1_3genE9ELNS1_11target_archE1100ELNS1_3gpuE3ELNS1_3repE0EEENS1_30default_config_static_selectorELNS0_4arch9wavefront6targetE0EEEvT1_,@function
_ZN7rocprim17ROCPRIM_400000_NS6detail17trampoline_kernelINS0_14default_configENS1_25partition_config_selectorILNS1_17partition_subalgoE6EiNS0_10empty_typeEbEEZZNS1_14partition_implILS5_6ELb0ES3_mN6thrust23THRUST_200600_302600_NS10device_ptrIiEEPS6_SD_NS0_5tupleIJSC_S6_EEENSE_IJSD_SD_EEES6_PlJ7is_evenIiEEEE10hipError_tPvRmT3_T4_T5_T6_T7_T9_mT8_P12ihipStream_tbDpT10_ENKUlT_T0_E_clISt17integral_constantIbLb1EES13_EEDaSY_SZ_EUlSY_E_NS1_11comp_targetILNS1_3genE9ELNS1_11target_archE1100ELNS1_3gpuE3ELNS1_3repE0EEENS1_30default_config_static_selectorELNS0_4arch9wavefront6targetE0EEEvT1_: ; @_ZN7rocprim17ROCPRIM_400000_NS6detail17trampoline_kernelINS0_14default_configENS1_25partition_config_selectorILNS1_17partition_subalgoE6EiNS0_10empty_typeEbEEZZNS1_14partition_implILS5_6ELb0ES3_mN6thrust23THRUST_200600_302600_NS10device_ptrIiEEPS6_SD_NS0_5tupleIJSC_S6_EEENSE_IJSD_SD_EEES6_PlJ7is_evenIiEEEE10hipError_tPvRmT3_T4_T5_T6_T7_T9_mT8_P12ihipStream_tbDpT10_ENKUlT_T0_E_clISt17integral_constantIbLb1EES13_EEDaSY_SZ_EUlSY_E_NS1_11comp_targetILNS1_3genE9ELNS1_11target_archE1100ELNS1_3gpuE3ELNS1_3repE0EEENS1_30default_config_static_selectorELNS0_4arch9wavefront6targetE0EEEvT1_
; %bb.0:
	s_clause 0x3
	s_load_b64 s[12:13], s[0:1], 0x28
	s_load_b128 s[4:7], s[0:1], 0x40
	s_load_b64 s[16:17], s[0:1], 0x50
	s_load_b64 s[14:15], s[0:1], 0x60
	v_cmp_eq_u32_e64 s2, 0, v0
	s_delay_alu instid0(VALU_DEP_1)
	s_and_saveexec_b32 s3, s2
	s_cbranch_execz .LBB910_4
; %bb.1:
	s_mov_b32 s9, exec_lo
	s_mov_b32 s8, exec_lo
	v_mbcnt_lo_u32_b32 v1, s9, 0
                                        ; implicit-def: $vgpr2
	s_delay_alu instid0(VALU_DEP_1)
	v_cmpx_eq_u32_e32 0, v1
	s_cbranch_execz .LBB910_3
; %bb.2:
	s_load_b64 s[10:11], s[0:1], 0x70
	s_bcnt1_i32_b32 s9, s9
	s_delay_alu instid0(SALU_CYCLE_1)
	v_dual_mov_b32 v2, 0 :: v_dual_mov_b32 v3, s9
	s_waitcnt lgkmcnt(0)
	global_atomic_add_u32 v2, v2, v3, s[10:11] glc
.LBB910_3:
	s_or_b32 exec_lo, exec_lo, s8
	s_waitcnt vmcnt(0)
	v_readfirstlane_b32 s8, v2
	s_delay_alu instid0(VALU_DEP_1)
	v_dual_mov_b32 v2, 0 :: v_dual_add_nc_u32 v1, s8, v1
	ds_store_b32 v2, v1
.LBB910_4:
	s_or_b32 exec_lo, exec_lo, s3
	v_dual_mov_b32 v2, 0 :: v_dual_lshlrev_b32 v17, 2, v0
	s_clause 0x1
	s_load_b128 s[8:11], s[0:1], 0x8
	s_load_b32 s0, s[0:1], 0x68
	s_waitcnt lgkmcnt(0)
	s_barrier
	buffer_gl0_inv
	ds_load_b32 v1, v2
	s_waitcnt lgkmcnt(0)
	s_barrier
	buffer_gl0_inv
	global_load_b64 v[49:50], v2, s[6:7]
	s_lshl_b64 s[6:7], s[10:11], 2
	s_mul_i32 s3, s0, 0x700
	s_add_u32 s1, s8, s6
	s_addc_u32 s18, s9, s7
	s_add_i32 s6, s3, s10
	v_readfirstlane_b32 s7, v1
	v_mul_lo_u32 v1, 0x700, v1
	s_add_i32 s19, s0, -1
	s_sub_i32 s0, s16, s6
	s_add_u32 s8, s10, s3
	s_addc_u32 s9, s11, 0
	s_cmp_eq_u32 s7, s19
	v_cmp_ge_u64_e64 s6, s[8:9], s[16:17]
	s_cselect_b32 s3, -1, 0
	v_lshlrev_b64 v[1:2], 2, v[1:2]
	s_delay_alu instid0(VALU_DEP_2) | instskip(NEXT) | instid1(VALU_DEP_1)
	s_and_b32 s6, s6, s3
	v_add_co_u32 v18, vcc_lo, s1, v1
	s_delay_alu instid0(VALU_DEP_2)
	v_add_co_ci_u32_e32 v19, vcc_lo, s18, v2, vcc_lo
	s_xor_b32 s6, s6, -1
	s_mov_b32 s1, -1
	s_and_b32 vcc_lo, exec_lo, s6
	s_cbranch_vccz .LBB910_6
; %bb.5:
	v_add_co_u32 v1, vcc_lo, v18, v17
	v_add_co_ci_u32_e32 v2, vcc_lo, 0, v19, vcc_lo
	s_mov_b32 s1, 0
	s_delay_alu instid0(VALU_DEP_2) | instskip(NEXT) | instid1(VALU_DEP_2)
	v_add_co_u32 v3, vcc_lo, 0x1000, v1
	v_add_co_ci_u32_e32 v4, vcc_lo, 0, v2, vcc_lo
	s_clause 0xd
	flat_load_b32 v5, v[1:2]
	flat_load_b32 v6, v[1:2] offset:512
	flat_load_b32 v7, v[1:2] offset:1024
	flat_load_b32 v8, v[1:2] offset:1536
	flat_load_b32 v9, v[1:2] offset:2048
	flat_load_b32 v10, v[1:2] offset:2560
	flat_load_b32 v11, v[1:2] offset:3072
	flat_load_b32 v1, v[1:2] offset:3584
	flat_load_b32 v2, v[3:4]
	flat_load_b32 v12, v[3:4] offset:512
	flat_load_b32 v13, v[3:4] offset:1024
	;; [unrolled: 1-line block ×5, first 2 shown]
	s_waitcnt vmcnt(12) lgkmcnt(12)
	ds_store_2addr_stride64_b32 v17, v5, v6 offset1:2
	s_waitcnt vmcnt(10) lgkmcnt(11)
	ds_store_2addr_stride64_b32 v17, v7, v8 offset0:4 offset1:6
	s_waitcnt vmcnt(8) lgkmcnt(10)
	ds_store_2addr_stride64_b32 v17, v9, v10 offset0:8 offset1:10
	s_waitcnt vmcnt(6) lgkmcnt(9)
	ds_store_2addr_stride64_b32 v17, v11, v1 offset0:12 offset1:14
	s_waitcnt vmcnt(4) lgkmcnt(8)
	ds_store_2addr_stride64_b32 v17, v2, v12 offset0:16 offset1:18
	s_waitcnt vmcnt(2) lgkmcnt(7)
	ds_store_2addr_stride64_b32 v17, v13, v14 offset0:20 offset1:22
	s_waitcnt vmcnt(0) lgkmcnt(6)
	ds_store_2addr_stride64_b32 v17, v15, v3 offset0:24 offset1:26
	s_waitcnt lgkmcnt(0)
	s_barrier
.LBB910_6:
	s_and_not1_b32 vcc_lo, exec_lo, s1
	s_addk_i32 s0, 0x700
	s_cbranch_vccnz .LBB910_36
; %bb.7:
	s_mov_b32 s1, exec_lo
                                        ; implicit-def: $vgpr1_vgpr2_vgpr3_vgpr4_vgpr5_vgpr6_vgpr7_vgpr8_vgpr9_vgpr10_vgpr11_vgpr12_vgpr13_vgpr14_vgpr15_vgpr16
	v_cmpx_gt_u32_e64 s0, v0
	s_cbranch_execz .LBB910_9
; %bb.8:
	v_add_co_u32 v1, vcc_lo, v18, v17
	v_add_co_ci_u32_e32 v2, vcc_lo, 0, v19, vcc_lo
	flat_load_b32 v1, v[1:2]
.LBB910_9:
	s_or_b32 exec_lo, exec_lo, s1
	v_or_b32_e32 v15, 0x80, v0
	s_mov_b32 s1, exec_lo
	s_delay_alu instid0(VALU_DEP_1)
	v_cmpx_gt_u32_e64 s0, v15
	s_cbranch_execz .LBB910_11
; %bb.10:
	v_add_co_u32 v15, vcc_lo, v18, v17
	v_add_co_ci_u32_e32 v16, vcc_lo, 0, v19, vcc_lo
	flat_load_b32 v2, v[15:16] offset:512
.LBB910_11:
	s_or_b32 exec_lo, exec_lo, s1
	v_or_b32_e32 v15, 0x100, v0
	s_mov_b32 s1, exec_lo
	s_delay_alu instid0(VALU_DEP_1)
	v_cmpx_gt_u32_e64 s0, v15
	s_cbranch_execz .LBB910_13
; %bb.12:
	v_add_co_u32 v15, vcc_lo, v18, v17
	v_add_co_ci_u32_e32 v16, vcc_lo, 0, v19, vcc_lo
	flat_load_b32 v3, v[15:16] offset:1024
.LBB910_13:
	;; [unrolled: 11-line block ×7, first 2 shown]
	s_or_b32 exec_lo, exec_lo, s1
	v_or_b32_e32 v15, 0x400, v0
	s_mov_b32 s1, exec_lo
	s_delay_alu instid0(VALU_DEP_1)
	v_cmpx_gt_u32_e64 s0, v15
	s_cbranch_execz .LBB910_25
; %bb.24:
	v_lshlrev_b32_e32 v9, 2, v15
	s_delay_alu instid0(VALU_DEP_1)
	v_add_co_u32 v15, vcc_lo, v18, v9
	v_add_co_ci_u32_e32 v16, vcc_lo, 0, v19, vcc_lo
	flat_load_b32 v9, v[15:16]
.LBB910_25:
	s_or_b32 exec_lo, exec_lo, s1
	v_or_b32_e32 v15, 0x480, v0
	s_mov_b32 s1, exec_lo
	s_delay_alu instid0(VALU_DEP_1)
	v_cmpx_gt_u32_e64 s0, v15
	s_cbranch_execz .LBB910_27
; %bb.26:
	v_lshlrev_b32_e32 v10, 2, v15
	s_delay_alu instid0(VALU_DEP_1)
	v_add_co_u32 v15, vcc_lo, v18, v10
	v_add_co_ci_u32_e32 v16, vcc_lo, 0, v19, vcc_lo
	flat_load_b32 v10, v[15:16]
.LBB910_27:
	;; [unrolled: 13-line block ×6, first 2 shown]
	s_or_b32 exec_lo, exec_lo, s1
	s_waitcnt vmcnt(0) lgkmcnt(0)
	ds_store_2addr_stride64_b32 v17, v1, v2 offset1:2
	ds_store_2addr_stride64_b32 v17, v3, v4 offset0:4 offset1:6
	ds_store_2addr_stride64_b32 v17, v5, v6 offset0:8 offset1:10
	;; [unrolled: 1-line block ×6, first 2 shown]
	s_waitcnt lgkmcnt(0)
	s_barrier
.LBB910_36:
	v_mul_u32_u24_e32 v12, 14, v0
	s_waitcnt vmcnt(0)
	buffer_gl0_inv
	s_and_not1_b32 vcc_lo, exec_lo, s6
	v_lshlrev_b32_e32 v63, 2, v12
	ds_load_2addr_b64 v[41:44], v63 offset1:1
	ds_load_2addr_b64 v[37:40], v63 offset0:2 offset1:3
	ds_load_2addr_b64 v[33:36], v63 offset0:4 offset1:5
	ds_load_b64 v[51:52], v63 offset:48
	s_waitcnt lgkmcnt(0)
	s_barrier
	buffer_gl0_inv
	v_xor_b32_e32 v13, -1, v41
	v_xor_b32_e32 v14, -1, v42
	;; [unrolled: 1-line block ×14, first 2 shown]
	s_cbranch_vccnz .LBB910_38
; %bb.37:
	v_and_b32_e32 v16, 1, v14
	v_and_b32_e32 v17, 1, v13
	v_and_b32_e32 v19, 1, v7
	v_and_b32_e32 v21, 1, v9
	v_and_b32_e32 v23, 1, v11
	v_lshlrev_b16 v16, 8, v16
	v_and_b32_e32 v26, 1, v6
	v_and_b32_e32 v18, 1, v15
	;; [unrolled: 1-line block ×4, first 2 shown]
	v_or_b32_e32 v16, v17, v16
	v_and_b32_e32 v17, 1, v4
	v_and_b32_e32 v24, 1, v3
	;; [unrolled: 1-line block ×3, first 2 shown]
	v_lshlrev_b16 v19, 8, v19
	v_lshlrev_b16 v21, 8, v21
	;; [unrolled: 1-line block ×5, first 2 shown]
	v_or_b32_e32 v18, v18, v19
	v_or_b32_e32 v19, v20, v21
	;; [unrolled: 1-line block ×5, first 2 shown]
	v_and_b32_e32 v16, 0xffff, v16
	v_lshlrev_b32_e32 v18, 16, v18
	v_and_b32_e32 v19, 0xffff, v19
	v_lshlrev_b32_e32 v20, 16, v20
	;; [unrolled: 2-line block ×3, first 2 shown]
	v_and_b32_e32 v56, 1, v1
	v_and_b32_e32 v55, 1, v2
	v_or_b32_e32 v61, v16, v18
	v_or_b32_e32 v58, v19, v20
	;; [unrolled: 1-line block ×3, first 2 shown]
	s_cbranch_execz .LBB910_39
	s_branch .LBB910_40
.LBB910_38:
                                        ; implicit-def: $vgpr55
                                        ; implicit-def: $vgpr56
                                        ; implicit-def: $vgpr57
                                        ; implicit-def: $vgpr58
                                        ; implicit-def: $vgpr61
.LBB910_39:
	v_or_b32_e32 v16, 1, v12
	v_cmp_gt_u32_e32 vcc_lo, s0, v12
	v_add_nc_u32_e32 v17, 2, v12
	v_add_nc_u32_e32 v18, 3, v12
	;; [unrolled: 1-line block ×4, first 2 shown]
	v_cndmask_b32_e64 v27, 0, 1, vcc_lo
	v_cmp_gt_u32_e32 vcc_lo, s0, v16
	v_add_nc_u32_e32 v21, 6, v12
	v_add_nc_u32_e32 v22, 7, v12
	v_add_nc_u32_e32 v23, 8, v12
	v_add_nc_u32_e32 v24, 9, v12
	v_cndmask_b32_e64 v16, 0, 1, vcc_lo
	v_cmp_gt_u32_e32 vcc_lo, s0, v17
	v_add_nc_u32_e32 v25, 10, v12
	v_add_nc_u32_e32 v26, 11, v12
	;; [unrolled: 1-line block ×3, first 2 shown]
	v_and_b32_e32 v14, v16, v14
	v_cndmask_b32_e64 v17, 0, 1, vcc_lo
	v_cmp_gt_u32_e32 vcc_lo, s0, v18
	v_add_nc_u32_e32 v12, 13, v12
	v_and_b32_e32 v13, v27, v13
	v_lshlrev_b16 v14, 8, v14
	v_and_b32_e32 v15, v17, v15
	v_cndmask_b32_e64 v16, 0, 1, vcc_lo
	v_cmp_gt_u32_e32 vcc_lo, s0, v19
	s_delay_alu instid0(VALU_DEP_4) | instskip(NEXT) | instid1(VALU_DEP_3)
	v_or_b32_e32 v13, v13, v14
	v_and_b32_e32 v7, v16, v7
	v_cndmask_b32_e64 v17, 0, 1, vcc_lo
	v_cmp_gt_u32_e32 vcc_lo, s0, v20
	s_delay_alu instid0(VALU_DEP_4) | instskip(NEXT) | instid1(VALU_DEP_4)
	v_and_b32_e32 v13, 0xffff, v13
	v_lshlrev_b16 v7, 8, v7
	s_delay_alu instid0(VALU_DEP_4) | instskip(SKIP_2) | instid1(VALU_DEP_4)
	v_and_b32_e32 v8, v17, v8
	v_cndmask_b32_e64 v18, 0, 1, vcc_lo
	v_cmp_gt_u32_e32 vcc_lo, s0, v21
	v_or_b32_e32 v7, v15, v7
	s_delay_alu instid0(VALU_DEP_3) | instskip(SKIP_2) | instid1(VALU_DEP_3)
	v_and_b32_e32 v9, v18, v9
	v_cndmask_b32_e64 v19, 0, 1, vcc_lo
	v_cmp_gt_u32_e32 vcc_lo, s0, v22
	v_lshlrev_b16 v9, 8, v9
	s_delay_alu instid0(VALU_DEP_3) | instskip(SKIP_2) | instid1(VALU_DEP_4)
	v_and_b32_e32 v10, v19, v10
	v_cndmask_b32_e64 v20, 0, 1, vcc_lo
	v_cmp_gt_u32_e32 vcc_lo, s0, v23
	v_or_b32_e32 v8, v8, v9
	s_delay_alu instid0(VALU_DEP_3) | instskip(SKIP_2) | instid1(VALU_DEP_3)
	v_and_b32_e32 v11, v20, v11
	v_cndmask_b32_e64 v16, 0, 1, vcc_lo
	v_cmp_gt_u32_e32 vcc_lo, s0, v24
	v_lshlrev_b16 v11, 8, v11
	s_delay_alu instid0(VALU_DEP_3) | instskip(SKIP_2) | instid1(VALU_DEP_4)
	;; [unrolled: 10-line block ×3, first 2 shown]
	v_and_b32_e32 v5, v18, v5
	v_cndmask_b32_e64 v19, 0, 1, vcc_lo
	v_cmp_gt_u32_e32 vcc_lo, s0, v28
	v_or_b32_e32 v3, v3, v4
	s_delay_alu instid0(VALU_DEP_3) | instskip(SKIP_2) | instid1(VALU_DEP_4)
	v_and_b32_e32 v6, v19, v6
	v_cndmask_b32_e64 v14, 0, 1, vcc_lo
	v_cmp_gt_u32_e32 vcc_lo, s0, v12
	v_and_b32_e32 v3, 0xffff, v3
	s_delay_alu instid0(VALU_DEP_4) | instskip(NEXT) | instid1(VALU_DEP_4)
	v_lshlrev_b16 v6, 8, v6
	v_and_b32_e32 v56, v14, v1
	v_cndmask_b32_e64 v12, 0, 1, vcc_lo
	s_delay_alu instid0(VALU_DEP_3)
	v_or_b32_e32 v4, v5, v6
	v_lshlrev_b32_e32 v5, 16, v7
	v_and_b32_e32 v6, 0xffff, v8
	v_lshlrev_b32_e32 v7, 16, v9
	v_and_b32_e32 v55, v12, v2
	v_lshlrev_b32_e32 v4, 16, v4
	v_or_b32_e32 v61, v13, v5
	s_delay_alu instid0(VALU_DEP_4) | instskip(NEXT) | instid1(VALU_DEP_3)
	v_or_b32_e32 v58, v6, v7
	v_or_b32_e32 v57, v3, v4
.LBB910_40:
	s_delay_alu instid0(VALU_DEP_3)
	v_dual_mov_b32 v2, 0 :: v_dual_and_b32 v65, 0xff, v61
	v_bfe_u32 v66, v61, 8, 8
	v_bfe_u32 v67, v61, 16, 8
	v_lshrrev_b32_e32 v62, 24, v61
	v_and_b32_e32 v68, 0xff, v58
	v_bfe_u32 v69, v58, 8, 8
	v_add_co_u32 v1, s0, v66, v65
	s_delay_alu instid0(VALU_DEP_1) | instskip(SKIP_1) | instid1(VALU_DEP_3)
	v_add_co_ci_u32_e64 v3, null, 0, 0, s0
	v_bfe_u32 v70, v58, 16, 8
	v_add_co_u32 v1, vcc_lo, v1, v67
	s_delay_alu instid0(VALU_DEP_3) | instskip(SKIP_1) | instid1(VALU_DEP_3)
	v_add_co_ci_u32_e32 v3, vcc_lo, 0, v3, vcc_lo
	v_lshrrev_b32_e32 v60, 24, v58
	v_add_co_u32 v1, vcc_lo, v1, v62
	s_delay_alu instid0(VALU_DEP_3) | instskip(SKIP_1) | instid1(VALU_DEP_3)
	v_add_co_ci_u32_e32 v3, vcc_lo, 0, v3, vcc_lo
	v_and_b32_e32 v71, 0xff, v57
	v_add_co_u32 v1, vcc_lo, v1, v68
	s_delay_alu instid0(VALU_DEP_3) | instskip(SKIP_1) | instid1(VALU_DEP_3)
	v_add_co_ci_u32_e32 v3, vcc_lo, 0, v3, vcc_lo
	v_bfe_u32 v72, v57, 8, 8
	v_add_co_u32 v1, vcc_lo, v1, v69
	s_delay_alu instid0(VALU_DEP_3) | instskip(SKIP_1) | instid1(VALU_DEP_3)
	v_add_co_ci_u32_e32 v3, vcc_lo, 0, v3, vcc_lo
	v_bfe_u32 v73, v57, 16, 8
	v_add_co_u32 v1, vcc_lo, v1, v70
	s_delay_alu instid0(VALU_DEP_3) | instskip(SKIP_1) | instid1(VALU_DEP_3)
	v_add_co_ci_u32_e32 v3, vcc_lo, 0, v3, vcc_lo
	v_lshrrev_b32_e32 v59, 24, v57
	v_add_co_u32 v1, vcc_lo, v1, v60
	s_delay_alu instid0(VALU_DEP_3) | instskip(SKIP_1) | instid1(VALU_DEP_3)
	v_add_co_ci_u32_e32 v3, vcc_lo, 0, v3, vcc_lo
	v_and_b32_e32 v64, 0xff, v56
	v_add_co_u32 v1, vcc_lo, v1, v71
	s_delay_alu instid0(VALU_DEP_3) | instskip(SKIP_1) | instid1(VALU_DEP_3)
	v_add_co_ci_u32_e32 v3, vcc_lo, 0, v3, vcc_lo
	v_mbcnt_lo_u32_b32 v74, -1, 0
	v_add_co_u32 v1, vcc_lo, v1, v72
	s_delay_alu instid0(VALU_DEP_3) | instskip(SKIP_1) | instid1(VALU_DEP_3)
	v_add_co_ci_u32_e32 v3, vcc_lo, 0, v3, vcc_lo
	v_and_b32_e32 v4, 0xff, v55
	v_add_co_u32 v1, vcc_lo, v1, v73
	s_delay_alu instid0(VALU_DEP_3) | instskip(SKIP_1) | instid1(VALU_DEP_3)
	v_add_co_ci_u32_e32 v3, vcc_lo, 0, v3, vcc_lo
	v_and_b32_e32 v75, 15, v74
	v_add_co_u32 v1, vcc_lo, v1, v59
	s_delay_alu instid0(VALU_DEP_3) | instskip(NEXT) | instid1(VALU_DEP_3)
	v_add_co_ci_u32_e32 v3, vcc_lo, 0, v3, vcc_lo
	v_cmp_ne_u32_e64 s0, 0, v75
	s_delay_alu instid0(VALU_DEP_3) | instskip(NEXT) | instid1(VALU_DEP_3)
	v_add_co_u32 v1, vcc_lo, v1, v64
	v_add_co_ci_u32_e32 v3, vcc_lo, 0, v3, vcc_lo
	s_cmp_lg_u32 s7, 0
	s_delay_alu instid0(VALU_DEP_2) | instskip(NEXT) | instid1(VALU_DEP_2)
	v_add_co_u32 v53, vcc_lo, v1, v4
	v_add_co_ci_u32_e32 v54, vcc_lo, 0, v3, vcc_lo
	s_mov_b32 s1, -1
	s_cbranch_scc0 .LBB910_105
; %bb.41:
	s_delay_alu instid0(VALU_DEP_2)
	v_mov_b32_e32 v3, v53
	v_mov_b32_dpp v1, v53 row_shr:1 row_mask:0xf bank_mask:0xf
	v_mov_b32_dpp v6, v2 row_shr:1 row_mask:0xf bank_mask:0xf
	v_dual_mov_b32 v5, v53 :: v_dual_mov_b32 v4, v54
	s_and_saveexec_b32 s1, s0
; %bb.42:
	s_delay_alu instid0(VALU_DEP_3) | instskip(SKIP_1) | instid1(VALU_DEP_2)
	v_add_co_u32 v5, vcc_lo, v53, v1
	v_add_co_ci_u32_e32 v2, vcc_lo, 0, v54, vcc_lo
	v_add_co_u32 v1, vcc_lo, 0, v5
	s_delay_alu instid0(VALU_DEP_2) | instskip(NEXT) | instid1(VALU_DEP_1)
	v_add_co_ci_u32_e32 v2, vcc_lo, v6, v2, vcc_lo
	v_dual_mov_b32 v4, v2 :: v_dual_mov_b32 v3, v1
; %bb.43:
	s_or_b32 exec_lo, exec_lo, s1
	v_mov_b32_dpp v1, v5 row_shr:2 row_mask:0xf bank_mask:0xf
	v_mov_b32_dpp v6, v2 row_shr:2 row_mask:0xf bank_mask:0xf
	s_mov_b32 s1, exec_lo
	v_cmpx_lt_u32_e32 1, v75
; %bb.44:
	s_delay_alu instid0(VALU_DEP_3) | instskip(SKIP_1) | instid1(VALU_DEP_2)
	v_add_co_u32 v5, vcc_lo, v3, v1
	v_add_co_ci_u32_e32 v2, vcc_lo, 0, v4, vcc_lo
	v_add_co_u32 v1, vcc_lo, 0, v5
	s_delay_alu instid0(VALU_DEP_2) | instskip(NEXT) | instid1(VALU_DEP_1)
	v_add_co_ci_u32_e32 v2, vcc_lo, v6, v2, vcc_lo
	v_dual_mov_b32 v4, v2 :: v_dual_mov_b32 v3, v1
; %bb.45:
	s_or_b32 exec_lo, exec_lo, s1
	v_mov_b32_dpp v1, v5 row_shr:4 row_mask:0xf bank_mask:0xf
	v_mov_b32_dpp v6, v2 row_shr:4 row_mask:0xf bank_mask:0xf
	s_mov_b32 s1, exec_lo
	v_cmpx_lt_u32_e32 3, v75
	;; [unrolled: 14-line block ×3, first 2 shown]
; %bb.48:
	s_delay_alu instid0(VALU_DEP_3) | instskip(SKIP_1) | instid1(VALU_DEP_2)
	v_add_co_u32 v5, vcc_lo, v3, v6
	v_add_co_ci_u32_e32 v2, vcc_lo, 0, v4, vcc_lo
	v_add_co_u32 v3, vcc_lo, 0, v5
	s_delay_alu instid0(VALU_DEP_2) | instskip(NEXT) | instid1(VALU_DEP_1)
	v_add_co_ci_u32_e32 v4, vcc_lo, v1, v2, vcc_lo
	v_mov_b32_e32 v2, v4
; %bb.49:
	s_or_b32 exec_lo, exec_lo, s1
	ds_swizzle_b32 v1, v5 offset:swizzle(BROADCAST,32,15)
	ds_swizzle_b32 v6, v2 offset:swizzle(BROADCAST,32,15)
	v_and_b32_e32 v7, 16, v74
	s_mov_b32 s1, exec_lo
	s_delay_alu instid0(VALU_DEP_1)
	v_cmpx_ne_u32_e32 0, v7
	s_cbranch_execz .LBB910_51
; %bb.50:
	s_waitcnt lgkmcnt(1)
	v_add_co_u32 v5, vcc_lo, v3, v1
	v_add_co_ci_u32_e32 v2, vcc_lo, 0, v4, vcc_lo
	s_delay_alu instid0(VALU_DEP_2) | instskip(SKIP_1) | instid1(VALU_DEP_2)
	v_add_co_u32 v1, vcc_lo, 0, v5
	s_waitcnt lgkmcnt(0)
	v_add_co_ci_u32_e32 v2, vcc_lo, v6, v2, vcc_lo
	s_delay_alu instid0(VALU_DEP_1)
	v_dual_mov_b32 v4, v2 :: v_dual_mov_b32 v3, v1
.LBB910_51:
	s_or_b32 exec_lo, exec_lo, s1
	s_waitcnt lgkmcnt(0)
	v_or_b32_e32 v6, 31, v0
	v_lshrrev_b32_e32 v1, 5, v0
	s_mov_b32 s1, exec_lo
	s_delay_alu instid0(VALU_DEP_2)
	v_cmpx_eq_u32_e64 v6, v0
	s_cbranch_execz .LBB910_53
; %bb.52:
	s_delay_alu instid0(VALU_DEP_2)
	v_lshlrev_b32_e32 v6, 3, v1
	ds_store_b64 v6, v[3:4]
.LBB910_53:
	s_or_b32 exec_lo, exec_lo, s1
	s_delay_alu instid0(SALU_CYCLE_1)
	s_mov_b32 s1, exec_lo
	s_waitcnt lgkmcnt(0)
	s_barrier
	buffer_gl0_inv
	v_cmpx_gt_u32_e32 4, v0
	s_cbranch_execz .LBB910_59
; %bb.54:
	v_lshlrev_b32_e32 v6, 3, v0
	s_mov_b32 s8, exec_lo
	ds_load_b64 v[3:4], v6
	s_waitcnt lgkmcnt(0)
	v_dual_mov_b32 v8, v3 :: v_dual_and_b32 v7, 3, v74
	v_mov_b32_dpp v10, v3 row_shr:1 row_mask:0xf bank_mask:0xf
	v_mov_b32_dpp v9, v4 row_shr:1 row_mask:0xf bank_mask:0xf
	s_delay_alu instid0(VALU_DEP_3)
	v_cmpx_ne_u32_e32 0, v7
; %bb.55:
	s_delay_alu instid0(VALU_DEP_3) | instskip(SKIP_1) | instid1(VALU_DEP_2)
	v_add_co_u32 v8, vcc_lo, v3, v10
	v_add_co_ci_u32_e32 v4, vcc_lo, 0, v4, vcc_lo
	v_add_co_u32 v3, vcc_lo, 0, v8
	s_delay_alu instid0(VALU_DEP_2)
	v_add_co_ci_u32_e32 v4, vcc_lo, v9, v4, vcc_lo
; %bb.56:
	s_or_b32 exec_lo, exec_lo, s8
	v_mov_b32_dpp v9, v8 row_shr:2 row_mask:0xf bank_mask:0xf
	s_delay_alu instid0(VALU_DEP_2)
	v_mov_b32_dpp v8, v4 row_shr:2 row_mask:0xf bank_mask:0xf
	s_mov_b32 s8, exec_lo
	v_cmpx_lt_u32_e32 1, v7
; %bb.57:
	s_delay_alu instid0(VALU_DEP_3) | instskip(SKIP_1) | instid1(VALU_DEP_2)
	v_add_co_u32 v3, vcc_lo, v3, v9
	v_add_co_ci_u32_e32 v4, vcc_lo, 0, v4, vcc_lo
	v_add_co_u32 v3, vcc_lo, v3, 0
	s_delay_alu instid0(VALU_DEP_2)
	v_add_co_ci_u32_e32 v4, vcc_lo, v4, v8, vcc_lo
; %bb.58:
	s_or_b32 exec_lo, exec_lo, s8
	ds_store_b64 v6, v[3:4]
.LBB910_59:
	s_or_b32 exec_lo, exec_lo, s1
	v_cmp_gt_u32_e32 vcc_lo, 32, v0
	s_mov_b32 s8, exec_lo
	s_waitcnt lgkmcnt(0)
	s_barrier
	buffer_gl0_inv
                                        ; implicit-def: $vgpr9_vgpr10
	v_cmpx_lt_u32_e32 31, v0
	s_cbranch_execz .LBB910_61
; %bb.60:
	v_lshl_add_u32 v1, v1, 3, -8
	ds_load_b64 v[9:10], v1
	s_waitcnt lgkmcnt(0)
	v_add_co_u32 v5, s1, v5, v9
	s_delay_alu instid0(VALU_DEP_1)
	v_add_co_ci_u32_e64 v2, s1, v2, v10, s1
.LBB910_61:
	s_or_b32 exec_lo, exec_lo, s8
	v_add_nc_u32_e32 v1, -1, v74
	s_delay_alu instid0(VALU_DEP_1) | instskip(NEXT) | instid1(VALU_DEP_1)
	v_cmp_gt_i32_e64 s1, 0, v1
	v_cndmask_b32_e64 v1, v1, v74, s1
	v_cmp_eq_u32_e64 s1, 0, v74
	s_delay_alu instid0(VALU_DEP_2)
	v_lshlrev_b32_e32 v1, 2, v1
	ds_bpermute_b32 v15, v1, v5
	ds_bpermute_b32 v16, v1, v2
	s_and_saveexec_b32 s8, vcc_lo
	s_cbranch_execz .LBB910_104
; %bb.62:
	v_mov_b32_e32 v4, 0
	ds_load_b64 v[1:2], v4 offset:24
	s_and_saveexec_b32 s9, s1
	s_cbranch_execz .LBB910_64
; %bb.63:
	s_add_i32 s10, s7, 32
	s_mov_b32 s11, 0
	s_delay_alu instid0(SALU_CYCLE_1) | instskip(NEXT) | instid1(SALU_CYCLE_1)
	s_lshl_b64 s[10:11], s[10:11], 4
	s_add_u32 s10, s14, s10
	s_addc_u32 s11, s15, s11
	v_mov_b32_e32 v5, s10
	v_dual_mov_b32 v3, 1 :: v_dual_mov_b32 v6, s11
	s_waitcnt lgkmcnt(0)
	;;#ASMSTART
	global_store_dwordx4 v[5:6], v[1:4] off	
s_waitcnt vmcnt(0)
	;;#ASMEND
.LBB910_64:
	s_or_b32 exec_lo, exec_lo, s9
	v_xad_u32 v11, v74, -1, s7
	s_mov_b32 s10, 0
	s_mov_b32 s9, exec_lo
	s_delay_alu instid0(VALU_DEP_1) | instskip(NEXT) | instid1(VALU_DEP_1)
	v_add_nc_u32_e32 v3, 32, v11
	v_lshlrev_b64 v[3:4], 4, v[3:4]
	s_delay_alu instid0(VALU_DEP_1) | instskip(NEXT) | instid1(VALU_DEP_2)
	v_add_co_u32 v3, vcc_lo, s14, v3
	v_add_co_ci_u32_e32 v4, vcc_lo, s15, v4, vcc_lo
	;;#ASMSTART
	global_load_dwordx4 v[5:8], v[3:4] off glc	
s_waitcnt vmcnt(0)
	;;#ASMEND
	v_and_b32_e32 v8, 0xff, v6
	v_and_b32_e32 v12, 0xff00, v6
	v_or3_b32 v5, v5, 0, 0
	v_and_b32_e32 v13, 0xff000000, v6
	v_and_b32_e32 v6, 0xff0000, v6
	s_delay_alu instid0(VALU_DEP_4) | instskip(SKIP_2) | instid1(VALU_DEP_3)
	v_or3_b32 v8, 0, v8, v12
	v_and_b32_e32 v12, 0xff, v7
	v_or3_b32 v5, v5, 0, 0
	v_or3_b32 v6, v8, v6, v13
	s_delay_alu instid0(VALU_DEP_3)
	v_cmpx_eq_u16_e32 0, v12
	s_cbranch_execz .LBB910_70
; %bb.65:
	s_mov_b32 s11, 1
	.p2align	6
.LBB910_66:                             ; =>This Loop Header: Depth=1
                                        ;     Child Loop BB910_67 Depth 2
	s_delay_alu instid0(SALU_CYCLE_1)
	s_max_u32 s16, s11, 1
.LBB910_67:                             ;   Parent Loop BB910_66 Depth=1
                                        ; =>  This Inner Loop Header: Depth=2
	s_delay_alu instid0(SALU_CYCLE_1)
	s_add_i32 s16, s16, -1
	s_sleep 1
	s_cmp_eq_u32 s16, 0
	s_cbranch_scc0 .LBB910_67
; %bb.68:                               ;   in Loop: Header=BB910_66 Depth=1
	;;#ASMSTART
	global_load_dwordx4 v[5:8], v[3:4] off glc	
s_waitcnt vmcnt(0)
	;;#ASMEND
	v_and_b32_e32 v8, 0xff, v7
	s_cmp_lt_u32 s11, 32
	s_cselect_b32 s16, -1, 0
	s_delay_alu instid0(SALU_CYCLE_1) | instskip(NEXT) | instid1(VALU_DEP_1)
	s_cmp_lg_u32 s16, 0
	v_cmp_ne_u16_e32 vcc_lo, 0, v8
	s_addc_u32 s11, s11, 0
	s_or_b32 s10, vcc_lo, s10
	s_delay_alu instid0(SALU_CYCLE_1)
	s_and_not1_b32 exec_lo, exec_lo, s10
	s_cbranch_execnz .LBB910_66
; %bb.69:
	s_or_b32 exec_lo, exec_lo, s10
.LBB910_70:
	s_delay_alu instid0(SALU_CYCLE_1)
	s_or_b32 exec_lo, exec_lo, s9
	v_cmp_ne_u32_e32 vcc_lo, 31, v74
	v_and_b32_e32 v4, 0xff, v7
	v_lshlrev_b32_e64 v18, v74, -1
	s_mov_b32 s9, exec_lo
	v_add_co_ci_u32_e32 v3, vcc_lo, 0, v74, vcc_lo
	s_delay_alu instid0(VALU_DEP_3) | instskip(NEXT) | instid1(VALU_DEP_2)
	v_cmp_eq_u16_e32 vcc_lo, 2, v4
	v_dual_mov_b32 v4, v5 :: v_dual_lshlrev_b32 v17, 2, v3
	v_and_or_b32 v3, vcc_lo, v18, 0x80000000
	ds_bpermute_b32 v12, v17, v5
	ds_bpermute_b32 v8, v17, v6
	v_ctz_i32_b32_e32 v3, v3
	s_delay_alu instid0(VALU_DEP_1)
	v_cmpx_lt_u32_e64 v74, v3
	s_cbranch_execz .LBB910_72
; %bb.71:
	s_waitcnt lgkmcnt(1)
	v_add_co_u32 v4, vcc_lo, v5, v12
	v_add_co_ci_u32_e32 v6, vcc_lo, 0, v6, vcc_lo
	s_delay_alu instid0(VALU_DEP_2) | instskip(SKIP_1) | instid1(VALU_DEP_2)
	v_add_co_u32 v5, vcc_lo, 0, v4
	s_waitcnt lgkmcnt(0)
	v_add_co_ci_u32_e32 v6, vcc_lo, v8, v6, vcc_lo
.LBB910_72:
	s_or_b32 exec_lo, exec_lo, s9
	v_cmp_gt_u32_e32 vcc_lo, 30, v74
	v_add_nc_u32_e32 v20, 2, v74
	s_mov_b32 s9, exec_lo
	s_waitcnt lgkmcnt(0)
	v_cndmask_b32_e64 v8, 0, 1, vcc_lo
	s_delay_alu instid0(VALU_DEP_1) | instskip(NEXT) | instid1(VALU_DEP_1)
	v_lshlrev_b32_e32 v8, 1, v8
	v_add_lshl_u32 v19, v8, v74, 2
	ds_bpermute_b32 v12, v19, v4
	ds_bpermute_b32 v8, v19, v6
	v_cmpx_le_u32_e64 v20, v3
	s_cbranch_execz .LBB910_74
; %bb.73:
	s_waitcnt lgkmcnt(1)
	v_add_co_u32 v4, vcc_lo, v5, v12
	v_add_co_ci_u32_e32 v6, vcc_lo, 0, v6, vcc_lo
	s_delay_alu instid0(VALU_DEP_2) | instskip(SKIP_1) | instid1(VALU_DEP_2)
	v_add_co_u32 v5, vcc_lo, 0, v4
	s_waitcnt lgkmcnt(0)
	v_add_co_ci_u32_e32 v6, vcc_lo, v8, v6, vcc_lo
.LBB910_74:
	s_or_b32 exec_lo, exec_lo, s9
	v_cmp_gt_u32_e32 vcc_lo, 28, v74
	v_add_nc_u32_e32 v22, 4, v74
	s_mov_b32 s9, exec_lo
	s_waitcnt lgkmcnt(0)
	v_cndmask_b32_e64 v8, 0, 1, vcc_lo
	s_delay_alu instid0(VALU_DEP_1) | instskip(NEXT) | instid1(VALU_DEP_1)
	v_lshlrev_b32_e32 v8, 2, v8
	v_add_lshl_u32 v21, v8, v74, 2
	ds_bpermute_b32 v12, v21, v4
	ds_bpermute_b32 v8, v21, v6
	v_cmpx_le_u32_e64 v22, v3
	;; [unrolled: 22-line block ×4, first 2 shown]
	s_cbranch_execz .LBB910_80
; %bb.79:
	s_waitcnt lgkmcnt(1)
	v_add_co_u32 v3, vcc_lo, v5, v8
	v_add_co_ci_u32_e32 v6, vcc_lo, 0, v6, vcc_lo
	s_delay_alu instid0(VALU_DEP_2) | instskip(SKIP_1) | instid1(VALU_DEP_2)
	v_add_co_u32 v5, vcc_lo, v3, 0
	s_waitcnt lgkmcnt(0)
	v_add_co_ci_u32_e32 v6, vcc_lo, v6, v4, vcc_lo
.LBB910_80:
	s_or_b32 exec_lo, exec_lo, s9
	v_mov_b32_e32 v12, 0
	s_branch .LBB910_82
.LBB910_81:                             ;   in Loop: Header=BB910_82 Depth=1
	s_or_b32 exec_lo, exec_lo, s9
	v_add_co_u32 v5, vcc_lo, v5, v3
	v_subrev_nc_u32_e32 v11, 32, v11
	v_add_co_ci_u32_e32 v6, vcc_lo, v6, v4, vcc_lo
.LBB910_82:                             ; =>This Loop Header: Depth=1
                                        ;     Child Loop BB910_85 Depth 2
                                        ;       Child Loop BB910_86 Depth 3
	v_and_b32_e32 v3, 0xff, v7
	s_delay_alu instid0(VALU_DEP_1) | instskip(SKIP_2) | instid1(VALU_DEP_1)
	v_cmp_ne_u16_e32 vcc_lo, 2, v3
	v_cndmask_b32_e64 v3, 0, 1, vcc_lo
	;;#ASMSTART
	;;#ASMEND
	v_cmp_ne_u32_e32 vcc_lo, 0, v3
	s_waitcnt lgkmcnt(0)
	v_dual_mov_b32 v3, v5 :: v_dual_mov_b32 v4, v6
	s_cmp_lg_u32 vcc_lo, exec_lo
	s_cbranch_scc1 .LBB910_99
; %bb.83:                               ;   in Loop: Header=BB910_82 Depth=1
	v_lshlrev_b64 v[5:6], 4, v[11:12]
	s_mov_b32 s9, exec_lo
	s_delay_alu instid0(VALU_DEP_1) | instskip(NEXT) | instid1(VALU_DEP_2)
	v_add_co_u32 v13, vcc_lo, s14, v5
	v_add_co_ci_u32_e32 v14, vcc_lo, s15, v6, vcc_lo
	;;#ASMSTART
	global_load_dwordx4 v[5:8], v[13:14] off glc	
s_waitcnt vmcnt(0)
	;;#ASMEND
	v_and_b32_e32 v8, 0xff, v6
	v_and_b32_e32 v27, 0xff00, v6
	v_or3_b32 v5, v5, 0, 0
	v_and_b32_e32 v28, 0xff000000, v6
	v_and_b32_e32 v6, 0xff0000, v6
	s_delay_alu instid0(VALU_DEP_4) | instskip(SKIP_2) | instid1(VALU_DEP_3)
	v_or3_b32 v8, 0, v8, v27
	v_and_b32_e32 v27, 0xff, v7
	v_or3_b32 v5, v5, 0, 0
	v_or3_b32 v6, v8, v6, v28
	s_delay_alu instid0(VALU_DEP_3)
	v_cmpx_eq_u16_e32 0, v27
	s_cbranch_execz .LBB910_89
; %bb.84:                               ;   in Loop: Header=BB910_82 Depth=1
	s_mov_b32 s11, 1
	s_mov_b32 s10, 0
	.p2align	6
.LBB910_85:                             ;   Parent Loop BB910_82 Depth=1
                                        ; =>  This Loop Header: Depth=2
                                        ;       Child Loop BB910_86 Depth 3
	s_max_u32 s16, s11, 1
.LBB910_86:                             ;   Parent Loop BB910_82 Depth=1
                                        ;     Parent Loop BB910_85 Depth=2
                                        ; =>    This Inner Loop Header: Depth=3
	s_delay_alu instid0(SALU_CYCLE_1)
	s_add_i32 s16, s16, -1
	s_sleep 1
	s_cmp_eq_u32 s16, 0
	s_cbranch_scc0 .LBB910_86
; %bb.87:                               ;   in Loop: Header=BB910_85 Depth=2
	;;#ASMSTART
	global_load_dwordx4 v[5:8], v[13:14] off glc	
s_waitcnt vmcnt(0)
	;;#ASMEND
	v_and_b32_e32 v8, 0xff, v7
	s_cmp_lt_u32 s11, 32
	s_cselect_b32 s16, -1, 0
	s_delay_alu instid0(SALU_CYCLE_1) | instskip(NEXT) | instid1(VALU_DEP_1)
	s_cmp_lg_u32 s16, 0
	v_cmp_ne_u16_e32 vcc_lo, 0, v8
	s_addc_u32 s11, s11, 0
	s_or_b32 s10, vcc_lo, s10
	s_delay_alu instid0(SALU_CYCLE_1)
	s_and_not1_b32 exec_lo, exec_lo, s10
	s_cbranch_execnz .LBB910_85
; %bb.88:                               ;   in Loop: Header=BB910_82 Depth=1
	s_or_b32 exec_lo, exec_lo, s10
.LBB910_89:                             ;   in Loop: Header=BB910_82 Depth=1
	s_delay_alu instid0(SALU_CYCLE_1)
	s_or_b32 exec_lo, exec_lo, s9
	v_dual_mov_b32 v13, v5 :: v_dual_and_b32 v8, 0xff, v7
	ds_bpermute_b32 v27, v17, v5
	ds_bpermute_b32 v14, v17, v6
	s_mov_b32 s9, exec_lo
	v_cmp_eq_u16_e32 vcc_lo, 2, v8
	v_and_or_b32 v8, vcc_lo, v18, 0x80000000
	s_delay_alu instid0(VALU_DEP_1) | instskip(NEXT) | instid1(VALU_DEP_1)
	v_ctz_i32_b32_e32 v8, v8
	v_cmpx_lt_u32_e64 v74, v8
	s_cbranch_execz .LBB910_91
; %bb.90:                               ;   in Loop: Header=BB910_82 Depth=1
	s_waitcnt lgkmcnt(1)
	v_add_co_u32 v13, vcc_lo, v5, v27
	v_add_co_ci_u32_e32 v6, vcc_lo, 0, v6, vcc_lo
	s_delay_alu instid0(VALU_DEP_2) | instskip(SKIP_1) | instid1(VALU_DEP_2)
	v_add_co_u32 v5, vcc_lo, 0, v13
	s_waitcnt lgkmcnt(0)
	v_add_co_ci_u32_e32 v6, vcc_lo, v14, v6, vcc_lo
.LBB910_91:                             ;   in Loop: Header=BB910_82 Depth=1
	s_or_b32 exec_lo, exec_lo, s9
	s_waitcnt lgkmcnt(1)
	ds_bpermute_b32 v27, v19, v13
	s_waitcnt lgkmcnt(1)
	ds_bpermute_b32 v14, v19, v6
	s_mov_b32 s9, exec_lo
	v_cmpx_le_u32_e64 v20, v8
	s_cbranch_execz .LBB910_93
; %bb.92:                               ;   in Loop: Header=BB910_82 Depth=1
	s_waitcnt lgkmcnt(1)
	v_add_co_u32 v13, vcc_lo, v5, v27
	v_add_co_ci_u32_e32 v6, vcc_lo, 0, v6, vcc_lo
	s_delay_alu instid0(VALU_DEP_2) | instskip(SKIP_1) | instid1(VALU_DEP_2)
	v_add_co_u32 v5, vcc_lo, 0, v13
	s_waitcnt lgkmcnt(0)
	v_add_co_ci_u32_e32 v6, vcc_lo, v14, v6, vcc_lo
.LBB910_93:                             ;   in Loop: Header=BB910_82 Depth=1
	s_or_b32 exec_lo, exec_lo, s9
	s_waitcnt lgkmcnt(1)
	ds_bpermute_b32 v27, v21, v13
	s_waitcnt lgkmcnt(1)
	ds_bpermute_b32 v14, v21, v6
	s_mov_b32 s9, exec_lo
	v_cmpx_le_u32_e64 v22, v8
	;; [unrolled: 17-line block ×3, first 2 shown]
	s_cbranch_execz .LBB910_97
; %bb.96:                               ;   in Loop: Header=BB910_82 Depth=1
	s_waitcnt lgkmcnt(1)
	v_add_co_u32 v13, vcc_lo, v5, v27
	v_add_co_ci_u32_e32 v6, vcc_lo, 0, v6, vcc_lo
	s_delay_alu instid0(VALU_DEP_2) | instskip(SKIP_1) | instid1(VALU_DEP_2)
	v_add_co_u32 v5, vcc_lo, 0, v13
	s_waitcnt lgkmcnt(0)
	v_add_co_ci_u32_e32 v6, vcc_lo, v14, v6, vcc_lo
.LBB910_97:                             ;   in Loop: Header=BB910_82 Depth=1
	s_or_b32 exec_lo, exec_lo, s9
	s_waitcnt lgkmcnt(0)
	ds_bpermute_b32 v14, v25, v13
	ds_bpermute_b32 v13, v25, v6
	s_mov_b32 s9, exec_lo
	v_cmpx_le_u32_e64 v26, v8
	s_cbranch_execz .LBB910_81
; %bb.98:                               ;   in Loop: Header=BB910_82 Depth=1
	s_waitcnt lgkmcnt(1)
	v_add_co_u32 v5, vcc_lo, v5, v14
	v_add_co_ci_u32_e32 v6, vcc_lo, 0, v6, vcc_lo
	s_delay_alu instid0(VALU_DEP_2) | instskip(SKIP_1) | instid1(VALU_DEP_2)
	v_add_co_u32 v5, vcc_lo, v5, 0
	s_waitcnt lgkmcnt(0)
	v_add_co_ci_u32_e32 v6, vcc_lo, v6, v13, vcc_lo
	s_branch .LBB910_81
.LBB910_99:                             ;   in Loop: Header=BB910_82 Depth=1
                                        ; implicit-def: $vgpr5_vgpr6
	s_cbranch_execz .LBB910_82
; %bb.100:
	s_and_saveexec_b32 s9, s1
	s_cbranch_execz .LBB910_102
; %bb.101:
	s_add_i32 s10, s7, 32
	s_mov_b32 s11, 0
	v_add_co_u32 v5, vcc_lo, v3, v1
	s_lshl_b64 s[10:11], s[10:11], 4
	v_dual_mov_b32 v7, 2 :: v_dual_mov_b32 v8, 0
	s_add_u32 s10, s14, s10
	s_addc_u32 s11, s15, s11
	v_add_co_ci_u32_e32 v6, vcc_lo, v4, v2, vcc_lo
	v_dual_mov_b32 v12, s11 :: v_dual_mov_b32 v11, s10
	;;#ASMSTART
	global_store_dwordx4 v[11:12], v[5:8] off	
s_waitcnt vmcnt(0)
	;;#ASMEND
	ds_store_b128 v8, v[1:4] offset:7168
.LBB910_102:
	s_or_b32 exec_lo, exec_lo, s9
	s_delay_alu instid0(SALU_CYCLE_1)
	s_and_b32 exec_lo, exec_lo, s2
	s_cbranch_execz .LBB910_104
; %bb.103:
	v_mov_b32_e32 v1, 0
	ds_store_b64 v1, v[3:4] offset:24
.LBB910_104:
	s_or_b32 exec_lo, exec_lo, s8
	v_mov_b32_e32 v21, 0
	s_waitcnt lgkmcnt(0)
	s_barrier
	buffer_gl0_inv
	v_cndmask_b32_e64 v3, v15, v9, s1
	ds_load_b64 v[1:2], v21 offset:24
	v_cndmask_b32_e64 v4, v16, v10, s1
	s_waitcnt lgkmcnt(0)
	s_barrier
	v_cndmask_b32_e64 v3, v3, 0, s2
	buffer_gl0_inv
	v_cndmask_b32_e64 v4, v4, 0, s2
	ds_load_b128 v[45:48], v21 offset:7168
	v_add_co_u32 v1, vcc_lo, v1, v3
	v_add_co_ci_u32_e32 v2, vcc_lo, v2, v4, vcc_lo
	s_delay_alu instid0(VALU_DEP_2) | instskip(NEXT) | instid1(VALU_DEP_2)
	v_add_co_u32 v3, vcc_lo, v1, v65
	v_add_co_ci_u32_e32 v4, vcc_lo, 0, v2, vcc_lo
	s_delay_alu instid0(VALU_DEP_2) | instskip(NEXT) | instid1(VALU_DEP_2)
	;; [unrolled: 3-line block ×13, first 2 shown]
	v_add_co_u32 v27, vcc_lo, v25, v64
	v_add_co_ci_u32_e32 v28, vcc_lo, 0, v26, vcc_lo
	s_branch .LBB910_129
.LBB910_105:
                                        ; implicit-def: $vgpr47_vgpr48
                                        ; implicit-def: $vgpr1_vgpr2_vgpr3_vgpr4_vgpr5_vgpr6_vgpr7_vgpr8_vgpr9_vgpr10_vgpr11_vgpr12_vgpr13_vgpr14_vgpr15_vgpr16_vgpr17_vgpr18_vgpr19_vgpr20_vgpr21_vgpr22_vgpr23_vgpr24_vgpr25_vgpr26_vgpr27_vgpr28_vgpr29_vgpr30_vgpr31_vgpr32
	s_and_b32 vcc_lo, exec_lo, s1
	s_cbranch_vccz .LBB910_129
; %bb.106:
	v_dual_mov_b32 v2, 0 :: v_dual_mov_b32 v3, v53
	v_mov_b32_dpp v4, v53 row_shr:1 row_mask:0xf bank_mask:0xf
	s_delay_alu instid0(VALU_DEP_2)
	v_mov_b32_dpp v1, v2 row_shr:1 row_mask:0xf bank_mask:0xf
	s_and_saveexec_b32 s1, s0
; %bb.107:
	s_delay_alu instid0(VALU_DEP_2) | instskip(SKIP_1) | instid1(VALU_DEP_2)
	v_add_co_u32 v3, vcc_lo, v53, v4
	v_add_co_ci_u32_e32 v2, vcc_lo, 0, v54, vcc_lo
	v_add_co_u32 v53, vcc_lo, 0, v3
	s_delay_alu instid0(VALU_DEP_2) | instskip(NEXT) | instid1(VALU_DEP_1)
	v_add_co_ci_u32_e32 v54, vcc_lo, v1, v2, vcc_lo
	v_mov_b32_e32 v2, v54
; %bb.108:
	s_or_b32 exec_lo, exec_lo, s1
	v_mov_b32_dpp v1, v3 row_shr:2 row_mask:0xf bank_mask:0xf
	s_delay_alu instid0(VALU_DEP_2)
	v_mov_b32_dpp v4, v2 row_shr:2 row_mask:0xf bank_mask:0xf
	s_mov_b32 s0, exec_lo
	v_cmpx_lt_u32_e32 1, v75
; %bb.109:
	s_delay_alu instid0(VALU_DEP_3) | instskip(SKIP_1) | instid1(VALU_DEP_2)
	v_add_co_u32 v3, vcc_lo, v53, v1
	v_add_co_ci_u32_e32 v2, vcc_lo, 0, v54, vcc_lo
	v_add_co_u32 v1, vcc_lo, 0, v3
	s_delay_alu instid0(VALU_DEP_2) | instskip(NEXT) | instid1(VALU_DEP_1)
	v_add_co_ci_u32_e32 v2, vcc_lo, v4, v2, vcc_lo
	v_dual_mov_b32 v54, v2 :: v_dual_mov_b32 v53, v1
; %bb.110:
	s_or_b32 exec_lo, exec_lo, s0
	v_mov_b32_dpp v1, v3 row_shr:4 row_mask:0xf bank_mask:0xf
	v_mov_b32_dpp v4, v2 row_shr:4 row_mask:0xf bank_mask:0xf
	s_mov_b32 s0, exec_lo
	v_cmpx_lt_u32_e32 3, v75
; %bb.111:
	s_delay_alu instid0(VALU_DEP_3) | instskip(SKIP_1) | instid1(VALU_DEP_2)
	v_add_co_u32 v3, vcc_lo, v53, v1
	v_add_co_ci_u32_e32 v2, vcc_lo, 0, v54, vcc_lo
	v_add_co_u32 v1, vcc_lo, 0, v3
	s_delay_alu instid0(VALU_DEP_2) | instskip(NEXT) | instid1(VALU_DEP_1)
	v_add_co_ci_u32_e32 v2, vcc_lo, v4, v2, vcc_lo
	v_dual_mov_b32 v54, v2 :: v_dual_mov_b32 v53, v1
; %bb.112:
	s_or_b32 exec_lo, exec_lo, s0
	v_mov_b32_dpp v4, v3 row_shr:8 row_mask:0xf bank_mask:0xf
	v_mov_b32_dpp v1, v2 row_shr:8 row_mask:0xf bank_mask:0xf
	s_mov_b32 s0, exec_lo
	v_cmpx_lt_u32_e32 7, v75
; %bb.113:
	s_delay_alu instid0(VALU_DEP_3) | instskip(SKIP_1) | instid1(VALU_DEP_2)
	v_add_co_u32 v3, vcc_lo, v53, v4
	v_add_co_ci_u32_e32 v2, vcc_lo, 0, v54, vcc_lo
	v_add_co_u32 v53, vcc_lo, 0, v3
	s_delay_alu instid0(VALU_DEP_2) | instskip(NEXT) | instid1(VALU_DEP_1)
	v_add_co_ci_u32_e32 v54, vcc_lo, v1, v2, vcc_lo
	v_mov_b32_e32 v2, v54
; %bb.114:
	s_or_b32 exec_lo, exec_lo, s0
	ds_swizzle_b32 v3, v3 offset:swizzle(BROADCAST,32,15)
	ds_swizzle_b32 v1, v2 offset:swizzle(BROADCAST,32,15)
	v_and_b32_e32 v2, 16, v74
	s_mov_b32 s0, exec_lo
	s_delay_alu instid0(VALU_DEP_1)
	v_cmpx_ne_u32_e32 0, v2
	s_cbranch_execz .LBB910_116
; %bb.115:
	s_waitcnt lgkmcnt(1)
	v_add_co_u32 v2, vcc_lo, v53, v3
	v_add_co_ci_u32_e32 v3, vcc_lo, 0, v54, vcc_lo
	s_delay_alu instid0(VALU_DEP_2) | instskip(SKIP_1) | instid1(VALU_DEP_2)
	v_add_co_u32 v53, vcc_lo, v2, 0
	s_waitcnt lgkmcnt(0)
	v_add_co_ci_u32_e32 v54, vcc_lo, v3, v1, vcc_lo
.LBB910_116:
	s_or_b32 exec_lo, exec_lo, s0
	s_waitcnt lgkmcnt(0)
	v_or_b32_e32 v1, 31, v0
	v_lshrrev_b32_e32 v3, 5, v0
	s_mov_b32 s0, exec_lo
	s_delay_alu instid0(VALU_DEP_2)
	v_cmpx_eq_u32_e64 v1, v0
	s_cbranch_execz .LBB910_118
; %bb.117:
	s_delay_alu instid0(VALU_DEP_2)
	v_lshlrev_b32_e32 v1, 3, v3
	ds_store_b64 v1, v[53:54]
.LBB910_118:
	s_or_b32 exec_lo, exec_lo, s0
	s_delay_alu instid0(SALU_CYCLE_1)
	s_mov_b32 s0, exec_lo
	s_waitcnt lgkmcnt(0)
	s_barrier
	buffer_gl0_inv
	v_cmpx_gt_u32_e32 4, v0
	s_cbranch_execz .LBB910_124
; %bb.119:
	v_mad_i32_i24 v1, 0xffffffd0, v0, v63
	s_mov_b32 s1, exec_lo
	ds_load_b64 v[1:2], v1
	s_waitcnt lgkmcnt(0)
	v_dual_mov_b32 v5, v1 :: v_dual_and_b32 v4, 3, v74
	v_mov_b32_dpp v7, v1 row_shr:1 row_mask:0xf bank_mask:0xf
	v_mov_b32_dpp v6, v2 row_shr:1 row_mask:0xf bank_mask:0xf
	s_delay_alu instid0(VALU_DEP_3)
	v_cmpx_ne_u32_e32 0, v4
; %bb.120:
	s_delay_alu instid0(VALU_DEP_3) | instskip(SKIP_1) | instid1(VALU_DEP_2)
	v_add_co_u32 v5, vcc_lo, v1, v7
	v_add_co_ci_u32_e32 v2, vcc_lo, 0, v2, vcc_lo
	v_add_co_u32 v1, vcc_lo, 0, v5
	s_delay_alu instid0(VALU_DEP_2)
	v_add_co_ci_u32_e32 v2, vcc_lo, v6, v2, vcc_lo
; %bb.121:
	s_or_b32 exec_lo, exec_lo, s1
	v_mul_i32_i24_e32 v6, 0xffffffd0, v0
	v_mov_b32_dpp v7, v5 row_shr:2 row_mask:0xf bank_mask:0xf
	s_delay_alu instid0(VALU_DEP_3)
	v_mov_b32_dpp v5, v2 row_shr:2 row_mask:0xf bank_mask:0xf
	s_mov_b32 s1, exec_lo
	v_cmpx_lt_u32_e32 1, v4
; %bb.122:
	s_delay_alu instid0(VALU_DEP_3) | instskip(SKIP_1) | instid1(VALU_DEP_2)
	v_add_co_u32 v1, vcc_lo, v1, v7
	v_add_co_ci_u32_e32 v2, vcc_lo, 0, v2, vcc_lo
	v_add_co_u32 v1, vcc_lo, v1, 0
	s_delay_alu instid0(VALU_DEP_2)
	v_add_co_ci_u32_e32 v2, vcc_lo, v2, v5, vcc_lo
; %bb.123:
	s_or_b32 exec_lo, exec_lo, s1
	v_add_nc_u32_e32 v4, v63, v6
	ds_store_b64 v4, v[1:2]
.LBB910_124:
	s_or_b32 exec_lo, exec_lo, s0
	v_mov_b32_e32 v1, 0
	v_mov_b32_e32 v2, 0
	s_mov_b32 s0, exec_lo
	s_waitcnt lgkmcnt(0)
	s_barrier
	buffer_gl0_inv
	v_cmpx_lt_u32_e32 31, v0
	s_cbranch_execz .LBB910_126
; %bb.125:
	v_lshl_add_u32 v1, v3, 3, -8
	ds_load_b64 v[1:2], v1
.LBB910_126:
	s_or_b32 exec_lo, exec_lo, s0
	v_dual_mov_b32 v48, 0 :: v_dual_add_nc_u32 v3, -1, v74
	s_delay_alu instid0(VALU_DEP_1) | instskip(SKIP_2) | instid1(VALU_DEP_1)
	v_cmp_gt_i32_e32 vcc_lo, 0, v3
	ds_load_b64 v[45:46], v48 offset:24
	v_cndmask_b32_e32 v3, v3, v74, vcc_lo
	v_lshlrev_b32_e32 v4, 2, v3
	s_waitcnt lgkmcnt(1)
	v_add_co_u32 v3, vcc_lo, v1, v53
	v_add_co_ci_u32_e32 v5, vcc_lo, v2, v54, vcc_lo
	ds_bpermute_b32 v3, v4, v3
	ds_bpermute_b32 v4, v4, v5
	s_and_saveexec_b32 s0, s2
	s_cbranch_execz .LBB910_128
; %bb.127:
	s_add_u32 s8, s14, 0x200
	s_addc_u32 s9, s15, 0
	v_mov_b32_e32 v5, s8
	v_dual_mov_b32 v47, 2 :: v_dual_mov_b32 v6, s9
	s_waitcnt lgkmcnt(2)
	;;#ASMSTART
	global_store_dwordx4 v[5:6], v[45:48] off	
s_waitcnt vmcnt(0)
	;;#ASMEND
.LBB910_128:
	s_or_b32 exec_lo, exec_lo, s0
	v_cmp_eq_u32_e32 vcc_lo, 0, v74
	v_mov_b32_e32 v47, 0
	v_mov_b32_e32 v48, 0
	s_waitcnt lgkmcnt(0)
	s_barrier
	v_dual_cndmask_b32 v1, v3, v1 :: v_dual_cndmask_b32 v2, v4, v2
	buffer_gl0_inv
	v_cndmask_b32_e64 v1, v1, 0, s2
	v_cndmask_b32_e64 v2, v2, 0, s2
	s_delay_alu instid0(VALU_DEP_2) | instskip(NEXT) | instid1(VALU_DEP_2)
	v_add_co_u32 v3, vcc_lo, v1, v65
	v_add_co_ci_u32_e32 v4, vcc_lo, 0, v2, vcc_lo
	s_delay_alu instid0(VALU_DEP_2) | instskip(NEXT) | instid1(VALU_DEP_2)
	v_add_co_u32 v5, vcc_lo, v3, v66
	v_add_co_ci_u32_e32 v6, vcc_lo, 0, v4, vcc_lo
	;; [unrolled: 3-line block ×13, first 2 shown]
.LBB910_129:
	s_waitcnt lgkmcnt(0)
	v_cmp_gt_u64_e32 vcc_lo, 0x81, v[45:46]
	v_lshrrev_b32_e32 v53, 16, v58
	v_lshrrev_b32_e32 v54, 8, v58
	;; [unrolled: 1-line block ×6, first 2 shown]
	s_mov_b32 s0, -1
	s_cbranch_vccnz .LBB910_133
; %bb.130:
	s_and_b32 vcc_lo, exec_lo, s0
	s_cbranch_vccnz .LBB910_176
.LBB910_131:
	s_and_b32 s0, s2, s3
	s_delay_alu instid0(SALU_CYCLE_1)
	s_and_saveexec_b32 s1, s0
	s_cbranch_execnz .LBB910_208
.LBB910_132:
	s_nop 0
	s_sendmsg sendmsg(MSG_DEALLOC_VGPRS)
	s_endpgm
.LBB910_133:
	v_add_co_u32 v29, vcc_lo, v47, v45
	v_add_co_ci_u32_e32 v30, vcc_lo, v48, v46, vcc_lo
	v_lshlrev_b64 v[65:66], 2, v[49:50]
	s_delay_alu instid0(VALU_DEP_2) | instskip(NEXT) | instid1(VALU_DEP_2)
	v_cmp_lt_u64_e32 vcc_lo, v[1:2], v[29:30]
	v_add_co_u32 v65, s0, s12, v65
	s_delay_alu instid0(VALU_DEP_1) | instskip(SKIP_1) | instid1(SALU_CYCLE_1)
	v_add_co_ci_u32_e64 v66, s0, s13, v66, s0
	s_or_b32 s1, s6, vcc_lo
	s_and_saveexec_b32 s0, s1
	s_cbranch_execz .LBB910_136
; %bb.134:
	v_and_b32_e32 v67, 1, v61
	s_delay_alu instid0(VALU_DEP_1)
	v_cmp_eq_u32_e32 vcc_lo, 1, v67
	s_and_b32 exec_lo, exec_lo, vcc_lo
	s_cbranch_execz .LBB910_136
; %bb.135:
	v_lshlrev_b64 v[67:68], 2, v[1:2]
	s_delay_alu instid0(VALU_DEP_1) | instskip(NEXT) | instid1(VALU_DEP_2)
	v_add_co_u32 v67, vcc_lo, v65, v67
	v_add_co_ci_u32_e32 v68, vcc_lo, v66, v68, vcc_lo
	global_store_b32 v[67:68], v41, off
.LBB910_136:
	s_or_b32 exec_lo, exec_lo, s0
	v_cmp_lt_u64_e32 vcc_lo, v[3:4], v[29:30]
	s_or_b32 s1, s6, vcc_lo
	s_delay_alu instid0(SALU_CYCLE_1)
	s_and_saveexec_b32 s0, s1
	s_cbranch_execz .LBB910_139
; %bb.137:
	v_and_b32_e32 v2, 1, v64
	s_delay_alu instid0(VALU_DEP_1)
	v_cmp_eq_u32_e32 vcc_lo, 1, v2
	s_and_b32 exec_lo, exec_lo, vcc_lo
	s_cbranch_execz .LBB910_139
; %bb.138:
	v_lshlrev_b64 v[67:68], 2, v[3:4]
	s_delay_alu instid0(VALU_DEP_1) | instskip(NEXT) | instid1(VALU_DEP_2)
	v_add_co_u32 v67, vcc_lo, v65, v67
	v_add_co_ci_u32_e32 v68, vcc_lo, v66, v68, vcc_lo
	global_store_b32 v[67:68], v42, off
.LBB910_139:
	s_or_b32 exec_lo, exec_lo, s0
	v_cmp_lt_u64_e32 vcc_lo, v[5:6], v[29:30]
	s_or_b32 s1, s6, vcc_lo
	s_delay_alu instid0(SALU_CYCLE_1)
	;; [unrolled: 19-line block ×13, first 2 shown]
	s_and_saveexec_b32 s0, s1
	s_cbranch_execz .LBB910_175
; %bb.173:
	v_and_b32_e32 v2, 1, v55
	s_delay_alu instid0(VALU_DEP_1)
	v_cmp_eq_u32_e32 vcc_lo, 1, v2
	s_and_b32 exec_lo, exec_lo, vcc_lo
	s_cbranch_execz .LBB910_175
; %bb.174:
	v_lshlrev_b64 v[28:29], 2, v[27:28]
	s_delay_alu instid0(VALU_DEP_1) | instskip(NEXT) | instid1(VALU_DEP_2)
	v_add_co_u32 v28, vcc_lo, v65, v28
	v_add_co_ci_u32_e32 v29, vcc_lo, v66, v29, vcc_lo
	global_store_b32 v[28:29], v52, off
.LBB910_175:
	s_or_b32 exec_lo, exec_lo, s0
	s_branch .LBB910_131
.LBB910_176:
	v_and_b32_e32 v2, 1, v61
	s_mov_b32 s0, exec_lo
	s_delay_alu instid0(VALU_DEP_1)
	v_cmpx_eq_u32_e32 1, v2
	s_cbranch_execz .LBB910_178
; %bb.177:
	v_sub_nc_u32_e32 v1, v1, v47
	s_delay_alu instid0(VALU_DEP_1)
	v_lshlrev_b32_e32 v1, 2, v1
	ds_store_b32 v1, v41
.LBB910_178:
	s_or_b32 exec_lo, exec_lo, s0
	v_and_b32_e32 v1, 1, v64
	s_mov_b32 s0, exec_lo
	s_delay_alu instid0(VALU_DEP_1)
	v_cmpx_eq_u32_e32 1, v1
	s_cbranch_execz .LBB910_180
; %bb.179:
	v_sub_nc_u32_e32 v1, v3, v47
	s_delay_alu instid0(VALU_DEP_1)
	v_lshlrev_b32_e32 v1, 2, v1
	ds_store_b32 v1, v42
.LBB910_180:
	s_or_b32 exec_lo, exec_lo, s0
	;; [unrolled: 12-line block ×14, first 2 shown]
	v_mov_b32_e32 v1, 0
	s_mov_b32 s1, exec_lo
	s_waitcnt lgkmcnt(0)
	s_waitcnt_vscnt null, 0x0
	s_barrier
	buffer_gl0_inv
	v_cmpx_gt_u64_e64 v[45:46], v[0:1]
	s_cbranch_execz .LBB910_207
; %bb.205:
	v_lshlrev_b64 v[2:3], 2, v[47:48]
	v_lshlrev_b64 v[4:5], 2, v[49:50]
	s_mov_b32 s6, 0
	s_delay_alu instid0(VALU_DEP_2) | instskip(NEXT) | instid1(VALU_DEP_3)
	v_add_co_u32 v6, vcc_lo, s12, v2
	v_add_co_ci_u32_e32 v7, vcc_lo, s13, v3, vcc_lo
	v_dual_mov_b32 v3, v1 :: v_dual_mov_b32 v2, v0
	s_delay_alu instid0(VALU_DEP_3) | instskip(NEXT) | instid1(VALU_DEP_3)
	v_add_co_u32 v4, vcc_lo, v6, v4
	v_add_co_ci_u32_e32 v5, vcc_lo, v7, v5, vcc_lo
	v_or_b32_e32 v0, 0x80, v0
	.p2align	6
.LBB910_206:                            ; =>This Inner Loop Header: Depth=1
	s_delay_alu instid0(VALU_DEP_4) | instskip(NEXT) | instid1(VALU_DEP_2)
	v_lshlrev_b32_e32 v6, 2, v2
	v_cmp_le_u64_e32 vcc_lo, v[45:46], v[0:1]
	ds_load_b32 v8, v6
	v_lshlrev_b64 v[6:7], 2, v[2:3]
	v_dual_mov_b32 v3, v1 :: v_dual_mov_b32 v2, v0
	v_add_nc_u32_e32 v0, 0x80, v0
	s_or_b32 s6, vcc_lo, s6
	s_delay_alu instid0(VALU_DEP_3) | instskip(NEXT) | instid1(VALU_DEP_1)
	v_add_co_u32 v6, s0, v4, v6
	v_add_co_ci_u32_e64 v7, s0, v5, v7, s0
	s_waitcnt lgkmcnt(0)
	global_store_b32 v[6:7], v8, off
	s_and_not1_b32 exec_lo, exec_lo, s6
	s_cbranch_execnz .LBB910_206
.LBB910_207:
	s_or_b32 exec_lo, exec_lo, s1
	s_and_b32 s0, s2, s3
	s_delay_alu instid0(SALU_CYCLE_1)
	s_and_saveexec_b32 s1, s0
	s_cbranch_execz .LBB910_132
.LBB910_208:
	v_add_co_u32 v0, vcc_lo, v47, v45
	v_add_co_ci_u32_e32 v1, vcc_lo, v48, v46, vcc_lo
	v_mov_b32_e32 v2, 0
	s_delay_alu instid0(VALU_DEP_3) | instskip(NEXT) | instid1(VALU_DEP_3)
	v_add_co_u32 v0, vcc_lo, v0, v49
	v_add_co_ci_u32_e32 v1, vcc_lo, v1, v50, vcc_lo
	global_store_b64 v2, v[0:1], s[4:5]
	s_nop 0
	s_sendmsg sendmsg(MSG_DEALLOC_VGPRS)
	s_endpgm
	.section	.rodata,"a",@progbits
	.p2align	6, 0x0
	.amdhsa_kernel _ZN7rocprim17ROCPRIM_400000_NS6detail17trampoline_kernelINS0_14default_configENS1_25partition_config_selectorILNS1_17partition_subalgoE6EiNS0_10empty_typeEbEEZZNS1_14partition_implILS5_6ELb0ES3_mN6thrust23THRUST_200600_302600_NS10device_ptrIiEEPS6_SD_NS0_5tupleIJSC_S6_EEENSE_IJSD_SD_EEES6_PlJ7is_evenIiEEEE10hipError_tPvRmT3_T4_T5_T6_T7_T9_mT8_P12ihipStream_tbDpT10_ENKUlT_T0_E_clISt17integral_constantIbLb1EES13_EEDaSY_SZ_EUlSY_E_NS1_11comp_targetILNS1_3genE9ELNS1_11target_archE1100ELNS1_3gpuE3ELNS1_3repE0EEENS1_30default_config_static_selectorELNS0_4arch9wavefront6targetE0EEEvT1_
		.amdhsa_group_segment_fixed_size 7184
		.amdhsa_private_segment_fixed_size 0
		.amdhsa_kernarg_size 128
		.amdhsa_user_sgpr_count 15
		.amdhsa_user_sgpr_dispatch_ptr 0
		.amdhsa_user_sgpr_queue_ptr 0
		.amdhsa_user_sgpr_kernarg_segment_ptr 1
		.amdhsa_user_sgpr_dispatch_id 0
		.amdhsa_user_sgpr_private_segment_size 0
		.amdhsa_wavefront_size32 1
		.amdhsa_uses_dynamic_stack 0
		.amdhsa_enable_private_segment 0
		.amdhsa_system_sgpr_workgroup_id_x 1
		.amdhsa_system_sgpr_workgroup_id_y 0
		.amdhsa_system_sgpr_workgroup_id_z 0
		.amdhsa_system_sgpr_workgroup_info 0
		.amdhsa_system_vgpr_workitem_id 0
		.amdhsa_next_free_vgpr 76
		.amdhsa_next_free_sgpr 20
		.amdhsa_reserve_vcc 1
		.amdhsa_float_round_mode_32 0
		.amdhsa_float_round_mode_16_64 0
		.amdhsa_float_denorm_mode_32 3
		.amdhsa_float_denorm_mode_16_64 3
		.amdhsa_dx10_clamp 1
		.amdhsa_ieee_mode 1
		.amdhsa_fp16_overflow 0
		.amdhsa_workgroup_processor_mode 1
		.amdhsa_memory_ordered 1
		.amdhsa_forward_progress 0
		.amdhsa_shared_vgpr_count 0
		.amdhsa_exception_fp_ieee_invalid_op 0
		.amdhsa_exception_fp_denorm_src 0
		.amdhsa_exception_fp_ieee_div_zero 0
		.amdhsa_exception_fp_ieee_overflow 0
		.amdhsa_exception_fp_ieee_underflow 0
		.amdhsa_exception_fp_ieee_inexact 0
		.amdhsa_exception_int_div_zero 0
	.end_amdhsa_kernel
	.section	.text._ZN7rocprim17ROCPRIM_400000_NS6detail17trampoline_kernelINS0_14default_configENS1_25partition_config_selectorILNS1_17partition_subalgoE6EiNS0_10empty_typeEbEEZZNS1_14partition_implILS5_6ELb0ES3_mN6thrust23THRUST_200600_302600_NS10device_ptrIiEEPS6_SD_NS0_5tupleIJSC_S6_EEENSE_IJSD_SD_EEES6_PlJ7is_evenIiEEEE10hipError_tPvRmT3_T4_T5_T6_T7_T9_mT8_P12ihipStream_tbDpT10_ENKUlT_T0_E_clISt17integral_constantIbLb1EES13_EEDaSY_SZ_EUlSY_E_NS1_11comp_targetILNS1_3genE9ELNS1_11target_archE1100ELNS1_3gpuE3ELNS1_3repE0EEENS1_30default_config_static_selectorELNS0_4arch9wavefront6targetE0EEEvT1_,"axG",@progbits,_ZN7rocprim17ROCPRIM_400000_NS6detail17trampoline_kernelINS0_14default_configENS1_25partition_config_selectorILNS1_17partition_subalgoE6EiNS0_10empty_typeEbEEZZNS1_14partition_implILS5_6ELb0ES3_mN6thrust23THRUST_200600_302600_NS10device_ptrIiEEPS6_SD_NS0_5tupleIJSC_S6_EEENSE_IJSD_SD_EEES6_PlJ7is_evenIiEEEE10hipError_tPvRmT3_T4_T5_T6_T7_T9_mT8_P12ihipStream_tbDpT10_ENKUlT_T0_E_clISt17integral_constantIbLb1EES13_EEDaSY_SZ_EUlSY_E_NS1_11comp_targetILNS1_3genE9ELNS1_11target_archE1100ELNS1_3gpuE3ELNS1_3repE0EEENS1_30default_config_static_selectorELNS0_4arch9wavefront6targetE0EEEvT1_,comdat
.Lfunc_end910:
	.size	_ZN7rocprim17ROCPRIM_400000_NS6detail17trampoline_kernelINS0_14default_configENS1_25partition_config_selectorILNS1_17partition_subalgoE6EiNS0_10empty_typeEbEEZZNS1_14partition_implILS5_6ELb0ES3_mN6thrust23THRUST_200600_302600_NS10device_ptrIiEEPS6_SD_NS0_5tupleIJSC_S6_EEENSE_IJSD_SD_EEES6_PlJ7is_evenIiEEEE10hipError_tPvRmT3_T4_T5_T6_T7_T9_mT8_P12ihipStream_tbDpT10_ENKUlT_T0_E_clISt17integral_constantIbLb1EES13_EEDaSY_SZ_EUlSY_E_NS1_11comp_targetILNS1_3genE9ELNS1_11target_archE1100ELNS1_3gpuE3ELNS1_3repE0EEENS1_30default_config_static_selectorELNS0_4arch9wavefront6targetE0EEEvT1_, .Lfunc_end910-_ZN7rocprim17ROCPRIM_400000_NS6detail17trampoline_kernelINS0_14default_configENS1_25partition_config_selectorILNS1_17partition_subalgoE6EiNS0_10empty_typeEbEEZZNS1_14partition_implILS5_6ELb0ES3_mN6thrust23THRUST_200600_302600_NS10device_ptrIiEEPS6_SD_NS0_5tupleIJSC_S6_EEENSE_IJSD_SD_EEES6_PlJ7is_evenIiEEEE10hipError_tPvRmT3_T4_T5_T6_T7_T9_mT8_P12ihipStream_tbDpT10_ENKUlT_T0_E_clISt17integral_constantIbLb1EES13_EEDaSY_SZ_EUlSY_E_NS1_11comp_targetILNS1_3genE9ELNS1_11target_archE1100ELNS1_3gpuE3ELNS1_3repE0EEENS1_30default_config_static_selectorELNS0_4arch9wavefront6targetE0EEEvT1_
                                        ; -- End function
	.section	.AMDGPU.csdata,"",@progbits
; Kernel info:
; codeLenInByte = 8684
; NumSgprs: 22
; NumVgprs: 76
; ScratchSize: 0
; MemoryBound: 0
; FloatMode: 240
; IeeeMode: 1
; LDSByteSize: 7184 bytes/workgroup (compile time only)
; SGPRBlocks: 2
; VGPRBlocks: 9
; NumSGPRsForWavesPerEU: 22
; NumVGPRsForWavesPerEU: 76
; Occupancy: 16
; WaveLimiterHint : 1
; COMPUTE_PGM_RSRC2:SCRATCH_EN: 0
; COMPUTE_PGM_RSRC2:USER_SGPR: 15
; COMPUTE_PGM_RSRC2:TRAP_HANDLER: 0
; COMPUTE_PGM_RSRC2:TGID_X_EN: 1
; COMPUTE_PGM_RSRC2:TGID_Y_EN: 0
; COMPUTE_PGM_RSRC2:TGID_Z_EN: 0
; COMPUTE_PGM_RSRC2:TIDIG_COMP_CNT: 0
	.section	.text._ZN7rocprim17ROCPRIM_400000_NS6detail17trampoline_kernelINS0_14default_configENS1_25partition_config_selectorILNS1_17partition_subalgoE6EiNS0_10empty_typeEbEEZZNS1_14partition_implILS5_6ELb0ES3_mN6thrust23THRUST_200600_302600_NS10device_ptrIiEEPS6_SD_NS0_5tupleIJSC_S6_EEENSE_IJSD_SD_EEES6_PlJ7is_evenIiEEEE10hipError_tPvRmT3_T4_T5_T6_T7_T9_mT8_P12ihipStream_tbDpT10_ENKUlT_T0_E_clISt17integral_constantIbLb1EES13_EEDaSY_SZ_EUlSY_E_NS1_11comp_targetILNS1_3genE8ELNS1_11target_archE1030ELNS1_3gpuE2ELNS1_3repE0EEENS1_30default_config_static_selectorELNS0_4arch9wavefront6targetE0EEEvT1_,"axG",@progbits,_ZN7rocprim17ROCPRIM_400000_NS6detail17trampoline_kernelINS0_14default_configENS1_25partition_config_selectorILNS1_17partition_subalgoE6EiNS0_10empty_typeEbEEZZNS1_14partition_implILS5_6ELb0ES3_mN6thrust23THRUST_200600_302600_NS10device_ptrIiEEPS6_SD_NS0_5tupleIJSC_S6_EEENSE_IJSD_SD_EEES6_PlJ7is_evenIiEEEE10hipError_tPvRmT3_T4_T5_T6_T7_T9_mT8_P12ihipStream_tbDpT10_ENKUlT_T0_E_clISt17integral_constantIbLb1EES13_EEDaSY_SZ_EUlSY_E_NS1_11comp_targetILNS1_3genE8ELNS1_11target_archE1030ELNS1_3gpuE2ELNS1_3repE0EEENS1_30default_config_static_selectorELNS0_4arch9wavefront6targetE0EEEvT1_,comdat
	.protected	_ZN7rocprim17ROCPRIM_400000_NS6detail17trampoline_kernelINS0_14default_configENS1_25partition_config_selectorILNS1_17partition_subalgoE6EiNS0_10empty_typeEbEEZZNS1_14partition_implILS5_6ELb0ES3_mN6thrust23THRUST_200600_302600_NS10device_ptrIiEEPS6_SD_NS0_5tupleIJSC_S6_EEENSE_IJSD_SD_EEES6_PlJ7is_evenIiEEEE10hipError_tPvRmT3_T4_T5_T6_T7_T9_mT8_P12ihipStream_tbDpT10_ENKUlT_T0_E_clISt17integral_constantIbLb1EES13_EEDaSY_SZ_EUlSY_E_NS1_11comp_targetILNS1_3genE8ELNS1_11target_archE1030ELNS1_3gpuE2ELNS1_3repE0EEENS1_30default_config_static_selectorELNS0_4arch9wavefront6targetE0EEEvT1_ ; -- Begin function _ZN7rocprim17ROCPRIM_400000_NS6detail17trampoline_kernelINS0_14default_configENS1_25partition_config_selectorILNS1_17partition_subalgoE6EiNS0_10empty_typeEbEEZZNS1_14partition_implILS5_6ELb0ES3_mN6thrust23THRUST_200600_302600_NS10device_ptrIiEEPS6_SD_NS0_5tupleIJSC_S6_EEENSE_IJSD_SD_EEES6_PlJ7is_evenIiEEEE10hipError_tPvRmT3_T4_T5_T6_T7_T9_mT8_P12ihipStream_tbDpT10_ENKUlT_T0_E_clISt17integral_constantIbLb1EES13_EEDaSY_SZ_EUlSY_E_NS1_11comp_targetILNS1_3genE8ELNS1_11target_archE1030ELNS1_3gpuE2ELNS1_3repE0EEENS1_30default_config_static_selectorELNS0_4arch9wavefront6targetE0EEEvT1_
	.globl	_ZN7rocprim17ROCPRIM_400000_NS6detail17trampoline_kernelINS0_14default_configENS1_25partition_config_selectorILNS1_17partition_subalgoE6EiNS0_10empty_typeEbEEZZNS1_14partition_implILS5_6ELb0ES3_mN6thrust23THRUST_200600_302600_NS10device_ptrIiEEPS6_SD_NS0_5tupleIJSC_S6_EEENSE_IJSD_SD_EEES6_PlJ7is_evenIiEEEE10hipError_tPvRmT3_T4_T5_T6_T7_T9_mT8_P12ihipStream_tbDpT10_ENKUlT_T0_E_clISt17integral_constantIbLb1EES13_EEDaSY_SZ_EUlSY_E_NS1_11comp_targetILNS1_3genE8ELNS1_11target_archE1030ELNS1_3gpuE2ELNS1_3repE0EEENS1_30default_config_static_selectorELNS0_4arch9wavefront6targetE0EEEvT1_
	.p2align	8
	.type	_ZN7rocprim17ROCPRIM_400000_NS6detail17trampoline_kernelINS0_14default_configENS1_25partition_config_selectorILNS1_17partition_subalgoE6EiNS0_10empty_typeEbEEZZNS1_14partition_implILS5_6ELb0ES3_mN6thrust23THRUST_200600_302600_NS10device_ptrIiEEPS6_SD_NS0_5tupleIJSC_S6_EEENSE_IJSD_SD_EEES6_PlJ7is_evenIiEEEE10hipError_tPvRmT3_T4_T5_T6_T7_T9_mT8_P12ihipStream_tbDpT10_ENKUlT_T0_E_clISt17integral_constantIbLb1EES13_EEDaSY_SZ_EUlSY_E_NS1_11comp_targetILNS1_3genE8ELNS1_11target_archE1030ELNS1_3gpuE2ELNS1_3repE0EEENS1_30default_config_static_selectorELNS0_4arch9wavefront6targetE0EEEvT1_,@function
_ZN7rocprim17ROCPRIM_400000_NS6detail17trampoline_kernelINS0_14default_configENS1_25partition_config_selectorILNS1_17partition_subalgoE6EiNS0_10empty_typeEbEEZZNS1_14partition_implILS5_6ELb0ES3_mN6thrust23THRUST_200600_302600_NS10device_ptrIiEEPS6_SD_NS0_5tupleIJSC_S6_EEENSE_IJSD_SD_EEES6_PlJ7is_evenIiEEEE10hipError_tPvRmT3_T4_T5_T6_T7_T9_mT8_P12ihipStream_tbDpT10_ENKUlT_T0_E_clISt17integral_constantIbLb1EES13_EEDaSY_SZ_EUlSY_E_NS1_11comp_targetILNS1_3genE8ELNS1_11target_archE1030ELNS1_3gpuE2ELNS1_3repE0EEENS1_30default_config_static_selectorELNS0_4arch9wavefront6targetE0EEEvT1_: ; @_ZN7rocprim17ROCPRIM_400000_NS6detail17trampoline_kernelINS0_14default_configENS1_25partition_config_selectorILNS1_17partition_subalgoE6EiNS0_10empty_typeEbEEZZNS1_14partition_implILS5_6ELb0ES3_mN6thrust23THRUST_200600_302600_NS10device_ptrIiEEPS6_SD_NS0_5tupleIJSC_S6_EEENSE_IJSD_SD_EEES6_PlJ7is_evenIiEEEE10hipError_tPvRmT3_T4_T5_T6_T7_T9_mT8_P12ihipStream_tbDpT10_ENKUlT_T0_E_clISt17integral_constantIbLb1EES13_EEDaSY_SZ_EUlSY_E_NS1_11comp_targetILNS1_3genE8ELNS1_11target_archE1030ELNS1_3gpuE2ELNS1_3repE0EEENS1_30default_config_static_selectorELNS0_4arch9wavefront6targetE0EEEvT1_
; %bb.0:
	.section	.rodata,"a",@progbits
	.p2align	6, 0x0
	.amdhsa_kernel _ZN7rocprim17ROCPRIM_400000_NS6detail17trampoline_kernelINS0_14default_configENS1_25partition_config_selectorILNS1_17partition_subalgoE6EiNS0_10empty_typeEbEEZZNS1_14partition_implILS5_6ELb0ES3_mN6thrust23THRUST_200600_302600_NS10device_ptrIiEEPS6_SD_NS0_5tupleIJSC_S6_EEENSE_IJSD_SD_EEES6_PlJ7is_evenIiEEEE10hipError_tPvRmT3_T4_T5_T6_T7_T9_mT8_P12ihipStream_tbDpT10_ENKUlT_T0_E_clISt17integral_constantIbLb1EES13_EEDaSY_SZ_EUlSY_E_NS1_11comp_targetILNS1_3genE8ELNS1_11target_archE1030ELNS1_3gpuE2ELNS1_3repE0EEENS1_30default_config_static_selectorELNS0_4arch9wavefront6targetE0EEEvT1_
		.amdhsa_group_segment_fixed_size 0
		.amdhsa_private_segment_fixed_size 0
		.amdhsa_kernarg_size 128
		.amdhsa_user_sgpr_count 15
		.amdhsa_user_sgpr_dispatch_ptr 0
		.amdhsa_user_sgpr_queue_ptr 0
		.amdhsa_user_sgpr_kernarg_segment_ptr 1
		.amdhsa_user_sgpr_dispatch_id 0
		.amdhsa_user_sgpr_private_segment_size 0
		.amdhsa_wavefront_size32 1
		.amdhsa_uses_dynamic_stack 0
		.amdhsa_enable_private_segment 0
		.amdhsa_system_sgpr_workgroup_id_x 1
		.amdhsa_system_sgpr_workgroup_id_y 0
		.amdhsa_system_sgpr_workgroup_id_z 0
		.amdhsa_system_sgpr_workgroup_info 0
		.amdhsa_system_vgpr_workitem_id 0
		.amdhsa_next_free_vgpr 1
		.amdhsa_next_free_sgpr 1
		.amdhsa_reserve_vcc 0
		.amdhsa_float_round_mode_32 0
		.amdhsa_float_round_mode_16_64 0
		.amdhsa_float_denorm_mode_32 3
		.amdhsa_float_denorm_mode_16_64 3
		.amdhsa_dx10_clamp 1
		.amdhsa_ieee_mode 1
		.amdhsa_fp16_overflow 0
		.amdhsa_workgroup_processor_mode 1
		.amdhsa_memory_ordered 1
		.amdhsa_forward_progress 0
		.amdhsa_shared_vgpr_count 0
		.amdhsa_exception_fp_ieee_invalid_op 0
		.amdhsa_exception_fp_denorm_src 0
		.amdhsa_exception_fp_ieee_div_zero 0
		.amdhsa_exception_fp_ieee_overflow 0
		.amdhsa_exception_fp_ieee_underflow 0
		.amdhsa_exception_fp_ieee_inexact 0
		.amdhsa_exception_int_div_zero 0
	.end_amdhsa_kernel
	.section	.text._ZN7rocprim17ROCPRIM_400000_NS6detail17trampoline_kernelINS0_14default_configENS1_25partition_config_selectorILNS1_17partition_subalgoE6EiNS0_10empty_typeEbEEZZNS1_14partition_implILS5_6ELb0ES3_mN6thrust23THRUST_200600_302600_NS10device_ptrIiEEPS6_SD_NS0_5tupleIJSC_S6_EEENSE_IJSD_SD_EEES6_PlJ7is_evenIiEEEE10hipError_tPvRmT3_T4_T5_T6_T7_T9_mT8_P12ihipStream_tbDpT10_ENKUlT_T0_E_clISt17integral_constantIbLb1EES13_EEDaSY_SZ_EUlSY_E_NS1_11comp_targetILNS1_3genE8ELNS1_11target_archE1030ELNS1_3gpuE2ELNS1_3repE0EEENS1_30default_config_static_selectorELNS0_4arch9wavefront6targetE0EEEvT1_,"axG",@progbits,_ZN7rocprim17ROCPRIM_400000_NS6detail17trampoline_kernelINS0_14default_configENS1_25partition_config_selectorILNS1_17partition_subalgoE6EiNS0_10empty_typeEbEEZZNS1_14partition_implILS5_6ELb0ES3_mN6thrust23THRUST_200600_302600_NS10device_ptrIiEEPS6_SD_NS0_5tupleIJSC_S6_EEENSE_IJSD_SD_EEES6_PlJ7is_evenIiEEEE10hipError_tPvRmT3_T4_T5_T6_T7_T9_mT8_P12ihipStream_tbDpT10_ENKUlT_T0_E_clISt17integral_constantIbLb1EES13_EEDaSY_SZ_EUlSY_E_NS1_11comp_targetILNS1_3genE8ELNS1_11target_archE1030ELNS1_3gpuE2ELNS1_3repE0EEENS1_30default_config_static_selectorELNS0_4arch9wavefront6targetE0EEEvT1_,comdat
.Lfunc_end911:
	.size	_ZN7rocprim17ROCPRIM_400000_NS6detail17trampoline_kernelINS0_14default_configENS1_25partition_config_selectorILNS1_17partition_subalgoE6EiNS0_10empty_typeEbEEZZNS1_14partition_implILS5_6ELb0ES3_mN6thrust23THRUST_200600_302600_NS10device_ptrIiEEPS6_SD_NS0_5tupleIJSC_S6_EEENSE_IJSD_SD_EEES6_PlJ7is_evenIiEEEE10hipError_tPvRmT3_T4_T5_T6_T7_T9_mT8_P12ihipStream_tbDpT10_ENKUlT_T0_E_clISt17integral_constantIbLb1EES13_EEDaSY_SZ_EUlSY_E_NS1_11comp_targetILNS1_3genE8ELNS1_11target_archE1030ELNS1_3gpuE2ELNS1_3repE0EEENS1_30default_config_static_selectorELNS0_4arch9wavefront6targetE0EEEvT1_, .Lfunc_end911-_ZN7rocprim17ROCPRIM_400000_NS6detail17trampoline_kernelINS0_14default_configENS1_25partition_config_selectorILNS1_17partition_subalgoE6EiNS0_10empty_typeEbEEZZNS1_14partition_implILS5_6ELb0ES3_mN6thrust23THRUST_200600_302600_NS10device_ptrIiEEPS6_SD_NS0_5tupleIJSC_S6_EEENSE_IJSD_SD_EEES6_PlJ7is_evenIiEEEE10hipError_tPvRmT3_T4_T5_T6_T7_T9_mT8_P12ihipStream_tbDpT10_ENKUlT_T0_E_clISt17integral_constantIbLb1EES13_EEDaSY_SZ_EUlSY_E_NS1_11comp_targetILNS1_3genE8ELNS1_11target_archE1030ELNS1_3gpuE2ELNS1_3repE0EEENS1_30default_config_static_selectorELNS0_4arch9wavefront6targetE0EEEvT1_
                                        ; -- End function
	.section	.AMDGPU.csdata,"",@progbits
; Kernel info:
; codeLenInByte = 0
; NumSgprs: 0
; NumVgprs: 0
; ScratchSize: 0
; MemoryBound: 0
; FloatMode: 240
; IeeeMode: 1
; LDSByteSize: 0 bytes/workgroup (compile time only)
; SGPRBlocks: 0
; VGPRBlocks: 0
; NumSGPRsForWavesPerEU: 1
; NumVGPRsForWavesPerEU: 1
; Occupancy: 16
; WaveLimiterHint : 0
; COMPUTE_PGM_RSRC2:SCRATCH_EN: 0
; COMPUTE_PGM_RSRC2:USER_SGPR: 15
; COMPUTE_PGM_RSRC2:TRAP_HANDLER: 0
; COMPUTE_PGM_RSRC2:TGID_X_EN: 1
; COMPUTE_PGM_RSRC2:TGID_Y_EN: 0
; COMPUTE_PGM_RSRC2:TGID_Z_EN: 0
; COMPUTE_PGM_RSRC2:TIDIG_COMP_CNT: 0
	.section	.text._ZN7rocprim17ROCPRIM_400000_NS6detail17trampoline_kernelINS0_14default_configENS1_25partition_config_selectorILNS1_17partition_subalgoE6EiNS0_10empty_typeEbEEZZNS1_14partition_implILS5_6ELb0ES3_mN6thrust23THRUST_200600_302600_NS10device_ptrIiEEPS6_SD_NS0_5tupleIJSC_S6_EEENSE_IJSD_SD_EEES6_PlJ7is_evenIiEEEE10hipError_tPvRmT3_T4_T5_T6_T7_T9_mT8_P12ihipStream_tbDpT10_ENKUlT_T0_E_clISt17integral_constantIbLb1EES12_IbLb0EEEEDaSY_SZ_EUlSY_E_NS1_11comp_targetILNS1_3genE0ELNS1_11target_archE4294967295ELNS1_3gpuE0ELNS1_3repE0EEENS1_30default_config_static_selectorELNS0_4arch9wavefront6targetE0EEEvT1_,"axG",@progbits,_ZN7rocprim17ROCPRIM_400000_NS6detail17trampoline_kernelINS0_14default_configENS1_25partition_config_selectorILNS1_17partition_subalgoE6EiNS0_10empty_typeEbEEZZNS1_14partition_implILS5_6ELb0ES3_mN6thrust23THRUST_200600_302600_NS10device_ptrIiEEPS6_SD_NS0_5tupleIJSC_S6_EEENSE_IJSD_SD_EEES6_PlJ7is_evenIiEEEE10hipError_tPvRmT3_T4_T5_T6_T7_T9_mT8_P12ihipStream_tbDpT10_ENKUlT_T0_E_clISt17integral_constantIbLb1EES12_IbLb0EEEEDaSY_SZ_EUlSY_E_NS1_11comp_targetILNS1_3genE0ELNS1_11target_archE4294967295ELNS1_3gpuE0ELNS1_3repE0EEENS1_30default_config_static_selectorELNS0_4arch9wavefront6targetE0EEEvT1_,comdat
	.protected	_ZN7rocprim17ROCPRIM_400000_NS6detail17trampoline_kernelINS0_14default_configENS1_25partition_config_selectorILNS1_17partition_subalgoE6EiNS0_10empty_typeEbEEZZNS1_14partition_implILS5_6ELb0ES3_mN6thrust23THRUST_200600_302600_NS10device_ptrIiEEPS6_SD_NS0_5tupleIJSC_S6_EEENSE_IJSD_SD_EEES6_PlJ7is_evenIiEEEE10hipError_tPvRmT3_T4_T5_T6_T7_T9_mT8_P12ihipStream_tbDpT10_ENKUlT_T0_E_clISt17integral_constantIbLb1EES12_IbLb0EEEEDaSY_SZ_EUlSY_E_NS1_11comp_targetILNS1_3genE0ELNS1_11target_archE4294967295ELNS1_3gpuE0ELNS1_3repE0EEENS1_30default_config_static_selectorELNS0_4arch9wavefront6targetE0EEEvT1_ ; -- Begin function _ZN7rocprim17ROCPRIM_400000_NS6detail17trampoline_kernelINS0_14default_configENS1_25partition_config_selectorILNS1_17partition_subalgoE6EiNS0_10empty_typeEbEEZZNS1_14partition_implILS5_6ELb0ES3_mN6thrust23THRUST_200600_302600_NS10device_ptrIiEEPS6_SD_NS0_5tupleIJSC_S6_EEENSE_IJSD_SD_EEES6_PlJ7is_evenIiEEEE10hipError_tPvRmT3_T4_T5_T6_T7_T9_mT8_P12ihipStream_tbDpT10_ENKUlT_T0_E_clISt17integral_constantIbLb1EES12_IbLb0EEEEDaSY_SZ_EUlSY_E_NS1_11comp_targetILNS1_3genE0ELNS1_11target_archE4294967295ELNS1_3gpuE0ELNS1_3repE0EEENS1_30default_config_static_selectorELNS0_4arch9wavefront6targetE0EEEvT1_
	.globl	_ZN7rocprim17ROCPRIM_400000_NS6detail17trampoline_kernelINS0_14default_configENS1_25partition_config_selectorILNS1_17partition_subalgoE6EiNS0_10empty_typeEbEEZZNS1_14partition_implILS5_6ELb0ES3_mN6thrust23THRUST_200600_302600_NS10device_ptrIiEEPS6_SD_NS0_5tupleIJSC_S6_EEENSE_IJSD_SD_EEES6_PlJ7is_evenIiEEEE10hipError_tPvRmT3_T4_T5_T6_T7_T9_mT8_P12ihipStream_tbDpT10_ENKUlT_T0_E_clISt17integral_constantIbLb1EES12_IbLb0EEEEDaSY_SZ_EUlSY_E_NS1_11comp_targetILNS1_3genE0ELNS1_11target_archE4294967295ELNS1_3gpuE0ELNS1_3repE0EEENS1_30default_config_static_selectorELNS0_4arch9wavefront6targetE0EEEvT1_
	.p2align	8
	.type	_ZN7rocprim17ROCPRIM_400000_NS6detail17trampoline_kernelINS0_14default_configENS1_25partition_config_selectorILNS1_17partition_subalgoE6EiNS0_10empty_typeEbEEZZNS1_14partition_implILS5_6ELb0ES3_mN6thrust23THRUST_200600_302600_NS10device_ptrIiEEPS6_SD_NS0_5tupleIJSC_S6_EEENSE_IJSD_SD_EEES6_PlJ7is_evenIiEEEE10hipError_tPvRmT3_T4_T5_T6_T7_T9_mT8_P12ihipStream_tbDpT10_ENKUlT_T0_E_clISt17integral_constantIbLb1EES12_IbLb0EEEEDaSY_SZ_EUlSY_E_NS1_11comp_targetILNS1_3genE0ELNS1_11target_archE4294967295ELNS1_3gpuE0ELNS1_3repE0EEENS1_30default_config_static_selectorELNS0_4arch9wavefront6targetE0EEEvT1_,@function
_ZN7rocprim17ROCPRIM_400000_NS6detail17trampoline_kernelINS0_14default_configENS1_25partition_config_selectorILNS1_17partition_subalgoE6EiNS0_10empty_typeEbEEZZNS1_14partition_implILS5_6ELb0ES3_mN6thrust23THRUST_200600_302600_NS10device_ptrIiEEPS6_SD_NS0_5tupleIJSC_S6_EEENSE_IJSD_SD_EEES6_PlJ7is_evenIiEEEE10hipError_tPvRmT3_T4_T5_T6_T7_T9_mT8_P12ihipStream_tbDpT10_ENKUlT_T0_E_clISt17integral_constantIbLb1EES12_IbLb0EEEEDaSY_SZ_EUlSY_E_NS1_11comp_targetILNS1_3genE0ELNS1_11target_archE4294967295ELNS1_3gpuE0ELNS1_3repE0EEENS1_30default_config_static_selectorELNS0_4arch9wavefront6targetE0EEEvT1_: ; @_ZN7rocprim17ROCPRIM_400000_NS6detail17trampoline_kernelINS0_14default_configENS1_25partition_config_selectorILNS1_17partition_subalgoE6EiNS0_10empty_typeEbEEZZNS1_14partition_implILS5_6ELb0ES3_mN6thrust23THRUST_200600_302600_NS10device_ptrIiEEPS6_SD_NS0_5tupleIJSC_S6_EEENSE_IJSD_SD_EEES6_PlJ7is_evenIiEEEE10hipError_tPvRmT3_T4_T5_T6_T7_T9_mT8_P12ihipStream_tbDpT10_ENKUlT_T0_E_clISt17integral_constantIbLb1EES12_IbLb0EEEEDaSY_SZ_EUlSY_E_NS1_11comp_targetILNS1_3genE0ELNS1_11target_archE4294967295ELNS1_3gpuE0ELNS1_3repE0EEENS1_30default_config_static_selectorELNS0_4arch9wavefront6targetE0EEEvT1_
; %bb.0:
	.section	.rodata,"a",@progbits
	.p2align	6, 0x0
	.amdhsa_kernel _ZN7rocprim17ROCPRIM_400000_NS6detail17trampoline_kernelINS0_14default_configENS1_25partition_config_selectorILNS1_17partition_subalgoE6EiNS0_10empty_typeEbEEZZNS1_14partition_implILS5_6ELb0ES3_mN6thrust23THRUST_200600_302600_NS10device_ptrIiEEPS6_SD_NS0_5tupleIJSC_S6_EEENSE_IJSD_SD_EEES6_PlJ7is_evenIiEEEE10hipError_tPvRmT3_T4_T5_T6_T7_T9_mT8_P12ihipStream_tbDpT10_ENKUlT_T0_E_clISt17integral_constantIbLb1EES12_IbLb0EEEEDaSY_SZ_EUlSY_E_NS1_11comp_targetILNS1_3genE0ELNS1_11target_archE4294967295ELNS1_3gpuE0ELNS1_3repE0EEENS1_30default_config_static_selectorELNS0_4arch9wavefront6targetE0EEEvT1_
		.amdhsa_group_segment_fixed_size 0
		.amdhsa_private_segment_fixed_size 0
		.amdhsa_kernarg_size 112
		.amdhsa_user_sgpr_count 15
		.amdhsa_user_sgpr_dispatch_ptr 0
		.amdhsa_user_sgpr_queue_ptr 0
		.amdhsa_user_sgpr_kernarg_segment_ptr 1
		.amdhsa_user_sgpr_dispatch_id 0
		.amdhsa_user_sgpr_private_segment_size 0
		.amdhsa_wavefront_size32 1
		.amdhsa_uses_dynamic_stack 0
		.amdhsa_enable_private_segment 0
		.amdhsa_system_sgpr_workgroup_id_x 1
		.amdhsa_system_sgpr_workgroup_id_y 0
		.amdhsa_system_sgpr_workgroup_id_z 0
		.amdhsa_system_sgpr_workgroup_info 0
		.amdhsa_system_vgpr_workitem_id 0
		.amdhsa_next_free_vgpr 1
		.amdhsa_next_free_sgpr 1
		.amdhsa_reserve_vcc 0
		.amdhsa_float_round_mode_32 0
		.amdhsa_float_round_mode_16_64 0
		.amdhsa_float_denorm_mode_32 3
		.amdhsa_float_denorm_mode_16_64 3
		.amdhsa_dx10_clamp 1
		.amdhsa_ieee_mode 1
		.amdhsa_fp16_overflow 0
		.amdhsa_workgroup_processor_mode 1
		.amdhsa_memory_ordered 1
		.amdhsa_forward_progress 0
		.amdhsa_shared_vgpr_count 0
		.amdhsa_exception_fp_ieee_invalid_op 0
		.amdhsa_exception_fp_denorm_src 0
		.amdhsa_exception_fp_ieee_div_zero 0
		.amdhsa_exception_fp_ieee_overflow 0
		.amdhsa_exception_fp_ieee_underflow 0
		.amdhsa_exception_fp_ieee_inexact 0
		.amdhsa_exception_int_div_zero 0
	.end_amdhsa_kernel
	.section	.text._ZN7rocprim17ROCPRIM_400000_NS6detail17trampoline_kernelINS0_14default_configENS1_25partition_config_selectorILNS1_17partition_subalgoE6EiNS0_10empty_typeEbEEZZNS1_14partition_implILS5_6ELb0ES3_mN6thrust23THRUST_200600_302600_NS10device_ptrIiEEPS6_SD_NS0_5tupleIJSC_S6_EEENSE_IJSD_SD_EEES6_PlJ7is_evenIiEEEE10hipError_tPvRmT3_T4_T5_T6_T7_T9_mT8_P12ihipStream_tbDpT10_ENKUlT_T0_E_clISt17integral_constantIbLb1EES12_IbLb0EEEEDaSY_SZ_EUlSY_E_NS1_11comp_targetILNS1_3genE0ELNS1_11target_archE4294967295ELNS1_3gpuE0ELNS1_3repE0EEENS1_30default_config_static_selectorELNS0_4arch9wavefront6targetE0EEEvT1_,"axG",@progbits,_ZN7rocprim17ROCPRIM_400000_NS6detail17trampoline_kernelINS0_14default_configENS1_25partition_config_selectorILNS1_17partition_subalgoE6EiNS0_10empty_typeEbEEZZNS1_14partition_implILS5_6ELb0ES3_mN6thrust23THRUST_200600_302600_NS10device_ptrIiEEPS6_SD_NS0_5tupleIJSC_S6_EEENSE_IJSD_SD_EEES6_PlJ7is_evenIiEEEE10hipError_tPvRmT3_T4_T5_T6_T7_T9_mT8_P12ihipStream_tbDpT10_ENKUlT_T0_E_clISt17integral_constantIbLb1EES12_IbLb0EEEEDaSY_SZ_EUlSY_E_NS1_11comp_targetILNS1_3genE0ELNS1_11target_archE4294967295ELNS1_3gpuE0ELNS1_3repE0EEENS1_30default_config_static_selectorELNS0_4arch9wavefront6targetE0EEEvT1_,comdat
.Lfunc_end912:
	.size	_ZN7rocprim17ROCPRIM_400000_NS6detail17trampoline_kernelINS0_14default_configENS1_25partition_config_selectorILNS1_17partition_subalgoE6EiNS0_10empty_typeEbEEZZNS1_14partition_implILS5_6ELb0ES3_mN6thrust23THRUST_200600_302600_NS10device_ptrIiEEPS6_SD_NS0_5tupleIJSC_S6_EEENSE_IJSD_SD_EEES6_PlJ7is_evenIiEEEE10hipError_tPvRmT3_T4_T5_T6_T7_T9_mT8_P12ihipStream_tbDpT10_ENKUlT_T0_E_clISt17integral_constantIbLb1EES12_IbLb0EEEEDaSY_SZ_EUlSY_E_NS1_11comp_targetILNS1_3genE0ELNS1_11target_archE4294967295ELNS1_3gpuE0ELNS1_3repE0EEENS1_30default_config_static_selectorELNS0_4arch9wavefront6targetE0EEEvT1_, .Lfunc_end912-_ZN7rocprim17ROCPRIM_400000_NS6detail17trampoline_kernelINS0_14default_configENS1_25partition_config_selectorILNS1_17partition_subalgoE6EiNS0_10empty_typeEbEEZZNS1_14partition_implILS5_6ELb0ES3_mN6thrust23THRUST_200600_302600_NS10device_ptrIiEEPS6_SD_NS0_5tupleIJSC_S6_EEENSE_IJSD_SD_EEES6_PlJ7is_evenIiEEEE10hipError_tPvRmT3_T4_T5_T6_T7_T9_mT8_P12ihipStream_tbDpT10_ENKUlT_T0_E_clISt17integral_constantIbLb1EES12_IbLb0EEEEDaSY_SZ_EUlSY_E_NS1_11comp_targetILNS1_3genE0ELNS1_11target_archE4294967295ELNS1_3gpuE0ELNS1_3repE0EEENS1_30default_config_static_selectorELNS0_4arch9wavefront6targetE0EEEvT1_
                                        ; -- End function
	.section	.AMDGPU.csdata,"",@progbits
; Kernel info:
; codeLenInByte = 0
; NumSgprs: 0
; NumVgprs: 0
; ScratchSize: 0
; MemoryBound: 0
; FloatMode: 240
; IeeeMode: 1
; LDSByteSize: 0 bytes/workgroup (compile time only)
; SGPRBlocks: 0
; VGPRBlocks: 0
; NumSGPRsForWavesPerEU: 1
; NumVGPRsForWavesPerEU: 1
; Occupancy: 16
; WaveLimiterHint : 0
; COMPUTE_PGM_RSRC2:SCRATCH_EN: 0
; COMPUTE_PGM_RSRC2:USER_SGPR: 15
; COMPUTE_PGM_RSRC2:TRAP_HANDLER: 0
; COMPUTE_PGM_RSRC2:TGID_X_EN: 1
; COMPUTE_PGM_RSRC2:TGID_Y_EN: 0
; COMPUTE_PGM_RSRC2:TGID_Z_EN: 0
; COMPUTE_PGM_RSRC2:TIDIG_COMP_CNT: 0
	.section	.text._ZN7rocprim17ROCPRIM_400000_NS6detail17trampoline_kernelINS0_14default_configENS1_25partition_config_selectorILNS1_17partition_subalgoE6EiNS0_10empty_typeEbEEZZNS1_14partition_implILS5_6ELb0ES3_mN6thrust23THRUST_200600_302600_NS10device_ptrIiEEPS6_SD_NS0_5tupleIJSC_S6_EEENSE_IJSD_SD_EEES6_PlJ7is_evenIiEEEE10hipError_tPvRmT3_T4_T5_T6_T7_T9_mT8_P12ihipStream_tbDpT10_ENKUlT_T0_E_clISt17integral_constantIbLb1EES12_IbLb0EEEEDaSY_SZ_EUlSY_E_NS1_11comp_targetILNS1_3genE5ELNS1_11target_archE942ELNS1_3gpuE9ELNS1_3repE0EEENS1_30default_config_static_selectorELNS0_4arch9wavefront6targetE0EEEvT1_,"axG",@progbits,_ZN7rocprim17ROCPRIM_400000_NS6detail17trampoline_kernelINS0_14default_configENS1_25partition_config_selectorILNS1_17partition_subalgoE6EiNS0_10empty_typeEbEEZZNS1_14partition_implILS5_6ELb0ES3_mN6thrust23THRUST_200600_302600_NS10device_ptrIiEEPS6_SD_NS0_5tupleIJSC_S6_EEENSE_IJSD_SD_EEES6_PlJ7is_evenIiEEEE10hipError_tPvRmT3_T4_T5_T6_T7_T9_mT8_P12ihipStream_tbDpT10_ENKUlT_T0_E_clISt17integral_constantIbLb1EES12_IbLb0EEEEDaSY_SZ_EUlSY_E_NS1_11comp_targetILNS1_3genE5ELNS1_11target_archE942ELNS1_3gpuE9ELNS1_3repE0EEENS1_30default_config_static_selectorELNS0_4arch9wavefront6targetE0EEEvT1_,comdat
	.protected	_ZN7rocprim17ROCPRIM_400000_NS6detail17trampoline_kernelINS0_14default_configENS1_25partition_config_selectorILNS1_17partition_subalgoE6EiNS0_10empty_typeEbEEZZNS1_14partition_implILS5_6ELb0ES3_mN6thrust23THRUST_200600_302600_NS10device_ptrIiEEPS6_SD_NS0_5tupleIJSC_S6_EEENSE_IJSD_SD_EEES6_PlJ7is_evenIiEEEE10hipError_tPvRmT3_T4_T5_T6_T7_T9_mT8_P12ihipStream_tbDpT10_ENKUlT_T0_E_clISt17integral_constantIbLb1EES12_IbLb0EEEEDaSY_SZ_EUlSY_E_NS1_11comp_targetILNS1_3genE5ELNS1_11target_archE942ELNS1_3gpuE9ELNS1_3repE0EEENS1_30default_config_static_selectorELNS0_4arch9wavefront6targetE0EEEvT1_ ; -- Begin function _ZN7rocprim17ROCPRIM_400000_NS6detail17trampoline_kernelINS0_14default_configENS1_25partition_config_selectorILNS1_17partition_subalgoE6EiNS0_10empty_typeEbEEZZNS1_14partition_implILS5_6ELb0ES3_mN6thrust23THRUST_200600_302600_NS10device_ptrIiEEPS6_SD_NS0_5tupleIJSC_S6_EEENSE_IJSD_SD_EEES6_PlJ7is_evenIiEEEE10hipError_tPvRmT3_T4_T5_T6_T7_T9_mT8_P12ihipStream_tbDpT10_ENKUlT_T0_E_clISt17integral_constantIbLb1EES12_IbLb0EEEEDaSY_SZ_EUlSY_E_NS1_11comp_targetILNS1_3genE5ELNS1_11target_archE942ELNS1_3gpuE9ELNS1_3repE0EEENS1_30default_config_static_selectorELNS0_4arch9wavefront6targetE0EEEvT1_
	.globl	_ZN7rocprim17ROCPRIM_400000_NS6detail17trampoline_kernelINS0_14default_configENS1_25partition_config_selectorILNS1_17partition_subalgoE6EiNS0_10empty_typeEbEEZZNS1_14partition_implILS5_6ELb0ES3_mN6thrust23THRUST_200600_302600_NS10device_ptrIiEEPS6_SD_NS0_5tupleIJSC_S6_EEENSE_IJSD_SD_EEES6_PlJ7is_evenIiEEEE10hipError_tPvRmT3_T4_T5_T6_T7_T9_mT8_P12ihipStream_tbDpT10_ENKUlT_T0_E_clISt17integral_constantIbLb1EES12_IbLb0EEEEDaSY_SZ_EUlSY_E_NS1_11comp_targetILNS1_3genE5ELNS1_11target_archE942ELNS1_3gpuE9ELNS1_3repE0EEENS1_30default_config_static_selectorELNS0_4arch9wavefront6targetE0EEEvT1_
	.p2align	8
	.type	_ZN7rocprim17ROCPRIM_400000_NS6detail17trampoline_kernelINS0_14default_configENS1_25partition_config_selectorILNS1_17partition_subalgoE6EiNS0_10empty_typeEbEEZZNS1_14partition_implILS5_6ELb0ES3_mN6thrust23THRUST_200600_302600_NS10device_ptrIiEEPS6_SD_NS0_5tupleIJSC_S6_EEENSE_IJSD_SD_EEES6_PlJ7is_evenIiEEEE10hipError_tPvRmT3_T4_T5_T6_T7_T9_mT8_P12ihipStream_tbDpT10_ENKUlT_T0_E_clISt17integral_constantIbLb1EES12_IbLb0EEEEDaSY_SZ_EUlSY_E_NS1_11comp_targetILNS1_3genE5ELNS1_11target_archE942ELNS1_3gpuE9ELNS1_3repE0EEENS1_30default_config_static_selectorELNS0_4arch9wavefront6targetE0EEEvT1_,@function
_ZN7rocprim17ROCPRIM_400000_NS6detail17trampoline_kernelINS0_14default_configENS1_25partition_config_selectorILNS1_17partition_subalgoE6EiNS0_10empty_typeEbEEZZNS1_14partition_implILS5_6ELb0ES3_mN6thrust23THRUST_200600_302600_NS10device_ptrIiEEPS6_SD_NS0_5tupleIJSC_S6_EEENSE_IJSD_SD_EEES6_PlJ7is_evenIiEEEE10hipError_tPvRmT3_T4_T5_T6_T7_T9_mT8_P12ihipStream_tbDpT10_ENKUlT_T0_E_clISt17integral_constantIbLb1EES12_IbLb0EEEEDaSY_SZ_EUlSY_E_NS1_11comp_targetILNS1_3genE5ELNS1_11target_archE942ELNS1_3gpuE9ELNS1_3repE0EEENS1_30default_config_static_selectorELNS0_4arch9wavefront6targetE0EEEvT1_: ; @_ZN7rocprim17ROCPRIM_400000_NS6detail17trampoline_kernelINS0_14default_configENS1_25partition_config_selectorILNS1_17partition_subalgoE6EiNS0_10empty_typeEbEEZZNS1_14partition_implILS5_6ELb0ES3_mN6thrust23THRUST_200600_302600_NS10device_ptrIiEEPS6_SD_NS0_5tupleIJSC_S6_EEENSE_IJSD_SD_EEES6_PlJ7is_evenIiEEEE10hipError_tPvRmT3_T4_T5_T6_T7_T9_mT8_P12ihipStream_tbDpT10_ENKUlT_T0_E_clISt17integral_constantIbLb1EES12_IbLb0EEEEDaSY_SZ_EUlSY_E_NS1_11comp_targetILNS1_3genE5ELNS1_11target_archE942ELNS1_3gpuE9ELNS1_3repE0EEENS1_30default_config_static_selectorELNS0_4arch9wavefront6targetE0EEEvT1_
; %bb.0:
	.section	.rodata,"a",@progbits
	.p2align	6, 0x0
	.amdhsa_kernel _ZN7rocprim17ROCPRIM_400000_NS6detail17trampoline_kernelINS0_14default_configENS1_25partition_config_selectorILNS1_17partition_subalgoE6EiNS0_10empty_typeEbEEZZNS1_14partition_implILS5_6ELb0ES3_mN6thrust23THRUST_200600_302600_NS10device_ptrIiEEPS6_SD_NS0_5tupleIJSC_S6_EEENSE_IJSD_SD_EEES6_PlJ7is_evenIiEEEE10hipError_tPvRmT3_T4_T5_T6_T7_T9_mT8_P12ihipStream_tbDpT10_ENKUlT_T0_E_clISt17integral_constantIbLb1EES12_IbLb0EEEEDaSY_SZ_EUlSY_E_NS1_11comp_targetILNS1_3genE5ELNS1_11target_archE942ELNS1_3gpuE9ELNS1_3repE0EEENS1_30default_config_static_selectorELNS0_4arch9wavefront6targetE0EEEvT1_
		.amdhsa_group_segment_fixed_size 0
		.amdhsa_private_segment_fixed_size 0
		.amdhsa_kernarg_size 112
		.amdhsa_user_sgpr_count 15
		.amdhsa_user_sgpr_dispatch_ptr 0
		.amdhsa_user_sgpr_queue_ptr 0
		.amdhsa_user_sgpr_kernarg_segment_ptr 1
		.amdhsa_user_sgpr_dispatch_id 0
		.amdhsa_user_sgpr_private_segment_size 0
		.amdhsa_wavefront_size32 1
		.amdhsa_uses_dynamic_stack 0
		.amdhsa_enable_private_segment 0
		.amdhsa_system_sgpr_workgroup_id_x 1
		.amdhsa_system_sgpr_workgroup_id_y 0
		.amdhsa_system_sgpr_workgroup_id_z 0
		.amdhsa_system_sgpr_workgroup_info 0
		.amdhsa_system_vgpr_workitem_id 0
		.amdhsa_next_free_vgpr 1
		.amdhsa_next_free_sgpr 1
		.amdhsa_reserve_vcc 0
		.amdhsa_float_round_mode_32 0
		.amdhsa_float_round_mode_16_64 0
		.amdhsa_float_denorm_mode_32 3
		.amdhsa_float_denorm_mode_16_64 3
		.amdhsa_dx10_clamp 1
		.amdhsa_ieee_mode 1
		.amdhsa_fp16_overflow 0
		.amdhsa_workgroup_processor_mode 1
		.amdhsa_memory_ordered 1
		.amdhsa_forward_progress 0
		.amdhsa_shared_vgpr_count 0
		.amdhsa_exception_fp_ieee_invalid_op 0
		.amdhsa_exception_fp_denorm_src 0
		.amdhsa_exception_fp_ieee_div_zero 0
		.amdhsa_exception_fp_ieee_overflow 0
		.amdhsa_exception_fp_ieee_underflow 0
		.amdhsa_exception_fp_ieee_inexact 0
		.amdhsa_exception_int_div_zero 0
	.end_amdhsa_kernel
	.section	.text._ZN7rocprim17ROCPRIM_400000_NS6detail17trampoline_kernelINS0_14default_configENS1_25partition_config_selectorILNS1_17partition_subalgoE6EiNS0_10empty_typeEbEEZZNS1_14partition_implILS5_6ELb0ES3_mN6thrust23THRUST_200600_302600_NS10device_ptrIiEEPS6_SD_NS0_5tupleIJSC_S6_EEENSE_IJSD_SD_EEES6_PlJ7is_evenIiEEEE10hipError_tPvRmT3_T4_T5_T6_T7_T9_mT8_P12ihipStream_tbDpT10_ENKUlT_T0_E_clISt17integral_constantIbLb1EES12_IbLb0EEEEDaSY_SZ_EUlSY_E_NS1_11comp_targetILNS1_3genE5ELNS1_11target_archE942ELNS1_3gpuE9ELNS1_3repE0EEENS1_30default_config_static_selectorELNS0_4arch9wavefront6targetE0EEEvT1_,"axG",@progbits,_ZN7rocprim17ROCPRIM_400000_NS6detail17trampoline_kernelINS0_14default_configENS1_25partition_config_selectorILNS1_17partition_subalgoE6EiNS0_10empty_typeEbEEZZNS1_14partition_implILS5_6ELb0ES3_mN6thrust23THRUST_200600_302600_NS10device_ptrIiEEPS6_SD_NS0_5tupleIJSC_S6_EEENSE_IJSD_SD_EEES6_PlJ7is_evenIiEEEE10hipError_tPvRmT3_T4_T5_T6_T7_T9_mT8_P12ihipStream_tbDpT10_ENKUlT_T0_E_clISt17integral_constantIbLb1EES12_IbLb0EEEEDaSY_SZ_EUlSY_E_NS1_11comp_targetILNS1_3genE5ELNS1_11target_archE942ELNS1_3gpuE9ELNS1_3repE0EEENS1_30default_config_static_selectorELNS0_4arch9wavefront6targetE0EEEvT1_,comdat
.Lfunc_end913:
	.size	_ZN7rocprim17ROCPRIM_400000_NS6detail17trampoline_kernelINS0_14default_configENS1_25partition_config_selectorILNS1_17partition_subalgoE6EiNS0_10empty_typeEbEEZZNS1_14partition_implILS5_6ELb0ES3_mN6thrust23THRUST_200600_302600_NS10device_ptrIiEEPS6_SD_NS0_5tupleIJSC_S6_EEENSE_IJSD_SD_EEES6_PlJ7is_evenIiEEEE10hipError_tPvRmT3_T4_T5_T6_T7_T9_mT8_P12ihipStream_tbDpT10_ENKUlT_T0_E_clISt17integral_constantIbLb1EES12_IbLb0EEEEDaSY_SZ_EUlSY_E_NS1_11comp_targetILNS1_3genE5ELNS1_11target_archE942ELNS1_3gpuE9ELNS1_3repE0EEENS1_30default_config_static_selectorELNS0_4arch9wavefront6targetE0EEEvT1_, .Lfunc_end913-_ZN7rocprim17ROCPRIM_400000_NS6detail17trampoline_kernelINS0_14default_configENS1_25partition_config_selectorILNS1_17partition_subalgoE6EiNS0_10empty_typeEbEEZZNS1_14partition_implILS5_6ELb0ES3_mN6thrust23THRUST_200600_302600_NS10device_ptrIiEEPS6_SD_NS0_5tupleIJSC_S6_EEENSE_IJSD_SD_EEES6_PlJ7is_evenIiEEEE10hipError_tPvRmT3_T4_T5_T6_T7_T9_mT8_P12ihipStream_tbDpT10_ENKUlT_T0_E_clISt17integral_constantIbLb1EES12_IbLb0EEEEDaSY_SZ_EUlSY_E_NS1_11comp_targetILNS1_3genE5ELNS1_11target_archE942ELNS1_3gpuE9ELNS1_3repE0EEENS1_30default_config_static_selectorELNS0_4arch9wavefront6targetE0EEEvT1_
                                        ; -- End function
	.section	.AMDGPU.csdata,"",@progbits
; Kernel info:
; codeLenInByte = 0
; NumSgprs: 0
; NumVgprs: 0
; ScratchSize: 0
; MemoryBound: 0
; FloatMode: 240
; IeeeMode: 1
; LDSByteSize: 0 bytes/workgroup (compile time only)
; SGPRBlocks: 0
; VGPRBlocks: 0
; NumSGPRsForWavesPerEU: 1
; NumVGPRsForWavesPerEU: 1
; Occupancy: 16
; WaveLimiterHint : 0
; COMPUTE_PGM_RSRC2:SCRATCH_EN: 0
; COMPUTE_PGM_RSRC2:USER_SGPR: 15
; COMPUTE_PGM_RSRC2:TRAP_HANDLER: 0
; COMPUTE_PGM_RSRC2:TGID_X_EN: 1
; COMPUTE_PGM_RSRC2:TGID_Y_EN: 0
; COMPUTE_PGM_RSRC2:TGID_Z_EN: 0
; COMPUTE_PGM_RSRC2:TIDIG_COMP_CNT: 0
	.section	.text._ZN7rocprim17ROCPRIM_400000_NS6detail17trampoline_kernelINS0_14default_configENS1_25partition_config_selectorILNS1_17partition_subalgoE6EiNS0_10empty_typeEbEEZZNS1_14partition_implILS5_6ELb0ES3_mN6thrust23THRUST_200600_302600_NS10device_ptrIiEEPS6_SD_NS0_5tupleIJSC_S6_EEENSE_IJSD_SD_EEES6_PlJ7is_evenIiEEEE10hipError_tPvRmT3_T4_T5_T6_T7_T9_mT8_P12ihipStream_tbDpT10_ENKUlT_T0_E_clISt17integral_constantIbLb1EES12_IbLb0EEEEDaSY_SZ_EUlSY_E_NS1_11comp_targetILNS1_3genE4ELNS1_11target_archE910ELNS1_3gpuE8ELNS1_3repE0EEENS1_30default_config_static_selectorELNS0_4arch9wavefront6targetE0EEEvT1_,"axG",@progbits,_ZN7rocprim17ROCPRIM_400000_NS6detail17trampoline_kernelINS0_14default_configENS1_25partition_config_selectorILNS1_17partition_subalgoE6EiNS0_10empty_typeEbEEZZNS1_14partition_implILS5_6ELb0ES3_mN6thrust23THRUST_200600_302600_NS10device_ptrIiEEPS6_SD_NS0_5tupleIJSC_S6_EEENSE_IJSD_SD_EEES6_PlJ7is_evenIiEEEE10hipError_tPvRmT3_T4_T5_T6_T7_T9_mT8_P12ihipStream_tbDpT10_ENKUlT_T0_E_clISt17integral_constantIbLb1EES12_IbLb0EEEEDaSY_SZ_EUlSY_E_NS1_11comp_targetILNS1_3genE4ELNS1_11target_archE910ELNS1_3gpuE8ELNS1_3repE0EEENS1_30default_config_static_selectorELNS0_4arch9wavefront6targetE0EEEvT1_,comdat
	.protected	_ZN7rocprim17ROCPRIM_400000_NS6detail17trampoline_kernelINS0_14default_configENS1_25partition_config_selectorILNS1_17partition_subalgoE6EiNS0_10empty_typeEbEEZZNS1_14partition_implILS5_6ELb0ES3_mN6thrust23THRUST_200600_302600_NS10device_ptrIiEEPS6_SD_NS0_5tupleIJSC_S6_EEENSE_IJSD_SD_EEES6_PlJ7is_evenIiEEEE10hipError_tPvRmT3_T4_T5_T6_T7_T9_mT8_P12ihipStream_tbDpT10_ENKUlT_T0_E_clISt17integral_constantIbLb1EES12_IbLb0EEEEDaSY_SZ_EUlSY_E_NS1_11comp_targetILNS1_3genE4ELNS1_11target_archE910ELNS1_3gpuE8ELNS1_3repE0EEENS1_30default_config_static_selectorELNS0_4arch9wavefront6targetE0EEEvT1_ ; -- Begin function _ZN7rocprim17ROCPRIM_400000_NS6detail17trampoline_kernelINS0_14default_configENS1_25partition_config_selectorILNS1_17partition_subalgoE6EiNS0_10empty_typeEbEEZZNS1_14partition_implILS5_6ELb0ES3_mN6thrust23THRUST_200600_302600_NS10device_ptrIiEEPS6_SD_NS0_5tupleIJSC_S6_EEENSE_IJSD_SD_EEES6_PlJ7is_evenIiEEEE10hipError_tPvRmT3_T4_T5_T6_T7_T9_mT8_P12ihipStream_tbDpT10_ENKUlT_T0_E_clISt17integral_constantIbLb1EES12_IbLb0EEEEDaSY_SZ_EUlSY_E_NS1_11comp_targetILNS1_3genE4ELNS1_11target_archE910ELNS1_3gpuE8ELNS1_3repE0EEENS1_30default_config_static_selectorELNS0_4arch9wavefront6targetE0EEEvT1_
	.globl	_ZN7rocprim17ROCPRIM_400000_NS6detail17trampoline_kernelINS0_14default_configENS1_25partition_config_selectorILNS1_17partition_subalgoE6EiNS0_10empty_typeEbEEZZNS1_14partition_implILS5_6ELb0ES3_mN6thrust23THRUST_200600_302600_NS10device_ptrIiEEPS6_SD_NS0_5tupleIJSC_S6_EEENSE_IJSD_SD_EEES6_PlJ7is_evenIiEEEE10hipError_tPvRmT3_T4_T5_T6_T7_T9_mT8_P12ihipStream_tbDpT10_ENKUlT_T0_E_clISt17integral_constantIbLb1EES12_IbLb0EEEEDaSY_SZ_EUlSY_E_NS1_11comp_targetILNS1_3genE4ELNS1_11target_archE910ELNS1_3gpuE8ELNS1_3repE0EEENS1_30default_config_static_selectorELNS0_4arch9wavefront6targetE0EEEvT1_
	.p2align	8
	.type	_ZN7rocprim17ROCPRIM_400000_NS6detail17trampoline_kernelINS0_14default_configENS1_25partition_config_selectorILNS1_17partition_subalgoE6EiNS0_10empty_typeEbEEZZNS1_14partition_implILS5_6ELb0ES3_mN6thrust23THRUST_200600_302600_NS10device_ptrIiEEPS6_SD_NS0_5tupleIJSC_S6_EEENSE_IJSD_SD_EEES6_PlJ7is_evenIiEEEE10hipError_tPvRmT3_T4_T5_T6_T7_T9_mT8_P12ihipStream_tbDpT10_ENKUlT_T0_E_clISt17integral_constantIbLb1EES12_IbLb0EEEEDaSY_SZ_EUlSY_E_NS1_11comp_targetILNS1_3genE4ELNS1_11target_archE910ELNS1_3gpuE8ELNS1_3repE0EEENS1_30default_config_static_selectorELNS0_4arch9wavefront6targetE0EEEvT1_,@function
_ZN7rocprim17ROCPRIM_400000_NS6detail17trampoline_kernelINS0_14default_configENS1_25partition_config_selectorILNS1_17partition_subalgoE6EiNS0_10empty_typeEbEEZZNS1_14partition_implILS5_6ELb0ES3_mN6thrust23THRUST_200600_302600_NS10device_ptrIiEEPS6_SD_NS0_5tupleIJSC_S6_EEENSE_IJSD_SD_EEES6_PlJ7is_evenIiEEEE10hipError_tPvRmT3_T4_T5_T6_T7_T9_mT8_P12ihipStream_tbDpT10_ENKUlT_T0_E_clISt17integral_constantIbLb1EES12_IbLb0EEEEDaSY_SZ_EUlSY_E_NS1_11comp_targetILNS1_3genE4ELNS1_11target_archE910ELNS1_3gpuE8ELNS1_3repE0EEENS1_30default_config_static_selectorELNS0_4arch9wavefront6targetE0EEEvT1_: ; @_ZN7rocprim17ROCPRIM_400000_NS6detail17trampoline_kernelINS0_14default_configENS1_25partition_config_selectorILNS1_17partition_subalgoE6EiNS0_10empty_typeEbEEZZNS1_14partition_implILS5_6ELb0ES3_mN6thrust23THRUST_200600_302600_NS10device_ptrIiEEPS6_SD_NS0_5tupleIJSC_S6_EEENSE_IJSD_SD_EEES6_PlJ7is_evenIiEEEE10hipError_tPvRmT3_T4_T5_T6_T7_T9_mT8_P12ihipStream_tbDpT10_ENKUlT_T0_E_clISt17integral_constantIbLb1EES12_IbLb0EEEEDaSY_SZ_EUlSY_E_NS1_11comp_targetILNS1_3genE4ELNS1_11target_archE910ELNS1_3gpuE8ELNS1_3repE0EEENS1_30default_config_static_selectorELNS0_4arch9wavefront6targetE0EEEvT1_
; %bb.0:
	.section	.rodata,"a",@progbits
	.p2align	6, 0x0
	.amdhsa_kernel _ZN7rocprim17ROCPRIM_400000_NS6detail17trampoline_kernelINS0_14default_configENS1_25partition_config_selectorILNS1_17partition_subalgoE6EiNS0_10empty_typeEbEEZZNS1_14partition_implILS5_6ELb0ES3_mN6thrust23THRUST_200600_302600_NS10device_ptrIiEEPS6_SD_NS0_5tupleIJSC_S6_EEENSE_IJSD_SD_EEES6_PlJ7is_evenIiEEEE10hipError_tPvRmT3_T4_T5_T6_T7_T9_mT8_P12ihipStream_tbDpT10_ENKUlT_T0_E_clISt17integral_constantIbLb1EES12_IbLb0EEEEDaSY_SZ_EUlSY_E_NS1_11comp_targetILNS1_3genE4ELNS1_11target_archE910ELNS1_3gpuE8ELNS1_3repE0EEENS1_30default_config_static_selectorELNS0_4arch9wavefront6targetE0EEEvT1_
		.amdhsa_group_segment_fixed_size 0
		.amdhsa_private_segment_fixed_size 0
		.amdhsa_kernarg_size 112
		.amdhsa_user_sgpr_count 15
		.amdhsa_user_sgpr_dispatch_ptr 0
		.amdhsa_user_sgpr_queue_ptr 0
		.amdhsa_user_sgpr_kernarg_segment_ptr 1
		.amdhsa_user_sgpr_dispatch_id 0
		.amdhsa_user_sgpr_private_segment_size 0
		.amdhsa_wavefront_size32 1
		.amdhsa_uses_dynamic_stack 0
		.amdhsa_enable_private_segment 0
		.amdhsa_system_sgpr_workgroup_id_x 1
		.amdhsa_system_sgpr_workgroup_id_y 0
		.amdhsa_system_sgpr_workgroup_id_z 0
		.amdhsa_system_sgpr_workgroup_info 0
		.amdhsa_system_vgpr_workitem_id 0
		.amdhsa_next_free_vgpr 1
		.amdhsa_next_free_sgpr 1
		.amdhsa_reserve_vcc 0
		.amdhsa_float_round_mode_32 0
		.amdhsa_float_round_mode_16_64 0
		.amdhsa_float_denorm_mode_32 3
		.amdhsa_float_denorm_mode_16_64 3
		.amdhsa_dx10_clamp 1
		.amdhsa_ieee_mode 1
		.amdhsa_fp16_overflow 0
		.amdhsa_workgroup_processor_mode 1
		.amdhsa_memory_ordered 1
		.amdhsa_forward_progress 0
		.amdhsa_shared_vgpr_count 0
		.amdhsa_exception_fp_ieee_invalid_op 0
		.amdhsa_exception_fp_denorm_src 0
		.amdhsa_exception_fp_ieee_div_zero 0
		.amdhsa_exception_fp_ieee_overflow 0
		.amdhsa_exception_fp_ieee_underflow 0
		.amdhsa_exception_fp_ieee_inexact 0
		.amdhsa_exception_int_div_zero 0
	.end_amdhsa_kernel
	.section	.text._ZN7rocprim17ROCPRIM_400000_NS6detail17trampoline_kernelINS0_14default_configENS1_25partition_config_selectorILNS1_17partition_subalgoE6EiNS0_10empty_typeEbEEZZNS1_14partition_implILS5_6ELb0ES3_mN6thrust23THRUST_200600_302600_NS10device_ptrIiEEPS6_SD_NS0_5tupleIJSC_S6_EEENSE_IJSD_SD_EEES6_PlJ7is_evenIiEEEE10hipError_tPvRmT3_T4_T5_T6_T7_T9_mT8_P12ihipStream_tbDpT10_ENKUlT_T0_E_clISt17integral_constantIbLb1EES12_IbLb0EEEEDaSY_SZ_EUlSY_E_NS1_11comp_targetILNS1_3genE4ELNS1_11target_archE910ELNS1_3gpuE8ELNS1_3repE0EEENS1_30default_config_static_selectorELNS0_4arch9wavefront6targetE0EEEvT1_,"axG",@progbits,_ZN7rocprim17ROCPRIM_400000_NS6detail17trampoline_kernelINS0_14default_configENS1_25partition_config_selectorILNS1_17partition_subalgoE6EiNS0_10empty_typeEbEEZZNS1_14partition_implILS5_6ELb0ES3_mN6thrust23THRUST_200600_302600_NS10device_ptrIiEEPS6_SD_NS0_5tupleIJSC_S6_EEENSE_IJSD_SD_EEES6_PlJ7is_evenIiEEEE10hipError_tPvRmT3_T4_T5_T6_T7_T9_mT8_P12ihipStream_tbDpT10_ENKUlT_T0_E_clISt17integral_constantIbLb1EES12_IbLb0EEEEDaSY_SZ_EUlSY_E_NS1_11comp_targetILNS1_3genE4ELNS1_11target_archE910ELNS1_3gpuE8ELNS1_3repE0EEENS1_30default_config_static_selectorELNS0_4arch9wavefront6targetE0EEEvT1_,comdat
.Lfunc_end914:
	.size	_ZN7rocprim17ROCPRIM_400000_NS6detail17trampoline_kernelINS0_14default_configENS1_25partition_config_selectorILNS1_17partition_subalgoE6EiNS0_10empty_typeEbEEZZNS1_14partition_implILS5_6ELb0ES3_mN6thrust23THRUST_200600_302600_NS10device_ptrIiEEPS6_SD_NS0_5tupleIJSC_S6_EEENSE_IJSD_SD_EEES6_PlJ7is_evenIiEEEE10hipError_tPvRmT3_T4_T5_T6_T7_T9_mT8_P12ihipStream_tbDpT10_ENKUlT_T0_E_clISt17integral_constantIbLb1EES12_IbLb0EEEEDaSY_SZ_EUlSY_E_NS1_11comp_targetILNS1_3genE4ELNS1_11target_archE910ELNS1_3gpuE8ELNS1_3repE0EEENS1_30default_config_static_selectorELNS0_4arch9wavefront6targetE0EEEvT1_, .Lfunc_end914-_ZN7rocprim17ROCPRIM_400000_NS6detail17trampoline_kernelINS0_14default_configENS1_25partition_config_selectorILNS1_17partition_subalgoE6EiNS0_10empty_typeEbEEZZNS1_14partition_implILS5_6ELb0ES3_mN6thrust23THRUST_200600_302600_NS10device_ptrIiEEPS6_SD_NS0_5tupleIJSC_S6_EEENSE_IJSD_SD_EEES6_PlJ7is_evenIiEEEE10hipError_tPvRmT3_T4_T5_T6_T7_T9_mT8_P12ihipStream_tbDpT10_ENKUlT_T0_E_clISt17integral_constantIbLb1EES12_IbLb0EEEEDaSY_SZ_EUlSY_E_NS1_11comp_targetILNS1_3genE4ELNS1_11target_archE910ELNS1_3gpuE8ELNS1_3repE0EEENS1_30default_config_static_selectorELNS0_4arch9wavefront6targetE0EEEvT1_
                                        ; -- End function
	.section	.AMDGPU.csdata,"",@progbits
; Kernel info:
; codeLenInByte = 0
; NumSgprs: 0
; NumVgprs: 0
; ScratchSize: 0
; MemoryBound: 0
; FloatMode: 240
; IeeeMode: 1
; LDSByteSize: 0 bytes/workgroup (compile time only)
; SGPRBlocks: 0
; VGPRBlocks: 0
; NumSGPRsForWavesPerEU: 1
; NumVGPRsForWavesPerEU: 1
; Occupancy: 16
; WaveLimiterHint : 0
; COMPUTE_PGM_RSRC2:SCRATCH_EN: 0
; COMPUTE_PGM_RSRC2:USER_SGPR: 15
; COMPUTE_PGM_RSRC2:TRAP_HANDLER: 0
; COMPUTE_PGM_RSRC2:TGID_X_EN: 1
; COMPUTE_PGM_RSRC2:TGID_Y_EN: 0
; COMPUTE_PGM_RSRC2:TGID_Z_EN: 0
; COMPUTE_PGM_RSRC2:TIDIG_COMP_CNT: 0
	.section	.text._ZN7rocprim17ROCPRIM_400000_NS6detail17trampoline_kernelINS0_14default_configENS1_25partition_config_selectorILNS1_17partition_subalgoE6EiNS0_10empty_typeEbEEZZNS1_14partition_implILS5_6ELb0ES3_mN6thrust23THRUST_200600_302600_NS10device_ptrIiEEPS6_SD_NS0_5tupleIJSC_S6_EEENSE_IJSD_SD_EEES6_PlJ7is_evenIiEEEE10hipError_tPvRmT3_T4_T5_T6_T7_T9_mT8_P12ihipStream_tbDpT10_ENKUlT_T0_E_clISt17integral_constantIbLb1EES12_IbLb0EEEEDaSY_SZ_EUlSY_E_NS1_11comp_targetILNS1_3genE3ELNS1_11target_archE908ELNS1_3gpuE7ELNS1_3repE0EEENS1_30default_config_static_selectorELNS0_4arch9wavefront6targetE0EEEvT1_,"axG",@progbits,_ZN7rocprim17ROCPRIM_400000_NS6detail17trampoline_kernelINS0_14default_configENS1_25partition_config_selectorILNS1_17partition_subalgoE6EiNS0_10empty_typeEbEEZZNS1_14partition_implILS5_6ELb0ES3_mN6thrust23THRUST_200600_302600_NS10device_ptrIiEEPS6_SD_NS0_5tupleIJSC_S6_EEENSE_IJSD_SD_EEES6_PlJ7is_evenIiEEEE10hipError_tPvRmT3_T4_T5_T6_T7_T9_mT8_P12ihipStream_tbDpT10_ENKUlT_T0_E_clISt17integral_constantIbLb1EES12_IbLb0EEEEDaSY_SZ_EUlSY_E_NS1_11comp_targetILNS1_3genE3ELNS1_11target_archE908ELNS1_3gpuE7ELNS1_3repE0EEENS1_30default_config_static_selectorELNS0_4arch9wavefront6targetE0EEEvT1_,comdat
	.protected	_ZN7rocprim17ROCPRIM_400000_NS6detail17trampoline_kernelINS0_14default_configENS1_25partition_config_selectorILNS1_17partition_subalgoE6EiNS0_10empty_typeEbEEZZNS1_14partition_implILS5_6ELb0ES3_mN6thrust23THRUST_200600_302600_NS10device_ptrIiEEPS6_SD_NS0_5tupleIJSC_S6_EEENSE_IJSD_SD_EEES6_PlJ7is_evenIiEEEE10hipError_tPvRmT3_T4_T5_T6_T7_T9_mT8_P12ihipStream_tbDpT10_ENKUlT_T0_E_clISt17integral_constantIbLb1EES12_IbLb0EEEEDaSY_SZ_EUlSY_E_NS1_11comp_targetILNS1_3genE3ELNS1_11target_archE908ELNS1_3gpuE7ELNS1_3repE0EEENS1_30default_config_static_selectorELNS0_4arch9wavefront6targetE0EEEvT1_ ; -- Begin function _ZN7rocprim17ROCPRIM_400000_NS6detail17trampoline_kernelINS0_14default_configENS1_25partition_config_selectorILNS1_17partition_subalgoE6EiNS0_10empty_typeEbEEZZNS1_14partition_implILS5_6ELb0ES3_mN6thrust23THRUST_200600_302600_NS10device_ptrIiEEPS6_SD_NS0_5tupleIJSC_S6_EEENSE_IJSD_SD_EEES6_PlJ7is_evenIiEEEE10hipError_tPvRmT3_T4_T5_T6_T7_T9_mT8_P12ihipStream_tbDpT10_ENKUlT_T0_E_clISt17integral_constantIbLb1EES12_IbLb0EEEEDaSY_SZ_EUlSY_E_NS1_11comp_targetILNS1_3genE3ELNS1_11target_archE908ELNS1_3gpuE7ELNS1_3repE0EEENS1_30default_config_static_selectorELNS0_4arch9wavefront6targetE0EEEvT1_
	.globl	_ZN7rocprim17ROCPRIM_400000_NS6detail17trampoline_kernelINS0_14default_configENS1_25partition_config_selectorILNS1_17partition_subalgoE6EiNS0_10empty_typeEbEEZZNS1_14partition_implILS5_6ELb0ES3_mN6thrust23THRUST_200600_302600_NS10device_ptrIiEEPS6_SD_NS0_5tupleIJSC_S6_EEENSE_IJSD_SD_EEES6_PlJ7is_evenIiEEEE10hipError_tPvRmT3_T4_T5_T6_T7_T9_mT8_P12ihipStream_tbDpT10_ENKUlT_T0_E_clISt17integral_constantIbLb1EES12_IbLb0EEEEDaSY_SZ_EUlSY_E_NS1_11comp_targetILNS1_3genE3ELNS1_11target_archE908ELNS1_3gpuE7ELNS1_3repE0EEENS1_30default_config_static_selectorELNS0_4arch9wavefront6targetE0EEEvT1_
	.p2align	8
	.type	_ZN7rocprim17ROCPRIM_400000_NS6detail17trampoline_kernelINS0_14default_configENS1_25partition_config_selectorILNS1_17partition_subalgoE6EiNS0_10empty_typeEbEEZZNS1_14partition_implILS5_6ELb0ES3_mN6thrust23THRUST_200600_302600_NS10device_ptrIiEEPS6_SD_NS0_5tupleIJSC_S6_EEENSE_IJSD_SD_EEES6_PlJ7is_evenIiEEEE10hipError_tPvRmT3_T4_T5_T6_T7_T9_mT8_P12ihipStream_tbDpT10_ENKUlT_T0_E_clISt17integral_constantIbLb1EES12_IbLb0EEEEDaSY_SZ_EUlSY_E_NS1_11comp_targetILNS1_3genE3ELNS1_11target_archE908ELNS1_3gpuE7ELNS1_3repE0EEENS1_30default_config_static_selectorELNS0_4arch9wavefront6targetE0EEEvT1_,@function
_ZN7rocprim17ROCPRIM_400000_NS6detail17trampoline_kernelINS0_14default_configENS1_25partition_config_selectorILNS1_17partition_subalgoE6EiNS0_10empty_typeEbEEZZNS1_14partition_implILS5_6ELb0ES3_mN6thrust23THRUST_200600_302600_NS10device_ptrIiEEPS6_SD_NS0_5tupleIJSC_S6_EEENSE_IJSD_SD_EEES6_PlJ7is_evenIiEEEE10hipError_tPvRmT3_T4_T5_T6_T7_T9_mT8_P12ihipStream_tbDpT10_ENKUlT_T0_E_clISt17integral_constantIbLb1EES12_IbLb0EEEEDaSY_SZ_EUlSY_E_NS1_11comp_targetILNS1_3genE3ELNS1_11target_archE908ELNS1_3gpuE7ELNS1_3repE0EEENS1_30default_config_static_selectorELNS0_4arch9wavefront6targetE0EEEvT1_: ; @_ZN7rocprim17ROCPRIM_400000_NS6detail17trampoline_kernelINS0_14default_configENS1_25partition_config_selectorILNS1_17partition_subalgoE6EiNS0_10empty_typeEbEEZZNS1_14partition_implILS5_6ELb0ES3_mN6thrust23THRUST_200600_302600_NS10device_ptrIiEEPS6_SD_NS0_5tupleIJSC_S6_EEENSE_IJSD_SD_EEES6_PlJ7is_evenIiEEEE10hipError_tPvRmT3_T4_T5_T6_T7_T9_mT8_P12ihipStream_tbDpT10_ENKUlT_T0_E_clISt17integral_constantIbLb1EES12_IbLb0EEEEDaSY_SZ_EUlSY_E_NS1_11comp_targetILNS1_3genE3ELNS1_11target_archE908ELNS1_3gpuE7ELNS1_3repE0EEENS1_30default_config_static_selectorELNS0_4arch9wavefront6targetE0EEEvT1_
; %bb.0:
	.section	.rodata,"a",@progbits
	.p2align	6, 0x0
	.amdhsa_kernel _ZN7rocprim17ROCPRIM_400000_NS6detail17trampoline_kernelINS0_14default_configENS1_25partition_config_selectorILNS1_17partition_subalgoE6EiNS0_10empty_typeEbEEZZNS1_14partition_implILS5_6ELb0ES3_mN6thrust23THRUST_200600_302600_NS10device_ptrIiEEPS6_SD_NS0_5tupleIJSC_S6_EEENSE_IJSD_SD_EEES6_PlJ7is_evenIiEEEE10hipError_tPvRmT3_T4_T5_T6_T7_T9_mT8_P12ihipStream_tbDpT10_ENKUlT_T0_E_clISt17integral_constantIbLb1EES12_IbLb0EEEEDaSY_SZ_EUlSY_E_NS1_11comp_targetILNS1_3genE3ELNS1_11target_archE908ELNS1_3gpuE7ELNS1_3repE0EEENS1_30default_config_static_selectorELNS0_4arch9wavefront6targetE0EEEvT1_
		.amdhsa_group_segment_fixed_size 0
		.amdhsa_private_segment_fixed_size 0
		.amdhsa_kernarg_size 112
		.amdhsa_user_sgpr_count 15
		.amdhsa_user_sgpr_dispatch_ptr 0
		.amdhsa_user_sgpr_queue_ptr 0
		.amdhsa_user_sgpr_kernarg_segment_ptr 1
		.amdhsa_user_sgpr_dispatch_id 0
		.amdhsa_user_sgpr_private_segment_size 0
		.amdhsa_wavefront_size32 1
		.amdhsa_uses_dynamic_stack 0
		.amdhsa_enable_private_segment 0
		.amdhsa_system_sgpr_workgroup_id_x 1
		.amdhsa_system_sgpr_workgroup_id_y 0
		.amdhsa_system_sgpr_workgroup_id_z 0
		.amdhsa_system_sgpr_workgroup_info 0
		.amdhsa_system_vgpr_workitem_id 0
		.amdhsa_next_free_vgpr 1
		.amdhsa_next_free_sgpr 1
		.amdhsa_reserve_vcc 0
		.amdhsa_float_round_mode_32 0
		.amdhsa_float_round_mode_16_64 0
		.amdhsa_float_denorm_mode_32 3
		.amdhsa_float_denorm_mode_16_64 3
		.amdhsa_dx10_clamp 1
		.amdhsa_ieee_mode 1
		.amdhsa_fp16_overflow 0
		.amdhsa_workgroup_processor_mode 1
		.amdhsa_memory_ordered 1
		.amdhsa_forward_progress 0
		.amdhsa_shared_vgpr_count 0
		.amdhsa_exception_fp_ieee_invalid_op 0
		.amdhsa_exception_fp_denorm_src 0
		.amdhsa_exception_fp_ieee_div_zero 0
		.amdhsa_exception_fp_ieee_overflow 0
		.amdhsa_exception_fp_ieee_underflow 0
		.amdhsa_exception_fp_ieee_inexact 0
		.amdhsa_exception_int_div_zero 0
	.end_amdhsa_kernel
	.section	.text._ZN7rocprim17ROCPRIM_400000_NS6detail17trampoline_kernelINS0_14default_configENS1_25partition_config_selectorILNS1_17partition_subalgoE6EiNS0_10empty_typeEbEEZZNS1_14partition_implILS5_6ELb0ES3_mN6thrust23THRUST_200600_302600_NS10device_ptrIiEEPS6_SD_NS0_5tupleIJSC_S6_EEENSE_IJSD_SD_EEES6_PlJ7is_evenIiEEEE10hipError_tPvRmT3_T4_T5_T6_T7_T9_mT8_P12ihipStream_tbDpT10_ENKUlT_T0_E_clISt17integral_constantIbLb1EES12_IbLb0EEEEDaSY_SZ_EUlSY_E_NS1_11comp_targetILNS1_3genE3ELNS1_11target_archE908ELNS1_3gpuE7ELNS1_3repE0EEENS1_30default_config_static_selectorELNS0_4arch9wavefront6targetE0EEEvT1_,"axG",@progbits,_ZN7rocprim17ROCPRIM_400000_NS6detail17trampoline_kernelINS0_14default_configENS1_25partition_config_selectorILNS1_17partition_subalgoE6EiNS0_10empty_typeEbEEZZNS1_14partition_implILS5_6ELb0ES3_mN6thrust23THRUST_200600_302600_NS10device_ptrIiEEPS6_SD_NS0_5tupleIJSC_S6_EEENSE_IJSD_SD_EEES6_PlJ7is_evenIiEEEE10hipError_tPvRmT3_T4_T5_T6_T7_T9_mT8_P12ihipStream_tbDpT10_ENKUlT_T0_E_clISt17integral_constantIbLb1EES12_IbLb0EEEEDaSY_SZ_EUlSY_E_NS1_11comp_targetILNS1_3genE3ELNS1_11target_archE908ELNS1_3gpuE7ELNS1_3repE0EEENS1_30default_config_static_selectorELNS0_4arch9wavefront6targetE0EEEvT1_,comdat
.Lfunc_end915:
	.size	_ZN7rocprim17ROCPRIM_400000_NS6detail17trampoline_kernelINS0_14default_configENS1_25partition_config_selectorILNS1_17partition_subalgoE6EiNS0_10empty_typeEbEEZZNS1_14partition_implILS5_6ELb0ES3_mN6thrust23THRUST_200600_302600_NS10device_ptrIiEEPS6_SD_NS0_5tupleIJSC_S6_EEENSE_IJSD_SD_EEES6_PlJ7is_evenIiEEEE10hipError_tPvRmT3_T4_T5_T6_T7_T9_mT8_P12ihipStream_tbDpT10_ENKUlT_T0_E_clISt17integral_constantIbLb1EES12_IbLb0EEEEDaSY_SZ_EUlSY_E_NS1_11comp_targetILNS1_3genE3ELNS1_11target_archE908ELNS1_3gpuE7ELNS1_3repE0EEENS1_30default_config_static_selectorELNS0_4arch9wavefront6targetE0EEEvT1_, .Lfunc_end915-_ZN7rocprim17ROCPRIM_400000_NS6detail17trampoline_kernelINS0_14default_configENS1_25partition_config_selectorILNS1_17partition_subalgoE6EiNS0_10empty_typeEbEEZZNS1_14partition_implILS5_6ELb0ES3_mN6thrust23THRUST_200600_302600_NS10device_ptrIiEEPS6_SD_NS0_5tupleIJSC_S6_EEENSE_IJSD_SD_EEES6_PlJ7is_evenIiEEEE10hipError_tPvRmT3_T4_T5_T6_T7_T9_mT8_P12ihipStream_tbDpT10_ENKUlT_T0_E_clISt17integral_constantIbLb1EES12_IbLb0EEEEDaSY_SZ_EUlSY_E_NS1_11comp_targetILNS1_3genE3ELNS1_11target_archE908ELNS1_3gpuE7ELNS1_3repE0EEENS1_30default_config_static_selectorELNS0_4arch9wavefront6targetE0EEEvT1_
                                        ; -- End function
	.section	.AMDGPU.csdata,"",@progbits
; Kernel info:
; codeLenInByte = 0
; NumSgprs: 0
; NumVgprs: 0
; ScratchSize: 0
; MemoryBound: 0
; FloatMode: 240
; IeeeMode: 1
; LDSByteSize: 0 bytes/workgroup (compile time only)
; SGPRBlocks: 0
; VGPRBlocks: 0
; NumSGPRsForWavesPerEU: 1
; NumVGPRsForWavesPerEU: 1
; Occupancy: 16
; WaveLimiterHint : 0
; COMPUTE_PGM_RSRC2:SCRATCH_EN: 0
; COMPUTE_PGM_RSRC2:USER_SGPR: 15
; COMPUTE_PGM_RSRC2:TRAP_HANDLER: 0
; COMPUTE_PGM_RSRC2:TGID_X_EN: 1
; COMPUTE_PGM_RSRC2:TGID_Y_EN: 0
; COMPUTE_PGM_RSRC2:TGID_Z_EN: 0
; COMPUTE_PGM_RSRC2:TIDIG_COMP_CNT: 0
	.section	.text._ZN7rocprim17ROCPRIM_400000_NS6detail17trampoline_kernelINS0_14default_configENS1_25partition_config_selectorILNS1_17partition_subalgoE6EiNS0_10empty_typeEbEEZZNS1_14partition_implILS5_6ELb0ES3_mN6thrust23THRUST_200600_302600_NS10device_ptrIiEEPS6_SD_NS0_5tupleIJSC_S6_EEENSE_IJSD_SD_EEES6_PlJ7is_evenIiEEEE10hipError_tPvRmT3_T4_T5_T6_T7_T9_mT8_P12ihipStream_tbDpT10_ENKUlT_T0_E_clISt17integral_constantIbLb1EES12_IbLb0EEEEDaSY_SZ_EUlSY_E_NS1_11comp_targetILNS1_3genE2ELNS1_11target_archE906ELNS1_3gpuE6ELNS1_3repE0EEENS1_30default_config_static_selectorELNS0_4arch9wavefront6targetE0EEEvT1_,"axG",@progbits,_ZN7rocprim17ROCPRIM_400000_NS6detail17trampoline_kernelINS0_14default_configENS1_25partition_config_selectorILNS1_17partition_subalgoE6EiNS0_10empty_typeEbEEZZNS1_14partition_implILS5_6ELb0ES3_mN6thrust23THRUST_200600_302600_NS10device_ptrIiEEPS6_SD_NS0_5tupleIJSC_S6_EEENSE_IJSD_SD_EEES6_PlJ7is_evenIiEEEE10hipError_tPvRmT3_T4_T5_T6_T7_T9_mT8_P12ihipStream_tbDpT10_ENKUlT_T0_E_clISt17integral_constantIbLb1EES12_IbLb0EEEEDaSY_SZ_EUlSY_E_NS1_11comp_targetILNS1_3genE2ELNS1_11target_archE906ELNS1_3gpuE6ELNS1_3repE0EEENS1_30default_config_static_selectorELNS0_4arch9wavefront6targetE0EEEvT1_,comdat
	.protected	_ZN7rocprim17ROCPRIM_400000_NS6detail17trampoline_kernelINS0_14default_configENS1_25partition_config_selectorILNS1_17partition_subalgoE6EiNS0_10empty_typeEbEEZZNS1_14partition_implILS5_6ELb0ES3_mN6thrust23THRUST_200600_302600_NS10device_ptrIiEEPS6_SD_NS0_5tupleIJSC_S6_EEENSE_IJSD_SD_EEES6_PlJ7is_evenIiEEEE10hipError_tPvRmT3_T4_T5_T6_T7_T9_mT8_P12ihipStream_tbDpT10_ENKUlT_T0_E_clISt17integral_constantIbLb1EES12_IbLb0EEEEDaSY_SZ_EUlSY_E_NS1_11comp_targetILNS1_3genE2ELNS1_11target_archE906ELNS1_3gpuE6ELNS1_3repE0EEENS1_30default_config_static_selectorELNS0_4arch9wavefront6targetE0EEEvT1_ ; -- Begin function _ZN7rocprim17ROCPRIM_400000_NS6detail17trampoline_kernelINS0_14default_configENS1_25partition_config_selectorILNS1_17partition_subalgoE6EiNS0_10empty_typeEbEEZZNS1_14partition_implILS5_6ELb0ES3_mN6thrust23THRUST_200600_302600_NS10device_ptrIiEEPS6_SD_NS0_5tupleIJSC_S6_EEENSE_IJSD_SD_EEES6_PlJ7is_evenIiEEEE10hipError_tPvRmT3_T4_T5_T6_T7_T9_mT8_P12ihipStream_tbDpT10_ENKUlT_T0_E_clISt17integral_constantIbLb1EES12_IbLb0EEEEDaSY_SZ_EUlSY_E_NS1_11comp_targetILNS1_3genE2ELNS1_11target_archE906ELNS1_3gpuE6ELNS1_3repE0EEENS1_30default_config_static_selectorELNS0_4arch9wavefront6targetE0EEEvT1_
	.globl	_ZN7rocprim17ROCPRIM_400000_NS6detail17trampoline_kernelINS0_14default_configENS1_25partition_config_selectorILNS1_17partition_subalgoE6EiNS0_10empty_typeEbEEZZNS1_14partition_implILS5_6ELb0ES3_mN6thrust23THRUST_200600_302600_NS10device_ptrIiEEPS6_SD_NS0_5tupleIJSC_S6_EEENSE_IJSD_SD_EEES6_PlJ7is_evenIiEEEE10hipError_tPvRmT3_T4_T5_T6_T7_T9_mT8_P12ihipStream_tbDpT10_ENKUlT_T0_E_clISt17integral_constantIbLb1EES12_IbLb0EEEEDaSY_SZ_EUlSY_E_NS1_11comp_targetILNS1_3genE2ELNS1_11target_archE906ELNS1_3gpuE6ELNS1_3repE0EEENS1_30default_config_static_selectorELNS0_4arch9wavefront6targetE0EEEvT1_
	.p2align	8
	.type	_ZN7rocprim17ROCPRIM_400000_NS6detail17trampoline_kernelINS0_14default_configENS1_25partition_config_selectorILNS1_17partition_subalgoE6EiNS0_10empty_typeEbEEZZNS1_14partition_implILS5_6ELb0ES3_mN6thrust23THRUST_200600_302600_NS10device_ptrIiEEPS6_SD_NS0_5tupleIJSC_S6_EEENSE_IJSD_SD_EEES6_PlJ7is_evenIiEEEE10hipError_tPvRmT3_T4_T5_T6_T7_T9_mT8_P12ihipStream_tbDpT10_ENKUlT_T0_E_clISt17integral_constantIbLb1EES12_IbLb0EEEEDaSY_SZ_EUlSY_E_NS1_11comp_targetILNS1_3genE2ELNS1_11target_archE906ELNS1_3gpuE6ELNS1_3repE0EEENS1_30default_config_static_selectorELNS0_4arch9wavefront6targetE0EEEvT1_,@function
_ZN7rocprim17ROCPRIM_400000_NS6detail17trampoline_kernelINS0_14default_configENS1_25partition_config_selectorILNS1_17partition_subalgoE6EiNS0_10empty_typeEbEEZZNS1_14partition_implILS5_6ELb0ES3_mN6thrust23THRUST_200600_302600_NS10device_ptrIiEEPS6_SD_NS0_5tupleIJSC_S6_EEENSE_IJSD_SD_EEES6_PlJ7is_evenIiEEEE10hipError_tPvRmT3_T4_T5_T6_T7_T9_mT8_P12ihipStream_tbDpT10_ENKUlT_T0_E_clISt17integral_constantIbLb1EES12_IbLb0EEEEDaSY_SZ_EUlSY_E_NS1_11comp_targetILNS1_3genE2ELNS1_11target_archE906ELNS1_3gpuE6ELNS1_3repE0EEENS1_30default_config_static_selectorELNS0_4arch9wavefront6targetE0EEEvT1_: ; @_ZN7rocprim17ROCPRIM_400000_NS6detail17trampoline_kernelINS0_14default_configENS1_25partition_config_selectorILNS1_17partition_subalgoE6EiNS0_10empty_typeEbEEZZNS1_14partition_implILS5_6ELb0ES3_mN6thrust23THRUST_200600_302600_NS10device_ptrIiEEPS6_SD_NS0_5tupleIJSC_S6_EEENSE_IJSD_SD_EEES6_PlJ7is_evenIiEEEE10hipError_tPvRmT3_T4_T5_T6_T7_T9_mT8_P12ihipStream_tbDpT10_ENKUlT_T0_E_clISt17integral_constantIbLb1EES12_IbLb0EEEEDaSY_SZ_EUlSY_E_NS1_11comp_targetILNS1_3genE2ELNS1_11target_archE906ELNS1_3gpuE6ELNS1_3repE0EEENS1_30default_config_static_selectorELNS0_4arch9wavefront6targetE0EEEvT1_
; %bb.0:
	.section	.rodata,"a",@progbits
	.p2align	6, 0x0
	.amdhsa_kernel _ZN7rocprim17ROCPRIM_400000_NS6detail17trampoline_kernelINS0_14default_configENS1_25partition_config_selectorILNS1_17partition_subalgoE6EiNS0_10empty_typeEbEEZZNS1_14partition_implILS5_6ELb0ES3_mN6thrust23THRUST_200600_302600_NS10device_ptrIiEEPS6_SD_NS0_5tupleIJSC_S6_EEENSE_IJSD_SD_EEES6_PlJ7is_evenIiEEEE10hipError_tPvRmT3_T4_T5_T6_T7_T9_mT8_P12ihipStream_tbDpT10_ENKUlT_T0_E_clISt17integral_constantIbLb1EES12_IbLb0EEEEDaSY_SZ_EUlSY_E_NS1_11comp_targetILNS1_3genE2ELNS1_11target_archE906ELNS1_3gpuE6ELNS1_3repE0EEENS1_30default_config_static_selectorELNS0_4arch9wavefront6targetE0EEEvT1_
		.amdhsa_group_segment_fixed_size 0
		.amdhsa_private_segment_fixed_size 0
		.amdhsa_kernarg_size 112
		.amdhsa_user_sgpr_count 15
		.amdhsa_user_sgpr_dispatch_ptr 0
		.amdhsa_user_sgpr_queue_ptr 0
		.amdhsa_user_sgpr_kernarg_segment_ptr 1
		.amdhsa_user_sgpr_dispatch_id 0
		.amdhsa_user_sgpr_private_segment_size 0
		.amdhsa_wavefront_size32 1
		.amdhsa_uses_dynamic_stack 0
		.amdhsa_enable_private_segment 0
		.amdhsa_system_sgpr_workgroup_id_x 1
		.amdhsa_system_sgpr_workgroup_id_y 0
		.amdhsa_system_sgpr_workgroup_id_z 0
		.amdhsa_system_sgpr_workgroup_info 0
		.amdhsa_system_vgpr_workitem_id 0
		.amdhsa_next_free_vgpr 1
		.amdhsa_next_free_sgpr 1
		.amdhsa_reserve_vcc 0
		.amdhsa_float_round_mode_32 0
		.amdhsa_float_round_mode_16_64 0
		.amdhsa_float_denorm_mode_32 3
		.amdhsa_float_denorm_mode_16_64 3
		.amdhsa_dx10_clamp 1
		.amdhsa_ieee_mode 1
		.amdhsa_fp16_overflow 0
		.amdhsa_workgroup_processor_mode 1
		.amdhsa_memory_ordered 1
		.amdhsa_forward_progress 0
		.amdhsa_shared_vgpr_count 0
		.amdhsa_exception_fp_ieee_invalid_op 0
		.amdhsa_exception_fp_denorm_src 0
		.amdhsa_exception_fp_ieee_div_zero 0
		.amdhsa_exception_fp_ieee_overflow 0
		.amdhsa_exception_fp_ieee_underflow 0
		.amdhsa_exception_fp_ieee_inexact 0
		.amdhsa_exception_int_div_zero 0
	.end_amdhsa_kernel
	.section	.text._ZN7rocprim17ROCPRIM_400000_NS6detail17trampoline_kernelINS0_14default_configENS1_25partition_config_selectorILNS1_17partition_subalgoE6EiNS0_10empty_typeEbEEZZNS1_14partition_implILS5_6ELb0ES3_mN6thrust23THRUST_200600_302600_NS10device_ptrIiEEPS6_SD_NS0_5tupleIJSC_S6_EEENSE_IJSD_SD_EEES6_PlJ7is_evenIiEEEE10hipError_tPvRmT3_T4_T5_T6_T7_T9_mT8_P12ihipStream_tbDpT10_ENKUlT_T0_E_clISt17integral_constantIbLb1EES12_IbLb0EEEEDaSY_SZ_EUlSY_E_NS1_11comp_targetILNS1_3genE2ELNS1_11target_archE906ELNS1_3gpuE6ELNS1_3repE0EEENS1_30default_config_static_selectorELNS0_4arch9wavefront6targetE0EEEvT1_,"axG",@progbits,_ZN7rocprim17ROCPRIM_400000_NS6detail17trampoline_kernelINS0_14default_configENS1_25partition_config_selectorILNS1_17partition_subalgoE6EiNS0_10empty_typeEbEEZZNS1_14partition_implILS5_6ELb0ES3_mN6thrust23THRUST_200600_302600_NS10device_ptrIiEEPS6_SD_NS0_5tupleIJSC_S6_EEENSE_IJSD_SD_EEES6_PlJ7is_evenIiEEEE10hipError_tPvRmT3_T4_T5_T6_T7_T9_mT8_P12ihipStream_tbDpT10_ENKUlT_T0_E_clISt17integral_constantIbLb1EES12_IbLb0EEEEDaSY_SZ_EUlSY_E_NS1_11comp_targetILNS1_3genE2ELNS1_11target_archE906ELNS1_3gpuE6ELNS1_3repE0EEENS1_30default_config_static_selectorELNS0_4arch9wavefront6targetE0EEEvT1_,comdat
.Lfunc_end916:
	.size	_ZN7rocprim17ROCPRIM_400000_NS6detail17trampoline_kernelINS0_14default_configENS1_25partition_config_selectorILNS1_17partition_subalgoE6EiNS0_10empty_typeEbEEZZNS1_14partition_implILS5_6ELb0ES3_mN6thrust23THRUST_200600_302600_NS10device_ptrIiEEPS6_SD_NS0_5tupleIJSC_S6_EEENSE_IJSD_SD_EEES6_PlJ7is_evenIiEEEE10hipError_tPvRmT3_T4_T5_T6_T7_T9_mT8_P12ihipStream_tbDpT10_ENKUlT_T0_E_clISt17integral_constantIbLb1EES12_IbLb0EEEEDaSY_SZ_EUlSY_E_NS1_11comp_targetILNS1_3genE2ELNS1_11target_archE906ELNS1_3gpuE6ELNS1_3repE0EEENS1_30default_config_static_selectorELNS0_4arch9wavefront6targetE0EEEvT1_, .Lfunc_end916-_ZN7rocprim17ROCPRIM_400000_NS6detail17trampoline_kernelINS0_14default_configENS1_25partition_config_selectorILNS1_17partition_subalgoE6EiNS0_10empty_typeEbEEZZNS1_14partition_implILS5_6ELb0ES3_mN6thrust23THRUST_200600_302600_NS10device_ptrIiEEPS6_SD_NS0_5tupleIJSC_S6_EEENSE_IJSD_SD_EEES6_PlJ7is_evenIiEEEE10hipError_tPvRmT3_T4_T5_T6_T7_T9_mT8_P12ihipStream_tbDpT10_ENKUlT_T0_E_clISt17integral_constantIbLb1EES12_IbLb0EEEEDaSY_SZ_EUlSY_E_NS1_11comp_targetILNS1_3genE2ELNS1_11target_archE906ELNS1_3gpuE6ELNS1_3repE0EEENS1_30default_config_static_selectorELNS0_4arch9wavefront6targetE0EEEvT1_
                                        ; -- End function
	.section	.AMDGPU.csdata,"",@progbits
; Kernel info:
; codeLenInByte = 0
; NumSgprs: 0
; NumVgprs: 0
; ScratchSize: 0
; MemoryBound: 0
; FloatMode: 240
; IeeeMode: 1
; LDSByteSize: 0 bytes/workgroup (compile time only)
; SGPRBlocks: 0
; VGPRBlocks: 0
; NumSGPRsForWavesPerEU: 1
; NumVGPRsForWavesPerEU: 1
; Occupancy: 15
; WaveLimiterHint : 0
; COMPUTE_PGM_RSRC2:SCRATCH_EN: 0
; COMPUTE_PGM_RSRC2:USER_SGPR: 15
; COMPUTE_PGM_RSRC2:TRAP_HANDLER: 0
; COMPUTE_PGM_RSRC2:TGID_X_EN: 1
; COMPUTE_PGM_RSRC2:TGID_Y_EN: 0
; COMPUTE_PGM_RSRC2:TGID_Z_EN: 0
; COMPUTE_PGM_RSRC2:TIDIG_COMP_CNT: 0
	.section	.text._ZN7rocprim17ROCPRIM_400000_NS6detail17trampoline_kernelINS0_14default_configENS1_25partition_config_selectorILNS1_17partition_subalgoE6EiNS0_10empty_typeEbEEZZNS1_14partition_implILS5_6ELb0ES3_mN6thrust23THRUST_200600_302600_NS10device_ptrIiEEPS6_SD_NS0_5tupleIJSC_S6_EEENSE_IJSD_SD_EEES6_PlJ7is_evenIiEEEE10hipError_tPvRmT3_T4_T5_T6_T7_T9_mT8_P12ihipStream_tbDpT10_ENKUlT_T0_E_clISt17integral_constantIbLb1EES12_IbLb0EEEEDaSY_SZ_EUlSY_E_NS1_11comp_targetILNS1_3genE10ELNS1_11target_archE1200ELNS1_3gpuE4ELNS1_3repE0EEENS1_30default_config_static_selectorELNS0_4arch9wavefront6targetE0EEEvT1_,"axG",@progbits,_ZN7rocprim17ROCPRIM_400000_NS6detail17trampoline_kernelINS0_14default_configENS1_25partition_config_selectorILNS1_17partition_subalgoE6EiNS0_10empty_typeEbEEZZNS1_14partition_implILS5_6ELb0ES3_mN6thrust23THRUST_200600_302600_NS10device_ptrIiEEPS6_SD_NS0_5tupleIJSC_S6_EEENSE_IJSD_SD_EEES6_PlJ7is_evenIiEEEE10hipError_tPvRmT3_T4_T5_T6_T7_T9_mT8_P12ihipStream_tbDpT10_ENKUlT_T0_E_clISt17integral_constantIbLb1EES12_IbLb0EEEEDaSY_SZ_EUlSY_E_NS1_11comp_targetILNS1_3genE10ELNS1_11target_archE1200ELNS1_3gpuE4ELNS1_3repE0EEENS1_30default_config_static_selectorELNS0_4arch9wavefront6targetE0EEEvT1_,comdat
	.protected	_ZN7rocprim17ROCPRIM_400000_NS6detail17trampoline_kernelINS0_14default_configENS1_25partition_config_selectorILNS1_17partition_subalgoE6EiNS0_10empty_typeEbEEZZNS1_14partition_implILS5_6ELb0ES3_mN6thrust23THRUST_200600_302600_NS10device_ptrIiEEPS6_SD_NS0_5tupleIJSC_S6_EEENSE_IJSD_SD_EEES6_PlJ7is_evenIiEEEE10hipError_tPvRmT3_T4_T5_T6_T7_T9_mT8_P12ihipStream_tbDpT10_ENKUlT_T0_E_clISt17integral_constantIbLb1EES12_IbLb0EEEEDaSY_SZ_EUlSY_E_NS1_11comp_targetILNS1_3genE10ELNS1_11target_archE1200ELNS1_3gpuE4ELNS1_3repE0EEENS1_30default_config_static_selectorELNS0_4arch9wavefront6targetE0EEEvT1_ ; -- Begin function _ZN7rocprim17ROCPRIM_400000_NS6detail17trampoline_kernelINS0_14default_configENS1_25partition_config_selectorILNS1_17partition_subalgoE6EiNS0_10empty_typeEbEEZZNS1_14partition_implILS5_6ELb0ES3_mN6thrust23THRUST_200600_302600_NS10device_ptrIiEEPS6_SD_NS0_5tupleIJSC_S6_EEENSE_IJSD_SD_EEES6_PlJ7is_evenIiEEEE10hipError_tPvRmT3_T4_T5_T6_T7_T9_mT8_P12ihipStream_tbDpT10_ENKUlT_T0_E_clISt17integral_constantIbLb1EES12_IbLb0EEEEDaSY_SZ_EUlSY_E_NS1_11comp_targetILNS1_3genE10ELNS1_11target_archE1200ELNS1_3gpuE4ELNS1_3repE0EEENS1_30default_config_static_selectorELNS0_4arch9wavefront6targetE0EEEvT1_
	.globl	_ZN7rocprim17ROCPRIM_400000_NS6detail17trampoline_kernelINS0_14default_configENS1_25partition_config_selectorILNS1_17partition_subalgoE6EiNS0_10empty_typeEbEEZZNS1_14partition_implILS5_6ELb0ES3_mN6thrust23THRUST_200600_302600_NS10device_ptrIiEEPS6_SD_NS0_5tupleIJSC_S6_EEENSE_IJSD_SD_EEES6_PlJ7is_evenIiEEEE10hipError_tPvRmT3_T4_T5_T6_T7_T9_mT8_P12ihipStream_tbDpT10_ENKUlT_T0_E_clISt17integral_constantIbLb1EES12_IbLb0EEEEDaSY_SZ_EUlSY_E_NS1_11comp_targetILNS1_3genE10ELNS1_11target_archE1200ELNS1_3gpuE4ELNS1_3repE0EEENS1_30default_config_static_selectorELNS0_4arch9wavefront6targetE0EEEvT1_
	.p2align	8
	.type	_ZN7rocprim17ROCPRIM_400000_NS6detail17trampoline_kernelINS0_14default_configENS1_25partition_config_selectorILNS1_17partition_subalgoE6EiNS0_10empty_typeEbEEZZNS1_14partition_implILS5_6ELb0ES3_mN6thrust23THRUST_200600_302600_NS10device_ptrIiEEPS6_SD_NS0_5tupleIJSC_S6_EEENSE_IJSD_SD_EEES6_PlJ7is_evenIiEEEE10hipError_tPvRmT3_T4_T5_T6_T7_T9_mT8_P12ihipStream_tbDpT10_ENKUlT_T0_E_clISt17integral_constantIbLb1EES12_IbLb0EEEEDaSY_SZ_EUlSY_E_NS1_11comp_targetILNS1_3genE10ELNS1_11target_archE1200ELNS1_3gpuE4ELNS1_3repE0EEENS1_30default_config_static_selectorELNS0_4arch9wavefront6targetE0EEEvT1_,@function
_ZN7rocprim17ROCPRIM_400000_NS6detail17trampoline_kernelINS0_14default_configENS1_25partition_config_selectorILNS1_17partition_subalgoE6EiNS0_10empty_typeEbEEZZNS1_14partition_implILS5_6ELb0ES3_mN6thrust23THRUST_200600_302600_NS10device_ptrIiEEPS6_SD_NS0_5tupleIJSC_S6_EEENSE_IJSD_SD_EEES6_PlJ7is_evenIiEEEE10hipError_tPvRmT3_T4_T5_T6_T7_T9_mT8_P12ihipStream_tbDpT10_ENKUlT_T0_E_clISt17integral_constantIbLb1EES12_IbLb0EEEEDaSY_SZ_EUlSY_E_NS1_11comp_targetILNS1_3genE10ELNS1_11target_archE1200ELNS1_3gpuE4ELNS1_3repE0EEENS1_30default_config_static_selectorELNS0_4arch9wavefront6targetE0EEEvT1_: ; @_ZN7rocprim17ROCPRIM_400000_NS6detail17trampoline_kernelINS0_14default_configENS1_25partition_config_selectorILNS1_17partition_subalgoE6EiNS0_10empty_typeEbEEZZNS1_14partition_implILS5_6ELb0ES3_mN6thrust23THRUST_200600_302600_NS10device_ptrIiEEPS6_SD_NS0_5tupleIJSC_S6_EEENSE_IJSD_SD_EEES6_PlJ7is_evenIiEEEE10hipError_tPvRmT3_T4_T5_T6_T7_T9_mT8_P12ihipStream_tbDpT10_ENKUlT_T0_E_clISt17integral_constantIbLb1EES12_IbLb0EEEEDaSY_SZ_EUlSY_E_NS1_11comp_targetILNS1_3genE10ELNS1_11target_archE1200ELNS1_3gpuE4ELNS1_3repE0EEENS1_30default_config_static_selectorELNS0_4arch9wavefront6targetE0EEEvT1_
; %bb.0:
	.section	.rodata,"a",@progbits
	.p2align	6, 0x0
	.amdhsa_kernel _ZN7rocprim17ROCPRIM_400000_NS6detail17trampoline_kernelINS0_14default_configENS1_25partition_config_selectorILNS1_17partition_subalgoE6EiNS0_10empty_typeEbEEZZNS1_14partition_implILS5_6ELb0ES3_mN6thrust23THRUST_200600_302600_NS10device_ptrIiEEPS6_SD_NS0_5tupleIJSC_S6_EEENSE_IJSD_SD_EEES6_PlJ7is_evenIiEEEE10hipError_tPvRmT3_T4_T5_T6_T7_T9_mT8_P12ihipStream_tbDpT10_ENKUlT_T0_E_clISt17integral_constantIbLb1EES12_IbLb0EEEEDaSY_SZ_EUlSY_E_NS1_11comp_targetILNS1_3genE10ELNS1_11target_archE1200ELNS1_3gpuE4ELNS1_3repE0EEENS1_30default_config_static_selectorELNS0_4arch9wavefront6targetE0EEEvT1_
		.amdhsa_group_segment_fixed_size 0
		.amdhsa_private_segment_fixed_size 0
		.amdhsa_kernarg_size 112
		.amdhsa_user_sgpr_count 15
		.amdhsa_user_sgpr_dispatch_ptr 0
		.amdhsa_user_sgpr_queue_ptr 0
		.amdhsa_user_sgpr_kernarg_segment_ptr 1
		.amdhsa_user_sgpr_dispatch_id 0
		.amdhsa_user_sgpr_private_segment_size 0
		.amdhsa_wavefront_size32 1
		.amdhsa_uses_dynamic_stack 0
		.amdhsa_enable_private_segment 0
		.amdhsa_system_sgpr_workgroup_id_x 1
		.amdhsa_system_sgpr_workgroup_id_y 0
		.amdhsa_system_sgpr_workgroup_id_z 0
		.amdhsa_system_sgpr_workgroup_info 0
		.amdhsa_system_vgpr_workitem_id 0
		.amdhsa_next_free_vgpr 1
		.amdhsa_next_free_sgpr 1
		.amdhsa_reserve_vcc 0
		.amdhsa_float_round_mode_32 0
		.amdhsa_float_round_mode_16_64 0
		.amdhsa_float_denorm_mode_32 3
		.amdhsa_float_denorm_mode_16_64 3
		.amdhsa_dx10_clamp 1
		.amdhsa_ieee_mode 1
		.amdhsa_fp16_overflow 0
		.amdhsa_workgroup_processor_mode 1
		.amdhsa_memory_ordered 1
		.amdhsa_forward_progress 0
		.amdhsa_shared_vgpr_count 0
		.amdhsa_exception_fp_ieee_invalid_op 0
		.amdhsa_exception_fp_denorm_src 0
		.amdhsa_exception_fp_ieee_div_zero 0
		.amdhsa_exception_fp_ieee_overflow 0
		.amdhsa_exception_fp_ieee_underflow 0
		.amdhsa_exception_fp_ieee_inexact 0
		.amdhsa_exception_int_div_zero 0
	.end_amdhsa_kernel
	.section	.text._ZN7rocprim17ROCPRIM_400000_NS6detail17trampoline_kernelINS0_14default_configENS1_25partition_config_selectorILNS1_17partition_subalgoE6EiNS0_10empty_typeEbEEZZNS1_14partition_implILS5_6ELb0ES3_mN6thrust23THRUST_200600_302600_NS10device_ptrIiEEPS6_SD_NS0_5tupleIJSC_S6_EEENSE_IJSD_SD_EEES6_PlJ7is_evenIiEEEE10hipError_tPvRmT3_T4_T5_T6_T7_T9_mT8_P12ihipStream_tbDpT10_ENKUlT_T0_E_clISt17integral_constantIbLb1EES12_IbLb0EEEEDaSY_SZ_EUlSY_E_NS1_11comp_targetILNS1_3genE10ELNS1_11target_archE1200ELNS1_3gpuE4ELNS1_3repE0EEENS1_30default_config_static_selectorELNS0_4arch9wavefront6targetE0EEEvT1_,"axG",@progbits,_ZN7rocprim17ROCPRIM_400000_NS6detail17trampoline_kernelINS0_14default_configENS1_25partition_config_selectorILNS1_17partition_subalgoE6EiNS0_10empty_typeEbEEZZNS1_14partition_implILS5_6ELb0ES3_mN6thrust23THRUST_200600_302600_NS10device_ptrIiEEPS6_SD_NS0_5tupleIJSC_S6_EEENSE_IJSD_SD_EEES6_PlJ7is_evenIiEEEE10hipError_tPvRmT3_T4_T5_T6_T7_T9_mT8_P12ihipStream_tbDpT10_ENKUlT_T0_E_clISt17integral_constantIbLb1EES12_IbLb0EEEEDaSY_SZ_EUlSY_E_NS1_11comp_targetILNS1_3genE10ELNS1_11target_archE1200ELNS1_3gpuE4ELNS1_3repE0EEENS1_30default_config_static_selectorELNS0_4arch9wavefront6targetE0EEEvT1_,comdat
.Lfunc_end917:
	.size	_ZN7rocprim17ROCPRIM_400000_NS6detail17trampoline_kernelINS0_14default_configENS1_25partition_config_selectorILNS1_17partition_subalgoE6EiNS0_10empty_typeEbEEZZNS1_14partition_implILS5_6ELb0ES3_mN6thrust23THRUST_200600_302600_NS10device_ptrIiEEPS6_SD_NS0_5tupleIJSC_S6_EEENSE_IJSD_SD_EEES6_PlJ7is_evenIiEEEE10hipError_tPvRmT3_T4_T5_T6_T7_T9_mT8_P12ihipStream_tbDpT10_ENKUlT_T0_E_clISt17integral_constantIbLb1EES12_IbLb0EEEEDaSY_SZ_EUlSY_E_NS1_11comp_targetILNS1_3genE10ELNS1_11target_archE1200ELNS1_3gpuE4ELNS1_3repE0EEENS1_30default_config_static_selectorELNS0_4arch9wavefront6targetE0EEEvT1_, .Lfunc_end917-_ZN7rocprim17ROCPRIM_400000_NS6detail17trampoline_kernelINS0_14default_configENS1_25partition_config_selectorILNS1_17partition_subalgoE6EiNS0_10empty_typeEbEEZZNS1_14partition_implILS5_6ELb0ES3_mN6thrust23THRUST_200600_302600_NS10device_ptrIiEEPS6_SD_NS0_5tupleIJSC_S6_EEENSE_IJSD_SD_EEES6_PlJ7is_evenIiEEEE10hipError_tPvRmT3_T4_T5_T6_T7_T9_mT8_P12ihipStream_tbDpT10_ENKUlT_T0_E_clISt17integral_constantIbLb1EES12_IbLb0EEEEDaSY_SZ_EUlSY_E_NS1_11comp_targetILNS1_3genE10ELNS1_11target_archE1200ELNS1_3gpuE4ELNS1_3repE0EEENS1_30default_config_static_selectorELNS0_4arch9wavefront6targetE0EEEvT1_
                                        ; -- End function
	.section	.AMDGPU.csdata,"",@progbits
; Kernel info:
; codeLenInByte = 0
; NumSgprs: 0
; NumVgprs: 0
; ScratchSize: 0
; MemoryBound: 0
; FloatMode: 240
; IeeeMode: 1
; LDSByteSize: 0 bytes/workgroup (compile time only)
; SGPRBlocks: 0
; VGPRBlocks: 0
; NumSGPRsForWavesPerEU: 1
; NumVGPRsForWavesPerEU: 1
; Occupancy: 15
; WaveLimiterHint : 0
; COMPUTE_PGM_RSRC2:SCRATCH_EN: 0
; COMPUTE_PGM_RSRC2:USER_SGPR: 15
; COMPUTE_PGM_RSRC2:TRAP_HANDLER: 0
; COMPUTE_PGM_RSRC2:TGID_X_EN: 1
; COMPUTE_PGM_RSRC2:TGID_Y_EN: 0
; COMPUTE_PGM_RSRC2:TGID_Z_EN: 0
; COMPUTE_PGM_RSRC2:TIDIG_COMP_CNT: 0
	.section	.text._ZN7rocprim17ROCPRIM_400000_NS6detail17trampoline_kernelINS0_14default_configENS1_25partition_config_selectorILNS1_17partition_subalgoE6EiNS0_10empty_typeEbEEZZNS1_14partition_implILS5_6ELb0ES3_mN6thrust23THRUST_200600_302600_NS10device_ptrIiEEPS6_SD_NS0_5tupleIJSC_S6_EEENSE_IJSD_SD_EEES6_PlJ7is_evenIiEEEE10hipError_tPvRmT3_T4_T5_T6_T7_T9_mT8_P12ihipStream_tbDpT10_ENKUlT_T0_E_clISt17integral_constantIbLb1EES12_IbLb0EEEEDaSY_SZ_EUlSY_E_NS1_11comp_targetILNS1_3genE9ELNS1_11target_archE1100ELNS1_3gpuE3ELNS1_3repE0EEENS1_30default_config_static_selectorELNS0_4arch9wavefront6targetE0EEEvT1_,"axG",@progbits,_ZN7rocprim17ROCPRIM_400000_NS6detail17trampoline_kernelINS0_14default_configENS1_25partition_config_selectorILNS1_17partition_subalgoE6EiNS0_10empty_typeEbEEZZNS1_14partition_implILS5_6ELb0ES3_mN6thrust23THRUST_200600_302600_NS10device_ptrIiEEPS6_SD_NS0_5tupleIJSC_S6_EEENSE_IJSD_SD_EEES6_PlJ7is_evenIiEEEE10hipError_tPvRmT3_T4_T5_T6_T7_T9_mT8_P12ihipStream_tbDpT10_ENKUlT_T0_E_clISt17integral_constantIbLb1EES12_IbLb0EEEEDaSY_SZ_EUlSY_E_NS1_11comp_targetILNS1_3genE9ELNS1_11target_archE1100ELNS1_3gpuE3ELNS1_3repE0EEENS1_30default_config_static_selectorELNS0_4arch9wavefront6targetE0EEEvT1_,comdat
	.protected	_ZN7rocprim17ROCPRIM_400000_NS6detail17trampoline_kernelINS0_14default_configENS1_25partition_config_selectorILNS1_17partition_subalgoE6EiNS0_10empty_typeEbEEZZNS1_14partition_implILS5_6ELb0ES3_mN6thrust23THRUST_200600_302600_NS10device_ptrIiEEPS6_SD_NS0_5tupleIJSC_S6_EEENSE_IJSD_SD_EEES6_PlJ7is_evenIiEEEE10hipError_tPvRmT3_T4_T5_T6_T7_T9_mT8_P12ihipStream_tbDpT10_ENKUlT_T0_E_clISt17integral_constantIbLb1EES12_IbLb0EEEEDaSY_SZ_EUlSY_E_NS1_11comp_targetILNS1_3genE9ELNS1_11target_archE1100ELNS1_3gpuE3ELNS1_3repE0EEENS1_30default_config_static_selectorELNS0_4arch9wavefront6targetE0EEEvT1_ ; -- Begin function _ZN7rocprim17ROCPRIM_400000_NS6detail17trampoline_kernelINS0_14default_configENS1_25partition_config_selectorILNS1_17partition_subalgoE6EiNS0_10empty_typeEbEEZZNS1_14partition_implILS5_6ELb0ES3_mN6thrust23THRUST_200600_302600_NS10device_ptrIiEEPS6_SD_NS0_5tupleIJSC_S6_EEENSE_IJSD_SD_EEES6_PlJ7is_evenIiEEEE10hipError_tPvRmT3_T4_T5_T6_T7_T9_mT8_P12ihipStream_tbDpT10_ENKUlT_T0_E_clISt17integral_constantIbLb1EES12_IbLb0EEEEDaSY_SZ_EUlSY_E_NS1_11comp_targetILNS1_3genE9ELNS1_11target_archE1100ELNS1_3gpuE3ELNS1_3repE0EEENS1_30default_config_static_selectorELNS0_4arch9wavefront6targetE0EEEvT1_
	.globl	_ZN7rocprim17ROCPRIM_400000_NS6detail17trampoline_kernelINS0_14default_configENS1_25partition_config_selectorILNS1_17partition_subalgoE6EiNS0_10empty_typeEbEEZZNS1_14partition_implILS5_6ELb0ES3_mN6thrust23THRUST_200600_302600_NS10device_ptrIiEEPS6_SD_NS0_5tupleIJSC_S6_EEENSE_IJSD_SD_EEES6_PlJ7is_evenIiEEEE10hipError_tPvRmT3_T4_T5_T6_T7_T9_mT8_P12ihipStream_tbDpT10_ENKUlT_T0_E_clISt17integral_constantIbLb1EES12_IbLb0EEEEDaSY_SZ_EUlSY_E_NS1_11comp_targetILNS1_3genE9ELNS1_11target_archE1100ELNS1_3gpuE3ELNS1_3repE0EEENS1_30default_config_static_selectorELNS0_4arch9wavefront6targetE0EEEvT1_
	.p2align	8
	.type	_ZN7rocprim17ROCPRIM_400000_NS6detail17trampoline_kernelINS0_14default_configENS1_25partition_config_selectorILNS1_17partition_subalgoE6EiNS0_10empty_typeEbEEZZNS1_14partition_implILS5_6ELb0ES3_mN6thrust23THRUST_200600_302600_NS10device_ptrIiEEPS6_SD_NS0_5tupleIJSC_S6_EEENSE_IJSD_SD_EEES6_PlJ7is_evenIiEEEE10hipError_tPvRmT3_T4_T5_T6_T7_T9_mT8_P12ihipStream_tbDpT10_ENKUlT_T0_E_clISt17integral_constantIbLb1EES12_IbLb0EEEEDaSY_SZ_EUlSY_E_NS1_11comp_targetILNS1_3genE9ELNS1_11target_archE1100ELNS1_3gpuE3ELNS1_3repE0EEENS1_30default_config_static_selectorELNS0_4arch9wavefront6targetE0EEEvT1_,@function
_ZN7rocprim17ROCPRIM_400000_NS6detail17trampoline_kernelINS0_14default_configENS1_25partition_config_selectorILNS1_17partition_subalgoE6EiNS0_10empty_typeEbEEZZNS1_14partition_implILS5_6ELb0ES3_mN6thrust23THRUST_200600_302600_NS10device_ptrIiEEPS6_SD_NS0_5tupleIJSC_S6_EEENSE_IJSD_SD_EEES6_PlJ7is_evenIiEEEE10hipError_tPvRmT3_T4_T5_T6_T7_T9_mT8_P12ihipStream_tbDpT10_ENKUlT_T0_E_clISt17integral_constantIbLb1EES12_IbLb0EEEEDaSY_SZ_EUlSY_E_NS1_11comp_targetILNS1_3genE9ELNS1_11target_archE1100ELNS1_3gpuE3ELNS1_3repE0EEENS1_30default_config_static_selectorELNS0_4arch9wavefront6targetE0EEEvT1_: ; @_ZN7rocprim17ROCPRIM_400000_NS6detail17trampoline_kernelINS0_14default_configENS1_25partition_config_selectorILNS1_17partition_subalgoE6EiNS0_10empty_typeEbEEZZNS1_14partition_implILS5_6ELb0ES3_mN6thrust23THRUST_200600_302600_NS10device_ptrIiEEPS6_SD_NS0_5tupleIJSC_S6_EEENSE_IJSD_SD_EEES6_PlJ7is_evenIiEEEE10hipError_tPvRmT3_T4_T5_T6_T7_T9_mT8_P12ihipStream_tbDpT10_ENKUlT_T0_E_clISt17integral_constantIbLb1EES12_IbLb0EEEEDaSY_SZ_EUlSY_E_NS1_11comp_targetILNS1_3genE9ELNS1_11target_archE1100ELNS1_3gpuE3ELNS1_3repE0EEENS1_30default_config_static_selectorELNS0_4arch9wavefront6targetE0EEEvT1_
; %bb.0:
	s_clause 0x3
	s_load_b128 s[8:11], s[0:1], 0x8
	s_load_b128 s[4:7], s[0:1], 0x40
	s_load_b32 s14, s[0:1], 0x68
	s_load_b64 s[12:13], s[0:1], 0x50
	v_lshlrev_b32_e32 v17, 2, v0
	s_waitcnt lgkmcnt(0)
	s_lshl_b64 s[16:17], s[10:11], 2
	s_load_b64 s[2:3], s[6:7], 0x0
	s_mul_i32 s6, s14, 0x700
	s_add_u32 s8, s8, s16
	s_addc_u32 s9, s9, s17
	s_add_i32 s7, s6, s10
	s_add_i32 s16, s14, -1
	s_sub_i32 s14, s12, s7
	s_add_u32 s6, s10, s6
	s_addc_u32 s7, s11, 0
	s_cmp_eq_u32 s15, s16
	v_cmp_ge_u64_e64 s11, s[6:7], s[12:13]
	s_cselect_b32 s10, -1, 0
	s_mov_b32 s7, 0
	s_mul_i32 s6, s15, 0x700
	s_mov_b32 s16, -1
	s_lshl_b64 s[6:7], s[6:7], 2
	s_and_b32 s11, s10, s11
	s_delay_alu instid0(SALU_CYCLE_1)
	s_xor_b32 s11, s11, -1
	s_add_u32 s12, s8, s6
	s_addc_u32 s13, s9, s7
	s_and_b32 vcc_lo, exec_lo, s11
	s_cbranch_vccz .LBB918_2
; %bb.1:
	v_add_co_u32 v1, s6, s12, v17
	s_delay_alu instid0(VALU_DEP_1) | instskip(SKIP_1) | instid1(VALU_DEP_2)
	v_add_co_ci_u32_e64 v2, null, s13, 0, s6
	s_mov_b32 s16, 0
	v_add_co_u32 v3, vcc_lo, 0x1000, v1
	s_delay_alu instid0(VALU_DEP_2)
	v_add_co_ci_u32_e32 v4, vcc_lo, 0, v2, vcc_lo
	s_clause 0xd
	flat_load_b32 v5, v[1:2]
	flat_load_b32 v6, v[1:2] offset:512
	flat_load_b32 v7, v[1:2] offset:1024
	flat_load_b32 v8, v[1:2] offset:1536
	flat_load_b32 v9, v[1:2] offset:2048
	flat_load_b32 v10, v[1:2] offset:2560
	flat_load_b32 v11, v[1:2] offset:3072
	flat_load_b32 v1, v[1:2] offset:3584
	flat_load_b32 v2, v[3:4]
	flat_load_b32 v12, v[3:4] offset:512
	flat_load_b32 v13, v[3:4] offset:1024
	;; [unrolled: 1-line block ×5, first 2 shown]
	s_waitcnt vmcnt(12) lgkmcnt(0)
	ds_store_2addr_stride64_b32 v17, v5, v6 offset1:2
	s_waitcnt vmcnt(10)
	ds_store_2addr_stride64_b32 v17, v7, v8 offset0:4 offset1:6
	s_waitcnt vmcnt(8)
	ds_store_2addr_stride64_b32 v17, v9, v10 offset0:8 offset1:10
	s_waitcnt vmcnt(6)
	ds_store_2addr_stride64_b32 v17, v11, v1 offset0:12 offset1:14
	s_waitcnt vmcnt(4)
	ds_store_2addr_stride64_b32 v17, v2, v12 offset0:16 offset1:18
	s_waitcnt vmcnt(2)
	ds_store_2addr_stride64_b32 v17, v13, v14 offset0:20 offset1:22
	s_waitcnt vmcnt(0)
	ds_store_2addr_stride64_b32 v17, v15, v3 offset0:24 offset1:26
	s_waitcnt lgkmcnt(0)
	s_barrier
.LBB918_2:
	s_clause 0x1
	s_load_b64 s[6:7], s[0:1], 0x28
	s_load_b64 s[8:9], s[0:1], 0x60
	s_and_not1_b32 vcc_lo, exec_lo, s16
	s_add_i32 s0, s14, 0x700
	s_cbranch_vccnz .LBB918_32
; %bb.3:
	s_mov_b32 s1, exec_lo
                                        ; implicit-def: $vgpr1_vgpr2_vgpr3_vgpr4_vgpr5_vgpr6_vgpr7_vgpr8_vgpr9_vgpr10_vgpr11_vgpr12_vgpr13_vgpr14_vgpr15_vgpr16
	v_cmpx_gt_u32_e64 s0, v0
	s_cbranch_execz .LBB918_5
; %bb.4:
	v_add_co_u32 v1, s14, s12, v17
	s_delay_alu instid0(VALU_DEP_1)
	v_add_co_ci_u32_e64 v2, null, s13, 0, s14
	flat_load_b32 v1, v[1:2]
.LBB918_5:
	s_or_b32 exec_lo, exec_lo, s1
	v_or_b32_e32 v15, 0x80, v0
	s_mov_b32 s1, exec_lo
	s_delay_alu instid0(VALU_DEP_1)
	v_cmpx_gt_u32_e64 s0, v15
	s_cbranch_execz .LBB918_7
; %bb.6:
	v_add_co_u32 v15, s14, s12, v17
	s_delay_alu instid0(VALU_DEP_1)
	v_add_co_ci_u32_e64 v16, null, s13, 0, s14
	flat_load_b32 v2, v[15:16] offset:512
.LBB918_7:
	s_or_b32 exec_lo, exec_lo, s1
	v_or_b32_e32 v15, 0x100, v0
	s_mov_b32 s1, exec_lo
	s_delay_alu instid0(VALU_DEP_1)
	v_cmpx_gt_u32_e64 s0, v15
	s_cbranch_execz .LBB918_9
; %bb.8:
	v_add_co_u32 v15, s14, s12, v17
	s_delay_alu instid0(VALU_DEP_1)
	v_add_co_ci_u32_e64 v16, null, s13, 0, s14
	flat_load_b32 v3, v[15:16] offset:1024
.LBB918_9:
	;; [unrolled: 12-line block ×7, first 2 shown]
	s_or_b32 exec_lo, exec_lo, s1
	v_or_b32_e32 v15, 0x400, v0
	s_mov_b32 s1, exec_lo
	s_delay_alu instid0(VALU_DEP_1)
	v_cmpx_gt_u32_e64 s0, v15
	s_cbranch_execz .LBB918_21
; %bb.20:
	v_lshlrev_b32_e32 v9, 2, v15
	s_delay_alu instid0(VALU_DEP_1) | instskip(NEXT) | instid1(VALU_DEP_1)
	v_add_co_u32 v15, s14, s12, v9
	v_add_co_ci_u32_e64 v16, null, s13, 0, s14
	flat_load_b32 v9, v[15:16]
.LBB918_21:
	s_or_b32 exec_lo, exec_lo, s1
	v_or_b32_e32 v15, 0x480, v0
	s_mov_b32 s1, exec_lo
	s_delay_alu instid0(VALU_DEP_1)
	v_cmpx_gt_u32_e64 s0, v15
	s_cbranch_execz .LBB918_23
; %bb.22:
	v_lshlrev_b32_e32 v10, 2, v15
	s_delay_alu instid0(VALU_DEP_1) | instskip(NEXT) | instid1(VALU_DEP_1)
	v_add_co_u32 v15, s14, s12, v10
	v_add_co_ci_u32_e64 v16, null, s13, 0, s14
	flat_load_b32 v10, v[15:16]
.LBB918_23:
	;; [unrolled: 13-line block ×6, first 2 shown]
	s_or_b32 exec_lo, exec_lo, s1
	s_waitcnt vmcnt(0) lgkmcnt(0)
	ds_store_2addr_stride64_b32 v17, v1, v2 offset1:2
	ds_store_2addr_stride64_b32 v17, v3, v4 offset0:4 offset1:6
	ds_store_2addr_stride64_b32 v17, v5, v6 offset0:8 offset1:10
	;; [unrolled: 1-line block ×6, first 2 shown]
	s_waitcnt lgkmcnt(0)
	s_barrier
.LBB918_32:
	v_mul_u32_u24_e32 v12, 14, v0
	s_waitcnt lgkmcnt(0)
	buffer_gl0_inv
	s_and_not1_b32 vcc_lo, exec_lo, s11
	v_lshlrev_b32_e32 v61, 2, v12
	ds_load_2addr_b64 v[41:44], v61 offset1:1
	ds_load_2addr_b64 v[37:40], v61 offset0:2 offset1:3
	ds_load_2addr_b64 v[33:36], v61 offset0:4 offset1:5
	ds_load_b64 v[49:50], v61 offset:48
	s_waitcnt lgkmcnt(0)
	s_barrier
	buffer_gl0_inv
	v_xor_b32_e32 v13, -1, v41
	v_xor_b32_e32 v14, -1, v42
	v_xor_b32_e32 v15, -1, v43
	v_xor_b32_e32 v7, -1, v44
	v_xor_b32_e32 v8, -1, v37
	v_xor_b32_e32 v9, -1, v38
	v_xor_b32_e32 v10, -1, v39
	v_xor_b32_e32 v11, -1, v40
	v_xor_b32_e32 v3, -1, v33
	v_xor_b32_e32 v4, -1, v34
	v_xor_b32_e32 v5, -1, v35
	v_xor_b32_e32 v6, -1, v36
	v_xor_b32_e32 v1, -1, v49
	v_xor_b32_e32 v2, -1, v50
	s_cbranch_vccnz .LBB918_34
; %bb.33:
	v_and_b32_e32 v16, 1, v14
	v_and_b32_e32 v17, 1, v13
	;; [unrolled: 1-line block ×5, first 2 shown]
	v_lshlrev_b16 v16, 8, v16
	v_and_b32_e32 v26, 1, v6
	v_and_b32_e32 v18, 1, v15
	;; [unrolled: 1-line block ×4, first 2 shown]
	v_or_b32_e32 v16, v17, v16
	v_and_b32_e32 v17, 1, v4
	v_and_b32_e32 v24, 1, v3
	;; [unrolled: 1-line block ×3, first 2 shown]
	v_lshlrev_b16 v19, 8, v19
	v_lshlrev_b16 v21, 8, v21
	;; [unrolled: 1-line block ×5, first 2 shown]
	v_or_b32_e32 v18, v18, v19
	v_or_b32_e32 v19, v20, v21
	;; [unrolled: 1-line block ×5, first 2 shown]
	v_and_b32_e32 v16, 0xffff, v16
	v_lshlrev_b32_e32 v18, 16, v18
	v_and_b32_e32 v19, 0xffff, v19
	v_lshlrev_b32_e32 v20, 16, v20
	;; [unrolled: 2-line block ×3, first 2 shown]
	v_and_b32_e32 v54, 1, v1
	v_and_b32_e32 v53, 1, v2
	v_or_b32_e32 v59, v16, v18
	v_or_b32_e32 v56, v19, v20
	;; [unrolled: 1-line block ×3, first 2 shown]
	s_cbranch_execz .LBB918_35
	s_branch .LBB918_36
.LBB918_34:
                                        ; implicit-def: $vgpr53
                                        ; implicit-def: $vgpr54
                                        ; implicit-def: $vgpr55
                                        ; implicit-def: $vgpr56
                                        ; implicit-def: $vgpr59
.LBB918_35:
	v_or_b32_e32 v16, 1, v12
	v_cmp_gt_u32_e32 vcc_lo, s0, v12
	v_add_nc_u32_e32 v17, 2, v12
	v_add_nc_u32_e32 v18, 3, v12
	;; [unrolled: 1-line block ×4, first 2 shown]
	v_cndmask_b32_e64 v27, 0, 1, vcc_lo
	v_cmp_gt_u32_e32 vcc_lo, s0, v16
	v_add_nc_u32_e32 v21, 6, v12
	v_add_nc_u32_e32 v22, 7, v12
	;; [unrolled: 1-line block ×4, first 2 shown]
	v_cndmask_b32_e64 v16, 0, 1, vcc_lo
	v_cmp_gt_u32_e32 vcc_lo, s0, v17
	v_add_nc_u32_e32 v25, 10, v12
	v_add_nc_u32_e32 v26, 11, v12
	;; [unrolled: 1-line block ×3, first 2 shown]
	v_and_b32_e32 v14, v16, v14
	v_cndmask_b32_e64 v17, 0, 1, vcc_lo
	v_cmp_gt_u32_e32 vcc_lo, s0, v18
	v_add_nc_u32_e32 v12, 13, v12
	v_and_b32_e32 v13, v27, v13
	v_lshlrev_b16 v14, 8, v14
	v_and_b32_e32 v15, v17, v15
	v_cndmask_b32_e64 v16, 0, 1, vcc_lo
	v_cmp_gt_u32_e32 vcc_lo, s0, v19
	s_delay_alu instid0(VALU_DEP_4) | instskip(NEXT) | instid1(VALU_DEP_3)
	v_or_b32_e32 v13, v13, v14
	v_and_b32_e32 v7, v16, v7
	v_cndmask_b32_e64 v17, 0, 1, vcc_lo
	v_cmp_gt_u32_e32 vcc_lo, s0, v20
	s_delay_alu instid0(VALU_DEP_4) | instskip(NEXT) | instid1(VALU_DEP_4)
	v_and_b32_e32 v13, 0xffff, v13
	v_lshlrev_b16 v7, 8, v7
	s_delay_alu instid0(VALU_DEP_4) | instskip(SKIP_2) | instid1(VALU_DEP_4)
	v_and_b32_e32 v8, v17, v8
	v_cndmask_b32_e64 v18, 0, 1, vcc_lo
	v_cmp_gt_u32_e32 vcc_lo, s0, v21
	v_or_b32_e32 v7, v15, v7
	s_delay_alu instid0(VALU_DEP_3) | instskip(SKIP_2) | instid1(VALU_DEP_3)
	v_and_b32_e32 v9, v18, v9
	v_cndmask_b32_e64 v19, 0, 1, vcc_lo
	v_cmp_gt_u32_e32 vcc_lo, s0, v22
	v_lshlrev_b16 v9, 8, v9
	s_delay_alu instid0(VALU_DEP_3) | instskip(SKIP_2) | instid1(VALU_DEP_4)
	v_and_b32_e32 v10, v19, v10
	v_cndmask_b32_e64 v20, 0, 1, vcc_lo
	v_cmp_gt_u32_e32 vcc_lo, s0, v23
	v_or_b32_e32 v8, v8, v9
	s_delay_alu instid0(VALU_DEP_3) | instskip(SKIP_2) | instid1(VALU_DEP_3)
	v_and_b32_e32 v11, v20, v11
	v_cndmask_b32_e64 v16, 0, 1, vcc_lo
	v_cmp_gt_u32_e32 vcc_lo, s0, v24
	v_lshlrev_b16 v11, 8, v11
	s_delay_alu instid0(VALU_DEP_3) | instskip(SKIP_2) | instid1(VALU_DEP_4)
	;; [unrolled: 10-line block ×3, first 2 shown]
	v_and_b32_e32 v5, v18, v5
	v_cndmask_b32_e64 v19, 0, 1, vcc_lo
	v_cmp_gt_u32_e32 vcc_lo, s0, v28
	v_or_b32_e32 v3, v3, v4
	s_delay_alu instid0(VALU_DEP_3) | instskip(SKIP_2) | instid1(VALU_DEP_4)
	v_and_b32_e32 v6, v19, v6
	v_cndmask_b32_e64 v14, 0, 1, vcc_lo
	v_cmp_gt_u32_e32 vcc_lo, s0, v12
	v_and_b32_e32 v3, 0xffff, v3
	s_delay_alu instid0(VALU_DEP_4) | instskip(NEXT) | instid1(VALU_DEP_4)
	v_lshlrev_b16 v6, 8, v6
	v_and_b32_e32 v54, v14, v1
	v_cndmask_b32_e64 v12, 0, 1, vcc_lo
	s_delay_alu instid0(VALU_DEP_3)
	v_or_b32_e32 v4, v5, v6
	v_lshlrev_b32_e32 v5, 16, v7
	v_and_b32_e32 v6, 0xffff, v8
	v_lshlrev_b32_e32 v7, 16, v9
	v_and_b32_e32 v53, v12, v2
	v_lshlrev_b32_e32 v4, 16, v4
	v_or_b32_e32 v59, v13, v5
	s_delay_alu instid0(VALU_DEP_4) | instskip(NEXT) | instid1(VALU_DEP_3)
	v_or_b32_e32 v56, v6, v7
	v_or_b32_e32 v55, v3, v4
.LBB918_36:
	s_delay_alu instid0(VALU_DEP_3)
	v_dual_mov_b32 v2, 0 :: v_dual_and_b32 v63, 0xff, v59
	v_bfe_u32 v64, v59, 8, 8
	v_bfe_u32 v65, v59, 16, 8
	v_lshrrev_b32_e32 v60, 24, v59
	v_and_b32_e32 v66, 0xff, v56
	v_bfe_u32 v67, v56, 8, 8
	v_add_co_u32 v1, s0, v64, v63
	s_delay_alu instid0(VALU_DEP_1) | instskip(SKIP_1) | instid1(VALU_DEP_3)
	v_add_co_ci_u32_e64 v3, null, 0, 0, s0
	v_bfe_u32 v68, v56, 16, 8
	v_add_co_u32 v1, vcc_lo, v1, v65
	s_delay_alu instid0(VALU_DEP_3) | instskip(SKIP_1) | instid1(VALU_DEP_3)
	v_add_co_ci_u32_e32 v3, vcc_lo, 0, v3, vcc_lo
	v_lshrrev_b32_e32 v58, 24, v56
	v_add_co_u32 v1, vcc_lo, v1, v60
	s_delay_alu instid0(VALU_DEP_3) | instskip(SKIP_1) | instid1(VALU_DEP_3)
	v_add_co_ci_u32_e32 v3, vcc_lo, 0, v3, vcc_lo
	v_and_b32_e32 v69, 0xff, v55
	v_add_co_u32 v1, vcc_lo, v1, v66
	s_delay_alu instid0(VALU_DEP_3) | instskip(SKIP_1) | instid1(VALU_DEP_3)
	v_add_co_ci_u32_e32 v3, vcc_lo, 0, v3, vcc_lo
	v_bfe_u32 v70, v55, 8, 8
	v_add_co_u32 v1, vcc_lo, v1, v67
	s_delay_alu instid0(VALU_DEP_3) | instskip(SKIP_1) | instid1(VALU_DEP_3)
	v_add_co_ci_u32_e32 v3, vcc_lo, 0, v3, vcc_lo
	v_bfe_u32 v71, v55, 16, 8
	v_add_co_u32 v1, vcc_lo, v1, v68
	s_delay_alu instid0(VALU_DEP_3) | instskip(SKIP_1) | instid1(VALU_DEP_3)
	v_add_co_ci_u32_e32 v3, vcc_lo, 0, v3, vcc_lo
	v_lshrrev_b32_e32 v57, 24, v55
	v_add_co_u32 v1, vcc_lo, v1, v58
	s_delay_alu instid0(VALU_DEP_3) | instskip(SKIP_1) | instid1(VALU_DEP_3)
	v_add_co_ci_u32_e32 v3, vcc_lo, 0, v3, vcc_lo
	v_and_b32_e32 v62, 0xff, v54
	v_add_co_u32 v1, vcc_lo, v1, v69
	s_delay_alu instid0(VALU_DEP_3) | instskip(SKIP_1) | instid1(VALU_DEP_3)
	v_add_co_ci_u32_e32 v3, vcc_lo, 0, v3, vcc_lo
	v_mbcnt_lo_u32_b32 v72, -1, 0
	v_add_co_u32 v1, vcc_lo, v1, v70
	s_delay_alu instid0(VALU_DEP_3) | instskip(SKIP_1) | instid1(VALU_DEP_3)
	v_add_co_ci_u32_e32 v3, vcc_lo, 0, v3, vcc_lo
	v_and_b32_e32 v4, 0xff, v53
	v_add_co_u32 v1, vcc_lo, v1, v71
	s_delay_alu instid0(VALU_DEP_3) | instskip(SKIP_1) | instid1(VALU_DEP_3)
	v_add_co_ci_u32_e32 v3, vcc_lo, 0, v3, vcc_lo
	v_and_b32_e32 v73, 15, v72
	v_add_co_u32 v1, vcc_lo, v1, v57
	s_delay_alu instid0(VALU_DEP_3) | instskip(NEXT) | instid1(VALU_DEP_3)
	v_add_co_ci_u32_e32 v3, vcc_lo, 0, v3, vcc_lo
	v_cmp_ne_u32_e64 s0, 0, v73
	s_delay_alu instid0(VALU_DEP_3) | instskip(NEXT) | instid1(VALU_DEP_3)
	v_add_co_u32 v1, vcc_lo, v1, v62
	v_add_co_ci_u32_e32 v3, vcc_lo, 0, v3, vcc_lo
	s_cmp_lg_u32 s15, 0
	s_delay_alu instid0(VALU_DEP_2) | instskip(NEXT) | instid1(VALU_DEP_2)
	v_add_co_u32 v51, vcc_lo, v1, v4
	v_add_co_ci_u32_e32 v52, vcc_lo, 0, v3, vcc_lo
	s_mov_b32 s1, -1
	s_cbranch_scc0 .LBB918_101
; %bb.37:
	s_delay_alu instid0(VALU_DEP_2)
	v_mov_b32_e32 v3, v51
	v_mov_b32_dpp v1, v51 row_shr:1 row_mask:0xf bank_mask:0xf
	v_mov_b32_dpp v6, v2 row_shr:1 row_mask:0xf bank_mask:0xf
	v_dual_mov_b32 v5, v51 :: v_dual_mov_b32 v4, v52
	s_and_saveexec_b32 s1, s0
; %bb.38:
	s_delay_alu instid0(VALU_DEP_3) | instskip(SKIP_1) | instid1(VALU_DEP_2)
	v_add_co_u32 v5, vcc_lo, v51, v1
	v_add_co_ci_u32_e32 v2, vcc_lo, 0, v52, vcc_lo
	v_add_co_u32 v1, vcc_lo, 0, v5
	s_delay_alu instid0(VALU_DEP_2) | instskip(NEXT) | instid1(VALU_DEP_1)
	v_add_co_ci_u32_e32 v2, vcc_lo, v6, v2, vcc_lo
	v_dual_mov_b32 v4, v2 :: v_dual_mov_b32 v3, v1
; %bb.39:
	s_or_b32 exec_lo, exec_lo, s1
	v_mov_b32_dpp v1, v5 row_shr:2 row_mask:0xf bank_mask:0xf
	v_mov_b32_dpp v6, v2 row_shr:2 row_mask:0xf bank_mask:0xf
	s_mov_b32 s1, exec_lo
	v_cmpx_lt_u32_e32 1, v73
; %bb.40:
	s_delay_alu instid0(VALU_DEP_3) | instskip(SKIP_1) | instid1(VALU_DEP_2)
	v_add_co_u32 v5, vcc_lo, v3, v1
	v_add_co_ci_u32_e32 v2, vcc_lo, 0, v4, vcc_lo
	v_add_co_u32 v1, vcc_lo, 0, v5
	s_delay_alu instid0(VALU_DEP_2) | instskip(NEXT) | instid1(VALU_DEP_1)
	v_add_co_ci_u32_e32 v2, vcc_lo, v6, v2, vcc_lo
	v_dual_mov_b32 v4, v2 :: v_dual_mov_b32 v3, v1
; %bb.41:
	s_or_b32 exec_lo, exec_lo, s1
	v_mov_b32_dpp v1, v5 row_shr:4 row_mask:0xf bank_mask:0xf
	v_mov_b32_dpp v6, v2 row_shr:4 row_mask:0xf bank_mask:0xf
	s_mov_b32 s1, exec_lo
	v_cmpx_lt_u32_e32 3, v73
	;; [unrolled: 14-line block ×3, first 2 shown]
; %bb.44:
	s_delay_alu instid0(VALU_DEP_3) | instskip(SKIP_1) | instid1(VALU_DEP_2)
	v_add_co_u32 v5, vcc_lo, v3, v6
	v_add_co_ci_u32_e32 v2, vcc_lo, 0, v4, vcc_lo
	v_add_co_u32 v3, vcc_lo, 0, v5
	s_delay_alu instid0(VALU_DEP_2) | instskip(NEXT) | instid1(VALU_DEP_1)
	v_add_co_ci_u32_e32 v4, vcc_lo, v1, v2, vcc_lo
	v_mov_b32_e32 v2, v4
; %bb.45:
	s_or_b32 exec_lo, exec_lo, s1
	ds_swizzle_b32 v1, v5 offset:swizzle(BROADCAST,32,15)
	ds_swizzle_b32 v6, v2 offset:swizzle(BROADCAST,32,15)
	v_and_b32_e32 v7, 16, v72
	s_mov_b32 s1, exec_lo
	s_delay_alu instid0(VALU_DEP_1)
	v_cmpx_ne_u32_e32 0, v7
	s_cbranch_execz .LBB918_47
; %bb.46:
	s_waitcnt lgkmcnt(1)
	v_add_co_u32 v5, vcc_lo, v3, v1
	v_add_co_ci_u32_e32 v2, vcc_lo, 0, v4, vcc_lo
	s_delay_alu instid0(VALU_DEP_2) | instskip(SKIP_1) | instid1(VALU_DEP_2)
	v_add_co_u32 v1, vcc_lo, 0, v5
	s_waitcnt lgkmcnt(0)
	v_add_co_ci_u32_e32 v2, vcc_lo, v6, v2, vcc_lo
	s_delay_alu instid0(VALU_DEP_1)
	v_dual_mov_b32 v4, v2 :: v_dual_mov_b32 v3, v1
.LBB918_47:
	s_or_b32 exec_lo, exec_lo, s1
	s_waitcnt lgkmcnt(0)
	v_or_b32_e32 v6, 31, v0
	v_lshrrev_b32_e32 v1, 5, v0
	s_mov_b32 s1, exec_lo
	s_delay_alu instid0(VALU_DEP_2)
	v_cmpx_eq_u32_e64 v6, v0
	s_cbranch_execz .LBB918_49
; %bb.48:
	s_delay_alu instid0(VALU_DEP_2)
	v_lshlrev_b32_e32 v6, 3, v1
	ds_store_b64 v6, v[3:4]
.LBB918_49:
	s_or_b32 exec_lo, exec_lo, s1
	s_delay_alu instid0(SALU_CYCLE_1)
	s_mov_b32 s1, exec_lo
	s_waitcnt lgkmcnt(0)
	s_barrier
	buffer_gl0_inv
	v_cmpx_gt_u32_e32 4, v0
	s_cbranch_execz .LBB918_55
; %bb.50:
	v_lshlrev_b32_e32 v6, 3, v0
	s_mov_b32 s12, exec_lo
	ds_load_b64 v[3:4], v6
	s_waitcnt lgkmcnt(0)
	v_dual_mov_b32 v8, v3 :: v_dual_and_b32 v7, 3, v72
	v_mov_b32_dpp v10, v3 row_shr:1 row_mask:0xf bank_mask:0xf
	v_mov_b32_dpp v9, v4 row_shr:1 row_mask:0xf bank_mask:0xf
	s_delay_alu instid0(VALU_DEP_3)
	v_cmpx_ne_u32_e32 0, v7
; %bb.51:
	s_delay_alu instid0(VALU_DEP_3) | instskip(SKIP_1) | instid1(VALU_DEP_2)
	v_add_co_u32 v8, vcc_lo, v3, v10
	v_add_co_ci_u32_e32 v4, vcc_lo, 0, v4, vcc_lo
	v_add_co_u32 v3, vcc_lo, 0, v8
	s_delay_alu instid0(VALU_DEP_2)
	v_add_co_ci_u32_e32 v4, vcc_lo, v9, v4, vcc_lo
; %bb.52:
	s_or_b32 exec_lo, exec_lo, s12
	v_mov_b32_dpp v9, v8 row_shr:2 row_mask:0xf bank_mask:0xf
	s_delay_alu instid0(VALU_DEP_2)
	v_mov_b32_dpp v8, v4 row_shr:2 row_mask:0xf bank_mask:0xf
	s_mov_b32 s12, exec_lo
	v_cmpx_lt_u32_e32 1, v7
; %bb.53:
	s_delay_alu instid0(VALU_DEP_3) | instskip(SKIP_1) | instid1(VALU_DEP_2)
	v_add_co_u32 v3, vcc_lo, v3, v9
	v_add_co_ci_u32_e32 v4, vcc_lo, 0, v4, vcc_lo
	v_add_co_u32 v3, vcc_lo, v3, 0
	s_delay_alu instid0(VALU_DEP_2)
	v_add_co_ci_u32_e32 v4, vcc_lo, v4, v8, vcc_lo
; %bb.54:
	s_or_b32 exec_lo, exec_lo, s12
	ds_store_b64 v6, v[3:4]
.LBB918_55:
	s_or_b32 exec_lo, exec_lo, s1
	v_cmp_gt_u32_e32 vcc_lo, 32, v0
	s_mov_b32 s12, exec_lo
	s_waitcnt lgkmcnt(0)
	s_barrier
	buffer_gl0_inv
                                        ; implicit-def: $vgpr9_vgpr10
	v_cmpx_lt_u32_e32 31, v0
	s_cbranch_execz .LBB918_57
; %bb.56:
	v_lshl_add_u32 v1, v1, 3, -8
	ds_load_b64 v[9:10], v1
	s_waitcnt lgkmcnt(0)
	v_add_co_u32 v5, s1, v5, v9
	s_delay_alu instid0(VALU_DEP_1)
	v_add_co_ci_u32_e64 v2, s1, v2, v10, s1
.LBB918_57:
	s_or_b32 exec_lo, exec_lo, s12
	v_add_nc_u32_e32 v1, -1, v72
	s_delay_alu instid0(VALU_DEP_1) | instskip(NEXT) | instid1(VALU_DEP_1)
	v_cmp_gt_i32_e64 s1, 0, v1
	v_cndmask_b32_e64 v1, v1, v72, s1
	v_cmp_eq_u32_e64 s1, 0, v72
	s_delay_alu instid0(VALU_DEP_2)
	v_lshlrev_b32_e32 v1, 2, v1
	ds_bpermute_b32 v15, v1, v5
	ds_bpermute_b32 v16, v1, v2
	s_and_saveexec_b32 s12, vcc_lo
	s_cbranch_execz .LBB918_100
; %bb.58:
	v_mov_b32_e32 v4, 0
	ds_load_b64 v[1:2], v4 offset:24
	s_and_saveexec_b32 s13, s1
	s_cbranch_execz .LBB918_60
; %bb.59:
	s_add_i32 s16, s15, 32
	s_mov_b32 s17, 0
	s_delay_alu instid0(SALU_CYCLE_1) | instskip(NEXT) | instid1(SALU_CYCLE_1)
	s_lshl_b64 s[16:17], s[16:17], 4
	s_add_u32 s16, s8, s16
	s_addc_u32 s17, s9, s17
	v_mov_b32_e32 v5, s16
	v_dual_mov_b32 v3, 1 :: v_dual_mov_b32 v6, s17
	s_waitcnt lgkmcnt(0)
	;;#ASMSTART
	global_store_dwordx4 v[5:6], v[1:4] off	
s_waitcnt vmcnt(0)
	;;#ASMEND
.LBB918_60:
	s_or_b32 exec_lo, exec_lo, s13
	v_xad_u32 v11, v72, -1, s15
	s_mov_b32 s14, 0
	s_mov_b32 s13, exec_lo
	s_delay_alu instid0(VALU_DEP_1) | instskip(NEXT) | instid1(VALU_DEP_1)
	v_add_nc_u32_e32 v3, 32, v11
	v_lshlrev_b64 v[3:4], 4, v[3:4]
	s_delay_alu instid0(VALU_DEP_1) | instskip(NEXT) | instid1(VALU_DEP_2)
	v_add_co_u32 v3, vcc_lo, s8, v3
	v_add_co_ci_u32_e32 v4, vcc_lo, s9, v4, vcc_lo
	;;#ASMSTART
	global_load_dwordx4 v[5:8], v[3:4] off glc	
s_waitcnt vmcnt(0)
	;;#ASMEND
	v_and_b32_e32 v8, 0xff, v6
	v_and_b32_e32 v12, 0xff00, v6
	v_or3_b32 v5, v5, 0, 0
	v_and_b32_e32 v13, 0xff000000, v6
	v_and_b32_e32 v6, 0xff0000, v6
	s_delay_alu instid0(VALU_DEP_4) | instskip(SKIP_2) | instid1(VALU_DEP_3)
	v_or3_b32 v8, 0, v8, v12
	v_and_b32_e32 v12, 0xff, v7
	v_or3_b32 v5, v5, 0, 0
	v_or3_b32 v6, v8, v6, v13
	s_delay_alu instid0(VALU_DEP_3)
	v_cmpx_eq_u16_e32 0, v12
	s_cbranch_execz .LBB918_66
; %bb.61:
	s_mov_b32 s16, 1
	.p2align	6
.LBB918_62:                             ; =>This Loop Header: Depth=1
                                        ;     Child Loop BB918_63 Depth 2
	s_delay_alu instid0(SALU_CYCLE_1)
	s_max_u32 s17, s16, 1
.LBB918_63:                             ;   Parent Loop BB918_62 Depth=1
                                        ; =>  This Inner Loop Header: Depth=2
	s_delay_alu instid0(SALU_CYCLE_1)
	s_add_i32 s17, s17, -1
	s_sleep 1
	s_cmp_eq_u32 s17, 0
	s_cbranch_scc0 .LBB918_63
; %bb.64:                               ;   in Loop: Header=BB918_62 Depth=1
	;;#ASMSTART
	global_load_dwordx4 v[5:8], v[3:4] off glc	
s_waitcnt vmcnt(0)
	;;#ASMEND
	v_and_b32_e32 v8, 0xff, v7
	s_cmp_lt_u32 s16, 32
	s_cselect_b32 s17, -1, 0
	s_delay_alu instid0(SALU_CYCLE_1) | instskip(NEXT) | instid1(VALU_DEP_1)
	s_cmp_lg_u32 s17, 0
	v_cmp_ne_u16_e32 vcc_lo, 0, v8
	s_addc_u32 s16, s16, 0
	s_or_b32 s14, vcc_lo, s14
	s_delay_alu instid0(SALU_CYCLE_1)
	s_and_not1_b32 exec_lo, exec_lo, s14
	s_cbranch_execnz .LBB918_62
; %bb.65:
	s_or_b32 exec_lo, exec_lo, s14
.LBB918_66:
	s_delay_alu instid0(SALU_CYCLE_1)
	s_or_b32 exec_lo, exec_lo, s13
	v_cmp_ne_u32_e32 vcc_lo, 31, v72
	v_and_b32_e32 v4, 0xff, v7
	v_lshlrev_b32_e64 v18, v72, -1
	s_mov_b32 s13, exec_lo
	v_add_co_ci_u32_e32 v3, vcc_lo, 0, v72, vcc_lo
	s_delay_alu instid0(VALU_DEP_3) | instskip(NEXT) | instid1(VALU_DEP_2)
	v_cmp_eq_u16_e32 vcc_lo, 2, v4
	v_dual_mov_b32 v4, v5 :: v_dual_lshlrev_b32 v17, 2, v3
	v_and_or_b32 v3, vcc_lo, v18, 0x80000000
	ds_bpermute_b32 v12, v17, v5
	ds_bpermute_b32 v8, v17, v6
	v_ctz_i32_b32_e32 v3, v3
	s_delay_alu instid0(VALU_DEP_1)
	v_cmpx_lt_u32_e64 v72, v3
	s_cbranch_execz .LBB918_68
; %bb.67:
	s_waitcnt lgkmcnt(1)
	v_add_co_u32 v4, vcc_lo, v5, v12
	v_add_co_ci_u32_e32 v6, vcc_lo, 0, v6, vcc_lo
	s_delay_alu instid0(VALU_DEP_2) | instskip(SKIP_1) | instid1(VALU_DEP_2)
	v_add_co_u32 v5, vcc_lo, 0, v4
	s_waitcnt lgkmcnt(0)
	v_add_co_ci_u32_e32 v6, vcc_lo, v8, v6, vcc_lo
.LBB918_68:
	s_or_b32 exec_lo, exec_lo, s13
	v_cmp_gt_u32_e32 vcc_lo, 30, v72
	v_add_nc_u32_e32 v20, 2, v72
	s_mov_b32 s13, exec_lo
	s_waitcnt lgkmcnt(0)
	v_cndmask_b32_e64 v8, 0, 1, vcc_lo
	s_delay_alu instid0(VALU_DEP_1) | instskip(NEXT) | instid1(VALU_DEP_1)
	v_lshlrev_b32_e32 v8, 1, v8
	v_add_lshl_u32 v19, v8, v72, 2
	ds_bpermute_b32 v12, v19, v4
	ds_bpermute_b32 v8, v19, v6
	v_cmpx_le_u32_e64 v20, v3
	s_cbranch_execz .LBB918_70
; %bb.69:
	s_waitcnt lgkmcnt(1)
	v_add_co_u32 v4, vcc_lo, v5, v12
	v_add_co_ci_u32_e32 v6, vcc_lo, 0, v6, vcc_lo
	s_delay_alu instid0(VALU_DEP_2) | instskip(SKIP_1) | instid1(VALU_DEP_2)
	v_add_co_u32 v5, vcc_lo, 0, v4
	s_waitcnt lgkmcnt(0)
	v_add_co_ci_u32_e32 v6, vcc_lo, v8, v6, vcc_lo
.LBB918_70:
	s_or_b32 exec_lo, exec_lo, s13
	v_cmp_gt_u32_e32 vcc_lo, 28, v72
	v_add_nc_u32_e32 v22, 4, v72
	s_mov_b32 s13, exec_lo
	s_waitcnt lgkmcnt(0)
	v_cndmask_b32_e64 v8, 0, 1, vcc_lo
	s_delay_alu instid0(VALU_DEP_1) | instskip(NEXT) | instid1(VALU_DEP_1)
	v_lshlrev_b32_e32 v8, 2, v8
	v_add_lshl_u32 v21, v8, v72, 2
	ds_bpermute_b32 v12, v21, v4
	ds_bpermute_b32 v8, v21, v6
	v_cmpx_le_u32_e64 v22, v3
	;; [unrolled: 22-line block ×4, first 2 shown]
	s_cbranch_execz .LBB918_76
; %bb.75:
	s_waitcnt lgkmcnt(1)
	v_add_co_u32 v3, vcc_lo, v5, v8
	v_add_co_ci_u32_e32 v6, vcc_lo, 0, v6, vcc_lo
	s_delay_alu instid0(VALU_DEP_2) | instskip(SKIP_1) | instid1(VALU_DEP_2)
	v_add_co_u32 v5, vcc_lo, v3, 0
	s_waitcnt lgkmcnt(0)
	v_add_co_ci_u32_e32 v6, vcc_lo, v6, v4, vcc_lo
.LBB918_76:
	s_or_b32 exec_lo, exec_lo, s13
	v_mov_b32_e32 v12, 0
	s_branch .LBB918_78
.LBB918_77:                             ;   in Loop: Header=BB918_78 Depth=1
	s_or_b32 exec_lo, exec_lo, s13
	v_add_co_u32 v5, vcc_lo, v5, v3
	v_subrev_nc_u32_e32 v11, 32, v11
	v_add_co_ci_u32_e32 v6, vcc_lo, v6, v4, vcc_lo
.LBB918_78:                             ; =>This Loop Header: Depth=1
                                        ;     Child Loop BB918_81 Depth 2
                                        ;       Child Loop BB918_82 Depth 3
	v_and_b32_e32 v3, 0xff, v7
	s_delay_alu instid0(VALU_DEP_1) | instskip(SKIP_2) | instid1(VALU_DEP_1)
	v_cmp_ne_u16_e32 vcc_lo, 2, v3
	v_cndmask_b32_e64 v3, 0, 1, vcc_lo
	;;#ASMSTART
	;;#ASMEND
	v_cmp_ne_u32_e32 vcc_lo, 0, v3
	s_waitcnt lgkmcnt(0)
	v_dual_mov_b32 v3, v5 :: v_dual_mov_b32 v4, v6
	s_cmp_lg_u32 vcc_lo, exec_lo
	s_cbranch_scc1 .LBB918_95
; %bb.79:                               ;   in Loop: Header=BB918_78 Depth=1
	v_lshlrev_b64 v[5:6], 4, v[11:12]
	s_mov_b32 s13, exec_lo
	s_delay_alu instid0(VALU_DEP_1) | instskip(NEXT) | instid1(VALU_DEP_2)
	v_add_co_u32 v13, vcc_lo, s8, v5
	v_add_co_ci_u32_e32 v14, vcc_lo, s9, v6, vcc_lo
	;;#ASMSTART
	global_load_dwordx4 v[5:8], v[13:14] off glc	
s_waitcnt vmcnt(0)
	;;#ASMEND
	v_and_b32_e32 v8, 0xff, v6
	v_and_b32_e32 v27, 0xff00, v6
	v_or3_b32 v5, v5, 0, 0
	v_and_b32_e32 v28, 0xff000000, v6
	v_and_b32_e32 v6, 0xff0000, v6
	s_delay_alu instid0(VALU_DEP_4) | instskip(SKIP_2) | instid1(VALU_DEP_3)
	v_or3_b32 v8, 0, v8, v27
	v_and_b32_e32 v27, 0xff, v7
	v_or3_b32 v5, v5, 0, 0
	v_or3_b32 v6, v8, v6, v28
	s_delay_alu instid0(VALU_DEP_3)
	v_cmpx_eq_u16_e32 0, v27
	s_cbranch_execz .LBB918_85
; %bb.80:                               ;   in Loop: Header=BB918_78 Depth=1
	s_mov_b32 s16, 1
	s_mov_b32 s14, 0
	.p2align	6
.LBB918_81:                             ;   Parent Loop BB918_78 Depth=1
                                        ; =>  This Loop Header: Depth=2
                                        ;       Child Loop BB918_82 Depth 3
	s_max_u32 s17, s16, 1
.LBB918_82:                             ;   Parent Loop BB918_78 Depth=1
                                        ;     Parent Loop BB918_81 Depth=2
                                        ; =>    This Inner Loop Header: Depth=3
	s_delay_alu instid0(SALU_CYCLE_1)
	s_add_i32 s17, s17, -1
	s_sleep 1
	s_cmp_eq_u32 s17, 0
	s_cbranch_scc0 .LBB918_82
; %bb.83:                               ;   in Loop: Header=BB918_81 Depth=2
	;;#ASMSTART
	global_load_dwordx4 v[5:8], v[13:14] off glc	
s_waitcnt vmcnt(0)
	;;#ASMEND
	v_and_b32_e32 v8, 0xff, v7
	s_cmp_lt_u32 s16, 32
	s_cselect_b32 s17, -1, 0
	s_delay_alu instid0(SALU_CYCLE_1) | instskip(NEXT) | instid1(VALU_DEP_1)
	s_cmp_lg_u32 s17, 0
	v_cmp_ne_u16_e32 vcc_lo, 0, v8
	s_addc_u32 s16, s16, 0
	s_or_b32 s14, vcc_lo, s14
	s_delay_alu instid0(SALU_CYCLE_1)
	s_and_not1_b32 exec_lo, exec_lo, s14
	s_cbranch_execnz .LBB918_81
; %bb.84:                               ;   in Loop: Header=BB918_78 Depth=1
	s_or_b32 exec_lo, exec_lo, s14
.LBB918_85:                             ;   in Loop: Header=BB918_78 Depth=1
	s_delay_alu instid0(SALU_CYCLE_1)
	s_or_b32 exec_lo, exec_lo, s13
	v_dual_mov_b32 v13, v5 :: v_dual_and_b32 v8, 0xff, v7
	ds_bpermute_b32 v27, v17, v5
	ds_bpermute_b32 v14, v17, v6
	s_mov_b32 s13, exec_lo
	v_cmp_eq_u16_e32 vcc_lo, 2, v8
	v_and_or_b32 v8, vcc_lo, v18, 0x80000000
	s_delay_alu instid0(VALU_DEP_1) | instskip(NEXT) | instid1(VALU_DEP_1)
	v_ctz_i32_b32_e32 v8, v8
	v_cmpx_lt_u32_e64 v72, v8
	s_cbranch_execz .LBB918_87
; %bb.86:                               ;   in Loop: Header=BB918_78 Depth=1
	s_waitcnt lgkmcnt(1)
	v_add_co_u32 v13, vcc_lo, v5, v27
	v_add_co_ci_u32_e32 v6, vcc_lo, 0, v6, vcc_lo
	s_delay_alu instid0(VALU_DEP_2) | instskip(SKIP_1) | instid1(VALU_DEP_2)
	v_add_co_u32 v5, vcc_lo, 0, v13
	s_waitcnt lgkmcnt(0)
	v_add_co_ci_u32_e32 v6, vcc_lo, v14, v6, vcc_lo
.LBB918_87:                             ;   in Loop: Header=BB918_78 Depth=1
	s_or_b32 exec_lo, exec_lo, s13
	s_waitcnt lgkmcnt(1)
	ds_bpermute_b32 v27, v19, v13
	s_waitcnt lgkmcnt(1)
	ds_bpermute_b32 v14, v19, v6
	s_mov_b32 s13, exec_lo
	v_cmpx_le_u32_e64 v20, v8
	s_cbranch_execz .LBB918_89
; %bb.88:                               ;   in Loop: Header=BB918_78 Depth=1
	s_waitcnt lgkmcnt(1)
	v_add_co_u32 v13, vcc_lo, v5, v27
	v_add_co_ci_u32_e32 v6, vcc_lo, 0, v6, vcc_lo
	s_delay_alu instid0(VALU_DEP_2) | instskip(SKIP_1) | instid1(VALU_DEP_2)
	v_add_co_u32 v5, vcc_lo, 0, v13
	s_waitcnt lgkmcnt(0)
	v_add_co_ci_u32_e32 v6, vcc_lo, v14, v6, vcc_lo
.LBB918_89:                             ;   in Loop: Header=BB918_78 Depth=1
	s_or_b32 exec_lo, exec_lo, s13
	s_waitcnt lgkmcnt(1)
	ds_bpermute_b32 v27, v21, v13
	s_waitcnt lgkmcnt(1)
	ds_bpermute_b32 v14, v21, v6
	s_mov_b32 s13, exec_lo
	v_cmpx_le_u32_e64 v22, v8
	;; [unrolled: 17-line block ×3, first 2 shown]
	s_cbranch_execz .LBB918_93
; %bb.92:                               ;   in Loop: Header=BB918_78 Depth=1
	s_waitcnt lgkmcnt(1)
	v_add_co_u32 v13, vcc_lo, v5, v27
	v_add_co_ci_u32_e32 v6, vcc_lo, 0, v6, vcc_lo
	s_delay_alu instid0(VALU_DEP_2) | instskip(SKIP_1) | instid1(VALU_DEP_2)
	v_add_co_u32 v5, vcc_lo, 0, v13
	s_waitcnt lgkmcnt(0)
	v_add_co_ci_u32_e32 v6, vcc_lo, v14, v6, vcc_lo
.LBB918_93:                             ;   in Loop: Header=BB918_78 Depth=1
	s_or_b32 exec_lo, exec_lo, s13
	s_waitcnt lgkmcnt(0)
	ds_bpermute_b32 v14, v25, v13
	ds_bpermute_b32 v13, v25, v6
	s_mov_b32 s13, exec_lo
	v_cmpx_le_u32_e64 v26, v8
	s_cbranch_execz .LBB918_77
; %bb.94:                               ;   in Loop: Header=BB918_78 Depth=1
	s_waitcnt lgkmcnt(1)
	v_add_co_u32 v5, vcc_lo, v5, v14
	v_add_co_ci_u32_e32 v6, vcc_lo, 0, v6, vcc_lo
	s_delay_alu instid0(VALU_DEP_2) | instskip(SKIP_1) | instid1(VALU_DEP_2)
	v_add_co_u32 v5, vcc_lo, v5, 0
	s_waitcnt lgkmcnt(0)
	v_add_co_ci_u32_e32 v6, vcc_lo, v6, v13, vcc_lo
	s_branch .LBB918_77
.LBB918_95:                             ;   in Loop: Header=BB918_78 Depth=1
                                        ; implicit-def: $vgpr5_vgpr6
	s_cbranch_execz .LBB918_78
; %bb.96:
	s_and_saveexec_b32 s13, s1
	s_cbranch_execz .LBB918_98
; %bb.97:
	s_add_i32 s14, s15, 32
	s_mov_b32 s15, 0
	v_add_co_u32 v5, vcc_lo, v3, v1
	s_lshl_b64 s[14:15], s[14:15], 4
	v_dual_mov_b32 v7, 2 :: v_dual_mov_b32 v8, 0
	s_add_u32 s14, s8, s14
	s_addc_u32 s15, s9, s15
	v_add_co_ci_u32_e32 v6, vcc_lo, v4, v2, vcc_lo
	v_dual_mov_b32 v11, s14 :: v_dual_mov_b32 v12, s15
	;;#ASMSTART
	global_store_dwordx4 v[11:12], v[5:8] off	
s_waitcnt vmcnt(0)
	;;#ASMEND
	ds_store_b128 v8, v[1:4] offset:7168
.LBB918_98:
	s_or_b32 exec_lo, exec_lo, s13
	v_cmp_eq_u32_e32 vcc_lo, 0, v0
	s_and_b32 exec_lo, exec_lo, vcc_lo
	s_cbranch_execz .LBB918_100
; %bb.99:
	v_mov_b32_e32 v1, 0
	ds_store_b64 v1, v[3:4] offset:24
.LBB918_100:
	s_or_b32 exec_lo, exec_lo, s12
	s_waitcnt lgkmcnt(0)
	v_cndmask_b32_e64 v4, v16, v10, s1
	v_cmp_ne_u32_e32 vcc_lo, 0, v0
	v_mov_b32_e32 v21, 0
	s_barrier
	buffer_gl0_inv
	v_cndmask_b32_e32 v4, 0, v4, vcc_lo
	ds_load_b64 v[1:2], v21 offset:24
	v_cndmask_b32_e64 v3, v15, v9, s1
	s_waitcnt lgkmcnt(0)
	s_barrier
	buffer_gl0_inv
	ds_load_b128 v[45:48], v21 offset:7168
	v_cndmask_b32_e32 v3, 0, v3, vcc_lo
	s_delay_alu instid0(VALU_DEP_1) | instskip(SKIP_1) | instid1(VALU_DEP_2)
	v_add_co_u32 v1, vcc_lo, v1, v3
	v_add_co_ci_u32_e32 v2, vcc_lo, v2, v4, vcc_lo
	v_add_co_u32 v3, vcc_lo, v1, v63
	s_delay_alu instid0(VALU_DEP_2) | instskip(NEXT) | instid1(VALU_DEP_2)
	v_add_co_ci_u32_e32 v4, vcc_lo, 0, v2, vcc_lo
	v_add_co_u32 v5, vcc_lo, v3, v64
	s_delay_alu instid0(VALU_DEP_2) | instskip(NEXT) | instid1(VALU_DEP_2)
	;; [unrolled: 3-line block ×12, first 2 shown]
	v_add_co_ci_u32_e32 v26, vcc_lo, 0, v24, vcc_lo
	v_add_co_u32 v27, vcc_lo, v25, v62
	s_delay_alu instid0(VALU_DEP_2)
	v_add_co_ci_u32_e32 v28, vcc_lo, 0, v26, vcc_lo
	s_branch .LBB918_125
.LBB918_101:
                                        ; implicit-def: $vgpr47_vgpr48
                                        ; implicit-def: $vgpr1_vgpr2_vgpr3_vgpr4_vgpr5_vgpr6_vgpr7_vgpr8_vgpr9_vgpr10_vgpr11_vgpr12_vgpr13_vgpr14_vgpr15_vgpr16_vgpr17_vgpr18_vgpr19_vgpr20_vgpr21_vgpr22_vgpr23_vgpr24_vgpr25_vgpr26_vgpr27_vgpr28_vgpr29_vgpr30_vgpr31_vgpr32
	s_and_b32 vcc_lo, exec_lo, s1
	s_cbranch_vccz .LBB918_125
; %bb.102:
	v_dual_mov_b32 v2, 0 :: v_dual_mov_b32 v3, v51
	v_mov_b32_dpp v4, v51 row_shr:1 row_mask:0xf bank_mask:0xf
	s_delay_alu instid0(VALU_DEP_2)
	v_mov_b32_dpp v1, v2 row_shr:1 row_mask:0xf bank_mask:0xf
	s_and_saveexec_b32 s1, s0
; %bb.103:
	s_delay_alu instid0(VALU_DEP_2) | instskip(SKIP_1) | instid1(VALU_DEP_2)
	v_add_co_u32 v3, vcc_lo, v51, v4
	v_add_co_ci_u32_e32 v2, vcc_lo, 0, v52, vcc_lo
	v_add_co_u32 v51, vcc_lo, 0, v3
	s_delay_alu instid0(VALU_DEP_2) | instskip(NEXT) | instid1(VALU_DEP_1)
	v_add_co_ci_u32_e32 v52, vcc_lo, v1, v2, vcc_lo
	v_mov_b32_e32 v2, v52
; %bb.104:
	s_or_b32 exec_lo, exec_lo, s1
	v_mov_b32_dpp v1, v3 row_shr:2 row_mask:0xf bank_mask:0xf
	s_delay_alu instid0(VALU_DEP_2)
	v_mov_b32_dpp v4, v2 row_shr:2 row_mask:0xf bank_mask:0xf
	s_mov_b32 s0, exec_lo
	v_cmpx_lt_u32_e32 1, v73
; %bb.105:
	s_delay_alu instid0(VALU_DEP_3) | instskip(SKIP_1) | instid1(VALU_DEP_2)
	v_add_co_u32 v3, vcc_lo, v51, v1
	v_add_co_ci_u32_e32 v2, vcc_lo, 0, v52, vcc_lo
	v_add_co_u32 v1, vcc_lo, 0, v3
	s_delay_alu instid0(VALU_DEP_2) | instskip(NEXT) | instid1(VALU_DEP_1)
	v_add_co_ci_u32_e32 v2, vcc_lo, v4, v2, vcc_lo
	v_dual_mov_b32 v52, v2 :: v_dual_mov_b32 v51, v1
; %bb.106:
	s_or_b32 exec_lo, exec_lo, s0
	v_mov_b32_dpp v1, v3 row_shr:4 row_mask:0xf bank_mask:0xf
	v_mov_b32_dpp v4, v2 row_shr:4 row_mask:0xf bank_mask:0xf
	s_mov_b32 s0, exec_lo
	v_cmpx_lt_u32_e32 3, v73
; %bb.107:
	s_delay_alu instid0(VALU_DEP_3) | instskip(SKIP_1) | instid1(VALU_DEP_2)
	v_add_co_u32 v3, vcc_lo, v51, v1
	v_add_co_ci_u32_e32 v2, vcc_lo, 0, v52, vcc_lo
	v_add_co_u32 v1, vcc_lo, 0, v3
	s_delay_alu instid0(VALU_DEP_2) | instskip(NEXT) | instid1(VALU_DEP_1)
	v_add_co_ci_u32_e32 v2, vcc_lo, v4, v2, vcc_lo
	v_dual_mov_b32 v52, v2 :: v_dual_mov_b32 v51, v1
; %bb.108:
	s_or_b32 exec_lo, exec_lo, s0
	v_mov_b32_dpp v4, v3 row_shr:8 row_mask:0xf bank_mask:0xf
	v_mov_b32_dpp v1, v2 row_shr:8 row_mask:0xf bank_mask:0xf
	s_mov_b32 s0, exec_lo
	v_cmpx_lt_u32_e32 7, v73
; %bb.109:
	s_delay_alu instid0(VALU_DEP_3) | instskip(SKIP_1) | instid1(VALU_DEP_2)
	v_add_co_u32 v3, vcc_lo, v51, v4
	v_add_co_ci_u32_e32 v2, vcc_lo, 0, v52, vcc_lo
	v_add_co_u32 v51, vcc_lo, 0, v3
	s_delay_alu instid0(VALU_DEP_2) | instskip(NEXT) | instid1(VALU_DEP_1)
	v_add_co_ci_u32_e32 v52, vcc_lo, v1, v2, vcc_lo
	v_mov_b32_e32 v2, v52
; %bb.110:
	s_or_b32 exec_lo, exec_lo, s0
	ds_swizzle_b32 v3, v3 offset:swizzle(BROADCAST,32,15)
	ds_swizzle_b32 v1, v2 offset:swizzle(BROADCAST,32,15)
	v_and_b32_e32 v2, 16, v72
	s_mov_b32 s0, exec_lo
	s_delay_alu instid0(VALU_DEP_1)
	v_cmpx_ne_u32_e32 0, v2
	s_cbranch_execz .LBB918_112
; %bb.111:
	s_waitcnt lgkmcnt(1)
	v_add_co_u32 v2, vcc_lo, v51, v3
	v_add_co_ci_u32_e32 v3, vcc_lo, 0, v52, vcc_lo
	s_delay_alu instid0(VALU_DEP_2) | instskip(SKIP_1) | instid1(VALU_DEP_2)
	v_add_co_u32 v51, vcc_lo, v2, 0
	s_waitcnt lgkmcnt(0)
	v_add_co_ci_u32_e32 v52, vcc_lo, v3, v1, vcc_lo
.LBB918_112:
	s_or_b32 exec_lo, exec_lo, s0
	s_waitcnt lgkmcnt(0)
	v_or_b32_e32 v1, 31, v0
	v_lshrrev_b32_e32 v3, 5, v0
	s_mov_b32 s0, exec_lo
	s_delay_alu instid0(VALU_DEP_2)
	v_cmpx_eq_u32_e64 v1, v0
	s_cbranch_execz .LBB918_114
; %bb.113:
	s_delay_alu instid0(VALU_DEP_2)
	v_lshlrev_b32_e32 v1, 3, v3
	ds_store_b64 v1, v[51:52]
.LBB918_114:
	s_or_b32 exec_lo, exec_lo, s0
	s_delay_alu instid0(SALU_CYCLE_1)
	s_mov_b32 s0, exec_lo
	s_waitcnt lgkmcnt(0)
	s_barrier
	buffer_gl0_inv
	v_cmpx_gt_u32_e32 4, v0
	s_cbranch_execz .LBB918_120
; %bb.115:
	v_mad_i32_i24 v1, 0xffffffd0, v0, v61
	s_mov_b32 s1, exec_lo
	ds_load_b64 v[1:2], v1
	s_waitcnt lgkmcnt(0)
	v_dual_mov_b32 v5, v1 :: v_dual_and_b32 v4, 3, v72
	v_mov_b32_dpp v7, v1 row_shr:1 row_mask:0xf bank_mask:0xf
	v_mov_b32_dpp v6, v2 row_shr:1 row_mask:0xf bank_mask:0xf
	s_delay_alu instid0(VALU_DEP_3)
	v_cmpx_ne_u32_e32 0, v4
; %bb.116:
	s_delay_alu instid0(VALU_DEP_3) | instskip(SKIP_1) | instid1(VALU_DEP_2)
	v_add_co_u32 v5, vcc_lo, v1, v7
	v_add_co_ci_u32_e32 v2, vcc_lo, 0, v2, vcc_lo
	v_add_co_u32 v1, vcc_lo, 0, v5
	s_delay_alu instid0(VALU_DEP_2)
	v_add_co_ci_u32_e32 v2, vcc_lo, v6, v2, vcc_lo
; %bb.117:
	s_or_b32 exec_lo, exec_lo, s1
	v_mul_i32_i24_e32 v6, 0xffffffd0, v0
	v_mov_b32_dpp v7, v5 row_shr:2 row_mask:0xf bank_mask:0xf
	s_delay_alu instid0(VALU_DEP_3)
	v_mov_b32_dpp v5, v2 row_shr:2 row_mask:0xf bank_mask:0xf
	s_mov_b32 s1, exec_lo
	v_cmpx_lt_u32_e32 1, v4
; %bb.118:
	s_delay_alu instid0(VALU_DEP_3) | instskip(SKIP_1) | instid1(VALU_DEP_2)
	v_add_co_u32 v1, vcc_lo, v1, v7
	v_add_co_ci_u32_e32 v2, vcc_lo, 0, v2, vcc_lo
	v_add_co_u32 v1, vcc_lo, v1, 0
	s_delay_alu instid0(VALU_DEP_2)
	v_add_co_ci_u32_e32 v2, vcc_lo, v2, v5, vcc_lo
; %bb.119:
	s_or_b32 exec_lo, exec_lo, s1
	v_add_nc_u32_e32 v4, v61, v6
	ds_store_b64 v4, v[1:2]
.LBB918_120:
	s_or_b32 exec_lo, exec_lo, s0
	v_mov_b32_e32 v1, 0
	v_mov_b32_e32 v2, 0
	s_mov_b32 s0, exec_lo
	s_waitcnt lgkmcnt(0)
	s_barrier
	buffer_gl0_inv
	v_cmpx_lt_u32_e32 31, v0
	s_cbranch_execz .LBB918_122
; %bb.121:
	v_lshl_add_u32 v1, v3, 3, -8
	ds_load_b64 v[1:2], v1
.LBB918_122:
	s_or_b32 exec_lo, exec_lo, s0
	v_dual_mov_b32 v48, 0 :: v_dual_add_nc_u32 v3, -1, v72
	s_delay_alu instid0(VALU_DEP_1) | instskip(SKIP_2) | instid1(VALU_DEP_1)
	v_cmp_gt_i32_e32 vcc_lo, 0, v3
	ds_load_b64 v[45:46], v48 offset:24
	v_cndmask_b32_e32 v3, v3, v72, vcc_lo
	v_lshlrev_b32_e32 v4, 2, v3
	s_waitcnt lgkmcnt(1)
	v_add_co_u32 v3, vcc_lo, v1, v51
	v_add_co_ci_u32_e32 v5, vcc_lo, v2, v52, vcc_lo
	v_cmp_eq_u32_e32 vcc_lo, 0, v0
	ds_bpermute_b32 v3, v4, v3
	ds_bpermute_b32 v4, v4, v5
	s_and_saveexec_b32 s0, vcc_lo
	s_cbranch_execz .LBB918_124
; %bb.123:
	s_add_u32 s8, s8, 0x200
	s_addc_u32 s9, s9, 0
	v_mov_b32_e32 v5, s8
	v_dual_mov_b32 v47, 2 :: v_dual_mov_b32 v6, s9
	s_waitcnt lgkmcnt(2)
	;;#ASMSTART
	global_store_dwordx4 v[5:6], v[45:48] off	
s_waitcnt vmcnt(0)
	;;#ASMEND
.LBB918_124:
	s_or_b32 exec_lo, exec_lo, s0
	v_cmp_eq_u32_e64 s0, 0, v72
	v_mov_b32_e32 v47, 0
	v_mov_b32_e32 v48, 0
	s_waitcnt lgkmcnt(0)
	s_barrier
	v_cndmask_b32_e64 v1, v3, v1, s0
	v_cndmask_b32_e64 v2, v4, v2, s0
	buffer_gl0_inv
	v_cndmask_b32_e64 v1, v1, 0, vcc_lo
	v_cndmask_b32_e64 v2, v2, 0, vcc_lo
	s_delay_alu instid0(VALU_DEP_2) | instskip(NEXT) | instid1(VALU_DEP_2)
	v_add_co_u32 v3, vcc_lo, v1, v63
	v_add_co_ci_u32_e32 v4, vcc_lo, 0, v2, vcc_lo
	s_delay_alu instid0(VALU_DEP_2) | instskip(NEXT) | instid1(VALU_DEP_2)
	v_add_co_u32 v5, vcc_lo, v3, v64
	v_add_co_ci_u32_e32 v6, vcc_lo, 0, v4, vcc_lo
	;; [unrolled: 3-line block ×13, first 2 shown]
.LBB918_125:
	s_waitcnt lgkmcnt(0)
	v_cmp_gt_u64_e32 vcc_lo, 0x81, v[45:46]
	v_lshrrev_b32_e32 v51, 16, v56
	v_lshrrev_b32_e32 v52, 8, v56
	;; [unrolled: 1-line block ×6, first 2 shown]
	s_mov_b32 s0, -1
	s_cbranch_vccnz .LBB918_129
; %bb.126:
	s_and_b32 vcc_lo, exec_lo, s0
	s_cbranch_vccnz .LBB918_172
.LBB918_127:
	v_cmp_eq_u32_e32 vcc_lo, 0, v0
	s_and_b32 s0, vcc_lo, s10
	s_delay_alu instid0(SALU_CYCLE_1)
	s_and_saveexec_b32 s1, s0
	s_cbranch_execnz .LBB918_204
.LBB918_128:
	s_nop 0
	s_sendmsg sendmsg(MSG_DEALLOC_VGPRS)
	s_endpgm
.LBB918_129:
	v_add_co_u32 v29, vcc_lo, v47, v45
	v_add_co_ci_u32_e32 v30, vcc_lo, v48, v46, vcc_lo
	s_lshl_b64 s[0:1], s[2:3], 2
	s_delay_alu instid0(SALU_CYCLE_1) | instskip(NEXT) | instid1(VALU_DEP_1)
	s_add_u32 s0, s6, s0
	v_cmp_lt_u64_e32 vcc_lo, v[1:2], v[29:30]
	s_addc_u32 s1, s7, s1
	s_or_b32 s9, s11, vcc_lo
	s_delay_alu instid0(SALU_CYCLE_1)
	s_and_saveexec_b32 s8, s9
	s_cbranch_execz .LBB918_132
; %bb.130:
	v_and_b32_e32 v63, 1, v59
	s_delay_alu instid0(VALU_DEP_1)
	v_cmp_eq_u32_e32 vcc_lo, 1, v63
	s_and_b32 exec_lo, exec_lo, vcc_lo
	s_cbranch_execz .LBB918_132
; %bb.131:
	v_lshlrev_b64 v[63:64], 2, v[1:2]
	s_delay_alu instid0(VALU_DEP_1) | instskip(NEXT) | instid1(VALU_DEP_2)
	v_add_co_u32 v63, vcc_lo, s0, v63
	v_add_co_ci_u32_e32 v64, vcc_lo, s1, v64, vcc_lo
	global_store_b32 v[63:64], v41, off
.LBB918_132:
	s_or_b32 exec_lo, exec_lo, s8
	v_cmp_lt_u64_e32 vcc_lo, v[3:4], v[29:30]
	s_or_b32 s9, s11, vcc_lo
	s_delay_alu instid0(SALU_CYCLE_1)
	s_and_saveexec_b32 s8, s9
	s_cbranch_execz .LBB918_135
; %bb.133:
	v_and_b32_e32 v2, 1, v62
	s_delay_alu instid0(VALU_DEP_1)
	v_cmp_eq_u32_e32 vcc_lo, 1, v2
	s_and_b32 exec_lo, exec_lo, vcc_lo
	s_cbranch_execz .LBB918_135
; %bb.134:
	v_lshlrev_b64 v[63:64], 2, v[3:4]
	s_delay_alu instid0(VALU_DEP_1) | instskip(NEXT) | instid1(VALU_DEP_2)
	v_add_co_u32 v63, vcc_lo, s0, v63
	v_add_co_ci_u32_e32 v64, vcc_lo, s1, v64, vcc_lo
	global_store_b32 v[63:64], v42, off
.LBB918_135:
	s_or_b32 exec_lo, exec_lo, s8
	v_cmp_lt_u64_e32 vcc_lo, v[5:6], v[29:30]
	;; [unrolled: 19-line block ×13, first 2 shown]
	s_or_b32 s9, s11, vcc_lo
	s_delay_alu instid0(SALU_CYCLE_1)
	s_and_saveexec_b32 s8, s9
	s_cbranch_execz .LBB918_171
; %bb.169:
	v_and_b32_e32 v2, 1, v53
	s_delay_alu instid0(VALU_DEP_1)
	v_cmp_eq_u32_e32 vcc_lo, 1, v2
	s_and_b32 exec_lo, exec_lo, vcc_lo
	s_cbranch_execz .LBB918_171
; %bb.170:
	v_lshlrev_b64 v[28:29], 2, v[27:28]
	s_delay_alu instid0(VALU_DEP_1) | instskip(NEXT) | instid1(VALU_DEP_2)
	v_add_co_u32 v28, vcc_lo, s0, v28
	v_add_co_ci_u32_e32 v29, vcc_lo, s1, v29, vcc_lo
	global_store_b32 v[28:29], v50, off
.LBB918_171:
	s_or_b32 exec_lo, exec_lo, s8
	s_branch .LBB918_127
.LBB918_172:
	v_and_b32_e32 v2, 1, v59
	s_mov_b32 s0, exec_lo
	s_delay_alu instid0(VALU_DEP_1)
	v_cmpx_eq_u32_e32 1, v2
	s_cbranch_execz .LBB918_174
; %bb.173:
	v_sub_nc_u32_e32 v1, v1, v47
	s_delay_alu instid0(VALU_DEP_1)
	v_lshlrev_b32_e32 v1, 2, v1
	ds_store_b32 v1, v41
.LBB918_174:
	s_or_b32 exec_lo, exec_lo, s0
	v_and_b32_e32 v1, 1, v62
	s_mov_b32 s0, exec_lo
	s_delay_alu instid0(VALU_DEP_1)
	v_cmpx_eq_u32_e32 1, v1
	s_cbranch_execz .LBB918_176
; %bb.175:
	v_sub_nc_u32_e32 v1, v3, v47
	s_delay_alu instid0(VALU_DEP_1)
	v_lshlrev_b32_e32 v1, 2, v1
	ds_store_b32 v1, v42
.LBB918_176:
	s_or_b32 exec_lo, exec_lo, s0
	;; [unrolled: 12-line block ×14, first 2 shown]
	v_mov_b32_e32 v3, 0
	s_mov_b32 s1, exec_lo
	s_waitcnt lgkmcnt(0)
	s_waitcnt_vscnt null, 0x0
	s_barrier
	buffer_gl0_inv
	v_mov_b32_e32 v1, v3
	s_delay_alu instid0(VALU_DEP_1)
	v_cmpx_gt_u64_e64 v[45:46], v[0:1]
	s_cbranch_execz .LBB918_203
; %bb.201:
	v_lshlrev_b64 v[4:5], 2, v[47:48]
	s_lshl_b64 s[8:9], s[2:3], 2
	v_or_b32_e32 v2, 0x80, v0
	s_delay_alu instid0(VALU_DEP_2) | instskip(NEXT) | instid1(VALU_DEP_3)
	v_add_co_u32 v4, vcc_lo, s6, v4
	v_add_co_ci_u32_e32 v5, vcc_lo, s7, v5, vcc_lo
	s_mov_b32 s6, 0
	s_delay_alu instid0(VALU_DEP_2) | instskip(NEXT) | instid1(VALU_DEP_2)
	v_add_co_u32 v6, vcc_lo, v4, s8
	v_add_co_ci_u32_e32 v7, vcc_lo, s9, v5, vcc_lo
	v_dual_mov_b32 v5, v1 :: v_dual_mov_b32 v4, v0
	.p2align	6
.LBB918_202:                            ; =>This Inner Loop Header: Depth=1
	s_delay_alu instid0(VALU_DEP_1) | instskip(NEXT) | instid1(VALU_DEP_2)
	v_lshlrev_b32_e32 v1, 2, v4
	v_lshlrev_b64 v[8:9], 2, v[4:5]
	v_dual_mov_b32 v5, v3 :: v_dual_mov_b32 v4, v2
	v_cmp_le_u64_e32 vcc_lo, v[45:46], v[2:3]
	v_add_nc_u32_e32 v2, 0x80, v2
	ds_load_b32 v1, v1
	v_add_co_u32 v8, s0, v6, v8
	s_delay_alu instid0(VALU_DEP_1)
	v_add_co_ci_u32_e64 v9, s0, v7, v9, s0
	s_or_b32 s6, vcc_lo, s6
	s_waitcnt lgkmcnt(0)
	global_store_b32 v[8:9], v1, off
	s_and_not1_b32 exec_lo, exec_lo, s6
	s_cbranch_execnz .LBB918_202
.LBB918_203:
	s_or_b32 exec_lo, exec_lo, s1
	v_cmp_eq_u32_e32 vcc_lo, 0, v0
	s_and_b32 s0, vcc_lo, s10
	s_delay_alu instid0(SALU_CYCLE_1)
	s_and_saveexec_b32 s1, s0
	s_cbranch_execz .LBB918_128
.LBB918_204:
	v_add_co_u32 v0, vcc_lo, v47, v45
	v_add_co_ci_u32_e32 v1, vcc_lo, v48, v46, vcc_lo
	v_mov_b32_e32 v2, 0
	s_delay_alu instid0(VALU_DEP_3) | instskip(NEXT) | instid1(VALU_DEP_3)
	v_add_co_u32 v0, vcc_lo, v0, s2
	v_add_co_ci_u32_e32 v1, vcc_lo, s3, v1, vcc_lo
	global_store_b64 v2, v[0:1], s[4:5]
	s_nop 0
	s_sendmsg sendmsg(MSG_DEALLOC_VGPRS)
	s_endpgm
	.section	.rodata,"a",@progbits
	.p2align	6, 0x0
	.amdhsa_kernel _ZN7rocprim17ROCPRIM_400000_NS6detail17trampoline_kernelINS0_14default_configENS1_25partition_config_selectorILNS1_17partition_subalgoE6EiNS0_10empty_typeEbEEZZNS1_14partition_implILS5_6ELb0ES3_mN6thrust23THRUST_200600_302600_NS10device_ptrIiEEPS6_SD_NS0_5tupleIJSC_S6_EEENSE_IJSD_SD_EEES6_PlJ7is_evenIiEEEE10hipError_tPvRmT3_T4_T5_T6_T7_T9_mT8_P12ihipStream_tbDpT10_ENKUlT_T0_E_clISt17integral_constantIbLb1EES12_IbLb0EEEEDaSY_SZ_EUlSY_E_NS1_11comp_targetILNS1_3genE9ELNS1_11target_archE1100ELNS1_3gpuE3ELNS1_3repE0EEENS1_30default_config_static_selectorELNS0_4arch9wavefront6targetE0EEEvT1_
		.amdhsa_group_segment_fixed_size 7184
		.amdhsa_private_segment_fixed_size 0
		.amdhsa_kernarg_size 112
		.amdhsa_user_sgpr_count 15
		.amdhsa_user_sgpr_dispatch_ptr 0
		.amdhsa_user_sgpr_queue_ptr 0
		.amdhsa_user_sgpr_kernarg_segment_ptr 1
		.amdhsa_user_sgpr_dispatch_id 0
		.amdhsa_user_sgpr_private_segment_size 0
		.amdhsa_wavefront_size32 1
		.amdhsa_uses_dynamic_stack 0
		.amdhsa_enable_private_segment 0
		.amdhsa_system_sgpr_workgroup_id_x 1
		.amdhsa_system_sgpr_workgroup_id_y 0
		.amdhsa_system_sgpr_workgroup_id_z 0
		.amdhsa_system_sgpr_workgroup_info 0
		.amdhsa_system_vgpr_workitem_id 0
		.amdhsa_next_free_vgpr 74
		.amdhsa_next_free_sgpr 18
		.amdhsa_reserve_vcc 1
		.amdhsa_float_round_mode_32 0
		.amdhsa_float_round_mode_16_64 0
		.amdhsa_float_denorm_mode_32 3
		.amdhsa_float_denorm_mode_16_64 3
		.amdhsa_dx10_clamp 1
		.amdhsa_ieee_mode 1
		.amdhsa_fp16_overflow 0
		.amdhsa_workgroup_processor_mode 1
		.amdhsa_memory_ordered 1
		.amdhsa_forward_progress 0
		.amdhsa_shared_vgpr_count 0
		.amdhsa_exception_fp_ieee_invalid_op 0
		.amdhsa_exception_fp_denorm_src 0
		.amdhsa_exception_fp_ieee_div_zero 0
		.amdhsa_exception_fp_ieee_overflow 0
		.amdhsa_exception_fp_ieee_underflow 0
		.amdhsa_exception_fp_ieee_inexact 0
		.amdhsa_exception_int_div_zero 0
	.end_amdhsa_kernel
	.section	.text._ZN7rocprim17ROCPRIM_400000_NS6detail17trampoline_kernelINS0_14default_configENS1_25partition_config_selectorILNS1_17partition_subalgoE6EiNS0_10empty_typeEbEEZZNS1_14partition_implILS5_6ELb0ES3_mN6thrust23THRUST_200600_302600_NS10device_ptrIiEEPS6_SD_NS0_5tupleIJSC_S6_EEENSE_IJSD_SD_EEES6_PlJ7is_evenIiEEEE10hipError_tPvRmT3_T4_T5_T6_T7_T9_mT8_P12ihipStream_tbDpT10_ENKUlT_T0_E_clISt17integral_constantIbLb1EES12_IbLb0EEEEDaSY_SZ_EUlSY_E_NS1_11comp_targetILNS1_3genE9ELNS1_11target_archE1100ELNS1_3gpuE3ELNS1_3repE0EEENS1_30default_config_static_selectorELNS0_4arch9wavefront6targetE0EEEvT1_,"axG",@progbits,_ZN7rocprim17ROCPRIM_400000_NS6detail17trampoline_kernelINS0_14default_configENS1_25partition_config_selectorILNS1_17partition_subalgoE6EiNS0_10empty_typeEbEEZZNS1_14partition_implILS5_6ELb0ES3_mN6thrust23THRUST_200600_302600_NS10device_ptrIiEEPS6_SD_NS0_5tupleIJSC_S6_EEENSE_IJSD_SD_EEES6_PlJ7is_evenIiEEEE10hipError_tPvRmT3_T4_T5_T6_T7_T9_mT8_P12ihipStream_tbDpT10_ENKUlT_T0_E_clISt17integral_constantIbLb1EES12_IbLb0EEEEDaSY_SZ_EUlSY_E_NS1_11comp_targetILNS1_3genE9ELNS1_11target_archE1100ELNS1_3gpuE3ELNS1_3repE0EEENS1_30default_config_static_selectorELNS0_4arch9wavefront6targetE0EEEvT1_,comdat
.Lfunc_end918:
	.size	_ZN7rocprim17ROCPRIM_400000_NS6detail17trampoline_kernelINS0_14default_configENS1_25partition_config_selectorILNS1_17partition_subalgoE6EiNS0_10empty_typeEbEEZZNS1_14partition_implILS5_6ELb0ES3_mN6thrust23THRUST_200600_302600_NS10device_ptrIiEEPS6_SD_NS0_5tupleIJSC_S6_EEENSE_IJSD_SD_EEES6_PlJ7is_evenIiEEEE10hipError_tPvRmT3_T4_T5_T6_T7_T9_mT8_P12ihipStream_tbDpT10_ENKUlT_T0_E_clISt17integral_constantIbLb1EES12_IbLb0EEEEDaSY_SZ_EUlSY_E_NS1_11comp_targetILNS1_3genE9ELNS1_11target_archE1100ELNS1_3gpuE3ELNS1_3repE0EEENS1_30default_config_static_selectorELNS0_4arch9wavefront6targetE0EEEvT1_, .Lfunc_end918-_ZN7rocprim17ROCPRIM_400000_NS6detail17trampoline_kernelINS0_14default_configENS1_25partition_config_selectorILNS1_17partition_subalgoE6EiNS0_10empty_typeEbEEZZNS1_14partition_implILS5_6ELb0ES3_mN6thrust23THRUST_200600_302600_NS10device_ptrIiEEPS6_SD_NS0_5tupleIJSC_S6_EEENSE_IJSD_SD_EEES6_PlJ7is_evenIiEEEE10hipError_tPvRmT3_T4_T5_T6_T7_T9_mT8_P12ihipStream_tbDpT10_ENKUlT_T0_E_clISt17integral_constantIbLb1EES12_IbLb0EEEEDaSY_SZ_EUlSY_E_NS1_11comp_targetILNS1_3genE9ELNS1_11target_archE1100ELNS1_3gpuE3ELNS1_3repE0EEENS1_30default_config_static_selectorELNS0_4arch9wavefront6targetE0EEEvT1_
                                        ; -- End function
	.section	.AMDGPU.csdata,"",@progbits
; Kernel info:
; codeLenInByte = 8624
; NumSgprs: 20
; NumVgprs: 74
; ScratchSize: 0
; MemoryBound: 0
; FloatMode: 240
; IeeeMode: 1
; LDSByteSize: 7184 bytes/workgroup (compile time only)
; SGPRBlocks: 2
; VGPRBlocks: 9
; NumSGPRsForWavesPerEU: 20
; NumVGPRsForWavesPerEU: 74
; Occupancy: 16
; WaveLimiterHint : 1
; COMPUTE_PGM_RSRC2:SCRATCH_EN: 0
; COMPUTE_PGM_RSRC2:USER_SGPR: 15
; COMPUTE_PGM_RSRC2:TRAP_HANDLER: 0
; COMPUTE_PGM_RSRC2:TGID_X_EN: 1
; COMPUTE_PGM_RSRC2:TGID_Y_EN: 0
; COMPUTE_PGM_RSRC2:TGID_Z_EN: 0
; COMPUTE_PGM_RSRC2:TIDIG_COMP_CNT: 0
	.section	.text._ZN7rocprim17ROCPRIM_400000_NS6detail17trampoline_kernelINS0_14default_configENS1_25partition_config_selectorILNS1_17partition_subalgoE6EiNS0_10empty_typeEbEEZZNS1_14partition_implILS5_6ELb0ES3_mN6thrust23THRUST_200600_302600_NS10device_ptrIiEEPS6_SD_NS0_5tupleIJSC_S6_EEENSE_IJSD_SD_EEES6_PlJ7is_evenIiEEEE10hipError_tPvRmT3_T4_T5_T6_T7_T9_mT8_P12ihipStream_tbDpT10_ENKUlT_T0_E_clISt17integral_constantIbLb1EES12_IbLb0EEEEDaSY_SZ_EUlSY_E_NS1_11comp_targetILNS1_3genE8ELNS1_11target_archE1030ELNS1_3gpuE2ELNS1_3repE0EEENS1_30default_config_static_selectorELNS0_4arch9wavefront6targetE0EEEvT1_,"axG",@progbits,_ZN7rocprim17ROCPRIM_400000_NS6detail17trampoline_kernelINS0_14default_configENS1_25partition_config_selectorILNS1_17partition_subalgoE6EiNS0_10empty_typeEbEEZZNS1_14partition_implILS5_6ELb0ES3_mN6thrust23THRUST_200600_302600_NS10device_ptrIiEEPS6_SD_NS0_5tupleIJSC_S6_EEENSE_IJSD_SD_EEES6_PlJ7is_evenIiEEEE10hipError_tPvRmT3_T4_T5_T6_T7_T9_mT8_P12ihipStream_tbDpT10_ENKUlT_T0_E_clISt17integral_constantIbLb1EES12_IbLb0EEEEDaSY_SZ_EUlSY_E_NS1_11comp_targetILNS1_3genE8ELNS1_11target_archE1030ELNS1_3gpuE2ELNS1_3repE0EEENS1_30default_config_static_selectorELNS0_4arch9wavefront6targetE0EEEvT1_,comdat
	.protected	_ZN7rocprim17ROCPRIM_400000_NS6detail17trampoline_kernelINS0_14default_configENS1_25partition_config_selectorILNS1_17partition_subalgoE6EiNS0_10empty_typeEbEEZZNS1_14partition_implILS5_6ELb0ES3_mN6thrust23THRUST_200600_302600_NS10device_ptrIiEEPS6_SD_NS0_5tupleIJSC_S6_EEENSE_IJSD_SD_EEES6_PlJ7is_evenIiEEEE10hipError_tPvRmT3_T4_T5_T6_T7_T9_mT8_P12ihipStream_tbDpT10_ENKUlT_T0_E_clISt17integral_constantIbLb1EES12_IbLb0EEEEDaSY_SZ_EUlSY_E_NS1_11comp_targetILNS1_3genE8ELNS1_11target_archE1030ELNS1_3gpuE2ELNS1_3repE0EEENS1_30default_config_static_selectorELNS0_4arch9wavefront6targetE0EEEvT1_ ; -- Begin function _ZN7rocprim17ROCPRIM_400000_NS6detail17trampoline_kernelINS0_14default_configENS1_25partition_config_selectorILNS1_17partition_subalgoE6EiNS0_10empty_typeEbEEZZNS1_14partition_implILS5_6ELb0ES3_mN6thrust23THRUST_200600_302600_NS10device_ptrIiEEPS6_SD_NS0_5tupleIJSC_S6_EEENSE_IJSD_SD_EEES6_PlJ7is_evenIiEEEE10hipError_tPvRmT3_T4_T5_T6_T7_T9_mT8_P12ihipStream_tbDpT10_ENKUlT_T0_E_clISt17integral_constantIbLb1EES12_IbLb0EEEEDaSY_SZ_EUlSY_E_NS1_11comp_targetILNS1_3genE8ELNS1_11target_archE1030ELNS1_3gpuE2ELNS1_3repE0EEENS1_30default_config_static_selectorELNS0_4arch9wavefront6targetE0EEEvT1_
	.globl	_ZN7rocprim17ROCPRIM_400000_NS6detail17trampoline_kernelINS0_14default_configENS1_25partition_config_selectorILNS1_17partition_subalgoE6EiNS0_10empty_typeEbEEZZNS1_14partition_implILS5_6ELb0ES3_mN6thrust23THRUST_200600_302600_NS10device_ptrIiEEPS6_SD_NS0_5tupleIJSC_S6_EEENSE_IJSD_SD_EEES6_PlJ7is_evenIiEEEE10hipError_tPvRmT3_T4_T5_T6_T7_T9_mT8_P12ihipStream_tbDpT10_ENKUlT_T0_E_clISt17integral_constantIbLb1EES12_IbLb0EEEEDaSY_SZ_EUlSY_E_NS1_11comp_targetILNS1_3genE8ELNS1_11target_archE1030ELNS1_3gpuE2ELNS1_3repE0EEENS1_30default_config_static_selectorELNS0_4arch9wavefront6targetE0EEEvT1_
	.p2align	8
	.type	_ZN7rocprim17ROCPRIM_400000_NS6detail17trampoline_kernelINS0_14default_configENS1_25partition_config_selectorILNS1_17partition_subalgoE6EiNS0_10empty_typeEbEEZZNS1_14partition_implILS5_6ELb0ES3_mN6thrust23THRUST_200600_302600_NS10device_ptrIiEEPS6_SD_NS0_5tupleIJSC_S6_EEENSE_IJSD_SD_EEES6_PlJ7is_evenIiEEEE10hipError_tPvRmT3_T4_T5_T6_T7_T9_mT8_P12ihipStream_tbDpT10_ENKUlT_T0_E_clISt17integral_constantIbLb1EES12_IbLb0EEEEDaSY_SZ_EUlSY_E_NS1_11comp_targetILNS1_3genE8ELNS1_11target_archE1030ELNS1_3gpuE2ELNS1_3repE0EEENS1_30default_config_static_selectorELNS0_4arch9wavefront6targetE0EEEvT1_,@function
_ZN7rocprim17ROCPRIM_400000_NS6detail17trampoline_kernelINS0_14default_configENS1_25partition_config_selectorILNS1_17partition_subalgoE6EiNS0_10empty_typeEbEEZZNS1_14partition_implILS5_6ELb0ES3_mN6thrust23THRUST_200600_302600_NS10device_ptrIiEEPS6_SD_NS0_5tupleIJSC_S6_EEENSE_IJSD_SD_EEES6_PlJ7is_evenIiEEEE10hipError_tPvRmT3_T4_T5_T6_T7_T9_mT8_P12ihipStream_tbDpT10_ENKUlT_T0_E_clISt17integral_constantIbLb1EES12_IbLb0EEEEDaSY_SZ_EUlSY_E_NS1_11comp_targetILNS1_3genE8ELNS1_11target_archE1030ELNS1_3gpuE2ELNS1_3repE0EEENS1_30default_config_static_selectorELNS0_4arch9wavefront6targetE0EEEvT1_: ; @_ZN7rocprim17ROCPRIM_400000_NS6detail17trampoline_kernelINS0_14default_configENS1_25partition_config_selectorILNS1_17partition_subalgoE6EiNS0_10empty_typeEbEEZZNS1_14partition_implILS5_6ELb0ES3_mN6thrust23THRUST_200600_302600_NS10device_ptrIiEEPS6_SD_NS0_5tupleIJSC_S6_EEENSE_IJSD_SD_EEES6_PlJ7is_evenIiEEEE10hipError_tPvRmT3_T4_T5_T6_T7_T9_mT8_P12ihipStream_tbDpT10_ENKUlT_T0_E_clISt17integral_constantIbLb1EES12_IbLb0EEEEDaSY_SZ_EUlSY_E_NS1_11comp_targetILNS1_3genE8ELNS1_11target_archE1030ELNS1_3gpuE2ELNS1_3repE0EEENS1_30default_config_static_selectorELNS0_4arch9wavefront6targetE0EEEvT1_
; %bb.0:
	.section	.rodata,"a",@progbits
	.p2align	6, 0x0
	.amdhsa_kernel _ZN7rocprim17ROCPRIM_400000_NS6detail17trampoline_kernelINS0_14default_configENS1_25partition_config_selectorILNS1_17partition_subalgoE6EiNS0_10empty_typeEbEEZZNS1_14partition_implILS5_6ELb0ES3_mN6thrust23THRUST_200600_302600_NS10device_ptrIiEEPS6_SD_NS0_5tupleIJSC_S6_EEENSE_IJSD_SD_EEES6_PlJ7is_evenIiEEEE10hipError_tPvRmT3_T4_T5_T6_T7_T9_mT8_P12ihipStream_tbDpT10_ENKUlT_T0_E_clISt17integral_constantIbLb1EES12_IbLb0EEEEDaSY_SZ_EUlSY_E_NS1_11comp_targetILNS1_3genE8ELNS1_11target_archE1030ELNS1_3gpuE2ELNS1_3repE0EEENS1_30default_config_static_selectorELNS0_4arch9wavefront6targetE0EEEvT1_
		.amdhsa_group_segment_fixed_size 0
		.amdhsa_private_segment_fixed_size 0
		.amdhsa_kernarg_size 112
		.amdhsa_user_sgpr_count 15
		.amdhsa_user_sgpr_dispatch_ptr 0
		.amdhsa_user_sgpr_queue_ptr 0
		.amdhsa_user_sgpr_kernarg_segment_ptr 1
		.amdhsa_user_sgpr_dispatch_id 0
		.amdhsa_user_sgpr_private_segment_size 0
		.amdhsa_wavefront_size32 1
		.amdhsa_uses_dynamic_stack 0
		.amdhsa_enable_private_segment 0
		.amdhsa_system_sgpr_workgroup_id_x 1
		.amdhsa_system_sgpr_workgroup_id_y 0
		.amdhsa_system_sgpr_workgroup_id_z 0
		.amdhsa_system_sgpr_workgroup_info 0
		.amdhsa_system_vgpr_workitem_id 0
		.amdhsa_next_free_vgpr 1
		.amdhsa_next_free_sgpr 1
		.amdhsa_reserve_vcc 0
		.amdhsa_float_round_mode_32 0
		.amdhsa_float_round_mode_16_64 0
		.amdhsa_float_denorm_mode_32 3
		.amdhsa_float_denorm_mode_16_64 3
		.amdhsa_dx10_clamp 1
		.amdhsa_ieee_mode 1
		.amdhsa_fp16_overflow 0
		.amdhsa_workgroup_processor_mode 1
		.amdhsa_memory_ordered 1
		.amdhsa_forward_progress 0
		.amdhsa_shared_vgpr_count 0
		.amdhsa_exception_fp_ieee_invalid_op 0
		.amdhsa_exception_fp_denorm_src 0
		.amdhsa_exception_fp_ieee_div_zero 0
		.amdhsa_exception_fp_ieee_overflow 0
		.amdhsa_exception_fp_ieee_underflow 0
		.amdhsa_exception_fp_ieee_inexact 0
		.amdhsa_exception_int_div_zero 0
	.end_amdhsa_kernel
	.section	.text._ZN7rocprim17ROCPRIM_400000_NS6detail17trampoline_kernelINS0_14default_configENS1_25partition_config_selectorILNS1_17partition_subalgoE6EiNS0_10empty_typeEbEEZZNS1_14partition_implILS5_6ELb0ES3_mN6thrust23THRUST_200600_302600_NS10device_ptrIiEEPS6_SD_NS0_5tupleIJSC_S6_EEENSE_IJSD_SD_EEES6_PlJ7is_evenIiEEEE10hipError_tPvRmT3_T4_T5_T6_T7_T9_mT8_P12ihipStream_tbDpT10_ENKUlT_T0_E_clISt17integral_constantIbLb1EES12_IbLb0EEEEDaSY_SZ_EUlSY_E_NS1_11comp_targetILNS1_3genE8ELNS1_11target_archE1030ELNS1_3gpuE2ELNS1_3repE0EEENS1_30default_config_static_selectorELNS0_4arch9wavefront6targetE0EEEvT1_,"axG",@progbits,_ZN7rocprim17ROCPRIM_400000_NS6detail17trampoline_kernelINS0_14default_configENS1_25partition_config_selectorILNS1_17partition_subalgoE6EiNS0_10empty_typeEbEEZZNS1_14partition_implILS5_6ELb0ES3_mN6thrust23THRUST_200600_302600_NS10device_ptrIiEEPS6_SD_NS0_5tupleIJSC_S6_EEENSE_IJSD_SD_EEES6_PlJ7is_evenIiEEEE10hipError_tPvRmT3_T4_T5_T6_T7_T9_mT8_P12ihipStream_tbDpT10_ENKUlT_T0_E_clISt17integral_constantIbLb1EES12_IbLb0EEEEDaSY_SZ_EUlSY_E_NS1_11comp_targetILNS1_3genE8ELNS1_11target_archE1030ELNS1_3gpuE2ELNS1_3repE0EEENS1_30default_config_static_selectorELNS0_4arch9wavefront6targetE0EEEvT1_,comdat
.Lfunc_end919:
	.size	_ZN7rocprim17ROCPRIM_400000_NS6detail17trampoline_kernelINS0_14default_configENS1_25partition_config_selectorILNS1_17partition_subalgoE6EiNS0_10empty_typeEbEEZZNS1_14partition_implILS5_6ELb0ES3_mN6thrust23THRUST_200600_302600_NS10device_ptrIiEEPS6_SD_NS0_5tupleIJSC_S6_EEENSE_IJSD_SD_EEES6_PlJ7is_evenIiEEEE10hipError_tPvRmT3_T4_T5_T6_T7_T9_mT8_P12ihipStream_tbDpT10_ENKUlT_T0_E_clISt17integral_constantIbLb1EES12_IbLb0EEEEDaSY_SZ_EUlSY_E_NS1_11comp_targetILNS1_3genE8ELNS1_11target_archE1030ELNS1_3gpuE2ELNS1_3repE0EEENS1_30default_config_static_selectorELNS0_4arch9wavefront6targetE0EEEvT1_, .Lfunc_end919-_ZN7rocprim17ROCPRIM_400000_NS6detail17trampoline_kernelINS0_14default_configENS1_25partition_config_selectorILNS1_17partition_subalgoE6EiNS0_10empty_typeEbEEZZNS1_14partition_implILS5_6ELb0ES3_mN6thrust23THRUST_200600_302600_NS10device_ptrIiEEPS6_SD_NS0_5tupleIJSC_S6_EEENSE_IJSD_SD_EEES6_PlJ7is_evenIiEEEE10hipError_tPvRmT3_T4_T5_T6_T7_T9_mT8_P12ihipStream_tbDpT10_ENKUlT_T0_E_clISt17integral_constantIbLb1EES12_IbLb0EEEEDaSY_SZ_EUlSY_E_NS1_11comp_targetILNS1_3genE8ELNS1_11target_archE1030ELNS1_3gpuE2ELNS1_3repE0EEENS1_30default_config_static_selectorELNS0_4arch9wavefront6targetE0EEEvT1_
                                        ; -- End function
	.section	.AMDGPU.csdata,"",@progbits
; Kernel info:
; codeLenInByte = 0
; NumSgprs: 0
; NumVgprs: 0
; ScratchSize: 0
; MemoryBound: 0
; FloatMode: 240
; IeeeMode: 1
; LDSByteSize: 0 bytes/workgroup (compile time only)
; SGPRBlocks: 0
; VGPRBlocks: 0
; NumSGPRsForWavesPerEU: 1
; NumVGPRsForWavesPerEU: 1
; Occupancy: 16
; WaveLimiterHint : 0
; COMPUTE_PGM_RSRC2:SCRATCH_EN: 0
; COMPUTE_PGM_RSRC2:USER_SGPR: 15
; COMPUTE_PGM_RSRC2:TRAP_HANDLER: 0
; COMPUTE_PGM_RSRC2:TGID_X_EN: 1
; COMPUTE_PGM_RSRC2:TGID_Y_EN: 0
; COMPUTE_PGM_RSRC2:TGID_Z_EN: 0
; COMPUTE_PGM_RSRC2:TIDIG_COMP_CNT: 0
	.section	.text._ZN7rocprim17ROCPRIM_400000_NS6detail17trampoline_kernelINS0_14default_configENS1_25partition_config_selectorILNS1_17partition_subalgoE6EiNS0_10empty_typeEbEEZZNS1_14partition_implILS5_6ELb0ES3_mN6thrust23THRUST_200600_302600_NS10device_ptrIiEEPS6_SD_NS0_5tupleIJSC_S6_EEENSE_IJSD_SD_EEES6_PlJ7is_evenIiEEEE10hipError_tPvRmT3_T4_T5_T6_T7_T9_mT8_P12ihipStream_tbDpT10_ENKUlT_T0_E_clISt17integral_constantIbLb0EES12_IbLb1EEEEDaSY_SZ_EUlSY_E_NS1_11comp_targetILNS1_3genE0ELNS1_11target_archE4294967295ELNS1_3gpuE0ELNS1_3repE0EEENS1_30default_config_static_selectorELNS0_4arch9wavefront6targetE0EEEvT1_,"axG",@progbits,_ZN7rocprim17ROCPRIM_400000_NS6detail17trampoline_kernelINS0_14default_configENS1_25partition_config_selectorILNS1_17partition_subalgoE6EiNS0_10empty_typeEbEEZZNS1_14partition_implILS5_6ELb0ES3_mN6thrust23THRUST_200600_302600_NS10device_ptrIiEEPS6_SD_NS0_5tupleIJSC_S6_EEENSE_IJSD_SD_EEES6_PlJ7is_evenIiEEEE10hipError_tPvRmT3_T4_T5_T6_T7_T9_mT8_P12ihipStream_tbDpT10_ENKUlT_T0_E_clISt17integral_constantIbLb0EES12_IbLb1EEEEDaSY_SZ_EUlSY_E_NS1_11comp_targetILNS1_3genE0ELNS1_11target_archE4294967295ELNS1_3gpuE0ELNS1_3repE0EEENS1_30default_config_static_selectorELNS0_4arch9wavefront6targetE0EEEvT1_,comdat
	.protected	_ZN7rocprim17ROCPRIM_400000_NS6detail17trampoline_kernelINS0_14default_configENS1_25partition_config_selectorILNS1_17partition_subalgoE6EiNS0_10empty_typeEbEEZZNS1_14partition_implILS5_6ELb0ES3_mN6thrust23THRUST_200600_302600_NS10device_ptrIiEEPS6_SD_NS0_5tupleIJSC_S6_EEENSE_IJSD_SD_EEES6_PlJ7is_evenIiEEEE10hipError_tPvRmT3_T4_T5_T6_T7_T9_mT8_P12ihipStream_tbDpT10_ENKUlT_T0_E_clISt17integral_constantIbLb0EES12_IbLb1EEEEDaSY_SZ_EUlSY_E_NS1_11comp_targetILNS1_3genE0ELNS1_11target_archE4294967295ELNS1_3gpuE0ELNS1_3repE0EEENS1_30default_config_static_selectorELNS0_4arch9wavefront6targetE0EEEvT1_ ; -- Begin function _ZN7rocprim17ROCPRIM_400000_NS6detail17trampoline_kernelINS0_14default_configENS1_25partition_config_selectorILNS1_17partition_subalgoE6EiNS0_10empty_typeEbEEZZNS1_14partition_implILS5_6ELb0ES3_mN6thrust23THRUST_200600_302600_NS10device_ptrIiEEPS6_SD_NS0_5tupleIJSC_S6_EEENSE_IJSD_SD_EEES6_PlJ7is_evenIiEEEE10hipError_tPvRmT3_T4_T5_T6_T7_T9_mT8_P12ihipStream_tbDpT10_ENKUlT_T0_E_clISt17integral_constantIbLb0EES12_IbLb1EEEEDaSY_SZ_EUlSY_E_NS1_11comp_targetILNS1_3genE0ELNS1_11target_archE4294967295ELNS1_3gpuE0ELNS1_3repE0EEENS1_30default_config_static_selectorELNS0_4arch9wavefront6targetE0EEEvT1_
	.globl	_ZN7rocprim17ROCPRIM_400000_NS6detail17trampoline_kernelINS0_14default_configENS1_25partition_config_selectorILNS1_17partition_subalgoE6EiNS0_10empty_typeEbEEZZNS1_14partition_implILS5_6ELb0ES3_mN6thrust23THRUST_200600_302600_NS10device_ptrIiEEPS6_SD_NS0_5tupleIJSC_S6_EEENSE_IJSD_SD_EEES6_PlJ7is_evenIiEEEE10hipError_tPvRmT3_T4_T5_T6_T7_T9_mT8_P12ihipStream_tbDpT10_ENKUlT_T0_E_clISt17integral_constantIbLb0EES12_IbLb1EEEEDaSY_SZ_EUlSY_E_NS1_11comp_targetILNS1_3genE0ELNS1_11target_archE4294967295ELNS1_3gpuE0ELNS1_3repE0EEENS1_30default_config_static_selectorELNS0_4arch9wavefront6targetE0EEEvT1_
	.p2align	8
	.type	_ZN7rocprim17ROCPRIM_400000_NS6detail17trampoline_kernelINS0_14default_configENS1_25partition_config_selectorILNS1_17partition_subalgoE6EiNS0_10empty_typeEbEEZZNS1_14partition_implILS5_6ELb0ES3_mN6thrust23THRUST_200600_302600_NS10device_ptrIiEEPS6_SD_NS0_5tupleIJSC_S6_EEENSE_IJSD_SD_EEES6_PlJ7is_evenIiEEEE10hipError_tPvRmT3_T4_T5_T6_T7_T9_mT8_P12ihipStream_tbDpT10_ENKUlT_T0_E_clISt17integral_constantIbLb0EES12_IbLb1EEEEDaSY_SZ_EUlSY_E_NS1_11comp_targetILNS1_3genE0ELNS1_11target_archE4294967295ELNS1_3gpuE0ELNS1_3repE0EEENS1_30default_config_static_selectorELNS0_4arch9wavefront6targetE0EEEvT1_,@function
_ZN7rocprim17ROCPRIM_400000_NS6detail17trampoline_kernelINS0_14default_configENS1_25partition_config_selectorILNS1_17partition_subalgoE6EiNS0_10empty_typeEbEEZZNS1_14partition_implILS5_6ELb0ES3_mN6thrust23THRUST_200600_302600_NS10device_ptrIiEEPS6_SD_NS0_5tupleIJSC_S6_EEENSE_IJSD_SD_EEES6_PlJ7is_evenIiEEEE10hipError_tPvRmT3_T4_T5_T6_T7_T9_mT8_P12ihipStream_tbDpT10_ENKUlT_T0_E_clISt17integral_constantIbLb0EES12_IbLb1EEEEDaSY_SZ_EUlSY_E_NS1_11comp_targetILNS1_3genE0ELNS1_11target_archE4294967295ELNS1_3gpuE0ELNS1_3repE0EEENS1_30default_config_static_selectorELNS0_4arch9wavefront6targetE0EEEvT1_: ; @_ZN7rocprim17ROCPRIM_400000_NS6detail17trampoline_kernelINS0_14default_configENS1_25partition_config_selectorILNS1_17partition_subalgoE6EiNS0_10empty_typeEbEEZZNS1_14partition_implILS5_6ELb0ES3_mN6thrust23THRUST_200600_302600_NS10device_ptrIiEEPS6_SD_NS0_5tupleIJSC_S6_EEENSE_IJSD_SD_EEES6_PlJ7is_evenIiEEEE10hipError_tPvRmT3_T4_T5_T6_T7_T9_mT8_P12ihipStream_tbDpT10_ENKUlT_T0_E_clISt17integral_constantIbLb0EES12_IbLb1EEEEDaSY_SZ_EUlSY_E_NS1_11comp_targetILNS1_3genE0ELNS1_11target_archE4294967295ELNS1_3gpuE0ELNS1_3repE0EEENS1_30default_config_static_selectorELNS0_4arch9wavefront6targetE0EEEvT1_
; %bb.0:
	.section	.rodata,"a",@progbits
	.p2align	6, 0x0
	.amdhsa_kernel _ZN7rocprim17ROCPRIM_400000_NS6detail17trampoline_kernelINS0_14default_configENS1_25partition_config_selectorILNS1_17partition_subalgoE6EiNS0_10empty_typeEbEEZZNS1_14partition_implILS5_6ELb0ES3_mN6thrust23THRUST_200600_302600_NS10device_ptrIiEEPS6_SD_NS0_5tupleIJSC_S6_EEENSE_IJSD_SD_EEES6_PlJ7is_evenIiEEEE10hipError_tPvRmT3_T4_T5_T6_T7_T9_mT8_P12ihipStream_tbDpT10_ENKUlT_T0_E_clISt17integral_constantIbLb0EES12_IbLb1EEEEDaSY_SZ_EUlSY_E_NS1_11comp_targetILNS1_3genE0ELNS1_11target_archE4294967295ELNS1_3gpuE0ELNS1_3repE0EEENS1_30default_config_static_selectorELNS0_4arch9wavefront6targetE0EEEvT1_
		.amdhsa_group_segment_fixed_size 0
		.amdhsa_private_segment_fixed_size 0
		.amdhsa_kernarg_size 128
		.amdhsa_user_sgpr_count 15
		.amdhsa_user_sgpr_dispatch_ptr 0
		.amdhsa_user_sgpr_queue_ptr 0
		.amdhsa_user_sgpr_kernarg_segment_ptr 1
		.amdhsa_user_sgpr_dispatch_id 0
		.amdhsa_user_sgpr_private_segment_size 0
		.amdhsa_wavefront_size32 1
		.amdhsa_uses_dynamic_stack 0
		.amdhsa_enable_private_segment 0
		.amdhsa_system_sgpr_workgroup_id_x 1
		.amdhsa_system_sgpr_workgroup_id_y 0
		.amdhsa_system_sgpr_workgroup_id_z 0
		.amdhsa_system_sgpr_workgroup_info 0
		.amdhsa_system_vgpr_workitem_id 0
		.amdhsa_next_free_vgpr 1
		.amdhsa_next_free_sgpr 1
		.amdhsa_reserve_vcc 0
		.amdhsa_float_round_mode_32 0
		.amdhsa_float_round_mode_16_64 0
		.amdhsa_float_denorm_mode_32 3
		.amdhsa_float_denorm_mode_16_64 3
		.amdhsa_dx10_clamp 1
		.amdhsa_ieee_mode 1
		.amdhsa_fp16_overflow 0
		.amdhsa_workgroup_processor_mode 1
		.amdhsa_memory_ordered 1
		.amdhsa_forward_progress 0
		.amdhsa_shared_vgpr_count 0
		.amdhsa_exception_fp_ieee_invalid_op 0
		.amdhsa_exception_fp_denorm_src 0
		.amdhsa_exception_fp_ieee_div_zero 0
		.amdhsa_exception_fp_ieee_overflow 0
		.amdhsa_exception_fp_ieee_underflow 0
		.amdhsa_exception_fp_ieee_inexact 0
		.amdhsa_exception_int_div_zero 0
	.end_amdhsa_kernel
	.section	.text._ZN7rocprim17ROCPRIM_400000_NS6detail17trampoline_kernelINS0_14default_configENS1_25partition_config_selectorILNS1_17partition_subalgoE6EiNS0_10empty_typeEbEEZZNS1_14partition_implILS5_6ELb0ES3_mN6thrust23THRUST_200600_302600_NS10device_ptrIiEEPS6_SD_NS0_5tupleIJSC_S6_EEENSE_IJSD_SD_EEES6_PlJ7is_evenIiEEEE10hipError_tPvRmT3_T4_T5_T6_T7_T9_mT8_P12ihipStream_tbDpT10_ENKUlT_T0_E_clISt17integral_constantIbLb0EES12_IbLb1EEEEDaSY_SZ_EUlSY_E_NS1_11comp_targetILNS1_3genE0ELNS1_11target_archE4294967295ELNS1_3gpuE0ELNS1_3repE0EEENS1_30default_config_static_selectorELNS0_4arch9wavefront6targetE0EEEvT1_,"axG",@progbits,_ZN7rocprim17ROCPRIM_400000_NS6detail17trampoline_kernelINS0_14default_configENS1_25partition_config_selectorILNS1_17partition_subalgoE6EiNS0_10empty_typeEbEEZZNS1_14partition_implILS5_6ELb0ES3_mN6thrust23THRUST_200600_302600_NS10device_ptrIiEEPS6_SD_NS0_5tupleIJSC_S6_EEENSE_IJSD_SD_EEES6_PlJ7is_evenIiEEEE10hipError_tPvRmT3_T4_T5_T6_T7_T9_mT8_P12ihipStream_tbDpT10_ENKUlT_T0_E_clISt17integral_constantIbLb0EES12_IbLb1EEEEDaSY_SZ_EUlSY_E_NS1_11comp_targetILNS1_3genE0ELNS1_11target_archE4294967295ELNS1_3gpuE0ELNS1_3repE0EEENS1_30default_config_static_selectorELNS0_4arch9wavefront6targetE0EEEvT1_,comdat
.Lfunc_end920:
	.size	_ZN7rocprim17ROCPRIM_400000_NS6detail17trampoline_kernelINS0_14default_configENS1_25partition_config_selectorILNS1_17partition_subalgoE6EiNS0_10empty_typeEbEEZZNS1_14partition_implILS5_6ELb0ES3_mN6thrust23THRUST_200600_302600_NS10device_ptrIiEEPS6_SD_NS0_5tupleIJSC_S6_EEENSE_IJSD_SD_EEES6_PlJ7is_evenIiEEEE10hipError_tPvRmT3_T4_T5_T6_T7_T9_mT8_P12ihipStream_tbDpT10_ENKUlT_T0_E_clISt17integral_constantIbLb0EES12_IbLb1EEEEDaSY_SZ_EUlSY_E_NS1_11comp_targetILNS1_3genE0ELNS1_11target_archE4294967295ELNS1_3gpuE0ELNS1_3repE0EEENS1_30default_config_static_selectorELNS0_4arch9wavefront6targetE0EEEvT1_, .Lfunc_end920-_ZN7rocprim17ROCPRIM_400000_NS6detail17trampoline_kernelINS0_14default_configENS1_25partition_config_selectorILNS1_17partition_subalgoE6EiNS0_10empty_typeEbEEZZNS1_14partition_implILS5_6ELb0ES3_mN6thrust23THRUST_200600_302600_NS10device_ptrIiEEPS6_SD_NS0_5tupleIJSC_S6_EEENSE_IJSD_SD_EEES6_PlJ7is_evenIiEEEE10hipError_tPvRmT3_T4_T5_T6_T7_T9_mT8_P12ihipStream_tbDpT10_ENKUlT_T0_E_clISt17integral_constantIbLb0EES12_IbLb1EEEEDaSY_SZ_EUlSY_E_NS1_11comp_targetILNS1_3genE0ELNS1_11target_archE4294967295ELNS1_3gpuE0ELNS1_3repE0EEENS1_30default_config_static_selectorELNS0_4arch9wavefront6targetE0EEEvT1_
                                        ; -- End function
	.section	.AMDGPU.csdata,"",@progbits
; Kernel info:
; codeLenInByte = 0
; NumSgprs: 0
; NumVgprs: 0
; ScratchSize: 0
; MemoryBound: 0
; FloatMode: 240
; IeeeMode: 1
; LDSByteSize: 0 bytes/workgroup (compile time only)
; SGPRBlocks: 0
; VGPRBlocks: 0
; NumSGPRsForWavesPerEU: 1
; NumVGPRsForWavesPerEU: 1
; Occupancy: 16
; WaveLimiterHint : 0
; COMPUTE_PGM_RSRC2:SCRATCH_EN: 0
; COMPUTE_PGM_RSRC2:USER_SGPR: 15
; COMPUTE_PGM_RSRC2:TRAP_HANDLER: 0
; COMPUTE_PGM_RSRC2:TGID_X_EN: 1
; COMPUTE_PGM_RSRC2:TGID_Y_EN: 0
; COMPUTE_PGM_RSRC2:TGID_Z_EN: 0
; COMPUTE_PGM_RSRC2:TIDIG_COMP_CNT: 0
	.section	.text._ZN7rocprim17ROCPRIM_400000_NS6detail17trampoline_kernelINS0_14default_configENS1_25partition_config_selectorILNS1_17partition_subalgoE6EiNS0_10empty_typeEbEEZZNS1_14partition_implILS5_6ELb0ES3_mN6thrust23THRUST_200600_302600_NS10device_ptrIiEEPS6_SD_NS0_5tupleIJSC_S6_EEENSE_IJSD_SD_EEES6_PlJ7is_evenIiEEEE10hipError_tPvRmT3_T4_T5_T6_T7_T9_mT8_P12ihipStream_tbDpT10_ENKUlT_T0_E_clISt17integral_constantIbLb0EES12_IbLb1EEEEDaSY_SZ_EUlSY_E_NS1_11comp_targetILNS1_3genE5ELNS1_11target_archE942ELNS1_3gpuE9ELNS1_3repE0EEENS1_30default_config_static_selectorELNS0_4arch9wavefront6targetE0EEEvT1_,"axG",@progbits,_ZN7rocprim17ROCPRIM_400000_NS6detail17trampoline_kernelINS0_14default_configENS1_25partition_config_selectorILNS1_17partition_subalgoE6EiNS0_10empty_typeEbEEZZNS1_14partition_implILS5_6ELb0ES3_mN6thrust23THRUST_200600_302600_NS10device_ptrIiEEPS6_SD_NS0_5tupleIJSC_S6_EEENSE_IJSD_SD_EEES6_PlJ7is_evenIiEEEE10hipError_tPvRmT3_T4_T5_T6_T7_T9_mT8_P12ihipStream_tbDpT10_ENKUlT_T0_E_clISt17integral_constantIbLb0EES12_IbLb1EEEEDaSY_SZ_EUlSY_E_NS1_11comp_targetILNS1_3genE5ELNS1_11target_archE942ELNS1_3gpuE9ELNS1_3repE0EEENS1_30default_config_static_selectorELNS0_4arch9wavefront6targetE0EEEvT1_,comdat
	.protected	_ZN7rocprim17ROCPRIM_400000_NS6detail17trampoline_kernelINS0_14default_configENS1_25partition_config_selectorILNS1_17partition_subalgoE6EiNS0_10empty_typeEbEEZZNS1_14partition_implILS5_6ELb0ES3_mN6thrust23THRUST_200600_302600_NS10device_ptrIiEEPS6_SD_NS0_5tupleIJSC_S6_EEENSE_IJSD_SD_EEES6_PlJ7is_evenIiEEEE10hipError_tPvRmT3_T4_T5_T6_T7_T9_mT8_P12ihipStream_tbDpT10_ENKUlT_T0_E_clISt17integral_constantIbLb0EES12_IbLb1EEEEDaSY_SZ_EUlSY_E_NS1_11comp_targetILNS1_3genE5ELNS1_11target_archE942ELNS1_3gpuE9ELNS1_3repE0EEENS1_30default_config_static_selectorELNS0_4arch9wavefront6targetE0EEEvT1_ ; -- Begin function _ZN7rocprim17ROCPRIM_400000_NS6detail17trampoline_kernelINS0_14default_configENS1_25partition_config_selectorILNS1_17partition_subalgoE6EiNS0_10empty_typeEbEEZZNS1_14partition_implILS5_6ELb0ES3_mN6thrust23THRUST_200600_302600_NS10device_ptrIiEEPS6_SD_NS0_5tupleIJSC_S6_EEENSE_IJSD_SD_EEES6_PlJ7is_evenIiEEEE10hipError_tPvRmT3_T4_T5_T6_T7_T9_mT8_P12ihipStream_tbDpT10_ENKUlT_T0_E_clISt17integral_constantIbLb0EES12_IbLb1EEEEDaSY_SZ_EUlSY_E_NS1_11comp_targetILNS1_3genE5ELNS1_11target_archE942ELNS1_3gpuE9ELNS1_3repE0EEENS1_30default_config_static_selectorELNS0_4arch9wavefront6targetE0EEEvT1_
	.globl	_ZN7rocprim17ROCPRIM_400000_NS6detail17trampoline_kernelINS0_14default_configENS1_25partition_config_selectorILNS1_17partition_subalgoE6EiNS0_10empty_typeEbEEZZNS1_14partition_implILS5_6ELb0ES3_mN6thrust23THRUST_200600_302600_NS10device_ptrIiEEPS6_SD_NS0_5tupleIJSC_S6_EEENSE_IJSD_SD_EEES6_PlJ7is_evenIiEEEE10hipError_tPvRmT3_T4_T5_T6_T7_T9_mT8_P12ihipStream_tbDpT10_ENKUlT_T0_E_clISt17integral_constantIbLb0EES12_IbLb1EEEEDaSY_SZ_EUlSY_E_NS1_11comp_targetILNS1_3genE5ELNS1_11target_archE942ELNS1_3gpuE9ELNS1_3repE0EEENS1_30default_config_static_selectorELNS0_4arch9wavefront6targetE0EEEvT1_
	.p2align	8
	.type	_ZN7rocprim17ROCPRIM_400000_NS6detail17trampoline_kernelINS0_14default_configENS1_25partition_config_selectorILNS1_17partition_subalgoE6EiNS0_10empty_typeEbEEZZNS1_14partition_implILS5_6ELb0ES3_mN6thrust23THRUST_200600_302600_NS10device_ptrIiEEPS6_SD_NS0_5tupleIJSC_S6_EEENSE_IJSD_SD_EEES6_PlJ7is_evenIiEEEE10hipError_tPvRmT3_T4_T5_T6_T7_T9_mT8_P12ihipStream_tbDpT10_ENKUlT_T0_E_clISt17integral_constantIbLb0EES12_IbLb1EEEEDaSY_SZ_EUlSY_E_NS1_11comp_targetILNS1_3genE5ELNS1_11target_archE942ELNS1_3gpuE9ELNS1_3repE0EEENS1_30default_config_static_selectorELNS0_4arch9wavefront6targetE0EEEvT1_,@function
_ZN7rocprim17ROCPRIM_400000_NS6detail17trampoline_kernelINS0_14default_configENS1_25partition_config_selectorILNS1_17partition_subalgoE6EiNS0_10empty_typeEbEEZZNS1_14partition_implILS5_6ELb0ES3_mN6thrust23THRUST_200600_302600_NS10device_ptrIiEEPS6_SD_NS0_5tupleIJSC_S6_EEENSE_IJSD_SD_EEES6_PlJ7is_evenIiEEEE10hipError_tPvRmT3_T4_T5_T6_T7_T9_mT8_P12ihipStream_tbDpT10_ENKUlT_T0_E_clISt17integral_constantIbLb0EES12_IbLb1EEEEDaSY_SZ_EUlSY_E_NS1_11comp_targetILNS1_3genE5ELNS1_11target_archE942ELNS1_3gpuE9ELNS1_3repE0EEENS1_30default_config_static_selectorELNS0_4arch9wavefront6targetE0EEEvT1_: ; @_ZN7rocprim17ROCPRIM_400000_NS6detail17trampoline_kernelINS0_14default_configENS1_25partition_config_selectorILNS1_17partition_subalgoE6EiNS0_10empty_typeEbEEZZNS1_14partition_implILS5_6ELb0ES3_mN6thrust23THRUST_200600_302600_NS10device_ptrIiEEPS6_SD_NS0_5tupleIJSC_S6_EEENSE_IJSD_SD_EEES6_PlJ7is_evenIiEEEE10hipError_tPvRmT3_T4_T5_T6_T7_T9_mT8_P12ihipStream_tbDpT10_ENKUlT_T0_E_clISt17integral_constantIbLb0EES12_IbLb1EEEEDaSY_SZ_EUlSY_E_NS1_11comp_targetILNS1_3genE5ELNS1_11target_archE942ELNS1_3gpuE9ELNS1_3repE0EEENS1_30default_config_static_selectorELNS0_4arch9wavefront6targetE0EEEvT1_
; %bb.0:
	.section	.rodata,"a",@progbits
	.p2align	6, 0x0
	.amdhsa_kernel _ZN7rocprim17ROCPRIM_400000_NS6detail17trampoline_kernelINS0_14default_configENS1_25partition_config_selectorILNS1_17partition_subalgoE6EiNS0_10empty_typeEbEEZZNS1_14partition_implILS5_6ELb0ES3_mN6thrust23THRUST_200600_302600_NS10device_ptrIiEEPS6_SD_NS0_5tupleIJSC_S6_EEENSE_IJSD_SD_EEES6_PlJ7is_evenIiEEEE10hipError_tPvRmT3_T4_T5_T6_T7_T9_mT8_P12ihipStream_tbDpT10_ENKUlT_T0_E_clISt17integral_constantIbLb0EES12_IbLb1EEEEDaSY_SZ_EUlSY_E_NS1_11comp_targetILNS1_3genE5ELNS1_11target_archE942ELNS1_3gpuE9ELNS1_3repE0EEENS1_30default_config_static_selectorELNS0_4arch9wavefront6targetE0EEEvT1_
		.amdhsa_group_segment_fixed_size 0
		.amdhsa_private_segment_fixed_size 0
		.amdhsa_kernarg_size 128
		.amdhsa_user_sgpr_count 15
		.amdhsa_user_sgpr_dispatch_ptr 0
		.amdhsa_user_sgpr_queue_ptr 0
		.amdhsa_user_sgpr_kernarg_segment_ptr 1
		.amdhsa_user_sgpr_dispatch_id 0
		.amdhsa_user_sgpr_private_segment_size 0
		.amdhsa_wavefront_size32 1
		.amdhsa_uses_dynamic_stack 0
		.amdhsa_enable_private_segment 0
		.amdhsa_system_sgpr_workgroup_id_x 1
		.amdhsa_system_sgpr_workgroup_id_y 0
		.amdhsa_system_sgpr_workgroup_id_z 0
		.amdhsa_system_sgpr_workgroup_info 0
		.amdhsa_system_vgpr_workitem_id 0
		.amdhsa_next_free_vgpr 1
		.amdhsa_next_free_sgpr 1
		.amdhsa_reserve_vcc 0
		.amdhsa_float_round_mode_32 0
		.amdhsa_float_round_mode_16_64 0
		.amdhsa_float_denorm_mode_32 3
		.amdhsa_float_denorm_mode_16_64 3
		.amdhsa_dx10_clamp 1
		.amdhsa_ieee_mode 1
		.amdhsa_fp16_overflow 0
		.amdhsa_workgroup_processor_mode 1
		.amdhsa_memory_ordered 1
		.amdhsa_forward_progress 0
		.amdhsa_shared_vgpr_count 0
		.amdhsa_exception_fp_ieee_invalid_op 0
		.amdhsa_exception_fp_denorm_src 0
		.amdhsa_exception_fp_ieee_div_zero 0
		.amdhsa_exception_fp_ieee_overflow 0
		.amdhsa_exception_fp_ieee_underflow 0
		.amdhsa_exception_fp_ieee_inexact 0
		.amdhsa_exception_int_div_zero 0
	.end_amdhsa_kernel
	.section	.text._ZN7rocprim17ROCPRIM_400000_NS6detail17trampoline_kernelINS0_14default_configENS1_25partition_config_selectorILNS1_17partition_subalgoE6EiNS0_10empty_typeEbEEZZNS1_14partition_implILS5_6ELb0ES3_mN6thrust23THRUST_200600_302600_NS10device_ptrIiEEPS6_SD_NS0_5tupleIJSC_S6_EEENSE_IJSD_SD_EEES6_PlJ7is_evenIiEEEE10hipError_tPvRmT3_T4_T5_T6_T7_T9_mT8_P12ihipStream_tbDpT10_ENKUlT_T0_E_clISt17integral_constantIbLb0EES12_IbLb1EEEEDaSY_SZ_EUlSY_E_NS1_11comp_targetILNS1_3genE5ELNS1_11target_archE942ELNS1_3gpuE9ELNS1_3repE0EEENS1_30default_config_static_selectorELNS0_4arch9wavefront6targetE0EEEvT1_,"axG",@progbits,_ZN7rocprim17ROCPRIM_400000_NS6detail17trampoline_kernelINS0_14default_configENS1_25partition_config_selectorILNS1_17partition_subalgoE6EiNS0_10empty_typeEbEEZZNS1_14partition_implILS5_6ELb0ES3_mN6thrust23THRUST_200600_302600_NS10device_ptrIiEEPS6_SD_NS0_5tupleIJSC_S6_EEENSE_IJSD_SD_EEES6_PlJ7is_evenIiEEEE10hipError_tPvRmT3_T4_T5_T6_T7_T9_mT8_P12ihipStream_tbDpT10_ENKUlT_T0_E_clISt17integral_constantIbLb0EES12_IbLb1EEEEDaSY_SZ_EUlSY_E_NS1_11comp_targetILNS1_3genE5ELNS1_11target_archE942ELNS1_3gpuE9ELNS1_3repE0EEENS1_30default_config_static_selectorELNS0_4arch9wavefront6targetE0EEEvT1_,comdat
.Lfunc_end921:
	.size	_ZN7rocprim17ROCPRIM_400000_NS6detail17trampoline_kernelINS0_14default_configENS1_25partition_config_selectorILNS1_17partition_subalgoE6EiNS0_10empty_typeEbEEZZNS1_14partition_implILS5_6ELb0ES3_mN6thrust23THRUST_200600_302600_NS10device_ptrIiEEPS6_SD_NS0_5tupleIJSC_S6_EEENSE_IJSD_SD_EEES6_PlJ7is_evenIiEEEE10hipError_tPvRmT3_T4_T5_T6_T7_T9_mT8_P12ihipStream_tbDpT10_ENKUlT_T0_E_clISt17integral_constantIbLb0EES12_IbLb1EEEEDaSY_SZ_EUlSY_E_NS1_11comp_targetILNS1_3genE5ELNS1_11target_archE942ELNS1_3gpuE9ELNS1_3repE0EEENS1_30default_config_static_selectorELNS0_4arch9wavefront6targetE0EEEvT1_, .Lfunc_end921-_ZN7rocprim17ROCPRIM_400000_NS6detail17trampoline_kernelINS0_14default_configENS1_25partition_config_selectorILNS1_17partition_subalgoE6EiNS0_10empty_typeEbEEZZNS1_14partition_implILS5_6ELb0ES3_mN6thrust23THRUST_200600_302600_NS10device_ptrIiEEPS6_SD_NS0_5tupleIJSC_S6_EEENSE_IJSD_SD_EEES6_PlJ7is_evenIiEEEE10hipError_tPvRmT3_T4_T5_T6_T7_T9_mT8_P12ihipStream_tbDpT10_ENKUlT_T0_E_clISt17integral_constantIbLb0EES12_IbLb1EEEEDaSY_SZ_EUlSY_E_NS1_11comp_targetILNS1_3genE5ELNS1_11target_archE942ELNS1_3gpuE9ELNS1_3repE0EEENS1_30default_config_static_selectorELNS0_4arch9wavefront6targetE0EEEvT1_
                                        ; -- End function
	.section	.AMDGPU.csdata,"",@progbits
; Kernel info:
; codeLenInByte = 0
; NumSgprs: 0
; NumVgprs: 0
; ScratchSize: 0
; MemoryBound: 0
; FloatMode: 240
; IeeeMode: 1
; LDSByteSize: 0 bytes/workgroup (compile time only)
; SGPRBlocks: 0
; VGPRBlocks: 0
; NumSGPRsForWavesPerEU: 1
; NumVGPRsForWavesPerEU: 1
; Occupancy: 16
; WaveLimiterHint : 0
; COMPUTE_PGM_RSRC2:SCRATCH_EN: 0
; COMPUTE_PGM_RSRC2:USER_SGPR: 15
; COMPUTE_PGM_RSRC2:TRAP_HANDLER: 0
; COMPUTE_PGM_RSRC2:TGID_X_EN: 1
; COMPUTE_PGM_RSRC2:TGID_Y_EN: 0
; COMPUTE_PGM_RSRC2:TGID_Z_EN: 0
; COMPUTE_PGM_RSRC2:TIDIG_COMP_CNT: 0
	.section	.text._ZN7rocprim17ROCPRIM_400000_NS6detail17trampoline_kernelINS0_14default_configENS1_25partition_config_selectorILNS1_17partition_subalgoE6EiNS0_10empty_typeEbEEZZNS1_14partition_implILS5_6ELb0ES3_mN6thrust23THRUST_200600_302600_NS10device_ptrIiEEPS6_SD_NS0_5tupleIJSC_S6_EEENSE_IJSD_SD_EEES6_PlJ7is_evenIiEEEE10hipError_tPvRmT3_T4_T5_T6_T7_T9_mT8_P12ihipStream_tbDpT10_ENKUlT_T0_E_clISt17integral_constantIbLb0EES12_IbLb1EEEEDaSY_SZ_EUlSY_E_NS1_11comp_targetILNS1_3genE4ELNS1_11target_archE910ELNS1_3gpuE8ELNS1_3repE0EEENS1_30default_config_static_selectorELNS0_4arch9wavefront6targetE0EEEvT1_,"axG",@progbits,_ZN7rocprim17ROCPRIM_400000_NS6detail17trampoline_kernelINS0_14default_configENS1_25partition_config_selectorILNS1_17partition_subalgoE6EiNS0_10empty_typeEbEEZZNS1_14partition_implILS5_6ELb0ES3_mN6thrust23THRUST_200600_302600_NS10device_ptrIiEEPS6_SD_NS0_5tupleIJSC_S6_EEENSE_IJSD_SD_EEES6_PlJ7is_evenIiEEEE10hipError_tPvRmT3_T4_T5_T6_T7_T9_mT8_P12ihipStream_tbDpT10_ENKUlT_T0_E_clISt17integral_constantIbLb0EES12_IbLb1EEEEDaSY_SZ_EUlSY_E_NS1_11comp_targetILNS1_3genE4ELNS1_11target_archE910ELNS1_3gpuE8ELNS1_3repE0EEENS1_30default_config_static_selectorELNS0_4arch9wavefront6targetE0EEEvT1_,comdat
	.protected	_ZN7rocprim17ROCPRIM_400000_NS6detail17trampoline_kernelINS0_14default_configENS1_25partition_config_selectorILNS1_17partition_subalgoE6EiNS0_10empty_typeEbEEZZNS1_14partition_implILS5_6ELb0ES3_mN6thrust23THRUST_200600_302600_NS10device_ptrIiEEPS6_SD_NS0_5tupleIJSC_S6_EEENSE_IJSD_SD_EEES6_PlJ7is_evenIiEEEE10hipError_tPvRmT3_T4_T5_T6_T7_T9_mT8_P12ihipStream_tbDpT10_ENKUlT_T0_E_clISt17integral_constantIbLb0EES12_IbLb1EEEEDaSY_SZ_EUlSY_E_NS1_11comp_targetILNS1_3genE4ELNS1_11target_archE910ELNS1_3gpuE8ELNS1_3repE0EEENS1_30default_config_static_selectorELNS0_4arch9wavefront6targetE0EEEvT1_ ; -- Begin function _ZN7rocprim17ROCPRIM_400000_NS6detail17trampoline_kernelINS0_14default_configENS1_25partition_config_selectorILNS1_17partition_subalgoE6EiNS0_10empty_typeEbEEZZNS1_14partition_implILS5_6ELb0ES3_mN6thrust23THRUST_200600_302600_NS10device_ptrIiEEPS6_SD_NS0_5tupleIJSC_S6_EEENSE_IJSD_SD_EEES6_PlJ7is_evenIiEEEE10hipError_tPvRmT3_T4_T5_T6_T7_T9_mT8_P12ihipStream_tbDpT10_ENKUlT_T0_E_clISt17integral_constantIbLb0EES12_IbLb1EEEEDaSY_SZ_EUlSY_E_NS1_11comp_targetILNS1_3genE4ELNS1_11target_archE910ELNS1_3gpuE8ELNS1_3repE0EEENS1_30default_config_static_selectorELNS0_4arch9wavefront6targetE0EEEvT1_
	.globl	_ZN7rocprim17ROCPRIM_400000_NS6detail17trampoline_kernelINS0_14default_configENS1_25partition_config_selectorILNS1_17partition_subalgoE6EiNS0_10empty_typeEbEEZZNS1_14partition_implILS5_6ELb0ES3_mN6thrust23THRUST_200600_302600_NS10device_ptrIiEEPS6_SD_NS0_5tupleIJSC_S6_EEENSE_IJSD_SD_EEES6_PlJ7is_evenIiEEEE10hipError_tPvRmT3_T4_T5_T6_T7_T9_mT8_P12ihipStream_tbDpT10_ENKUlT_T0_E_clISt17integral_constantIbLb0EES12_IbLb1EEEEDaSY_SZ_EUlSY_E_NS1_11comp_targetILNS1_3genE4ELNS1_11target_archE910ELNS1_3gpuE8ELNS1_3repE0EEENS1_30default_config_static_selectorELNS0_4arch9wavefront6targetE0EEEvT1_
	.p2align	8
	.type	_ZN7rocprim17ROCPRIM_400000_NS6detail17trampoline_kernelINS0_14default_configENS1_25partition_config_selectorILNS1_17partition_subalgoE6EiNS0_10empty_typeEbEEZZNS1_14partition_implILS5_6ELb0ES3_mN6thrust23THRUST_200600_302600_NS10device_ptrIiEEPS6_SD_NS0_5tupleIJSC_S6_EEENSE_IJSD_SD_EEES6_PlJ7is_evenIiEEEE10hipError_tPvRmT3_T4_T5_T6_T7_T9_mT8_P12ihipStream_tbDpT10_ENKUlT_T0_E_clISt17integral_constantIbLb0EES12_IbLb1EEEEDaSY_SZ_EUlSY_E_NS1_11comp_targetILNS1_3genE4ELNS1_11target_archE910ELNS1_3gpuE8ELNS1_3repE0EEENS1_30default_config_static_selectorELNS0_4arch9wavefront6targetE0EEEvT1_,@function
_ZN7rocprim17ROCPRIM_400000_NS6detail17trampoline_kernelINS0_14default_configENS1_25partition_config_selectorILNS1_17partition_subalgoE6EiNS0_10empty_typeEbEEZZNS1_14partition_implILS5_6ELb0ES3_mN6thrust23THRUST_200600_302600_NS10device_ptrIiEEPS6_SD_NS0_5tupleIJSC_S6_EEENSE_IJSD_SD_EEES6_PlJ7is_evenIiEEEE10hipError_tPvRmT3_T4_T5_T6_T7_T9_mT8_P12ihipStream_tbDpT10_ENKUlT_T0_E_clISt17integral_constantIbLb0EES12_IbLb1EEEEDaSY_SZ_EUlSY_E_NS1_11comp_targetILNS1_3genE4ELNS1_11target_archE910ELNS1_3gpuE8ELNS1_3repE0EEENS1_30default_config_static_selectorELNS0_4arch9wavefront6targetE0EEEvT1_: ; @_ZN7rocprim17ROCPRIM_400000_NS6detail17trampoline_kernelINS0_14default_configENS1_25partition_config_selectorILNS1_17partition_subalgoE6EiNS0_10empty_typeEbEEZZNS1_14partition_implILS5_6ELb0ES3_mN6thrust23THRUST_200600_302600_NS10device_ptrIiEEPS6_SD_NS0_5tupleIJSC_S6_EEENSE_IJSD_SD_EEES6_PlJ7is_evenIiEEEE10hipError_tPvRmT3_T4_T5_T6_T7_T9_mT8_P12ihipStream_tbDpT10_ENKUlT_T0_E_clISt17integral_constantIbLb0EES12_IbLb1EEEEDaSY_SZ_EUlSY_E_NS1_11comp_targetILNS1_3genE4ELNS1_11target_archE910ELNS1_3gpuE8ELNS1_3repE0EEENS1_30default_config_static_selectorELNS0_4arch9wavefront6targetE0EEEvT1_
; %bb.0:
	.section	.rodata,"a",@progbits
	.p2align	6, 0x0
	.amdhsa_kernel _ZN7rocprim17ROCPRIM_400000_NS6detail17trampoline_kernelINS0_14default_configENS1_25partition_config_selectorILNS1_17partition_subalgoE6EiNS0_10empty_typeEbEEZZNS1_14partition_implILS5_6ELb0ES3_mN6thrust23THRUST_200600_302600_NS10device_ptrIiEEPS6_SD_NS0_5tupleIJSC_S6_EEENSE_IJSD_SD_EEES6_PlJ7is_evenIiEEEE10hipError_tPvRmT3_T4_T5_T6_T7_T9_mT8_P12ihipStream_tbDpT10_ENKUlT_T0_E_clISt17integral_constantIbLb0EES12_IbLb1EEEEDaSY_SZ_EUlSY_E_NS1_11comp_targetILNS1_3genE4ELNS1_11target_archE910ELNS1_3gpuE8ELNS1_3repE0EEENS1_30default_config_static_selectorELNS0_4arch9wavefront6targetE0EEEvT1_
		.amdhsa_group_segment_fixed_size 0
		.amdhsa_private_segment_fixed_size 0
		.amdhsa_kernarg_size 128
		.amdhsa_user_sgpr_count 15
		.amdhsa_user_sgpr_dispatch_ptr 0
		.amdhsa_user_sgpr_queue_ptr 0
		.amdhsa_user_sgpr_kernarg_segment_ptr 1
		.amdhsa_user_sgpr_dispatch_id 0
		.amdhsa_user_sgpr_private_segment_size 0
		.amdhsa_wavefront_size32 1
		.amdhsa_uses_dynamic_stack 0
		.amdhsa_enable_private_segment 0
		.amdhsa_system_sgpr_workgroup_id_x 1
		.amdhsa_system_sgpr_workgroup_id_y 0
		.amdhsa_system_sgpr_workgroup_id_z 0
		.amdhsa_system_sgpr_workgroup_info 0
		.amdhsa_system_vgpr_workitem_id 0
		.amdhsa_next_free_vgpr 1
		.amdhsa_next_free_sgpr 1
		.amdhsa_reserve_vcc 0
		.amdhsa_float_round_mode_32 0
		.amdhsa_float_round_mode_16_64 0
		.amdhsa_float_denorm_mode_32 3
		.amdhsa_float_denorm_mode_16_64 3
		.amdhsa_dx10_clamp 1
		.amdhsa_ieee_mode 1
		.amdhsa_fp16_overflow 0
		.amdhsa_workgroup_processor_mode 1
		.amdhsa_memory_ordered 1
		.amdhsa_forward_progress 0
		.amdhsa_shared_vgpr_count 0
		.amdhsa_exception_fp_ieee_invalid_op 0
		.amdhsa_exception_fp_denorm_src 0
		.amdhsa_exception_fp_ieee_div_zero 0
		.amdhsa_exception_fp_ieee_overflow 0
		.amdhsa_exception_fp_ieee_underflow 0
		.amdhsa_exception_fp_ieee_inexact 0
		.amdhsa_exception_int_div_zero 0
	.end_amdhsa_kernel
	.section	.text._ZN7rocprim17ROCPRIM_400000_NS6detail17trampoline_kernelINS0_14default_configENS1_25partition_config_selectorILNS1_17partition_subalgoE6EiNS0_10empty_typeEbEEZZNS1_14partition_implILS5_6ELb0ES3_mN6thrust23THRUST_200600_302600_NS10device_ptrIiEEPS6_SD_NS0_5tupleIJSC_S6_EEENSE_IJSD_SD_EEES6_PlJ7is_evenIiEEEE10hipError_tPvRmT3_T4_T5_T6_T7_T9_mT8_P12ihipStream_tbDpT10_ENKUlT_T0_E_clISt17integral_constantIbLb0EES12_IbLb1EEEEDaSY_SZ_EUlSY_E_NS1_11comp_targetILNS1_3genE4ELNS1_11target_archE910ELNS1_3gpuE8ELNS1_3repE0EEENS1_30default_config_static_selectorELNS0_4arch9wavefront6targetE0EEEvT1_,"axG",@progbits,_ZN7rocprim17ROCPRIM_400000_NS6detail17trampoline_kernelINS0_14default_configENS1_25partition_config_selectorILNS1_17partition_subalgoE6EiNS0_10empty_typeEbEEZZNS1_14partition_implILS5_6ELb0ES3_mN6thrust23THRUST_200600_302600_NS10device_ptrIiEEPS6_SD_NS0_5tupleIJSC_S6_EEENSE_IJSD_SD_EEES6_PlJ7is_evenIiEEEE10hipError_tPvRmT3_T4_T5_T6_T7_T9_mT8_P12ihipStream_tbDpT10_ENKUlT_T0_E_clISt17integral_constantIbLb0EES12_IbLb1EEEEDaSY_SZ_EUlSY_E_NS1_11comp_targetILNS1_3genE4ELNS1_11target_archE910ELNS1_3gpuE8ELNS1_3repE0EEENS1_30default_config_static_selectorELNS0_4arch9wavefront6targetE0EEEvT1_,comdat
.Lfunc_end922:
	.size	_ZN7rocprim17ROCPRIM_400000_NS6detail17trampoline_kernelINS0_14default_configENS1_25partition_config_selectorILNS1_17partition_subalgoE6EiNS0_10empty_typeEbEEZZNS1_14partition_implILS5_6ELb0ES3_mN6thrust23THRUST_200600_302600_NS10device_ptrIiEEPS6_SD_NS0_5tupleIJSC_S6_EEENSE_IJSD_SD_EEES6_PlJ7is_evenIiEEEE10hipError_tPvRmT3_T4_T5_T6_T7_T9_mT8_P12ihipStream_tbDpT10_ENKUlT_T0_E_clISt17integral_constantIbLb0EES12_IbLb1EEEEDaSY_SZ_EUlSY_E_NS1_11comp_targetILNS1_3genE4ELNS1_11target_archE910ELNS1_3gpuE8ELNS1_3repE0EEENS1_30default_config_static_selectorELNS0_4arch9wavefront6targetE0EEEvT1_, .Lfunc_end922-_ZN7rocprim17ROCPRIM_400000_NS6detail17trampoline_kernelINS0_14default_configENS1_25partition_config_selectorILNS1_17partition_subalgoE6EiNS0_10empty_typeEbEEZZNS1_14partition_implILS5_6ELb0ES3_mN6thrust23THRUST_200600_302600_NS10device_ptrIiEEPS6_SD_NS0_5tupleIJSC_S6_EEENSE_IJSD_SD_EEES6_PlJ7is_evenIiEEEE10hipError_tPvRmT3_T4_T5_T6_T7_T9_mT8_P12ihipStream_tbDpT10_ENKUlT_T0_E_clISt17integral_constantIbLb0EES12_IbLb1EEEEDaSY_SZ_EUlSY_E_NS1_11comp_targetILNS1_3genE4ELNS1_11target_archE910ELNS1_3gpuE8ELNS1_3repE0EEENS1_30default_config_static_selectorELNS0_4arch9wavefront6targetE0EEEvT1_
                                        ; -- End function
	.section	.AMDGPU.csdata,"",@progbits
; Kernel info:
; codeLenInByte = 0
; NumSgprs: 0
; NumVgprs: 0
; ScratchSize: 0
; MemoryBound: 0
; FloatMode: 240
; IeeeMode: 1
; LDSByteSize: 0 bytes/workgroup (compile time only)
; SGPRBlocks: 0
; VGPRBlocks: 0
; NumSGPRsForWavesPerEU: 1
; NumVGPRsForWavesPerEU: 1
; Occupancy: 16
; WaveLimiterHint : 0
; COMPUTE_PGM_RSRC2:SCRATCH_EN: 0
; COMPUTE_PGM_RSRC2:USER_SGPR: 15
; COMPUTE_PGM_RSRC2:TRAP_HANDLER: 0
; COMPUTE_PGM_RSRC2:TGID_X_EN: 1
; COMPUTE_PGM_RSRC2:TGID_Y_EN: 0
; COMPUTE_PGM_RSRC2:TGID_Z_EN: 0
; COMPUTE_PGM_RSRC2:TIDIG_COMP_CNT: 0
	.section	.text._ZN7rocprim17ROCPRIM_400000_NS6detail17trampoline_kernelINS0_14default_configENS1_25partition_config_selectorILNS1_17partition_subalgoE6EiNS0_10empty_typeEbEEZZNS1_14partition_implILS5_6ELb0ES3_mN6thrust23THRUST_200600_302600_NS10device_ptrIiEEPS6_SD_NS0_5tupleIJSC_S6_EEENSE_IJSD_SD_EEES6_PlJ7is_evenIiEEEE10hipError_tPvRmT3_T4_T5_T6_T7_T9_mT8_P12ihipStream_tbDpT10_ENKUlT_T0_E_clISt17integral_constantIbLb0EES12_IbLb1EEEEDaSY_SZ_EUlSY_E_NS1_11comp_targetILNS1_3genE3ELNS1_11target_archE908ELNS1_3gpuE7ELNS1_3repE0EEENS1_30default_config_static_selectorELNS0_4arch9wavefront6targetE0EEEvT1_,"axG",@progbits,_ZN7rocprim17ROCPRIM_400000_NS6detail17trampoline_kernelINS0_14default_configENS1_25partition_config_selectorILNS1_17partition_subalgoE6EiNS0_10empty_typeEbEEZZNS1_14partition_implILS5_6ELb0ES3_mN6thrust23THRUST_200600_302600_NS10device_ptrIiEEPS6_SD_NS0_5tupleIJSC_S6_EEENSE_IJSD_SD_EEES6_PlJ7is_evenIiEEEE10hipError_tPvRmT3_T4_T5_T6_T7_T9_mT8_P12ihipStream_tbDpT10_ENKUlT_T0_E_clISt17integral_constantIbLb0EES12_IbLb1EEEEDaSY_SZ_EUlSY_E_NS1_11comp_targetILNS1_3genE3ELNS1_11target_archE908ELNS1_3gpuE7ELNS1_3repE0EEENS1_30default_config_static_selectorELNS0_4arch9wavefront6targetE0EEEvT1_,comdat
	.protected	_ZN7rocprim17ROCPRIM_400000_NS6detail17trampoline_kernelINS0_14default_configENS1_25partition_config_selectorILNS1_17partition_subalgoE6EiNS0_10empty_typeEbEEZZNS1_14partition_implILS5_6ELb0ES3_mN6thrust23THRUST_200600_302600_NS10device_ptrIiEEPS6_SD_NS0_5tupleIJSC_S6_EEENSE_IJSD_SD_EEES6_PlJ7is_evenIiEEEE10hipError_tPvRmT3_T4_T5_T6_T7_T9_mT8_P12ihipStream_tbDpT10_ENKUlT_T0_E_clISt17integral_constantIbLb0EES12_IbLb1EEEEDaSY_SZ_EUlSY_E_NS1_11comp_targetILNS1_3genE3ELNS1_11target_archE908ELNS1_3gpuE7ELNS1_3repE0EEENS1_30default_config_static_selectorELNS0_4arch9wavefront6targetE0EEEvT1_ ; -- Begin function _ZN7rocprim17ROCPRIM_400000_NS6detail17trampoline_kernelINS0_14default_configENS1_25partition_config_selectorILNS1_17partition_subalgoE6EiNS0_10empty_typeEbEEZZNS1_14partition_implILS5_6ELb0ES3_mN6thrust23THRUST_200600_302600_NS10device_ptrIiEEPS6_SD_NS0_5tupleIJSC_S6_EEENSE_IJSD_SD_EEES6_PlJ7is_evenIiEEEE10hipError_tPvRmT3_T4_T5_T6_T7_T9_mT8_P12ihipStream_tbDpT10_ENKUlT_T0_E_clISt17integral_constantIbLb0EES12_IbLb1EEEEDaSY_SZ_EUlSY_E_NS1_11comp_targetILNS1_3genE3ELNS1_11target_archE908ELNS1_3gpuE7ELNS1_3repE0EEENS1_30default_config_static_selectorELNS0_4arch9wavefront6targetE0EEEvT1_
	.globl	_ZN7rocprim17ROCPRIM_400000_NS6detail17trampoline_kernelINS0_14default_configENS1_25partition_config_selectorILNS1_17partition_subalgoE6EiNS0_10empty_typeEbEEZZNS1_14partition_implILS5_6ELb0ES3_mN6thrust23THRUST_200600_302600_NS10device_ptrIiEEPS6_SD_NS0_5tupleIJSC_S6_EEENSE_IJSD_SD_EEES6_PlJ7is_evenIiEEEE10hipError_tPvRmT3_T4_T5_T6_T7_T9_mT8_P12ihipStream_tbDpT10_ENKUlT_T0_E_clISt17integral_constantIbLb0EES12_IbLb1EEEEDaSY_SZ_EUlSY_E_NS1_11comp_targetILNS1_3genE3ELNS1_11target_archE908ELNS1_3gpuE7ELNS1_3repE0EEENS1_30default_config_static_selectorELNS0_4arch9wavefront6targetE0EEEvT1_
	.p2align	8
	.type	_ZN7rocprim17ROCPRIM_400000_NS6detail17trampoline_kernelINS0_14default_configENS1_25partition_config_selectorILNS1_17partition_subalgoE6EiNS0_10empty_typeEbEEZZNS1_14partition_implILS5_6ELb0ES3_mN6thrust23THRUST_200600_302600_NS10device_ptrIiEEPS6_SD_NS0_5tupleIJSC_S6_EEENSE_IJSD_SD_EEES6_PlJ7is_evenIiEEEE10hipError_tPvRmT3_T4_T5_T6_T7_T9_mT8_P12ihipStream_tbDpT10_ENKUlT_T0_E_clISt17integral_constantIbLb0EES12_IbLb1EEEEDaSY_SZ_EUlSY_E_NS1_11comp_targetILNS1_3genE3ELNS1_11target_archE908ELNS1_3gpuE7ELNS1_3repE0EEENS1_30default_config_static_selectorELNS0_4arch9wavefront6targetE0EEEvT1_,@function
_ZN7rocprim17ROCPRIM_400000_NS6detail17trampoline_kernelINS0_14default_configENS1_25partition_config_selectorILNS1_17partition_subalgoE6EiNS0_10empty_typeEbEEZZNS1_14partition_implILS5_6ELb0ES3_mN6thrust23THRUST_200600_302600_NS10device_ptrIiEEPS6_SD_NS0_5tupleIJSC_S6_EEENSE_IJSD_SD_EEES6_PlJ7is_evenIiEEEE10hipError_tPvRmT3_T4_T5_T6_T7_T9_mT8_P12ihipStream_tbDpT10_ENKUlT_T0_E_clISt17integral_constantIbLb0EES12_IbLb1EEEEDaSY_SZ_EUlSY_E_NS1_11comp_targetILNS1_3genE3ELNS1_11target_archE908ELNS1_3gpuE7ELNS1_3repE0EEENS1_30default_config_static_selectorELNS0_4arch9wavefront6targetE0EEEvT1_: ; @_ZN7rocprim17ROCPRIM_400000_NS6detail17trampoline_kernelINS0_14default_configENS1_25partition_config_selectorILNS1_17partition_subalgoE6EiNS0_10empty_typeEbEEZZNS1_14partition_implILS5_6ELb0ES3_mN6thrust23THRUST_200600_302600_NS10device_ptrIiEEPS6_SD_NS0_5tupleIJSC_S6_EEENSE_IJSD_SD_EEES6_PlJ7is_evenIiEEEE10hipError_tPvRmT3_T4_T5_T6_T7_T9_mT8_P12ihipStream_tbDpT10_ENKUlT_T0_E_clISt17integral_constantIbLb0EES12_IbLb1EEEEDaSY_SZ_EUlSY_E_NS1_11comp_targetILNS1_3genE3ELNS1_11target_archE908ELNS1_3gpuE7ELNS1_3repE0EEENS1_30default_config_static_selectorELNS0_4arch9wavefront6targetE0EEEvT1_
; %bb.0:
	.section	.rodata,"a",@progbits
	.p2align	6, 0x0
	.amdhsa_kernel _ZN7rocprim17ROCPRIM_400000_NS6detail17trampoline_kernelINS0_14default_configENS1_25partition_config_selectorILNS1_17partition_subalgoE6EiNS0_10empty_typeEbEEZZNS1_14partition_implILS5_6ELb0ES3_mN6thrust23THRUST_200600_302600_NS10device_ptrIiEEPS6_SD_NS0_5tupleIJSC_S6_EEENSE_IJSD_SD_EEES6_PlJ7is_evenIiEEEE10hipError_tPvRmT3_T4_T5_T6_T7_T9_mT8_P12ihipStream_tbDpT10_ENKUlT_T0_E_clISt17integral_constantIbLb0EES12_IbLb1EEEEDaSY_SZ_EUlSY_E_NS1_11comp_targetILNS1_3genE3ELNS1_11target_archE908ELNS1_3gpuE7ELNS1_3repE0EEENS1_30default_config_static_selectorELNS0_4arch9wavefront6targetE0EEEvT1_
		.amdhsa_group_segment_fixed_size 0
		.amdhsa_private_segment_fixed_size 0
		.amdhsa_kernarg_size 128
		.amdhsa_user_sgpr_count 15
		.amdhsa_user_sgpr_dispatch_ptr 0
		.amdhsa_user_sgpr_queue_ptr 0
		.amdhsa_user_sgpr_kernarg_segment_ptr 1
		.amdhsa_user_sgpr_dispatch_id 0
		.amdhsa_user_sgpr_private_segment_size 0
		.amdhsa_wavefront_size32 1
		.amdhsa_uses_dynamic_stack 0
		.amdhsa_enable_private_segment 0
		.amdhsa_system_sgpr_workgroup_id_x 1
		.amdhsa_system_sgpr_workgroup_id_y 0
		.amdhsa_system_sgpr_workgroup_id_z 0
		.amdhsa_system_sgpr_workgroup_info 0
		.amdhsa_system_vgpr_workitem_id 0
		.amdhsa_next_free_vgpr 1
		.amdhsa_next_free_sgpr 1
		.amdhsa_reserve_vcc 0
		.amdhsa_float_round_mode_32 0
		.amdhsa_float_round_mode_16_64 0
		.amdhsa_float_denorm_mode_32 3
		.amdhsa_float_denorm_mode_16_64 3
		.amdhsa_dx10_clamp 1
		.amdhsa_ieee_mode 1
		.amdhsa_fp16_overflow 0
		.amdhsa_workgroup_processor_mode 1
		.amdhsa_memory_ordered 1
		.amdhsa_forward_progress 0
		.amdhsa_shared_vgpr_count 0
		.amdhsa_exception_fp_ieee_invalid_op 0
		.amdhsa_exception_fp_denorm_src 0
		.amdhsa_exception_fp_ieee_div_zero 0
		.amdhsa_exception_fp_ieee_overflow 0
		.amdhsa_exception_fp_ieee_underflow 0
		.amdhsa_exception_fp_ieee_inexact 0
		.amdhsa_exception_int_div_zero 0
	.end_amdhsa_kernel
	.section	.text._ZN7rocprim17ROCPRIM_400000_NS6detail17trampoline_kernelINS0_14default_configENS1_25partition_config_selectorILNS1_17partition_subalgoE6EiNS0_10empty_typeEbEEZZNS1_14partition_implILS5_6ELb0ES3_mN6thrust23THRUST_200600_302600_NS10device_ptrIiEEPS6_SD_NS0_5tupleIJSC_S6_EEENSE_IJSD_SD_EEES6_PlJ7is_evenIiEEEE10hipError_tPvRmT3_T4_T5_T6_T7_T9_mT8_P12ihipStream_tbDpT10_ENKUlT_T0_E_clISt17integral_constantIbLb0EES12_IbLb1EEEEDaSY_SZ_EUlSY_E_NS1_11comp_targetILNS1_3genE3ELNS1_11target_archE908ELNS1_3gpuE7ELNS1_3repE0EEENS1_30default_config_static_selectorELNS0_4arch9wavefront6targetE0EEEvT1_,"axG",@progbits,_ZN7rocprim17ROCPRIM_400000_NS6detail17trampoline_kernelINS0_14default_configENS1_25partition_config_selectorILNS1_17partition_subalgoE6EiNS0_10empty_typeEbEEZZNS1_14partition_implILS5_6ELb0ES3_mN6thrust23THRUST_200600_302600_NS10device_ptrIiEEPS6_SD_NS0_5tupleIJSC_S6_EEENSE_IJSD_SD_EEES6_PlJ7is_evenIiEEEE10hipError_tPvRmT3_T4_T5_T6_T7_T9_mT8_P12ihipStream_tbDpT10_ENKUlT_T0_E_clISt17integral_constantIbLb0EES12_IbLb1EEEEDaSY_SZ_EUlSY_E_NS1_11comp_targetILNS1_3genE3ELNS1_11target_archE908ELNS1_3gpuE7ELNS1_3repE0EEENS1_30default_config_static_selectorELNS0_4arch9wavefront6targetE0EEEvT1_,comdat
.Lfunc_end923:
	.size	_ZN7rocprim17ROCPRIM_400000_NS6detail17trampoline_kernelINS0_14default_configENS1_25partition_config_selectorILNS1_17partition_subalgoE6EiNS0_10empty_typeEbEEZZNS1_14partition_implILS5_6ELb0ES3_mN6thrust23THRUST_200600_302600_NS10device_ptrIiEEPS6_SD_NS0_5tupleIJSC_S6_EEENSE_IJSD_SD_EEES6_PlJ7is_evenIiEEEE10hipError_tPvRmT3_T4_T5_T6_T7_T9_mT8_P12ihipStream_tbDpT10_ENKUlT_T0_E_clISt17integral_constantIbLb0EES12_IbLb1EEEEDaSY_SZ_EUlSY_E_NS1_11comp_targetILNS1_3genE3ELNS1_11target_archE908ELNS1_3gpuE7ELNS1_3repE0EEENS1_30default_config_static_selectorELNS0_4arch9wavefront6targetE0EEEvT1_, .Lfunc_end923-_ZN7rocprim17ROCPRIM_400000_NS6detail17trampoline_kernelINS0_14default_configENS1_25partition_config_selectorILNS1_17partition_subalgoE6EiNS0_10empty_typeEbEEZZNS1_14partition_implILS5_6ELb0ES3_mN6thrust23THRUST_200600_302600_NS10device_ptrIiEEPS6_SD_NS0_5tupleIJSC_S6_EEENSE_IJSD_SD_EEES6_PlJ7is_evenIiEEEE10hipError_tPvRmT3_T4_T5_T6_T7_T9_mT8_P12ihipStream_tbDpT10_ENKUlT_T0_E_clISt17integral_constantIbLb0EES12_IbLb1EEEEDaSY_SZ_EUlSY_E_NS1_11comp_targetILNS1_3genE3ELNS1_11target_archE908ELNS1_3gpuE7ELNS1_3repE0EEENS1_30default_config_static_selectorELNS0_4arch9wavefront6targetE0EEEvT1_
                                        ; -- End function
	.section	.AMDGPU.csdata,"",@progbits
; Kernel info:
; codeLenInByte = 0
; NumSgprs: 0
; NumVgprs: 0
; ScratchSize: 0
; MemoryBound: 0
; FloatMode: 240
; IeeeMode: 1
; LDSByteSize: 0 bytes/workgroup (compile time only)
; SGPRBlocks: 0
; VGPRBlocks: 0
; NumSGPRsForWavesPerEU: 1
; NumVGPRsForWavesPerEU: 1
; Occupancy: 16
; WaveLimiterHint : 0
; COMPUTE_PGM_RSRC2:SCRATCH_EN: 0
; COMPUTE_PGM_RSRC2:USER_SGPR: 15
; COMPUTE_PGM_RSRC2:TRAP_HANDLER: 0
; COMPUTE_PGM_RSRC2:TGID_X_EN: 1
; COMPUTE_PGM_RSRC2:TGID_Y_EN: 0
; COMPUTE_PGM_RSRC2:TGID_Z_EN: 0
; COMPUTE_PGM_RSRC2:TIDIG_COMP_CNT: 0
	.section	.text._ZN7rocprim17ROCPRIM_400000_NS6detail17trampoline_kernelINS0_14default_configENS1_25partition_config_selectorILNS1_17partition_subalgoE6EiNS0_10empty_typeEbEEZZNS1_14partition_implILS5_6ELb0ES3_mN6thrust23THRUST_200600_302600_NS10device_ptrIiEEPS6_SD_NS0_5tupleIJSC_S6_EEENSE_IJSD_SD_EEES6_PlJ7is_evenIiEEEE10hipError_tPvRmT3_T4_T5_T6_T7_T9_mT8_P12ihipStream_tbDpT10_ENKUlT_T0_E_clISt17integral_constantIbLb0EES12_IbLb1EEEEDaSY_SZ_EUlSY_E_NS1_11comp_targetILNS1_3genE2ELNS1_11target_archE906ELNS1_3gpuE6ELNS1_3repE0EEENS1_30default_config_static_selectorELNS0_4arch9wavefront6targetE0EEEvT1_,"axG",@progbits,_ZN7rocprim17ROCPRIM_400000_NS6detail17trampoline_kernelINS0_14default_configENS1_25partition_config_selectorILNS1_17partition_subalgoE6EiNS0_10empty_typeEbEEZZNS1_14partition_implILS5_6ELb0ES3_mN6thrust23THRUST_200600_302600_NS10device_ptrIiEEPS6_SD_NS0_5tupleIJSC_S6_EEENSE_IJSD_SD_EEES6_PlJ7is_evenIiEEEE10hipError_tPvRmT3_T4_T5_T6_T7_T9_mT8_P12ihipStream_tbDpT10_ENKUlT_T0_E_clISt17integral_constantIbLb0EES12_IbLb1EEEEDaSY_SZ_EUlSY_E_NS1_11comp_targetILNS1_3genE2ELNS1_11target_archE906ELNS1_3gpuE6ELNS1_3repE0EEENS1_30default_config_static_selectorELNS0_4arch9wavefront6targetE0EEEvT1_,comdat
	.protected	_ZN7rocprim17ROCPRIM_400000_NS6detail17trampoline_kernelINS0_14default_configENS1_25partition_config_selectorILNS1_17partition_subalgoE6EiNS0_10empty_typeEbEEZZNS1_14partition_implILS5_6ELb0ES3_mN6thrust23THRUST_200600_302600_NS10device_ptrIiEEPS6_SD_NS0_5tupleIJSC_S6_EEENSE_IJSD_SD_EEES6_PlJ7is_evenIiEEEE10hipError_tPvRmT3_T4_T5_T6_T7_T9_mT8_P12ihipStream_tbDpT10_ENKUlT_T0_E_clISt17integral_constantIbLb0EES12_IbLb1EEEEDaSY_SZ_EUlSY_E_NS1_11comp_targetILNS1_3genE2ELNS1_11target_archE906ELNS1_3gpuE6ELNS1_3repE0EEENS1_30default_config_static_selectorELNS0_4arch9wavefront6targetE0EEEvT1_ ; -- Begin function _ZN7rocprim17ROCPRIM_400000_NS6detail17trampoline_kernelINS0_14default_configENS1_25partition_config_selectorILNS1_17partition_subalgoE6EiNS0_10empty_typeEbEEZZNS1_14partition_implILS5_6ELb0ES3_mN6thrust23THRUST_200600_302600_NS10device_ptrIiEEPS6_SD_NS0_5tupleIJSC_S6_EEENSE_IJSD_SD_EEES6_PlJ7is_evenIiEEEE10hipError_tPvRmT3_T4_T5_T6_T7_T9_mT8_P12ihipStream_tbDpT10_ENKUlT_T0_E_clISt17integral_constantIbLb0EES12_IbLb1EEEEDaSY_SZ_EUlSY_E_NS1_11comp_targetILNS1_3genE2ELNS1_11target_archE906ELNS1_3gpuE6ELNS1_3repE0EEENS1_30default_config_static_selectorELNS0_4arch9wavefront6targetE0EEEvT1_
	.globl	_ZN7rocprim17ROCPRIM_400000_NS6detail17trampoline_kernelINS0_14default_configENS1_25partition_config_selectorILNS1_17partition_subalgoE6EiNS0_10empty_typeEbEEZZNS1_14partition_implILS5_6ELb0ES3_mN6thrust23THRUST_200600_302600_NS10device_ptrIiEEPS6_SD_NS0_5tupleIJSC_S6_EEENSE_IJSD_SD_EEES6_PlJ7is_evenIiEEEE10hipError_tPvRmT3_T4_T5_T6_T7_T9_mT8_P12ihipStream_tbDpT10_ENKUlT_T0_E_clISt17integral_constantIbLb0EES12_IbLb1EEEEDaSY_SZ_EUlSY_E_NS1_11comp_targetILNS1_3genE2ELNS1_11target_archE906ELNS1_3gpuE6ELNS1_3repE0EEENS1_30default_config_static_selectorELNS0_4arch9wavefront6targetE0EEEvT1_
	.p2align	8
	.type	_ZN7rocprim17ROCPRIM_400000_NS6detail17trampoline_kernelINS0_14default_configENS1_25partition_config_selectorILNS1_17partition_subalgoE6EiNS0_10empty_typeEbEEZZNS1_14partition_implILS5_6ELb0ES3_mN6thrust23THRUST_200600_302600_NS10device_ptrIiEEPS6_SD_NS0_5tupleIJSC_S6_EEENSE_IJSD_SD_EEES6_PlJ7is_evenIiEEEE10hipError_tPvRmT3_T4_T5_T6_T7_T9_mT8_P12ihipStream_tbDpT10_ENKUlT_T0_E_clISt17integral_constantIbLb0EES12_IbLb1EEEEDaSY_SZ_EUlSY_E_NS1_11comp_targetILNS1_3genE2ELNS1_11target_archE906ELNS1_3gpuE6ELNS1_3repE0EEENS1_30default_config_static_selectorELNS0_4arch9wavefront6targetE0EEEvT1_,@function
_ZN7rocprim17ROCPRIM_400000_NS6detail17trampoline_kernelINS0_14default_configENS1_25partition_config_selectorILNS1_17partition_subalgoE6EiNS0_10empty_typeEbEEZZNS1_14partition_implILS5_6ELb0ES3_mN6thrust23THRUST_200600_302600_NS10device_ptrIiEEPS6_SD_NS0_5tupleIJSC_S6_EEENSE_IJSD_SD_EEES6_PlJ7is_evenIiEEEE10hipError_tPvRmT3_T4_T5_T6_T7_T9_mT8_P12ihipStream_tbDpT10_ENKUlT_T0_E_clISt17integral_constantIbLb0EES12_IbLb1EEEEDaSY_SZ_EUlSY_E_NS1_11comp_targetILNS1_3genE2ELNS1_11target_archE906ELNS1_3gpuE6ELNS1_3repE0EEENS1_30default_config_static_selectorELNS0_4arch9wavefront6targetE0EEEvT1_: ; @_ZN7rocprim17ROCPRIM_400000_NS6detail17trampoline_kernelINS0_14default_configENS1_25partition_config_selectorILNS1_17partition_subalgoE6EiNS0_10empty_typeEbEEZZNS1_14partition_implILS5_6ELb0ES3_mN6thrust23THRUST_200600_302600_NS10device_ptrIiEEPS6_SD_NS0_5tupleIJSC_S6_EEENSE_IJSD_SD_EEES6_PlJ7is_evenIiEEEE10hipError_tPvRmT3_T4_T5_T6_T7_T9_mT8_P12ihipStream_tbDpT10_ENKUlT_T0_E_clISt17integral_constantIbLb0EES12_IbLb1EEEEDaSY_SZ_EUlSY_E_NS1_11comp_targetILNS1_3genE2ELNS1_11target_archE906ELNS1_3gpuE6ELNS1_3repE0EEENS1_30default_config_static_selectorELNS0_4arch9wavefront6targetE0EEEvT1_
; %bb.0:
	.section	.rodata,"a",@progbits
	.p2align	6, 0x0
	.amdhsa_kernel _ZN7rocprim17ROCPRIM_400000_NS6detail17trampoline_kernelINS0_14default_configENS1_25partition_config_selectorILNS1_17partition_subalgoE6EiNS0_10empty_typeEbEEZZNS1_14partition_implILS5_6ELb0ES3_mN6thrust23THRUST_200600_302600_NS10device_ptrIiEEPS6_SD_NS0_5tupleIJSC_S6_EEENSE_IJSD_SD_EEES6_PlJ7is_evenIiEEEE10hipError_tPvRmT3_T4_T5_T6_T7_T9_mT8_P12ihipStream_tbDpT10_ENKUlT_T0_E_clISt17integral_constantIbLb0EES12_IbLb1EEEEDaSY_SZ_EUlSY_E_NS1_11comp_targetILNS1_3genE2ELNS1_11target_archE906ELNS1_3gpuE6ELNS1_3repE0EEENS1_30default_config_static_selectorELNS0_4arch9wavefront6targetE0EEEvT1_
		.amdhsa_group_segment_fixed_size 0
		.amdhsa_private_segment_fixed_size 0
		.amdhsa_kernarg_size 128
		.amdhsa_user_sgpr_count 15
		.amdhsa_user_sgpr_dispatch_ptr 0
		.amdhsa_user_sgpr_queue_ptr 0
		.amdhsa_user_sgpr_kernarg_segment_ptr 1
		.amdhsa_user_sgpr_dispatch_id 0
		.amdhsa_user_sgpr_private_segment_size 0
		.amdhsa_wavefront_size32 1
		.amdhsa_uses_dynamic_stack 0
		.amdhsa_enable_private_segment 0
		.amdhsa_system_sgpr_workgroup_id_x 1
		.amdhsa_system_sgpr_workgroup_id_y 0
		.amdhsa_system_sgpr_workgroup_id_z 0
		.amdhsa_system_sgpr_workgroup_info 0
		.amdhsa_system_vgpr_workitem_id 0
		.amdhsa_next_free_vgpr 1
		.amdhsa_next_free_sgpr 1
		.amdhsa_reserve_vcc 0
		.amdhsa_float_round_mode_32 0
		.amdhsa_float_round_mode_16_64 0
		.amdhsa_float_denorm_mode_32 3
		.amdhsa_float_denorm_mode_16_64 3
		.amdhsa_dx10_clamp 1
		.amdhsa_ieee_mode 1
		.amdhsa_fp16_overflow 0
		.amdhsa_workgroup_processor_mode 1
		.amdhsa_memory_ordered 1
		.amdhsa_forward_progress 0
		.amdhsa_shared_vgpr_count 0
		.amdhsa_exception_fp_ieee_invalid_op 0
		.amdhsa_exception_fp_denorm_src 0
		.amdhsa_exception_fp_ieee_div_zero 0
		.amdhsa_exception_fp_ieee_overflow 0
		.amdhsa_exception_fp_ieee_underflow 0
		.amdhsa_exception_fp_ieee_inexact 0
		.amdhsa_exception_int_div_zero 0
	.end_amdhsa_kernel
	.section	.text._ZN7rocprim17ROCPRIM_400000_NS6detail17trampoline_kernelINS0_14default_configENS1_25partition_config_selectorILNS1_17partition_subalgoE6EiNS0_10empty_typeEbEEZZNS1_14partition_implILS5_6ELb0ES3_mN6thrust23THRUST_200600_302600_NS10device_ptrIiEEPS6_SD_NS0_5tupleIJSC_S6_EEENSE_IJSD_SD_EEES6_PlJ7is_evenIiEEEE10hipError_tPvRmT3_T4_T5_T6_T7_T9_mT8_P12ihipStream_tbDpT10_ENKUlT_T0_E_clISt17integral_constantIbLb0EES12_IbLb1EEEEDaSY_SZ_EUlSY_E_NS1_11comp_targetILNS1_3genE2ELNS1_11target_archE906ELNS1_3gpuE6ELNS1_3repE0EEENS1_30default_config_static_selectorELNS0_4arch9wavefront6targetE0EEEvT1_,"axG",@progbits,_ZN7rocprim17ROCPRIM_400000_NS6detail17trampoline_kernelINS0_14default_configENS1_25partition_config_selectorILNS1_17partition_subalgoE6EiNS0_10empty_typeEbEEZZNS1_14partition_implILS5_6ELb0ES3_mN6thrust23THRUST_200600_302600_NS10device_ptrIiEEPS6_SD_NS0_5tupleIJSC_S6_EEENSE_IJSD_SD_EEES6_PlJ7is_evenIiEEEE10hipError_tPvRmT3_T4_T5_T6_T7_T9_mT8_P12ihipStream_tbDpT10_ENKUlT_T0_E_clISt17integral_constantIbLb0EES12_IbLb1EEEEDaSY_SZ_EUlSY_E_NS1_11comp_targetILNS1_3genE2ELNS1_11target_archE906ELNS1_3gpuE6ELNS1_3repE0EEENS1_30default_config_static_selectorELNS0_4arch9wavefront6targetE0EEEvT1_,comdat
.Lfunc_end924:
	.size	_ZN7rocprim17ROCPRIM_400000_NS6detail17trampoline_kernelINS0_14default_configENS1_25partition_config_selectorILNS1_17partition_subalgoE6EiNS0_10empty_typeEbEEZZNS1_14partition_implILS5_6ELb0ES3_mN6thrust23THRUST_200600_302600_NS10device_ptrIiEEPS6_SD_NS0_5tupleIJSC_S6_EEENSE_IJSD_SD_EEES6_PlJ7is_evenIiEEEE10hipError_tPvRmT3_T4_T5_T6_T7_T9_mT8_P12ihipStream_tbDpT10_ENKUlT_T0_E_clISt17integral_constantIbLb0EES12_IbLb1EEEEDaSY_SZ_EUlSY_E_NS1_11comp_targetILNS1_3genE2ELNS1_11target_archE906ELNS1_3gpuE6ELNS1_3repE0EEENS1_30default_config_static_selectorELNS0_4arch9wavefront6targetE0EEEvT1_, .Lfunc_end924-_ZN7rocprim17ROCPRIM_400000_NS6detail17trampoline_kernelINS0_14default_configENS1_25partition_config_selectorILNS1_17partition_subalgoE6EiNS0_10empty_typeEbEEZZNS1_14partition_implILS5_6ELb0ES3_mN6thrust23THRUST_200600_302600_NS10device_ptrIiEEPS6_SD_NS0_5tupleIJSC_S6_EEENSE_IJSD_SD_EEES6_PlJ7is_evenIiEEEE10hipError_tPvRmT3_T4_T5_T6_T7_T9_mT8_P12ihipStream_tbDpT10_ENKUlT_T0_E_clISt17integral_constantIbLb0EES12_IbLb1EEEEDaSY_SZ_EUlSY_E_NS1_11comp_targetILNS1_3genE2ELNS1_11target_archE906ELNS1_3gpuE6ELNS1_3repE0EEENS1_30default_config_static_selectorELNS0_4arch9wavefront6targetE0EEEvT1_
                                        ; -- End function
	.section	.AMDGPU.csdata,"",@progbits
; Kernel info:
; codeLenInByte = 0
; NumSgprs: 0
; NumVgprs: 0
; ScratchSize: 0
; MemoryBound: 0
; FloatMode: 240
; IeeeMode: 1
; LDSByteSize: 0 bytes/workgroup (compile time only)
; SGPRBlocks: 0
; VGPRBlocks: 0
; NumSGPRsForWavesPerEU: 1
; NumVGPRsForWavesPerEU: 1
; Occupancy: 15
; WaveLimiterHint : 0
; COMPUTE_PGM_RSRC2:SCRATCH_EN: 0
; COMPUTE_PGM_RSRC2:USER_SGPR: 15
; COMPUTE_PGM_RSRC2:TRAP_HANDLER: 0
; COMPUTE_PGM_RSRC2:TGID_X_EN: 1
; COMPUTE_PGM_RSRC2:TGID_Y_EN: 0
; COMPUTE_PGM_RSRC2:TGID_Z_EN: 0
; COMPUTE_PGM_RSRC2:TIDIG_COMP_CNT: 0
	.section	.text._ZN7rocprim17ROCPRIM_400000_NS6detail17trampoline_kernelINS0_14default_configENS1_25partition_config_selectorILNS1_17partition_subalgoE6EiNS0_10empty_typeEbEEZZNS1_14partition_implILS5_6ELb0ES3_mN6thrust23THRUST_200600_302600_NS10device_ptrIiEEPS6_SD_NS0_5tupleIJSC_S6_EEENSE_IJSD_SD_EEES6_PlJ7is_evenIiEEEE10hipError_tPvRmT3_T4_T5_T6_T7_T9_mT8_P12ihipStream_tbDpT10_ENKUlT_T0_E_clISt17integral_constantIbLb0EES12_IbLb1EEEEDaSY_SZ_EUlSY_E_NS1_11comp_targetILNS1_3genE10ELNS1_11target_archE1200ELNS1_3gpuE4ELNS1_3repE0EEENS1_30default_config_static_selectorELNS0_4arch9wavefront6targetE0EEEvT1_,"axG",@progbits,_ZN7rocprim17ROCPRIM_400000_NS6detail17trampoline_kernelINS0_14default_configENS1_25partition_config_selectorILNS1_17partition_subalgoE6EiNS0_10empty_typeEbEEZZNS1_14partition_implILS5_6ELb0ES3_mN6thrust23THRUST_200600_302600_NS10device_ptrIiEEPS6_SD_NS0_5tupleIJSC_S6_EEENSE_IJSD_SD_EEES6_PlJ7is_evenIiEEEE10hipError_tPvRmT3_T4_T5_T6_T7_T9_mT8_P12ihipStream_tbDpT10_ENKUlT_T0_E_clISt17integral_constantIbLb0EES12_IbLb1EEEEDaSY_SZ_EUlSY_E_NS1_11comp_targetILNS1_3genE10ELNS1_11target_archE1200ELNS1_3gpuE4ELNS1_3repE0EEENS1_30default_config_static_selectorELNS0_4arch9wavefront6targetE0EEEvT1_,comdat
	.protected	_ZN7rocprim17ROCPRIM_400000_NS6detail17trampoline_kernelINS0_14default_configENS1_25partition_config_selectorILNS1_17partition_subalgoE6EiNS0_10empty_typeEbEEZZNS1_14partition_implILS5_6ELb0ES3_mN6thrust23THRUST_200600_302600_NS10device_ptrIiEEPS6_SD_NS0_5tupleIJSC_S6_EEENSE_IJSD_SD_EEES6_PlJ7is_evenIiEEEE10hipError_tPvRmT3_T4_T5_T6_T7_T9_mT8_P12ihipStream_tbDpT10_ENKUlT_T0_E_clISt17integral_constantIbLb0EES12_IbLb1EEEEDaSY_SZ_EUlSY_E_NS1_11comp_targetILNS1_3genE10ELNS1_11target_archE1200ELNS1_3gpuE4ELNS1_3repE0EEENS1_30default_config_static_selectorELNS0_4arch9wavefront6targetE0EEEvT1_ ; -- Begin function _ZN7rocprim17ROCPRIM_400000_NS6detail17trampoline_kernelINS0_14default_configENS1_25partition_config_selectorILNS1_17partition_subalgoE6EiNS0_10empty_typeEbEEZZNS1_14partition_implILS5_6ELb0ES3_mN6thrust23THRUST_200600_302600_NS10device_ptrIiEEPS6_SD_NS0_5tupleIJSC_S6_EEENSE_IJSD_SD_EEES6_PlJ7is_evenIiEEEE10hipError_tPvRmT3_T4_T5_T6_T7_T9_mT8_P12ihipStream_tbDpT10_ENKUlT_T0_E_clISt17integral_constantIbLb0EES12_IbLb1EEEEDaSY_SZ_EUlSY_E_NS1_11comp_targetILNS1_3genE10ELNS1_11target_archE1200ELNS1_3gpuE4ELNS1_3repE0EEENS1_30default_config_static_selectorELNS0_4arch9wavefront6targetE0EEEvT1_
	.globl	_ZN7rocprim17ROCPRIM_400000_NS6detail17trampoline_kernelINS0_14default_configENS1_25partition_config_selectorILNS1_17partition_subalgoE6EiNS0_10empty_typeEbEEZZNS1_14partition_implILS5_6ELb0ES3_mN6thrust23THRUST_200600_302600_NS10device_ptrIiEEPS6_SD_NS0_5tupleIJSC_S6_EEENSE_IJSD_SD_EEES6_PlJ7is_evenIiEEEE10hipError_tPvRmT3_T4_T5_T6_T7_T9_mT8_P12ihipStream_tbDpT10_ENKUlT_T0_E_clISt17integral_constantIbLb0EES12_IbLb1EEEEDaSY_SZ_EUlSY_E_NS1_11comp_targetILNS1_3genE10ELNS1_11target_archE1200ELNS1_3gpuE4ELNS1_3repE0EEENS1_30default_config_static_selectorELNS0_4arch9wavefront6targetE0EEEvT1_
	.p2align	8
	.type	_ZN7rocprim17ROCPRIM_400000_NS6detail17trampoline_kernelINS0_14default_configENS1_25partition_config_selectorILNS1_17partition_subalgoE6EiNS0_10empty_typeEbEEZZNS1_14partition_implILS5_6ELb0ES3_mN6thrust23THRUST_200600_302600_NS10device_ptrIiEEPS6_SD_NS0_5tupleIJSC_S6_EEENSE_IJSD_SD_EEES6_PlJ7is_evenIiEEEE10hipError_tPvRmT3_T4_T5_T6_T7_T9_mT8_P12ihipStream_tbDpT10_ENKUlT_T0_E_clISt17integral_constantIbLb0EES12_IbLb1EEEEDaSY_SZ_EUlSY_E_NS1_11comp_targetILNS1_3genE10ELNS1_11target_archE1200ELNS1_3gpuE4ELNS1_3repE0EEENS1_30default_config_static_selectorELNS0_4arch9wavefront6targetE0EEEvT1_,@function
_ZN7rocprim17ROCPRIM_400000_NS6detail17trampoline_kernelINS0_14default_configENS1_25partition_config_selectorILNS1_17partition_subalgoE6EiNS0_10empty_typeEbEEZZNS1_14partition_implILS5_6ELb0ES3_mN6thrust23THRUST_200600_302600_NS10device_ptrIiEEPS6_SD_NS0_5tupleIJSC_S6_EEENSE_IJSD_SD_EEES6_PlJ7is_evenIiEEEE10hipError_tPvRmT3_T4_T5_T6_T7_T9_mT8_P12ihipStream_tbDpT10_ENKUlT_T0_E_clISt17integral_constantIbLb0EES12_IbLb1EEEEDaSY_SZ_EUlSY_E_NS1_11comp_targetILNS1_3genE10ELNS1_11target_archE1200ELNS1_3gpuE4ELNS1_3repE0EEENS1_30default_config_static_selectorELNS0_4arch9wavefront6targetE0EEEvT1_: ; @_ZN7rocprim17ROCPRIM_400000_NS6detail17trampoline_kernelINS0_14default_configENS1_25partition_config_selectorILNS1_17partition_subalgoE6EiNS0_10empty_typeEbEEZZNS1_14partition_implILS5_6ELb0ES3_mN6thrust23THRUST_200600_302600_NS10device_ptrIiEEPS6_SD_NS0_5tupleIJSC_S6_EEENSE_IJSD_SD_EEES6_PlJ7is_evenIiEEEE10hipError_tPvRmT3_T4_T5_T6_T7_T9_mT8_P12ihipStream_tbDpT10_ENKUlT_T0_E_clISt17integral_constantIbLb0EES12_IbLb1EEEEDaSY_SZ_EUlSY_E_NS1_11comp_targetILNS1_3genE10ELNS1_11target_archE1200ELNS1_3gpuE4ELNS1_3repE0EEENS1_30default_config_static_selectorELNS0_4arch9wavefront6targetE0EEEvT1_
; %bb.0:
	.section	.rodata,"a",@progbits
	.p2align	6, 0x0
	.amdhsa_kernel _ZN7rocprim17ROCPRIM_400000_NS6detail17trampoline_kernelINS0_14default_configENS1_25partition_config_selectorILNS1_17partition_subalgoE6EiNS0_10empty_typeEbEEZZNS1_14partition_implILS5_6ELb0ES3_mN6thrust23THRUST_200600_302600_NS10device_ptrIiEEPS6_SD_NS0_5tupleIJSC_S6_EEENSE_IJSD_SD_EEES6_PlJ7is_evenIiEEEE10hipError_tPvRmT3_T4_T5_T6_T7_T9_mT8_P12ihipStream_tbDpT10_ENKUlT_T0_E_clISt17integral_constantIbLb0EES12_IbLb1EEEEDaSY_SZ_EUlSY_E_NS1_11comp_targetILNS1_3genE10ELNS1_11target_archE1200ELNS1_3gpuE4ELNS1_3repE0EEENS1_30default_config_static_selectorELNS0_4arch9wavefront6targetE0EEEvT1_
		.amdhsa_group_segment_fixed_size 0
		.amdhsa_private_segment_fixed_size 0
		.amdhsa_kernarg_size 128
		.amdhsa_user_sgpr_count 15
		.amdhsa_user_sgpr_dispatch_ptr 0
		.amdhsa_user_sgpr_queue_ptr 0
		.amdhsa_user_sgpr_kernarg_segment_ptr 1
		.amdhsa_user_sgpr_dispatch_id 0
		.amdhsa_user_sgpr_private_segment_size 0
		.amdhsa_wavefront_size32 1
		.amdhsa_uses_dynamic_stack 0
		.amdhsa_enable_private_segment 0
		.amdhsa_system_sgpr_workgroup_id_x 1
		.amdhsa_system_sgpr_workgroup_id_y 0
		.amdhsa_system_sgpr_workgroup_id_z 0
		.amdhsa_system_sgpr_workgroup_info 0
		.amdhsa_system_vgpr_workitem_id 0
		.amdhsa_next_free_vgpr 1
		.amdhsa_next_free_sgpr 1
		.amdhsa_reserve_vcc 0
		.amdhsa_float_round_mode_32 0
		.amdhsa_float_round_mode_16_64 0
		.amdhsa_float_denorm_mode_32 3
		.amdhsa_float_denorm_mode_16_64 3
		.amdhsa_dx10_clamp 1
		.amdhsa_ieee_mode 1
		.amdhsa_fp16_overflow 0
		.amdhsa_workgroup_processor_mode 1
		.amdhsa_memory_ordered 1
		.amdhsa_forward_progress 0
		.amdhsa_shared_vgpr_count 0
		.amdhsa_exception_fp_ieee_invalid_op 0
		.amdhsa_exception_fp_denorm_src 0
		.amdhsa_exception_fp_ieee_div_zero 0
		.amdhsa_exception_fp_ieee_overflow 0
		.amdhsa_exception_fp_ieee_underflow 0
		.amdhsa_exception_fp_ieee_inexact 0
		.amdhsa_exception_int_div_zero 0
	.end_amdhsa_kernel
	.section	.text._ZN7rocprim17ROCPRIM_400000_NS6detail17trampoline_kernelINS0_14default_configENS1_25partition_config_selectorILNS1_17partition_subalgoE6EiNS0_10empty_typeEbEEZZNS1_14partition_implILS5_6ELb0ES3_mN6thrust23THRUST_200600_302600_NS10device_ptrIiEEPS6_SD_NS0_5tupleIJSC_S6_EEENSE_IJSD_SD_EEES6_PlJ7is_evenIiEEEE10hipError_tPvRmT3_T4_T5_T6_T7_T9_mT8_P12ihipStream_tbDpT10_ENKUlT_T0_E_clISt17integral_constantIbLb0EES12_IbLb1EEEEDaSY_SZ_EUlSY_E_NS1_11comp_targetILNS1_3genE10ELNS1_11target_archE1200ELNS1_3gpuE4ELNS1_3repE0EEENS1_30default_config_static_selectorELNS0_4arch9wavefront6targetE0EEEvT1_,"axG",@progbits,_ZN7rocprim17ROCPRIM_400000_NS6detail17trampoline_kernelINS0_14default_configENS1_25partition_config_selectorILNS1_17partition_subalgoE6EiNS0_10empty_typeEbEEZZNS1_14partition_implILS5_6ELb0ES3_mN6thrust23THRUST_200600_302600_NS10device_ptrIiEEPS6_SD_NS0_5tupleIJSC_S6_EEENSE_IJSD_SD_EEES6_PlJ7is_evenIiEEEE10hipError_tPvRmT3_T4_T5_T6_T7_T9_mT8_P12ihipStream_tbDpT10_ENKUlT_T0_E_clISt17integral_constantIbLb0EES12_IbLb1EEEEDaSY_SZ_EUlSY_E_NS1_11comp_targetILNS1_3genE10ELNS1_11target_archE1200ELNS1_3gpuE4ELNS1_3repE0EEENS1_30default_config_static_selectorELNS0_4arch9wavefront6targetE0EEEvT1_,comdat
.Lfunc_end925:
	.size	_ZN7rocprim17ROCPRIM_400000_NS6detail17trampoline_kernelINS0_14default_configENS1_25partition_config_selectorILNS1_17partition_subalgoE6EiNS0_10empty_typeEbEEZZNS1_14partition_implILS5_6ELb0ES3_mN6thrust23THRUST_200600_302600_NS10device_ptrIiEEPS6_SD_NS0_5tupleIJSC_S6_EEENSE_IJSD_SD_EEES6_PlJ7is_evenIiEEEE10hipError_tPvRmT3_T4_T5_T6_T7_T9_mT8_P12ihipStream_tbDpT10_ENKUlT_T0_E_clISt17integral_constantIbLb0EES12_IbLb1EEEEDaSY_SZ_EUlSY_E_NS1_11comp_targetILNS1_3genE10ELNS1_11target_archE1200ELNS1_3gpuE4ELNS1_3repE0EEENS1_30default_config_static_selectorELNS0_4arch9wavefront6targetE0EEEvT1_, .Lfunc_end925-_ZN7rocprim17ROCPRIM_400000_NS6detail17trampoline_kernelINS0_14default_configENS1_25partition_config_selectorILNS1_17partition_subalgoE6EiNS0_10empty_typeEbEEZZNS1_14partition_implILS5_6ELb0ES3_mN6thrust23THRUST_200600_302600_NS10device_ptrIiEEPS6_SD_NS0_5tupleIJSC_S6_EEENSE_IJSD_SD_EEES6_PlJ7is_evenIiEEEE10hipError_tPvRmT3_T4_T5_T6_T7_T9_mT8_P12ihipStream_tbDpT10_ENKUlT_T0_E_clISt17integral_constantIbLb0EES12_IbLb1EEEEDaSY_SZ_EUlSY_E_NS1_11comp_targetILNS1_3genE10ELNS1_11target_archE1200ELNS1_3gpuE4ELNS1_3repE0EEENS1_30default_config_static_selectorELNS0_4arch9wavefront6targetE0EEEvT1_
                                        ; -- End function
	.section	.AMDGPU.csdata,"",@progbits
; Kernel info:
; codeLenInByte = 0
; NumSgprs: 0
; NumVgprs: 0
; ScratchSize: 0
; MemoryBound: 0
; FloatMode: 240
; IeeeMode: 1
; LDSByteSize: 0 bytes/workgroup (compile time only)
; SGPRBlocks: 0
; VGPRBlocks: 0
; NumSGPRsForWavesPerEU: 1
; NumVGPRsForWavesPerEU: 1
; Occupancy: 15
; WaveLimiterHint : 0
; COMPUTE_PGM_RSRC2:SCRATCH_EN: 0
; COMPUTE_PGM_RSRC2:USER_SGPR: 15
; COMPUTE_PGM_RSRC2:TRAP_HANDLER: 0
; COMPUTE_PGM_RSRC2:TGID_X_EN: 1
; COMPUTE_PGM_RSRC2:TGID_Y_EN: 0
; COMPUTE_PGM_RSRC2:TGID_Z_EN: 0
; COMPUTE_PGM_RSRC2:TIDIG_COMP_CNT: 0
	.section	.text._ZN7rocprim17ROCPRIM_400000_NS6detail17trampoline_kernelINS0_14default_configENS1_25partition_config_selectorILNS1_17partition_subalgoE6EiNS0_10empty_typeEbEEZZNS1_14partition_implILS5_6ELb0ES3_mN6thrust23THRUST_200600_302600_NS10device_ptrIiEEPS6_SD_NS0_5tupleIJSC_S6_EEENSE_IJSD_SD_EEES6_PlJ7is_evenIiEEEE10hipError_tPvRmT3_T4_T5_T6_T7_T9_mT8_P12ihipStream_tbDpT10_ENKUlT_T0_E_clISt17integral_constantIbLb0EES12_IbLb1EEEEDaSY_SZ_EUlSY_E_NS1_11comp_targetILNS1_3genE9ELNS1_11target_archE1100ELNS1_3gpuE3ELNS1_3repE0EEENS1_30default_config_static_selectorELNS0_4arch9wavefront6targetE0EEEvT1_,"axG",@progbits,_ZN7rocprim17ROCPRIM_400000_NS6detail17trampoline_kernelINS0_14default_configENS1_25partition_config_selectorILNS1_17partition_subalgoE6EiNS0_10empty_typeEbEEZZNS1_14partition_implILS5_6ELb0ES3_mN6thrust23THRUST_200600_302600_NS10device_ptrIiEEPS6_SD_NS0_5tupleIJSC_S6_EEENSE_IJSD_SD_EEES6_PlJ7is_evenIiEEEE10hipError_tPvRmT3_T4_T5_T6_T7_T9_mT8_P12ihipStream_tbDpT10_ENKUlT_T0_E_clISt17integral_constantIbLb0EES12_IbLb1EEEEDaSY_SZ_EUlSY_E_NS1_11comp_targetILNS1_3genE9ELNS1_11target_archE1100ELNS1_3gpuE3ELNS1_3repE0EEENS1_30default_config_static_selectorELNS0_4arch9wavefront6targetE0EEEvT1_,comdat
	.protected	_ZN7rocprim17ROCPRIM_400000_NS6detail17trampoline_kernelINS0_14default_configENS1_25partition_config_selectorILNS1_17partition_subalgoE6EiNS0_10empty_typeEbEEZZNS1_14partition_implILS5_6ELb0ES3_mN6thrust23THRUST_200600_302600_NS10device_ptrIiEEPS6_SD_NS0_5tupleIJSC_S6_EEENSE_IJSD_SD_EEES6_PlJ7is_evenIiEEEE10hipError_tPvRmT3_T4_T5_T6_T7_T9_mT8_P12ihipStream_tbDpT10_ENKUlT_T0_E_clISt17integral_constantIbLb0EES12_IbLb1EEEEDaSY_SZ_EUlSY_E_NS1_11comp_targetILNS1_3genE9ELNS1_11target_archE1100ELNS1_3gpuE3ELNS1_3repE0EEENS1_30default_config_static_selectorELNS0_4arch9wavefront6targetE0EEEvT1_ ; -- Begin function _ZN7rocprim17ROCPRIM_400000_NS6detail17trampoline_kernelINS0_14default_configENS1_25partition_config_selectorILNS1_17partition_subalgoE6EiNS0_10empty_typeEbEEZZNS1_14partition_implILS5_6ELb0ES3_mN6thrust23THRUST_200600_302600_NS10device_ptrIiEEPS6_SD_NS0_5tupleIJSC_S6_EEENSE_IJSD_SD_EEES6_PlJ7is_evenIiEEEE10hipError_tPvRmT3_T4_T5_T6_T7_T9_mT8_P12ihipStream_tbDpT10_ENKUlT_T0_E_clISt17integral_constantIbLb0EES12_IbLb1EEEEDaSY_SZ_EUlSY_E_NS1_11comp_targetILNS1_3genE9ELNS1_11target_archE1100ELNS1_3gpuE3ELNS1_3repE0EEENS1_30default_config_static_selectorELNS0_4arch9wavefront6targetE0EEEvT1_
	.globl	_ZN7rocprim17ROCPRIM_400000_NS6detail17trampoline_kernelINS0_14default_configENS1_25partition_config_selectorILNS1_17partition_subalgoE6EiNS0_10empty_typeEbEEZZNS1_14partition_implILS5_6ELb0ES3_mN6thrust23THRUST_200600_302600_NS10device_ptrIiEEPS6_SD_NS0_5tupleIJSC_S6_EEENSE_IJSD_SD_EEES6_PlJ7is_evenIiEEEE10hipError_tPvRmT3_T4_T5_T6_T7_T9_mT8_P12ihipStream_tbDpT10_ENKUlT_T0_E_clISt17integral_constantIbLb0EES12_IbLb1EEEEDaSY_SZ_EUlSY_E_NS1_11comp_targetILNS1_3genE9ELNS1_11target_archE1100ELNS1_3gpuE3ELNS1_3repE0EEENS1_30default_config_static_selectorELNS0_4arch9wavefront6targetE0EEEvT1_
	.p2align	8
	.type	_ZN7rocprim17ROCPRIM_400000_NS6detail17trampoline_kernelINS0_14default_configENS1_25partition_config_selectorILNS1_17partition_subalgoE6EiNS0_10empty_typeEbEEZZNS1_14partition_implILS5_6ELb0ES3_mN6thrust23THRUST_200600_302600_NS10device_ptrIiEEPS6_SD_NS0_5tupleIJSC_S6_EEENSE_IJSD_SD_EEES6_PlJ7is_evenIiEEEE10hipError_tPvRmT3_T4_T5_T6_T7_T9_mT8_P12ihipStream_tbDpT10_ENKUlT_T0_E_clISt17integral_constantIbLb0EES12_IbLb1EEEEDaSY_SZ_EUlSY_E_NS1_11comp_targetILNS1_3genE9ELNS1_11target_archE1100ELNS1_3gpuE3ELNS1_3repE0EEENS1_30default_config_static_selectorELNS0_4arch9wavefront6targetE0EEEvT1_,@function
_ZN7rocprim17ROCPRIM_400000_NS6detail17trampoline_kernelINS0_14default_configENS1_25partition_config_selectorILNS1_17partition_subalgoE6EiNS0_10empty_typeEbEEZZNS1_14partition_implILS5_6ELb0ES3_mN6thrust23THRUST_200600_302600_NS10device_ptrIiEEPS6_SD_NS0_5tupleIJSC_S6_EEENSE_IJSD_SD_EEES6_PlJ7is_evenIiEEEE10hipError_tPvRmT3_T4_T5_T6_T7_T9_mT8_P12ihipStream_tbDpT10_ENKUlT_T0_E_clISt17integral_constantIbLb0EES12_IbLb1EEEEDaSY_SZ_EUlSY_E_NS1_11comp_targetILNS1_3genE9ELNS1_11target_archE1100ELNS1_3gpuE3ELNS1_3repE0EEENS1_30default_config_static_selectorELNS0_4arch9wavefront6targetE0EEEvT1_: ; @_ZN7rocprim17ROCPRIM_400000_NS6detail17trampoline_kernelINS0_14default_configENS1_25partition_config_selectorILNS1_17partition_subalgoE6EiNS0_10empty_typeEbEEZZNS1_14partition_implILS5_6ELb0ES3_mN6thrust23THRUST_200600_302600_NS10device_ptrIiEEPS6_SD_NS0_5tupleIJSC_S6_EEENSE_IJSD_SD_EEES6_PlJ7is_evenIiEEEE10hipError_tPvRmT3_T4_T5_T6_T7_T9_mT8_P12ihipStream_tbDpT10_ENKUlT_T0_E_clISt17integral_constantIbLb0EES12_IbLb1EEEEDaSY_SZ_EUlSY_E_NS1_11comp_targetILNS1_3genE9ELNS1_11target_archE1100ELNS1_3gpuE3ELNS1_3repE0EEENS1_30default_config_static_selectorELNS0_4arch9wavefront6targetE0EEEvT1_
; %bb.0:
	s_clause 0x3
	s_load_b64 s[12:13], s[0:1], 0x28
	s_load_b128 s[4:7], s[0:1], 0x40
	s_load_b64 s[16:17], s[0:1], 0x50
	s_load_b64 s[14:15], s[0:1], 0x60
	v_cmp_eq_u32_e64 s2, 0, v0
	s_delay_alu instid0(VALU_DEP_1)
	s_and_saveexec_b32 s3, s2
	s_cbranch_execz .LBB926_4
; %bb.1:
	s_mov_b32 s9, exec_lo
	s_mov_b32 s8, exec_lo
	v_mbcnt_lo_u32_b32 v1, s9, 0
                                        ; implicit-def: $vgpr2
	s_delay_alu instid0(VALU_DEP_1)
	v_cmpx_eq_u32_e32 0, v1
	s_cbranch_execz .LBB926_3
; %bb.2:
	s_load_b64 s[10:11], s[0:1], 0x70
	s_bcnt1_i32_b32 s9, s9
	s_delay_alu instid0(SALU_CYCLE_1)
	v_dual_mov_b32 v2, 0 :: v_dual_mov_b32 v3, s9
	s_waitcnt lgkmcnt(0)
	global_atomic_add_u32 v2, v2, v3, s[10:11] glc
.LBB926_3:
	s_or_b32 exec_lo, exec_lo, s8
	s_waitcnt vmcnt(0)
	v_readfirstlane_b32 s8, v2
	s_delay_alu instid0(VALU_DEP_1)
	v_dual_mov_b32 v2, 0 :: v_dual_add_nc_u32 v1, s8, v1
	ds_store_b32 v2, v1
.LBB926_4:
	s_or_b32 exec_lo, exec_lo, s3
	v_dual_mov_b32 v2, 0 :: v_dual_lshlrev_b32 v17, 2, v0
	s_clause 0x1
	s_load_b128 s[8:11], s[0:1], 0x8
	s_load_b32 s0, s[0:1], 0x68
	s_waitcnt lgkmcnt(0)
	s_barrier
	buffer_gl0_inv
	ds_load_b32 v1, v2
	s_waitcnt lgkmcnt(0)
	s_barrier
	buffer_gl0_inv
	global_load_b64 v[49:50], v2, s[6:7]
	s_lshl_b64 s[6:7], s[10:11], 2
	s_mul_i32 s3, s0, 0x700
	s_add_u32 s1, s8, s6
	s_addc_u32 s18, s9, s7
	s_add_i32 s6, s3, s10
	v_readfirstlane_b32 s7, v1
	v_mul_lo_u32 v1, 0x700, v1
	s_add_i32 s19, s0, -1
	s_sub_i32 s0, s16, s6
	s_add_u32 s8, s10, s3
	s_addc_u32 s9, s11, 0
	s_cmp_eq_u32 s7, s19
	v_cmp_ge_u64_e64 s6, s[8:9], s[16:17]
	s_cselect_b32 s3, -1, 0
	v_lshlrev_b64 v[1:2], 2, v[1:2]
	s_delay_alu instid0(VALU_DEP_2) | instskip(NEXT) | instid1(VALU_DEP_1)
	s_and_b32 s6, s6, s3
	v_add_co_u32 v18, vcc_lo, s1, v1
	s_delay_alu instid0(VALU_DEP_2)
	v_add_co_ci_u32_e32 v19, vcc_lo, s18, v2, vcc_lo
	s_xor_b32 s6, s6, -1
	s_mov_b32 s1, -1
	s_and_b32 vcc_lo, exec_lo, s6
	s_cbranch_vccz .LBB926_6
; %bb.5:
	v_add_co_u32 v1, vcc_lo, v18, v17
	v_add_co_ci_u32_e32 v2, vcc_lo, 0, v19, vcc_lo
	s_mov_b32 s1, 0
	s_delay_alu instid0(VALU_DEP_2) | instskip(NEXT) | instid1(VALU_DEP_2)
	v_add_co_u32 v3, vcc_lo, 0x1000, v1
	v_add_co_ci_u32_e32 v4, vcc_lo, 0, v2, vcc_lo
	s_clause 0xd
	flat_load_b32 v5, v[1:2]
	flat_load_b32 v6, v[1:2] offset:512
	flat_load_b32 v7, v[1:2] offset:1024
	;; [unrolled: 1-line block ×7, first 2 shown]
	flat_load_b32 v2, v[3:4]
	flat_load_b32 v12, v[3:4] offset:512
	flat_load_b32 v13, v[3:4] offset:1024
	;; [unrolled: 1-line block ×5, first 2 shown]
	s_waitcnt vmcnt(12) lgkmcnt(12)
	ds_store_2addr_stride64_b32 v17, v5, v6 offset1:2
	s_waitcnt vmcnt(10) lgkmcnt(11)
	ds_store_2addr_stride64_b32 v17, v7, v8 offset0:4 offset1:6
	s_waitcnt vmcnt(8) lgkmcnt(10)
	ds_store_2addr_stride64_b32 v17, v9, v10 offset0:8 offset1:10
	;; [unrolled: 2-line block ×6, first 2 shown]
	s_waitcnt lgkmcnt(0)
	s_barrier
.LBB926_6:
	s_and_not1_b32 vcc_lo, exec_lo, s1
	s_addk_i32 s0, 0x700
	s_cbranch_vccnz .LBB926_36
; %bb.7:
	s_mov_b32 s1, exec_lo
                                        ; implicit-def: $vgpr1_vgpr2_vgpr3_vgpr4_vgpr5_vgpr6_vgpr7_vgpr8_vgpr9_vgpr10_vgpr11_vgpr12_vgpr13_vgpr14_vgpr15_vgpr16
	v_cmpx_gt_u32_e64 s0, v0
	s_cbranch_execz .LBB926_9
; %bb.8:
	v_add_co_u32 v1, vcc_lo, v18, v17
	v_add_co_ci_u32_e32 v2, vcc_lo, 0, v19, vcc_lo
	flat_load_b32 v1, v[1:2]
.LBB926_9:
	s_or_b32 exec_lo, exec_lo, s1
	v_or_b32_e32 v15, 0x80, v0
	s_mov_b32 s1, exec_lo
	s_delay_alu instid0(VALU_DEP_1)
	v_cmpx_gt_u32_e64 s0, v15
	s_cbranch_execz .LBB926_11
; %bb.10:
	v_add_co_u32 v15, vcc_lo, v18, v17
	v_add_co_ci_u32_e32 v16, vcc_lo, 0, v19, vcc_lo
	flat_load_b32 v2, v[15:16] offset:512
.LBB926_11:
	s_or_b32 exec_lo, exec_lo, s1
	v_or_b32_e32 v15, 0x100, v0
	s_mov_b32 s1, exec_lo
	s_delay_alu instid0(VALU_DEP_1)
	v_cmpx_gt_u32_e64 s0, v15
	s_cbranch_execz .LBB926_13
; %bb.12:
	v_add_co_u32 v15, vcc_lo, v18, v17
	v_add_co_ci_u32_e32 v16, vcc_lo, 0, v19, vcc_lo
	flat_load_b32 v3, v[15:16] offset:1024
.LBB926_13:
	;; [unrolled: 11-line block ×7, first 2 shown]
	s_or_b32 exec_lo, exec_lo, s1
	v_or_b32_e32 v15, 0x400, v0
	s_mov_b32 s1, exec_lo
	s_delay_alu instid0(VALU_DEP_1)
	v_cmpx_gt_u32_e64 s0, v15
	s_cbranch_execz .LBB926_25
; %bb.24:
	v_lshlrev_b32_e32 v9, 2, v15
	s_delay_alu instid0(VALU_DEP_1)
	v_add_co_u32 v15, vcc_lo, v18, v9
	v_add_co_ci_u32_e32 v16, vcc_lo, 0, v19, vcc_lo
	flat_load_b32 v9, v[15:16]
.LBB926_25:
	s_or_b32 exec_lo, exec_lo, s1
	v_or_b32_e32 v15, 0x480, v0
	s_mov_b32 s1, exec_lo
	s_delay_alu instid0(VALU_DEP_1)
	v_cmpx_gt_u32_e64 s0, v15
	s_cbranch_execz .LBB926_27
; %bb.26:
	v_lshlrev_b32_e32 v10, 2, v15
	s_delay_alu instid0(VALU_DEP_1)
	v_add_co_u32 v15, vcc_lo, v18, v10
	v_add_co_ci_u32_e32 v16, vcc_lo, 0, v19, vcc_lo
	flat_load_b32 v10, v[15:16]
.LBB926_27:
	;; [unrolled: 13-line block ×6, first 2 shown]
	s_or_b32 exec_lo, exec_lo, s1
	s_waitcnt vmcnt(0) lgkmcnt(0)
	ds_store_2addr_stride64_b32 v17, v1, v2 offset1:2
	ds_store_2addr_stride64_b32 v17, v3, v4 offset0:4 offset1:6
	ds_store_2addr_stride64_b32 v17, v5, v6 offset0:8 offset1:10
	;; [unrolled: 1-line block ×6, first 2 shown]
	s_waitcnt lgkmcnt(0)
	s_barrier
.LBB926_36:
	v_mul_u32_u24_e32 v12, 14, v0
	s_waitcnt vmcnt(0)
	buffer_gl0_inv
	s_and_not1_b32 vcc_lo, exec_lo, s6
	v_lshlrev_b32_e32 v63, 2, v12
	ds_load_2addr_b64 v[41:44], v63 offset1:1
	ds_load_2addr_b64 v[37:40], v63 offset0:2 offset1:3
	ds_load_2addr_b64 v[33:36], v63 offset0:4 offset1:5
	ds_load_b64 v[51:52], v63 offset:48
	s_waitcnt lgkmcnt(0)
	s_barrier
	buffer_gl0_inv
	v_xor_b32_e32 v13, -1, v41
	v_xor_b32_e32 v14, -1, v42
	;; [unrolled: 1-line block ×14, first 2 shown]
	s_cbranch_vccnz .LBB926_38
; %bb.37:
	v_and_b32_e32 v16, 1, v14
	v_and_b32_e32 v17, 1, v13
	;; [unrolled: 1-line block ×5, first 2 shown]
	v_lshlrev_b16 v16, 8, v16
	v_and_b32_e32 v26, 1, v6
	v_and_b32_e32 v18, 1, v15
	;; [unrolled: 1-line block ×4, first 2 shown]
	v_or_b32_e32 v16, v17, v16
	v_and_b32_e32 v17, 1, v4
	v_and_b32_e32 v24, 1, v3
	;; [unrolled: 1-line block ×3, first 2 shown]
	v_lshlrev_b16 v19, 8, v19
	v_lshlrev_b16 v21, 8, v21
	;; [unrolled: 1-line block ×5, first 2 shown]
	v_or_b32_e32 v18, v18, v19
	v_or_b32_e32 v19, v20, v21
	;; [unrolled: 1-line block ×5, first 2 shown]
	v_and_b32_e32 v16, 0xffff, v16
	v_lshlrev_b32_e32 v18, 16, v18
	v_and_b32_e32 v19, 0xffff, v19
	v_lshlrev_b32_e32 v20, 16, v20
	;; [unrolled: 2-line block ×3, first 2 shown]
	v_and_b32_e32 v56, 1, v1
	v_and_b32_e32 v55, 1, v2
	v_or_b32_e32 v61, v16, v18
	v_or_b32_e32 v58, v19, v20
	v_or_b32_e32 v57, v17, v21
	s_cbranch_execz .LBB926_39
	s_branch .LBB926_40
.LBB926_38:
                                        ; implicit-def: $vgpr55
                                        ; implicit-def: $vgpr56
                                        ; implicit-def: $vgpr57
                                        ; implicit-def: $vgpr58
                                        ; implicit-def: $vgpr61
.LBB926_39:
	v_or_b32_e32 v16, 1, v12
	v_cmp_gt_u32_e32 vcc_lo, s0, v12
	v_add_nc_u32_e32 v17, 2, v12
	v_add_nc_u32_e32 v18, 3, v12
	;; [unrolled: 1-line block ×4, first 2 shown]
	v_cndmask_b32_e64 v27, 0, 1, vcc_lo
	v_cmp_gt_u32_e32 vcc_lo, s0, v16
	v_add_nc_u32_e32 v21, 6, v12
	v_add_nc_u32_e32 v22, 7, v12
	;; [unrolled: 1-line block ×4, first 2 shown]
	v_cndmask_b32_e64 v16, 0, 1, vcc_lo
	v_cmp_gt_u32_e32 vcc_lo, s0, v17
	v_add_nc_u32_e32 v25, 10, v12
	v_add_nc_u32_e32 v26, 11, v12
	v_add_nc_u32_e32 v28, 12, v12
	v_and_b32_e32 v14, v16, v14
	v_cndmask_b32_e64 v17, 0, 1, vcc_lo
	v_cmp_gt_u32_e32 vcc_lo, s0, v18
	v_add_nc_u32_e32 v12, 13, v12
	v_and_b32_e32 v13, v27, v13
	v_lshlrev_b16 v14, 8, v14
	v_and_b32_e32 v15, v17, v15
	v_cndmask_b32_e64 v16, 0, 1, vcc_lo
	v_cmp_gt_u32_e32 vcc_lo, s0, v19
	s_delay_alu instid0(VALU_DEP_4) | instskip(NEXT) | instid1(VALU_DEP_3)
	v_or_b32_e32 v13, v13, v14
	v_and_b32_e32 v7, v16, v7
	v_cndmask_b32_e64 v17, 0, 1, vcc_lo
	v_cmp_gt_u32_e32 vcc_lo, s0, v20
	s_delay_alu instid0(VALU_DEP_4) | instskip(NEXT) | instid1(VALU_DEP_4)
	v_and_b32_e32 v13, 0xffff, v13
	v_lshlrev_b16 v7, 8, v7
	s_delay_alu instid0(VALU_DEP_4) | instskip(SKIP_2) | instid1(VALU_DEP_4)
	v_and_b32_e32 v8, v17, v8
	v_cndmask_b32_e64 v18, 0, 1, vcc_lo
	v_cmp_gt_u32_e32 vcc_lo, s0, v21
	v_or_b32_e32 v7, v15, v7
	s_delay_alu instid0(VALU_DEP_3) | instskip(SKIP_2) | instid1(VALU_DEP_3)
	v_and_b32_e32 v9, v18, v9
	v_cndmask_b32_e64 v19, 0, 1, vcc_lo
	v_cmp_gt_u32_e32 vcc_lo, s0, v22
	v_lshlrev_b16 v9, 8, v9
	s_delay_alu instid0(VALU_DEP_3) | instskip(SKIP_2) | instid1(VALU_DEP_4)
	v_and_b32_e32 v10, v19, v10
	v_cndmask_b32_e64 v20, 0, 1, vcc_lo
	v_cmp_gt_u32_e32 vcc_lo, s0, v23
	v_or_b32_e32 v8, v8, v9
	s_delay_alu instid0(VALU_DEP_3) | instskip(SKIP_2) | instid1(VALU_DEP_3)
	v_and_b32_e32 v11, v20, v11
	v_cndmask_b32_e64 v16, 0, 1, vcc_lo
	v_cmp_gt_u32_e32 vcc_lo, s0, v24
	v_lshlrev_b16 v11, 8, v11
	s_delay_alu instid0(VALU_DEP_3) | instskip(SKIP_2) | instid1(VALU_DEP_4)
	;; [unrolled: 10-line block ×3, first 2 shown]
	v_and_b32_e32 v5, v18, v5
	v_cndmask_b32_e64 v19, 0, 1, vcc_lo
	v_cmp_gt_u32_e32 vcc_lo, s0, v28
	v_or_b32_e32 v3, v3, v4
	s_delay_alu instid0(VALU_DEP_3) | instskip(SKIP_2) | instid1(VALU_DEP_4)
	v_and_b32_e32 v6, v19, v6
	v_cndmask_b32_e64 v14, 0, 1, vcc_lo
	v_cmp_gt_u32_e32 vcc_lo, s0, v12
	v_and_b32_e32 v3, 0xffff, v3
	s_delay_alu instid0(VALU_DEP_4) | instskip(NEXT) | instid1(VALU_DEP_4)
	v_lshlrev_b16 v6, 8, v6
	v_and_b32_e32 v56, v14, v1
	v_cndmask_b32_e64 v12, 0, 1, vcc_lo
	s_delay_alu instid0(VALU_DEP_3)
	v_or_b32_e32 v4, v5, v6
	v_lshlrev_b32_e32 v5, 16, v7
	v_and_b32_e32 v6, 0xffff, v8
	v_lshlrev_b32_e32 v7, 16, v9
	v_and_b32_e32 v55, v12, v2
	v_lshlrev_b32_e32 v4, 16, v4
	v_or_b32_e32 v61, v13, v5
	s_delay_alu instid0(VALU_DEP_4) | instskip(NEXT) | instid1(VALU_DEP_3)
	v_or_b32_e32 v58, v6, v7
	v_or_b32_e32 v57, v3, v4
.LBB926_40:
	s_delay_alu instid0(VALU_DEP_3)
	v_dual_mov_b32 v2, 0 :: v_dual_and_b32 v65, 0xff, v61
	v_bfe_u32 v66, v61, 8, 8
	v_bfe_u32 v67, v61, 16, 8
	v_lshrrev_b32_e32 v62, 24, v61
	v_and_b32_e32 v68, 0xff, v58
	v_bfe_u32 v69, v58, 8, 8
	v_add_co_u32 v1, s0, v66, v65
	s_delay_alu instid0(VALU_DEP_1) | instskip(SKIP_1) | instid1(VALU_DEP_3)
	v_add_co_ci_u32_e64 v3, null, 0, 0, s0
	v_bfe_u32 v70, v58, 16, 8
	v_add_co_u32 v1, vcc_lo, v1, v67
	s_delay_alu instid0(VALU_DEP_3) | instskip(SKIP_1) | instid1(VALU_DEP_3)
	v_add_co_ci_u32_e32 v3, vcc_lo, 0, v3, vcc_lo
	v_lshrrev_b32_e32 v60, 24, v58
	v_add_co_u32 v1, vcc_lo, v1, v62
	s_delay_alu instid0(VALU_DEP_3) | instskip(SKIP_1) | instid1(VALU_DEP_3)
	v_add_co_ci_u32_e32 v3, vcc_lo, 0, v3, vcc_lo
	v_and_b32_e32 v71, 0xff, v57
	v_add_co_u32 v1, vcc_lo, v1, v68
	s_delay_alu instid0(VALU_DEP_3) | instskip(SKIP_1) | instid1(VALU_DEP_3)
	v_add_co_ci_u32_e32 v3, vcc_lo, 0, v3, vcc_lo
	v_bfe_u32 v72, v57, 8, 8
	v_add_co_u32 v1, vcc_lo, v1, v69
	s_delay_alu instid0(VALU_DEP_3) | instskip(SKIP_1) | instid1(VALU_DEP_3)
	v_add_co_ci_u32_e32 v3, vcc_lo, 0, v3, vcc_lo
	v_bfe_u32 v73, v57, 16, 8
	v_add_co_u32 v1, vcc_lo, v1, v70
	s_delay_alu instid0(VALU_DEP_3) | instskip(SKIP_1) | instid1(VALU_DEP_3)
	v_add_co_ci_u32_e32 v3, vcc_lo, 0, v3, vcc_lo
	v_lshrrev_b32_e32 v59, 24, v57
	v_add_co_u32 v1, vcc_lo, v1, v60
	s_delay_alu instid0(VALU_DEP_3) | instskip(SKIP_1) | instid1(VALU_DEP_3)
	v_add_co_ci_u32_e32 v3, vcc_lo, 0, v3, vcc_lo
	v_and_b32_e32 v64, 0xff, v56
	v_add_co_u32 v1, vcc_lo, v1, v71
	s_delay_alu instid0(VALU_DEP_3) | instskip(SKIP_1) | instid1(VALU_DEP_3)
	v_add_co_ci_u32_e32 v3, vcc_lo, 0, v3, vcc_lo
	v_mbcnt_lo_u32_b32 v74, -1, 0
	v_add_co_u32 v1, vcc_lo, v1, v72
	s_delay_alu instid0(VALU_DEP_3) | instskip(SKIP_1) | instid1(VALU_DEP_3)
	v_add_co_ci_u32_e32 v3, vcc_lo, 0, v3, vcc_lo
	v_and_b32_e32 v4, 0xff, v55
	v_add_co_u32 v1, vcc_lo, v1, v73
	s_delay_alu instid0(VALU_DEP_3) | instskip(SKIP_1) | instid1(VALU_DEP_3)
	v_add_co_ci_u32_e32 v3, vcc_lo, 0, v3, vcc_lo
	v_and_b32_e32 v75, 15, v74
	v_add_co_u32 v1, vcc_lo, v1, v59
	s_delay_alu instid0(VALU_DEP_3) | instskip(NEXT) | instid1(VALU_DEP_3)
	v_add_co_ci_u32_e32 v3, vcc_lo, 0, v3, vcc_lo
	v_cmp_ne_u32_e64 s0, 0, v75
	s_delay_alu instid0(VALU_DEP_3) | instskip(NEXT) | instid1(VALU_DEP_3)
	v_add_co_u32 v1, vcc_lo, v1, v64
	v_add_co_ci_u32_e32 v3, vcc_lo, 0, v3, vcc_lo
	s_cmp_lg_u32 s7, 0
	s_delay_alu instid0(VALU_DEP_2) | instskip(NEXT) | instid1(VALU_DEP_2)
	v_add_co_u32 v53, vcc_lo, v1, v4
	v_add_co_ci_u32_e32 v54, vcc_lo, 0, v3, vcc_lo
	s_mov_b32 s1, -1
	s_cbranch_scc0 .LBB926_100
; %bb.41:
	s_delay_alu instid0(VALU_DEP_2)
	v_mov_b32_e32 v3, v53
	v_mov_b32_dpp v1, v53 row_shr:1 row_mask:0xf bank_mask:0xf
	v_mov_b32_dpp v6, v2 row_shr:1 row_mask:0xf bank_mask:0xf
	v_dual_mov_b32 v5, v53 :: v_dual_mov_b32 v4, v54
	s_and_saveexec_b32 s1, s0
; %bb.42:
	s_delay_alu instid0(VALU_DEP_3) | instskip(SKIP_1) | instid1(VALU_DEP_2)
	v_add_co_u32 v5, vcc_lo, v53, v1
	v_add_co_ci_u32_e32 v2, vcc_lo, 0, v54, vcc_lo
	v_add_co_u32 v1, vcc_lo, 0, v5
	s_delay_alu instid0(VALU_DEP_2) | instskip(NEXT) | instid1(VALU_DEP_1)
	v_add_co_ci_u32_e32 v2, vcc_lo, v6, v2, vcc_lo
	v_dual_mov_b32 v4, v2 :: v_dual_mov_b32 v3, v1
; %bb.43:
	s_or_b32 exec_lo, exec_lo, s1
	v_mov_b32_dpp v1, v5 row_shr:2 row_mask:0xf bank_mask:0xf
	v_mov_b32_dpp v6, v2 row_shr:2 row_mask:0xf bank_mask:0xf
	s_mov_b32 s1, exec_lo
	v_cmpx_lt_u32_e32 1, v75
; %bb.44:
	s_delay_alu instid0(VALU_DEP_3) | instskip(SKIP_1) | instid1(VALU_DEP_2)
	v_add_co_u32 v5, vcc_lo, v3, v1
	v_add_co_ci_u32_e32 v2, vcc_lo, 0, v4, vcc_lo
	v_add_co_u32 v1, vcc_lo, 0, v5
	s_delay_alu instid0(VALU_DEP_2) | instskip(NEXT) | instid1(VALU_DEP_1)
	v_add_co_ci_u32_e32 v2, vcc_lo, v6, v2, vcc_lo
	v_dual_mov_b32 v4, v2 :: v_dual_mov_b32 v3, v1
; %bb.45:
	s_or_b32 exec_lo, exec_lo, s1
	v_mov_b32_dpp v1, v5 row_shr:4 row_mask:0xf bank_mask:0xf
	v_mov_b32_dpp v6, v2 row_shr:4 row_mask:0xf bank_mask:0xf
	s_mov_b32 s1, exec_lo
	v_cmpx_lt_u32_e32 3, v75
	;; [unrolled: 14-line block ×3, first 2 shown]
; %bb.48:
	s_delay_alu instid0(VALU_DEP_3) | instskip(SKIP_1) | instid1(VALU_DEP_2)
	v_add_co_u32 v5, vcc_lo, v3, v6
	v_add_co_ci_u32_e32 v2, vcc_lo, 0, v4, vcc_lo
	v_add_co_u32 v3, vcc_lo, 0, v5
	s_delay_alu instid0(VALU_DEP_2) | instskip(NEXT) | instid1(VALU_DEP_1)
	v_add_co_ci_u32_e32 v4, vcc_lo, v1, v2, vcc_lo
	v_mov_b32_e32 v2, v4
; %bb.49:
	s_or_b32 exec_lo, exec_lo, s1
	ds_swizzle_b32 v1, v5 offset:swizzle(BROADCAST,32,15)
	ds_swizzle_b32 v6, v2 offset:swizzle(BROADCAST,32,15)
	v_and_b32_e32 v7, 16, v74
	s_mov_b32 s1, exec_lo
	s_delay_alu instid0(VALU_DEP_1)
	v_cmpx_ne_u32_e32 0, v7
	s_cbranch_execz .LBB926_51
; %bb.50:
	s_waitcnt lgkmcnt(1)
	v_add_co_u32 v5, vcc_lo, v3, v1
	v_add_co_ci_u32_e32 v2, vcc_lo, 0, v4, vcc_lo
	s_delay_alu instid0(VALU_DEP_2) | instskip(SKIP_1) | instid1(VALU_DEP_2)
	v_add_co_u32 v1, vcc_lo, 0, v5
	s_waitcnt lgkmcnt(0)
	v_add_co_ci_u32_e32 v2, vcc_lo, v6, v2, vcc_lo
	s_delay_alu instid0(VALU_DEP_1)
	v_dual_mov_b32 v4, v2 :: v_dual_mov_b32 v3, v1
.LBB926_51:
	s_or_b32 exec_lo, exec_lo, s1
	s_waitcnt lgkmcnt(0)
	v_or_b32_e32 v6, 31, v0
	v_lshrrev_b32_e32 v1, 5, v0
	s_mov_b32 s1, exec_lo
	s_delay_alu instid0(VALU_DEP_2)
	v_cmpx_eq_u32_e64 v6, v0
	s_cbranch_execz .LBB926_53
; %bb.52:
	s_delay_alu instid0(VALU_DEP_2)
	v_lshlrev_b32_e32 v6, 3, v1
	ds_store_b64 v6, v[3:4]
.LBB926_53:
	s_or_b32 exec_lo, exec_lo, s1
	s_delay_alu instid0(SALU_CYCLE_1)
	s_mov_b32 s1, exec_lo
	s_waitcnt lgkmcnt(0)
	s_barrier
	buffer_gl0_inv
	v_cmpx_gt_u32_e32 4, v0
	s_cbranch_execz .LBB926_59
; %bb.54:
	v_lshlrev_b32_e32 v6, 3, v0
	s_mov_b32 s8, exec_lo
	ds_load_b64 v[3:4], v6
	s_waitcnt lgkmcnt(0)
	v_dual_mov_b32 v8, v3 :: v_dual_and_b32 v7, 3, v74
	v_mov_b32_dpp v10, v3 row_shr:1 row_mask:0xf bank_mask:0xf
	v_mov_b32_dpp v9, v4 row_shr:1 row_mask:0xf bank_mask:0xf
	s_delay_alu instid0(VALU_DEP_3)
	v_cmpx_ne_u32_e32 0, v7
; %bb.55:
	s_delay_alu instid0(VALU_DEP_3) | instskip(SKIP_1) | instid1(VALU_DEP_2)
	v_add_co_u32 v8, vcc_lo, v3, v10
	v_add_co_ci_u32_e32 v4, vcc_lo, 0, v4, vcc_lo
	v_add_co_u32 v3, vcc_lo, 0, v8
	s_delay_alu instid0(VALU_DEP_2)
	v_add_co_ci_u32_e32 v4, vcc_lo, v9, v4, vcc_lo
; %bb.56:
	s_or_b32 exec_lo, exec_lo, s8
	v_mov_b32_dpp v9, v8 row_shr:2 row_mask:0xf bank_mask:0xf
	s_delay_alu instid0(VALU_DEP_2)
	v_mov_b32_dpp v8, v4 row_shr:2 row_mask:0xf bank_mask:0xf
	s_mov_b32 s8, exec_lo
	v_cmpx_lt_u32_e32 1, v7
; %bb.57:
	s_delay_alu instid0(VALU_DEP_3) | instskip(SKIP_1) | instid1(VALU_DEP_2)
	v_add_co_u32 v3, vcc_lo, v3, v9
	v_add_co_ci_u32_e32 v4, vcc_lo, 0, v4, vcc_lo
	v_add_co_u32 v3, vcc_lo, v3, 0
	s_delay_alu instid0(VALU_DEP_2)
	v_add_co_ci_u32_e32 v4, vcc_lo, v4, v8, vcc_lo
; %bb.58:
	s_or_b32 exec_lo, exec_lo, s8
	ds_store_b64 v6, v[3:4]
.LBB926_59:
	s_or_b32 exec_lo, exec_lo, s1
	v_cmp_gt_u32_e32 vcc_lo, 32, v0
	s_mov_b32 s8, exec_lo
	s_waitcnt lgkmcnt(0)
	s_barrier
	buffer_gl0_inv
                                        ; implicit-def: $vgpr9_vgpr10
	v_cmpx_lt_u32_e32 31, v0
	s_cbranch_execz .LBB926_61
; %bb.60:
	v_lshl_add_u32 v1, v1, 3, -8
	ds_load_b64 v[9:10], v1
	s_waitcnt lgkmcnt(0)
	v_add_co_u32 v5, s1, v5, v9
	s_delay_alu instid0(VALU_DEP_1)
	v_add_co_ci_u32_e64 v2, s1, v2, v10, s1
.LBB926_61:
	s_or_b32 exec_lo, exec_lo, s8
	v_add_nc_u32_e32 v1, -1, v74
	s_delay_alu instid0(VALU_DEP_1) | instskip(NEXT) | instid1(VALU_DEP_1)
	v_cmp_gt_i32_e64 s1, 0, v1
	v_cndmask_b32_e64 v1, v1, v74, s1
	v_cmp_eq_u32_e64 s1, 0, v74
	s_delay_alu instid0(VALU_DEP_2)
	v_lshlrev_b32_e32 v1, 2, v1
	ds_bpermute_b32 v15, v1, v5
	ds_bpermute_b32 v16, v1, v2
	s_and_saveexec_b32 s8, vcc_lo
	s_cbranch_execz .LBB926_99
; %bb.62:
	v_mov_b32_e32 v4, 0
	ds_load_b64 v[1:2], v4 offset:24
	s_and_saveexec_b32 s9, s1
	s_cbranch_execz .LBB926_64
; %bb.63:
	s_add_i32 s10, s7, 32
	s_mov_b32 s11, 0
	s_delay_alu instid0(SALU_CYCLE_1) | instskip(NEXT) | instid1(SALU_CYCLE_1)
	s_lshl_b64 s[10:11], s[10:11], 4
	s_add_u32 s10, s14, s10
	s_addc_u32 s11, s15, s11
	v_mov_b32_e32 v5, s10
	v_dual_mov_b32 v3, 1 :: v_dual_mov_b32 v6, s11
	s_waitcnt lgkmcnt(0)
	;;#ASMSTART
	global_store_dwordx4 v[5:6], v[1:4] off	
s_waitcnt vmcnt(0)
	;;#ASMEND
.LBB926_64:
	s_or_b32 exec_lo, exec_lo, s9
	v_xad_u32 v11, v74, -1, s7
	s_mov_b32 s10, 0
	s_mov_b32 s9, exec_lo
	s_delay_alu instid0(VALU_DEP_1) | instskip(NEXT) | instid1(VALU_DEP_1)
	v_add_nc_u32_e32 v3, 32, v11
	v_lshlrev_b64 v[3:4], 4, v[3:4]
	s_delay_alu instid0(VALU_DEP_1) | instskip(NEXT) | instid1(VALU_DEP_2)
	v_add_co_u32 v3, vcc_lo, s14, v3
	v_add_co_ci_u32_e32 v4, vcc_lo, s15, v4, vcc_lo
	;;#ASMSTART
	global_load_dwordx4 v[5:8], v[3:4] off glc	
s_waitcnt vmcnt(0)
	;;#ASMEND
	v_and_b32_e32 v8, 0xff, v6
	v_and_b32_e32 v12, 0xff00, v6
	v_or3_b32 v5, v5, 0, 0
	v_and_b32_e32 v13, 0xff000000, v6
	v_and_b32_e32 v6, 0xff0000, v6
	s_delay_alu instid0(VALU_DEP_4) | instskip(SKIP_2) | instid1(VALU_DEP_3)
	v_or3_b32 v8, 0, v8, v12
	v_and_b32_e32 v12, 0xff, v7
	v_or3_b32 v5, v5, 0, 0
	v_or3_b32 v6, v8, v6, v13
	s_delay_alu instid0(VALU_DEP_3)
	v_cmpx_eq_u16_e32 0, v12
	s_cbranch_execz .LBB926_67
.LBB926_65:                             ; =>This Inner Loop Header: Depth=1
	;;#ASMSTART
	global_load_dwordx4 v[5:8], v[3:4] off glc	
s_waitcnt vmcnt(0)
	;;#ASMEND
	v_and_b32_e32 v8, 0xff, v7
	s_delay_alu instid0(VALU_DEP_1) | instskip(SKIP_1) | instid1(SALU_CYCLE_1)
	v_cmp_ne_u16_e32 vcc_lo, 0, v8
	s_or_b32 s10, vcc_lo, s10
	s_and_not1_b32 exec_lo, exec_lo, s10
	s_cbranch_execnz .LBB926_65
; %bb.66:
	s_or_b32 exec_lo, exec_lo, s10
.LBB926_67:
	s_delay_alu instid0(SALU_CYCLE_1)
	s_or_b32 exec_lo, exec_lo, s9
	v_cmp_ne_u32_e32 vcc_lo, 31, v74
	v_and_b32_e32 v4, 0xff, v7
	v_lshlrev_b32_e64 v18, v74, -1
	s_mov_b32 s9, exec_lo
	v_add_co_ci_u32_e32 v3, vcc_lo, 0, v74, vcc_lo
	s_delay_alu instid0(VALU_DEP_3) | instskip(NEXT) | instid1(VALU_DEP_2)
	v_cmp_eq_u16_e32 vcc_lo, 2, v4
	v_dual_mov_b32 v4, v5 :: v_dual_lshlrev_b32 v17, 2, v3
	v_and_or_b32 v3, vcc_lo, v18, 0x80000000
	ds_bpermute_b32 v12, v17, v5
	ds_bpermute_b32 v8, v17, v6
	v_ctz_i32_b32_e32 v3, v3
	s_delay_alu instid0(VALU_DEP_1)
	v_cmpx_lt_u32_e64 v74, v3
	s_cbranch_execz .LBB926_69
; %bb.68:
	s_waitcnt lgkmcnt(1)
	v_add_co_u32 v4, vcc_lo, v5, v12
	v_add_co_ci_u32_e32 v6, vcc_lo, 0, v6, vcc_lo
	s_delay_alu instid0(VALU_DEP_2) | instskip(SKIP_1) | instid1(VALU_DEP_2)
	v_add_co_u32 v5, vcc_lo, 0, v4
	s_waitcnt lgkmcnt(0)
	v_add_co_ci_u32_e32 v6, vcc_lo, v8, v6, vcc_lo
.LBB926_69:
	s_or_b32 exec_lo, exec_lo, s9
	v_cmp_gt_u32_e32 vcc_lo, 30, v74
	v_add_nc_u32_e32 v20, 2, v74
	s_mov_b32 s9, exec_lo
	s_waitcnt lgkmcnt(0)
	v_cndmask_b32_e64 v8, 0, 1, vcc_lo
	s_delay_alu instid0(VALU_DEP_1) | instskip(NEXT) | instid1(VALU_DEP_1)
	v_lshlrev_b32_e32 v8, 1, v8
	v_add_lshl_u32 v19, v8, v74, 2
	ds_bpermute_b32 v12, v19, v4
	ds_bpermute_b32 v8, v19, v6
	v_cmpx_le_u32_e64 v20, v3
	s_cbranch_execz .LBB926_71
; %bb.70:
	s_waitcnt lgkmcnt(1)
	v_add_co_u32 v4, vcc_lo, v5, v12
	v_add_co_ci_u32_e32 v6, vcc_lo, 0, v6, vcc_lo
	s_delay_alu instid0(VALU_DEP_2) | instskip(SKIP_1) | instid1(VALU_DEP_2)
	v_add_co_u32 v5, vcc_lo, 0, v4
	s_waitcnt lgkmcnt(0)
	v_add_co_ci_u32_e32 v6, vcc_lo, v8, v6, vcc_lo
.LBB926_71:
	s_or_b32 exec_lo, exec_lo, s9
	v_cmp_gt_u32_e32 vcc_lo, 28, v74
	v_add_nc_u32_e32 v22, 4, v74
	s_mov_b32 s9, exec_lo
	s_waitcnt lgkmcnt(0)
	v_cndmask_b32_e64 v8, 0, 1, vcc_lo
	s_delay_alu instid0(VALU_DEP_1) | instskip(NEXT) | instid1(VALU_DEP_1)
	v_lshlrev_b32_e32 v8, 2, v8
	v_add_lshl_u32 v21, v8, v74, 2
	ds_bpermute_b32 v12, v21, v4
	ds_bpermute_b32 v8, v21, v6
	v_cmpx_le_u32_e64 v22, v3
	;; [unrolled: 22-line block ×4, first 2 shown]
	s_cbranch_execz .LBB926_77
; %bb.76:
	s_waitcnt lgkmcnt(1)
	v_add_co_u32 v3, vcc_lo, v5, v8
	v_add_co_ci_u32_e32 v6, vcc_lo, 0, v6, vcc_lo
	s_delay_alu instid0(VALU_DEP_2) | instskip(SKIP_1) | instid1(VALU_DEP_2)
	v_add_co_u32 v5, vcc_lo, v3, 0
	s_waitcnt lgkmcnt(0)
	v_add_co_ci_u32_e32 v6, vcc_lo, v6, v4, vcc_lo
.LBB926_77:
	s_or_b32 exec_lo, exec_lo, s9
	v_mov_b32_e32 v12, 0
	s_branch .LBB926_79
.LBB926_78:                             ;   in Loop: Header=BB926_79 Depth=1
	s_or_b32 exec_lo, exec_lo, s9
	v_add_co_u32 v5, vcc_lo, v5, v3
	v_subrev_nc_u32_e32 v11, 32, v11
	v_add_co_ci_u32_e32 v6, vcc_lo, v6, v4, vcc_lo
.LBB926_79:                             ; =>This Loop Header: Depth=1
                                        ;     Child Loop BB926_82 Depth 2
	v_and_b32_e32 v3, 0xff, v7
	s_delay_alu instid0(VALU_DEP_1) | instskip(SKIP_2) | instid1(VALU_DEP_1)
	v_cmp_ne_u16_e32 vcc_lo, 2, v3
	v_cndmask_b32_e64 v3, 0, 1, vcc_lo
	;;#ASMSTART
	;;#ASMEND
	v_cmp_ne_u32_e32 vcc_lo, 0, v3
	s_waitcnt lgkmcnt(0)
	v_dual_mov_b32 v3, v5 :: v_dual_mov_b32 v4, v6
	s_cmp_lg_u32 vcc_lo, exec_lo
	s_cbranch_scc1 .LBB926_94
; %bb.80:                               ;   in Loop: Header=BB926_79 Depth=1
	v_lshlrev_b64 v[5:6], 4, v[11:12]
	s_mov_b32 s9, exec_lo
	s_delay_alu instid0(VALU_DEP_1) | instskip(NEXT) | instid1(VALU_DEP_2)
	v_add_co_u32 v13, vcc_lo, s14, v5
	v_add_co_ci_u32_e32 v14, vcc_lo, s15, v6, vcc_lo
	;;#ASMSTART
	global_load_dwordx4 v[5:8], v[13:14] off glc	
s_waitcnt vmcnt(0)
	;;#ASMEND
	v_and_b32_e32 v8, 0xff, v6
	v_and_b32_e32 v27, 0xff00, v6
	v_or3_b32 v5, v5, 0, 0
	v_and_b32_e32 v28, 0xff000000, v6
	v_and_b32_e32 v6, 0xff0000, v6
	s_delay_alu instid0(VALU_DEP_4) | instskip(SKIP_2) | instid1(VALU_DEP_3)
	v_or3_b32 v8, 0, v8, v27
	v_and_b32_e32 v27, 0xff, v7
	v_or3_b32 v5, v5, 0, 0
	v_or3_b32 v6, v8, v6, v28
	s_delay_alu instid0(VALU_DEP_3)
	v_cmpx_eq_u16_e32 0, v27
	s_cbranch_execz .LBB926_84
; %bb.81:                               ;   in Loop: Header=BB926_79 Depth=1
	s_mov_b32 s10, 0
.LBB926_82:                             ;   Parent Loop BB926_79 Depth=1
                                        ; =>  This Inner Loop Header: Depth=2
	;;#ASMSTART
	global_load_dwordx4 v[5:8], v[13:14] off glc	
s_waitcnt vmcnt(0)
	;;#ASMEND
	v_and_b32_e32 v8, 0xff, v7
	s_delay_alu instid0(VALU_DEP_1) | instskip(SKIP_1) | instid1(SALU_CYCLE_1)
	v_cmp_ne_u16_e32 vcc_lo, 0, v8
	s_or_b32 s10, vcc_lo, s10
	s_and_not1_b32 exec_lo, exec_lo, s10
	s_cbranch_execnz .LBB926_82
; %bb.83:                               ;   in Loop: Header=BB926_79 Depth=1
	s_or_b32 exec_lo, exec_lo, s10
.LBB926_84:                             ;   in Loop: Header=BB926_79 Depth=1
	s_delay_alu instid0(SALU_CYCLE_1)
	s_or_b32 exec_lo, exec_lo, s9
	v_dual_mov_b32 v13, v5 :: v_dual_and_b32 v8, 0xff, v7
	ds_bpermute_b32 v27, v17, v5
	ds_bpermute_b32 v14, v17, v6
	s_mov_b32 s9, exec_lo
	v_cmp_eq_u16_e32 vcc_lo, 2, v8
	v_and_or_b32 v8, vcc_lo, v18, 0x80000000
	s_delay_alu instid0(VALU_DEP_1) | instskip(NEXT) | instid1(VALU_DEP_1)
	v_ctz_i32_b32_e32 v8, v8
	v_cmpx_lt_u32_e64 v74, v8
	s_cbranch_execz .LBB926_86
; %bb.85:                               ;   in Loop: Header=BB926_79 Depth=1
	s_waitcnt lgkmcnt(1)
	v_add_co_u32 v13, vcc_lo, v5, v27
	v_add_co_ci_u32_e32 v6, vcc_lo, 0, v6, vcc_lo
	s_delay_alu instid0(VALU_DEP_2) | instskip(SKIP_1) | instid1(VALU_DEP_2)
	v_add_co_u32 v5, vcc_lo, 0, v13
	s_waitcnt lgkmcnt(0)
	v_add_co_ci_u32_e32 v6, vcc_lo, v14, v6, vcc_lo
.LBB926_86:                             ;   in Loop: Header=BB926_79 Depth=1
	s_or_b32 exec_lo, exec_lo, s9
	s_waitcnt lgkmcnt(1)
	ds_bpermute_b32 v27, v19, v13
	s_waitcnt lgkmcnt(1)
	ds_bpermute_b32 v14, v19, v6
	s_mov_b32 s9, exec_lo
	v_cmpx_le_u32_e64 v20, v8
	s_cbranch_execz .LBB926_88
; %bb.87:                               ;   in Loop: Header=BB926_79 Depth=1
	s_waitcnt lgkmcnt(1)
	v_add_co_u32 v13, vcc_lo, v5, v27
	v_add_co_ci_u32_e32 v6, vcc_lo, 0, v6, vcc_lo
	s_delay_alu instid0(VALU_DEP_2) | instskip(SKIP_1) | instid1(VALU_DEP_2)
	v_add_co_u32 v5, vcc_lo, 0, v13
	s_waitcnt lgkmcnt(0)
	v_add_co_ci_u32_e32 v6, vcc_lo, v14, v6, vcc_lo
.LBB926_88:                             ;   in Loop: Header=BB926_79 Depth=1
	s_or_b32 exec_lo, exec_lo, s9
	s_waitcnt lgkmcnt(1)
	ds_bpermute_b32 v27, v21, v13
	s_waitcnt lgkmcnt(1)
	ds_bpermute_b32 v14, v21, v6
	s_mov_b32 s9, exec_lo
	v_cmpx_le_u32_e64 v22, v8
	;; [unrolled: 17-line block ×3, first 2 shown]
	s_cbranch_execz .LBB926_92
; %bb.91:                               ;   in Loop: Header=BB926_79 Depth=1
	s_waitcnt lgkmcnt(1)
	v_add_co_u32 v13, vcc_lo, v5, v27
	v_add_co_ci_u32_e32 v6, vcc_lo, 0, v6, vcc_lo
	s_delay_alu instid0(VALU_DEP_2) | instskip(SKIP_1) | instid1(VALU_DEP_2)
	v_add_co_u32 v5, vcc_lo, 0, v13
	s_waitcnt lgkmcnt(0)
	v_add_co_ci_u32_e32 v6, vcc_lo, v14, v6, vcc_lo
.LBB926_92:                             ;   in Loop: Header=BB926_79 Depth=1
	s_or_b32 exec_lo, exec_lo, s9
	s_waitcnt lgkmcnt(0)
	ds_bpermute_b32 v14, v25, v13
	ds_bpermute_b32 v13, v25, v6
	s_mov_b32 s9, exec_lo
	v_cmpx_le_u32_e64 v26, v8
	s_cbranch_execz .LBB926_78
; %bb.93:                               ;   in Loop: Header=BB926_79 Depth=1
	s_waitcnt lgkmcnt(1)
	v_add_co_u32 v5, vcc_lo, v5, v14
	v_add_co_ci_u32_e32 v6, vcc_lo, 0, v6, vcc_lo
	s_delay_alu instid0(VALU_DEP_2) | instskip(SKIP_1) | instid1(VALU_DEP_2)
	v_add_co_u32 v5, vcc_lo, v5, 0
	s_waitcnt lgkmcnt(0)
	v_add_co_ci_u32_e32 v6, vcc_lo, v6, v13, vcc_lo
	s_branch .LBB926_78
.LBB926_94:                             ;   in Loop: Header=BB926_79 Depth=1
                                        ; implicit-def: $vgpr5_vgpr6
	s_cbranch_execz .LBB926_79
; %bb.95:
	s_and_saveexec_b32 s9, s1
	s_cbranch_execz .LBB926_97
; %bb.96:
	s_add_i32 s10, s7, 32
	s_mov_b32 s11, 0
	v_add_co_u32 v5, vcc_lo, v3, v1
	s_lshl_b64 s[10:11], s[10:11], 4
	v_dual_mov_b32 v7, 2 :: v_dual_mov_b32 v8, 0
	s_add_u32 s10, s14, s10
	s_addc_u32 s11, s15, s11
	v_add_co_ci_u32_e32 v6, vcc_lo, v4, v2, vcc_lo
	v_dual_mov_b32 v12, s11 :: v_dual_mov_b32 v11, s10
	;;#ASMSTART
	global_store_dwordx4 v[11:12], v[5:8] off	
s_waitcnt vmcnt(0)
	;;#ASMEND
	ds_store_b128 v8, v[1:4] offset:7168
.LBB926_97:
	s_or_b32 exec_lo, exec_lo, s9
	s_delay_alu instid0(SALU_CYCLE_1)
	s_and_b32 exec_lo, exec_lo, s2
	s_cbranch_execz .LBB926_99
; %bb.98:
	v_mov_b32_e32 v1, 0
	ds_store_b64 v1, v[3:4] offset:24
.LBB926_99:
	s_or_b32 exec_lo, exec_lo, s8
	v_mov_b32_e32 v21, 0
	s_waitcnt lgkmcnt(0)
	s_barrier
	buffer_gl0_inv
	v_cndmask_b32_e64 v3, v15, v9, s1
	ds_load_b64 v[1:2], v21 offset:24
	v_cndmask_b32_e64 v4, v16, v10, s1
	s_waitcnt lgkmcnt(0)
	s_barrier
	v_cndmask_b32_e64 v3, v3, 0, s2
	buffer_gl0_inv
	v_cndmask_b32_e64 v4, v4, 0, s2
	ds_load_b128 v[45:48], v21 offset:7168
	v_add_co_u32 v1, vcc_lo, v1, v3
	v_add_co_ci_u32_e32 v2, vcc_lo, v2, v4, vcc_lo
	s_delay_alu instid0(VALU_DEP_2) | instskip(NEXT) | instid1(VALU_DEP_2)
	v_add_co_u32 v3, vcc_lo, v1, v65
	v_add_co_ci_u32_e32 v4, vcc_lo, 0, v2, vcc_lo
	s_delay_alu instid0(VALU_DEP_2) | instskip(NEXT) | instid1(VALU_DEP_2)
	;; [unrolled: 3-line block ×13, first 2 shown]
	v_add_co_u32 v27, vcc_lo, v25, v64
	v_add_co_ci_u32_e32 v28, vcc_lo, 0, v26, vcc_lo
	s_branch .LBB926_124
.LBB926_100:
                                        ; implicit-def: $vgpr47_vgpr48
                                        ; implicit-def: $vgpr1_vgpr2_vgpr3_vgpr4_vgpr5_vgpr6_vgpr7_vgpr8_vgpr9_vgpr10_vgpr11_vgpr12_vgpr13_vgpr14_vgpr15_vgpr16_vgpr17_vgpr18_vgpr19_vgpr20_vgpr21_vgpr22_vgpr23_vgpr24_vgpr25_vgpr26_vgpr27_vgpr28_vgpr29_vgpr30_vgpr31_vgpr32
	s_and_b32 vcc_lo, exec_lo, s1
	s_cbranch_vccz .LBB926_124
; %bb.101:
	v_dual_mov_b32 v2, 0 :: v_dual_mov_b32 v3, v53
	v_mov_b32_dpp v4, v53 row_shr:1 row_mask:0xf bank_mask:0xf
	s_delay_alu instid0(VALU_DEP_2)
	v_mov_b32_dpp v1, v2 row_shr:1 row_mask:0xf bank_mask:0xf
	s_and_saveexec_b32 s1, s0
; %bb.102:
	s_delay_alu instid0(VALU_DEP_2) | instskip(SKIP_1) | instid1(VALU_DEP_2)
	v_add_co_u32 v3, vcc_lo, v53, v4
	v_add_co_ci_u32_e32 v2, vcc_lo, 0, v54, vcc_lo
	v_add_co_u32 v53, vcc_lo, 0, v3
	s_delay_alu instid0(VALU_DEP_2) | instskip(NEXT) | instid1(VALU_DEP_1)
	v_add_co_ci_u32_e32 v54, vcc_lo, v1, v2, vcc_lo
	v_mov_b32_e32 v2, v54
; %bb.103:
	s_or_b32 exec_lo, exec_lo, s1
	v_mov_b32_dpp v1, v3 row_shr:2 row_mask:0xf bank_mask:0xf
	s_delay_alu instid0(VALU_DEP_2)
	v_mov_b32_dpp v4, v2 row_shr:2 row_mask:0xf bank_mask:0xf
	s_mov_b32 s0, exec_lo
	v_cmpx_lt_u32_e32 1, v75
; %bb.104:
	s_delay_alu instid0(VALU_DEP_3) | instskip(SKIP_1) | instid1(VALU_DEP_2)
	v_add_co_u32 v3, vcc_lo, v53, v1
	v_add_co_ci_u32_e32 v2, vcc_lo, 0, v54, vcc_lo
	v_add_co_u32 v1, vcc_lo, 0, v3
	s_delay_alu instid0(VALU_DEP_2) | instskip(NEXT) | instid1(VALU_DEP_1)
	v_add_co_ci_u32_e32 v2, vcc_lo, v4, v2, vcc_lo
	v_dual_mov_b32 v54, v2 :: v_dual_mov_b32 v53, v1
; %bb.105:
	s_or_b32 exec_lo, exec_lo, s0
	v_mov_b32_dpp v1, v3 row_shr:4 row_mask:0xf bank_mask:0xf
	v_mov_b32_dpp v4, v2 row_shr:4 row_mask:0xf bank_mask:0xf
	s_mov_b32 s0, exec_lo
	v_cmpx_lt_u32_e32 3, v75
; %bb.106:
	s_delay_alu instid0(VALU_DEP_3) | instskip(SKIP_1) | instid1(VALU_DEP_2)
	v_add_co_u32 v3, vcc_lo, v53, v1
	v_add_co_ci_u32_e32 v2, vcc_lo, 0, v54, vcc_lo
	v_add_co_u32 v1, vcc_lo, 0, v3
	s_delay_alu instid0(VALU_DEP_2) | instskip(NEXT) | instid1(VALU_DEP_1)
	v_add_co_ci_u32_e32 v2, vcc_lo, v4, v2, vcc_lo
	v_dual_mov_b32 v54, v2 :: v_dual_mov_b32 v53, v1
; %bb.107:
	s_or_b32 exec_lo, exec_lo, s0
	v_mov_b32_dpp v4, v3 row_shr:8 row_mask:0xf bank_mask:0xf
	v_mov_b32_dpp v1, v2 row_shr:8 row_mask:0xf bank_mask:0xf
	s_mov_b32 s0, exec_lo
	v_cmpx_lt_u32_e32 7, v75
; %bb.108:
	s_delay_alu instid0(VALU_DEP_3) | instskip(SKIP_1) | instid1(VALU_DEP_2)
	v_add_co_u32 v3, vcc_lo, v53, v4
	v_add_co_ci_u32_e32 v2, vcc_lo, 0, v54, vcc_lo
	v_add_co_u32 v53, vcc_lo, 0, v3
	s_delay_alu instid0(VALU_DEP_2) | instskip(NEXT) | instid1(VALU_DEP_1)
	v_add_co_ci_u32_e32 v54, vcc_lo, v1, v2, vcc_lo
	v_mov_b32_e32 v2, v54
; %bb.109:
	s_or_b32 exec_lo, exec_lo, s0
	ds_swizzle_b32 v3, v3 offset:swizzle(BROADCAST,32,15)
	ds_swizzle_b32 v1, v2 offset:swizzle(BROADCAST,32,15)
	v_and_b32_e32 v2, 16, v74
	s_mov_b32 s0, exec_lo
	s_delay_alu instid0(VALU_DEP_1)
	v_cmpx_ne_u32_e32 0, v2
	s_cbranch_execz .LBB926_111
; %bb.110:
	s_waitcnt lgkmcnt(1)
	v_add_co_u32 v2, vcc_lo, v53, v3
	v_add_co_ci_u32_e32 v3, vcc_lo, 0, v54, vcc_lo
	s_delay_alu instid0(VALU_DEP_2) | instskip(SKIP_1) | instid1(VALU_DEP_2)
	v_add_co_u32 v53, vcc_lo, v2, 0
	s_waitcnt lgkmcnt(0)
	v_add_co_ci_u32_e32 v54, vcc_lo, v3, v1, vcc_lo
.LBB926_111:
	s_or_b32 exec_lo, exec_lo, s0
	s_waitcnt lgkmcnt(0)
	v_or_b32_e32 v1, 31, v0
	v_lshrrev_b32_e32 v3, 5, v0
	s_mov_b32 s0, exec_lo
	s_delay_alu instid0(VALU_DEP_2)
	v_cmpx_eq_u32_e64 v1, v0
	s_cbranch_execz .LBB926_113
; %bb.112:
	s_delay_alu instid0(VALU_DEP_2)
	v_lshlrev_b32_e32 v1, 3, v3
	ds_store_b64 v1, v[53:54]
.LBB926_113:
	s_or_b32 exec_lo, exec_lo, s0
	s_delay_alu instid0(SALU_CYCLE_1)
	s_mov_b32 s0, exec_lo
	s_waitcnt lgkmcnt(0)
	s_barrier
	buffer_gl0_inv
	v_cmpx_gt_u32_e32 4, v0
	s_cbranch_execz .LBB926_119
; %bb.114:
	v_mad_i32_i24 v1, 0xffffffd0, v0, v63
	s_mov_b32 s1, exec_lo
	ds_load_b64 v[1:2], v1
	s_waitcnt lgkmcnt(0)
	v_dual_mov_b32 v5, v1 :: v_dual_and_b32 v4, 3, v74
	v_mov_b32_dpp v7, v1 row_shr:1 row_mask:0xf bank_mask:0xf
	v_mov_b32_dpp v6, v2 row_shr:1 row_mask:0xf bank_mask:0xf
	s_delay_alu instid0(VALU_DEP_3)
	v_cmpx_ne_u32_e32 0, v4
; %bb.115:
	s_delay_alu instid0(VALU_DEP_3) | instskip(SKIP_1) | instid1(VALU_DEP_2)
	v_add_co_u32 v5, vcc_lo, v1, v7
	v_add_co_ci_u32_e32 v2, vcc_lo, 0, v2, vcc_lo
	v_add_co_u32 v1, vcc_lo, 0, v5
	s_delay_alu instid0(VALU_DEP_2)
	v_add_co_ci_u32_e32 v2, vcc_lo, v6, v2, vcc_lo
; %bb.116:
	s_or_b32 exec_lo, exec_lo, s1
	v_mul_i32_i24_e32 v6, 0xffffffd0, v0
	v_mov_b32_dpp v7, v5 row_shr:2 row_mask:0xf bank_mask:0xf
	s_delay_alu instid0(VALU_DEP_3)
	v_mov_b32_dpp v5, v2 row_shr:2 row_mask:0xf bank_mask:0xf
	s_mov_b32 s1, exec_lo
	v_cmpx_lt_u32_e32 1, v4
; %bb.117:
	s_delay_alu instid0(VALU_DEP_3) | instskip(SKIP_1) | instid1(VALU_DEP_2)
	v_add_co_u32 v1, vcc_lo, v1, v7
	v_add_co_ci_u32_e32 v2, vcc_lo, 0, v2, vcc_lo
	v_add_co_u32 v1, vcc_lo, v1, 0
	s_delay_alu instid0(VALU_DEP_2)
	v_add_co_ci_u32_e32 v2, vcc_lo, v2, v5, vcc_lo
; %bb.118:
	s_or_b32 exec_lo, exec_lo, s1
	v_add_nc_u32_e32 v4, v63, v6
	ds_store_b64 v4, v[1:2]
.LBB926_119:
	s_or_b32 exec_lo, exec_lo, s0
	v_mov_b32_e32 v1, 0
	v_mov_b32_e32 v2, 0
	s_mov_b32 s0, exec_lo
	s_waitcnt lgkmcnt(0)
	s_barrier
	buffer_gl0_inv
	v_cmpx_lt_u32_e32 31, v0
	s_cbranch_execz .LBB926_121
; %bb.120:
	v_lshl_add_u32 v1, v3, 3, -8
	ds_load_b64 v[1:2], v1
.LBB926_121:
	s_or_b32 exec_lo, exec_lo, s0
	v_dual_mov_b32 v48, 0 :: v_dual_add_nc_u32 v3, -1, v74
	s_delay_alu instid0(VALU_DEP_1) | instskip(SKIP_2) | instid1(VALU_DEP_1)
	v_cmp_gt_i32_e32 vcc_lo, 0, v3
	ds_load_b64 v[45:46], v48 offset:24
	v_cndmask_b32_e32 v3, v3, v74, vcc_lo
	v_lshlrev_b32_e32 v4, 2, v3
	s_waitcnt lgkmcnt(1)
	v_add_co_u32 v3, vcc_lo, v1, v53
	v_add_co_ci_u32_e32 v5, vcc_lo, v2, v54, vcc_lo
	ds_bpermute_b32 v3, v4, v3
	ds_bpermute_b32 v4, v4, v5
	s_and_saveexec_b32 s0, s2
	s_cbranch_execz .LBB926_123
; %bb.122:
	s_add_u32 s8, s14, 0x200
	s_addc_u32 s9, s15, 0
	v_mov_b32_e32 v5, s8
	v_dual_mov_b32 v47, 2 :: v_dual_mov_b32 v6, s9
	s_waitcnt lgkmcnt(2)
	;;#ASMSTART
	global_store_dwordx4 v[5:6], v[45:48] off	
s_waitcnt vmcnt(0)
	;;#ASMEND
.LBB926_123:
	s_or_b32 exec_lo, exec_lo, s0
	v_cmp_eq_u32_e32 vcc_lo, 0, v74
	v_mov_b32_e32 v47, 0
	v_mov_b32_e32 v48, 0
	s_waitcnt lgkmcnt(0)
	s_barrier
	v_dual_cndmask_b32 v1, v3, v1 :: v_dual_cndmask_b32 v2, v4, v2
	buffer_gl0_inv
	v_cndmask_b32_e64 v1, v1, 0, s2
	v_cndmask_b32_e64 v2, v2, 0, s2
	s_delay_alu instid0(VALU_DEP_2) | instskip(NEXT) | instid1(VALU_DEP_2)
	v_add_co_u32 v3, vcc_lo, v1, v65
	v_add_co_ci_u32_e32 v4, vcc_lo, 0, v2, vcc_lo
	s_delay_alu instid0(VALU_DEP_2) | instskip(NEXT) | instid1(VALU_DEP_2)
	v_add_co_u32 v5, vcc_lo, v3, v66
	v_add_co_ci_u32_e32 v6, vcc_lo, 0, v4, vcc_lo
	;; [unrolled: 3-line block ×13, first 2 shown]
.LBB926_124:
	s_waitcnt lgkmcnt(0)
	v_cmp_gt_u64_e32 vcc_lo, 0x81, v[45:46]
	v_lshrrev_b32_e32 v53, 16, v58
	v_lshrrev_b32_e32 v54, 8, v58
	;; [unrolled: 1-line block ×6, first 2 shown]
	s_mov_b32 s0, -1
	s_cbranch_vccnz .LBB926_128
; %bb.125:
	s_and_b32 vcc_lo, exec_lo, s0
	s_cbranch_vccnz .LBB926_171
.LBB926_126:
	s_and_b32 s0, s2, s3
	s_delay_alu instid0(SALU_CYCLE_1)
	s_and_saveexec_b32 s1, s0
	s_cbranch_execnz .LBB926_203
.LBB926_127:
	s_nop 0
	s_sendmsg sendmsg(MSG_DEALLOC_VGPRS)
	s_endpgm
.LBB926_128:
	v_add_co_u32 v29, vcc_lo, v47, v45
	v_add_co_ci_u32_e32 v30, vcc_lo, v48, v46, vcc_lo
	v_lshlrev_b64 v[65:66], 2, v[49:50]
	s_delay_alu instid0(VALU_DEP_2) | instskip(NEXT) | instid1(VALU_DEP_2)
	v_cmp_lt_u64_e32 vcc_lo, v[1:2], v[29:30]
	v_add_co_u32 v65, s0, s12, v65
	s_delay_alu instid0(VALU_DEP_1) | instskip(SKIP_1) | instid1(SALU_CYCLE_1)
	v_add_co_ci_u32_e64 v66, s0, s13, v66, s0
	s_or_b32 s1, s6, vcc_lo
	s_and_saveexec_b32 s0, s1
	s_cbranch_execz .LBB926_131
; %bb.129:
	v_and_b32_e32 v67, 1, v61
	s_delay_alu instid0(VALU_DEP_1)
	v_cmp_eq_u32_e32 vcc_lo, 1, v67
	s_and_b32 exec_lo, exec_lo, vcc_lo
	s_cbranch_execz .LBB926_131
; %bb.130:
	v_lshlrev_b64 v[67:68], 2, v[1:2]
	s_delay_alu instid0(VALU_DEP_1) | instskip(NEXT) | instid1(VALU_DEP_2)
	v_add_co_u32 v67, vcc_lo, v65, v67
	v_add_co_ci_u32_e32 v68, vcc_lo, v66, v68, vcc_lo
	global_store_b32 v[67:68], v41, off
.LBB926_131:
	s_or_b32 exec_lo, exec_lo, s0
	v_cmp_lt_u64_e32 vcc_lo, v[3:4], v[29:30]
	s_or_b32 s1, s6, vcc_lo
	s_delay_alu instid0(SALU_CYCLE_1)
	s_and_saveexec_b32 s0, s1
	s_cbranch_execz .LBB926_134
; %bb.132:
	v_and_b32_e32 v2, 1, v64
	s_delay_alu instid0(VALU_DEP_1)
	v_cmp_eq_u32_e32 vcc_lo, 1, v2
	s_and_b32 exec_lo, exec_lo, vcc_lo
	s_cbranch_execz .LBB926_134
; %bb.133:
	v_lshlrev_b64 v[67:68], 2, v[3:4]
	s_delay_alu instid0(VALU_DEP_1) | instskip(NEXT) | instid1(VALU_DEP_2)
	v_add_co_u32 v67, vcc_lo, v65, v67
	v_add_co_ci_u32_e32 v68, vcc_lo, v66, v68, vcc_lo
	global_store_b32 v[67:68], v42, off
.LBB926_134:
	s_or_b32 exec_lo, exec_lo, s0
	v_cmp_lt_u64_e32 vcc_lo, v[5:6], v[29:30]
	s_or_b32 s1, s6, vcc_lo
	s_delay_alu instid0(SALU_CYCLE_1)
	;; [unrolled: 19-line block ×13, first 2 shown]
	s_and_saveexec_b32 s0, s1
	s_cbranch_execz .LBB926_170
; %bb.168:
	v_and_b32_e32 v2, 1, v55
	s_delay_alu instid0(VALU_DEP_1)
	v_cmp_eq_u32_e32 vcc_lo, 1, v2
	s_and_b32 exec_lo, exec_lo, vcc_lo
	s_cbranch_execz .LBB926_170
; %bb.169:
	v_lshlrev_b64 v[28:29], 2, v[27:28]
	s_delay_alu instid0(VALU_DEP_1) | instskip(NEXT) | instid1(VALU_DEP_2)
	v_add_co_u32 v28, vcc_lo, v65, v28
	v_add_co_ci_u32_e32 v29, vcc_lo, v66, v29, vcc_lo
	global_store_b32 v[28:29], v52, off
.LBB926_170:
	s_or_b32 exec_lo, exec_lo, s0
	s_branch .LBB926_126
.LBB926_171:
	v_and_b32_e32 v2, 1, v61
	s_mov_b32 s0, exec_lo
	s_delay_alu instid0(VALU_DEP_1)
	v_cmpx_eq_u32_e32 1, v2
	s_cbranch_execz .LBB926_173
; %bb.172:
	v_sub_nc_u32_e32 v1, v1, v47
	s_delay_alu instid0(VALU_DEP_1)
	v_lshlrev_b32_e32 v1, 2, v1
	ds_store_b32 v1, v41
.LBB926_173:
	s_or_b32 exec_lo, exec_lo, s0
	v_and_b32_e32 v1, 1, v64
	s_mov_b32 s0, exec_lo
	s_delay_alu instid0(VALU_DEP_1)
	v_cmpx_eq_u32_e32 1, v1
	s_cbranch_execz .LBB926_175
; %bb.174:
	v_sub_nc_u32_e32 v1, v3, v47
	s_delay_alu instid0(VALU_DEP_1)
	v_lshlrev_b32_e32 v1, 2, v1
	ds_store_b32 v1, v42
.LBB926_175:
	s_or_b32 exec_lo, exec_lo, s0
	;; [unrolled: 12-line block ×14, first 2 shown]
	v_mov_b32_e32 v1, 0
	s_mov_b32 s1, exec_lo
	s_waitcnt lgkmcnt(0)
	s_waitcnt_vscnt null, 0x0
	s_barrier
	buffer_gl0_inv
	v_cmpx_gt_u64_e64 v[45:46], v[0:1]
	s_cbranch_execz .LBB926_202
; %bb.200:
	v_lshlrev_b64 v[2:3], 2, v[47:48]
	v_lshlrev_b64 v[4:5], 2, v[49:50]
	s_mov_b32 s6, 0
	s_delay_alu instid0(VALU_DEP_2) | instskip(NEXT) | instid1(VALU_DEP_3)
	v_add_co_u32 v6, vcc_lo, s12, v2
	v_add_co_ci_u32_e32 v7, vcc_lo, s13, v3, vcc_lo
	v_dual_mov_b32 v3, v1 :: v_dual_mov_b32 v2, v0
	s_delay_alu instid0(VALU_DEP_3) | instskip(NEXT) | instid1(VALU_DEP_3)
	v_add_co_u32 v4, vcc_lo, v6, v4
	v_add_co_ci_u32_e32 v5, vcc_lo, v7, v5, vcc_lo
	v_or_b32_e32 v0, 0x80, v0
	.p2align	6
.LBB926_201:                            ; =>This Inner Loop Header: Depth=1
	s_delay_alu instid0(VALU_DEP_4) | instskip(NEXT) | instid1(VALU_DEP_2)
	v_lshlrev_b32_e32 v6, 2, v2
	v_cmp_le_u64_e32 vcc_lo, v[45:46], v[0:1]
	ds_load_b32 v8, v6
	v_lshlrev_b64 v[6:7], 2, v[2:3]
	v_dual_mov_b32 v3, v1 :: v_dual_mov_b32 v2, v0
	v_add_nc_u32_e32 v0, 0x80, v0
	s_or_b32 s6, vcc_lo, s6
	s_delay_alu instid0(VALU_DEP_3) | instskip(NEXT) | instid1(VALU_DEP_1)
	v_add_co_u32 v6, s0, v4, v6
	v_add_co_ci_u32_e64 v7, s0, v5, v7, s0
	s_waitcnt lgkmcnt(0)
	global_store_b32 v[6:7], v8, off
	s_and_not1_b32 exec_lo, exec_lo, s6
	s_cbranch_execnz .LBB926_201
.LBB926_202:
	s_or_b32 exec_lo, exec_lo, s1
	s_and_b32 s0, s2, s3
	s_delay_alu instid0(SALU_CYCLE_1)
	s_and_saveexec_b32 s1, s0
	s_cbranch_execz .LBB926_127
.LBB926_203:
	v_add_co_u32 v0, vcc_lo, v47, v45
	v_add_co_ci_u32_e32 v1, vcc_lo, v48, v46, vcc_lo
	v_mov_b32_e32 v2, 0
	s_delay_alu instid0(VALU_DEP_3) | instskip(NEXT) | instid1(VALU_DEP_3)
	v_add_co_u32 v0, vcc_lo, v0, v49
	v_add_co_ci_u32_e32 v1, vcc_lo, v1, v50, vcc_lo
	global_store_b64 v2, v[0:1], s[4:5]
	s_nop 0
	s_sendmsg sendmsg(MSG_DEALLOC_VGPRS)
	s_endpgm
	.section	.rodata,"a",@progbits
	.p2align	6, 0x0
	.amdhsa_kernel _ZN7rocprim17ROCPRIM_400000_NS6detail17trampoline_kernelINS0_14default_configENS1_25partition_config_selectorILNS1_17partition_subalgoE6EiNS0_10empty_typeEbEEZZNS1_14partition_implILS5_6ELb0ES3_mN6thrust23THRUST_200600_302600_NS10device_ptrIiEEPS6_SD_NS0_5tupleIJSC_S6_EEENSE_IJSD_SD_EEES6_PlJ7is_evenIiEEEE10hipError_tPvRmT3_T4_T5_T6_T7_T9_mT8_P12ihipStream_tbDpT10_ENKUlT_T0_E_clISt17integral_constantIbLb0EES12_IbLb1EEEEDaSY_SZ_EUlSY_E_NS1_11comp_targetILNS1_3genE9ELNS1_11target_archE1100ELNS1_3gpuE3ELNS1_3repE0EEENS1_30default_config_static_selectorELNS0_4arch9wavefront6targetE0EEEvT1_
		.amdhsa_group_segment_fixed_size 7184
		.amdhsa_private_segment_fixed_size 0
		.amdhsa_kernarg_size 128
		.amdhsa_user_sgpr_count 15
		.amdhsa_user_sgpr_dispatch_ptr 0
		.amdhsa_user_sgpr_queue_ptr 0
		.amdhsa_user_sgpr_kernarg_segment_ptr 1
		.amdhsa_user_sgpr_dispatch_id 0
		.amdhsa_user_sgpr_private_segment_size 0
		.amdhsa_wavefront_size32 1
		.amdhsa_uses_dynamic_stack 0
		.amdhsa_enable_private_segment 0
		.amdhsa_system_sgpr_workgroup_id_x 1
		.amdhsa_system_sgpr_workgroup_id_y 0
		.amdhsa_system_sgpr_workgroup_id_z 0
		.amdhsa_system_sgpr_workgroup_info 0
		.amdhsa_system_vgpr_workitem_id 0
		.amdhsa_next_free_vgpr 76
		.amdhsa_next_free_sgpr 20
		.amdhsa_reserve_vcc 1
		.amdhsa_float_round_mode_32 0
		.amdhsa_float_round_mode_16_64 0
		.amdhsa_float_denorm_mode_32 3
		.amdhsa_float_denorm_mode_16_64 3
		.amdhsa_dx10_clamp 1
		.amdhsa_ieee_mode 1
		.amdhsa_fp16_overflow 0
		.amdhsa_workgroup_processor_mode 1
		.amdhsa_memory_ordered 1
		.amdhsa_forward_progress 0
		.amdhsa_shared_vgpr_count 0
		.amdhsa_exception_fp_ieee_invalid_op 0
		.amdhsa_exception_fp_denorm_src 0
		.amdhsa_exception_fp_ieee_div_zero 0
		.amdhsa_exception_fp_ieee_overflow 0
		.amdhsa_exception_fp_ieee_underflow 0
		.amdhsa_exception_fp_ieee_inexact 0
		.amdhsa_exception_int_div_zero 0
	.end_amdhsa_kernel
	.section	.text._ZN7rocprim17ROCPRIM_400000_NS6detail17trampoline_kernelINS0_14default_configENS1_25partition_config_selectorILNS1_17partition_subalgoE6EiNS0_10empty_typeEbEEZZNS1_14partition_implILS5_6ELb0ES3_mN6thrust23THRUST_200600_302600_NS10device_ptrIiEEPS6_SD_NS0_5tupleIJSC_S6_EEENSE_IJSD_SD_EEES6_PlJ7is_evenIiEEEE10hipError_tPvRmT3_T4_T5_T6_T7_T9_mT8_P12ihipStream_tbDpT10_ENKUlT_T0_E_clISt17integral_constantIbLb0EES12_IbLb1EEEEDaSY_SZ_EUlSY_E_NS1_11comp_targetILNS1_3genE9ELNS1_11target_archE1100ELNS1_3gpuE3ELNS1_3repE0EEENS1_30default_config_static_selectorELNS0_4arch9wavefront6targetE0EEEvT1_,"axG",@progbits,_ZN7rocprim17ROCPRIM_400000_NS6detail17trampoline_kernelINS0_14default_configENS1_25partition_config_selectorILNS1_17partition_subalgoE6EiNS0_10empty_typeEbEEZZNS1_14partition_implILS5_6ELb0ES3_mN6thrust23THRUST_200600_302600_NS10device_ptrIiEEPS6_SD_NS0_5tupleIJSC_S6_EEENSE_IJSD_SD_EEES6_PlJ7is_evenIiEEEE10hipError_tPvRmT3_T4_T5_T6_T7_T9_mT8_P12ihipStream_tbDpT10_ENKUlT_T0_E_clISt17integral_constantIbLb0EES12_IbLb1EEEEDaSY_SZ_EUlSY_E_NS1_11comp_targetILNS1_3genE9ELNS1_11target_archE1100ELNS1_3gpuE3ELNS1_3repE0EEENS1_30default_config_static_selectorELNS0_4arch9wavefront6targetE0EEEvT1_,comdat
.Lfunc_end926:
	.size	_ZN7rocprim17ROCPRIM_400000_NS6detail17trampoline_kernelINS0_14default_configENS1_25partition_config_selectorILNS1_17partition_subalgoE6EiNS0_10empty_typeEbEEZZNS1_14partition_implILS5_6ELb0ES3_mN6thrust23THRUST_200600_302600_NS10device_ptrIiEEPS6_SD_NS0_5tupleIJSC_S6_EEENSE_IJSD_SD_EEES6_PlJ7is_evenIiEEEE10hipError_tPvRmT3_T4_T5_T6_T7_T9_mT8_P12ihipStream_tbDpT10_ENKUlT_T0_E_clISt17integral_constantIbLb0EES12_IbLb1EEEEDaSY_SZ_EUlSY_E_NS1_11comp_targetILNS1_3genE9ELNS1_11target_archE1100ELNS1_3gpuE3ELNS1_3repE0EEENS1_30default_config_static_selectorELNS0_4arch9wavefront6targetE0EEEvT1_, .Lfunc_end926-_ZN7rocprim17ROCPRIM_400000_NS6detail17trampoline_kernelINS0_14default_configENS1_25partition_config_selectorILNS1_17partition_subalgoE6EiNS0_10empty_typeEbEEZZNS1_14partition_implILS5_6ELb0ES3_mN6thrust23THRUST_200600_302600_NS10device_ptrIiEEPS6_SD_NS0_5tupleIJSC_S6_EEENSE_IJSD_SD_EEES6_PlJ7is_evenIiEEEE10hipError_tPvRmT3_T4_T5_T6_T7_T9_mT8_P12ihipStream_tbDpT10_ENKUlT_T0_E_clISt17integral_constantIbLb0EES12_IbLb1EEEEDaSY_SZ_EUlSY_E_NS1_11comp_targetILNS1_3genE9ELNS1_11target_archE1100ELNS1_3gpuE3ELNS1_3repE0EEENS1_30default_config_static_selectorELNS0_4arch9wavefront6targetE0EEEvT1_
                                        ; -- End function
	.section	.AMDGPU.csdata,"",@progbits
; Kernel info:
; codeLenInByte = 8584
; NumSgprs: 22
; NumVgprs: 76
; ScratchSize: 0
; MemoryBound: 0
; FloatMode: 240
; IeeeMode: 1
; LDSByteSize: 7184 bytes/workgroup (compile time only)
; SGPRBlocks: 2
; VGPRBlocks: 9
; NumSGPRsForWavesPerEU: 22
; NumVGPRsForWavesPerEU: 76
; Occupancy: 16
; WaveLimiterHint : 1
; COMPUTE_PGM_RSRC2:SCRATCH_EN: 0
; COMPUTE_PGM_RSRC2:USER_SGPR: 15
; COMPUTE_PGM_RSRC2:TRAP_HANDLER: 0
; COMPUTE_PGM_RSRC2:TGID_X_EN: 1
; COMPUTE_PGM_RSRC2:TGID_Y_EN: 0
; COMPUTE_PGM_RSRC2:TGID_Z_EN: 0
; COMPUTE_PGM_RSRC2:TIDIG_COMP_CNT: 0
	.section	.text._ZN7rocprim17ROCPRIM_400000_NS6detail17trampoline_kernelINS0_14default_configENS1_25partition_config_selectorILNS1_17partition_subalgoE6EiNS0_10empty_typeEbEEZZNS1_14partition_implILS5_6ELb0ES3_mN6thrust23THRUST_200600_302600_NS10device_ptrIiEEPS6_SD_NS0_5tupleIJSC_S6_EEENSE_IJSD_SD_EEES6_PlJ7is_evenIiEEEE10hipError_tPvRmT3_T4_T5_T6_T7_T9_mT8_P12ihipStream_tbDpT10_ENKUlT_T0_E_clISt17integral_constantIbLb0EES12_IbLb1EEEEDaSY_SZ_EUlSY_E_NS1_11comp_targetILNS1_3genE8ELNS1_11target_archE1030ELNS1_3gpuE2ELNS1_3repE0EEENS1_30default_config_static_selectorELNS0_4arch9wavefront6targetE0EEEvT1_,"axG",@progbits,_ZN7rocprim17ROCPRIM_400000_NS6detail17trampoline_kernelINS0_14default_configENS1_25partition_config_selectorILNS1_17partition_subalgoE6EiNS0_10empty_typeEbEEZZNS1_14partition_implILS5_6ELb0ES3_mN6thrust23THRUST_200600_302600_NS10device_ptrIiEEPS6_SD_NS0_5tupleIJSC_S6_EEENSE_IJSD_SD_EEES6_PlJ7is_evenIiEEEE10hipError_tPvRmT3_T4_T5_T6_T7_T9_mT8_P12ihipStream_tbDpT10_ENKUlT_T0_E_clISt17integral_constantIbLb0EES12_IbLb1EEEEDaSY_SZ_EUlSY_E_NS1_11comp_targetILNS1_3genE8ELNS1_11target_archE1030ELNS1_3gpuE2ELNS1_3repE0EEENS1_30default_config_static_selectorELNS0_4arch9wavefront6targetE0EEEvT1_,comdat
	.protected	_ZN7rocprim17ROCPRIM_400000_NS6detail17trampoline_kernelINS0_14default_configENS1_25partition_config_selectorILNS1_17partition_subalgoE6EiNS0_10empty_typeEbEEZZNS1_14partition_implILS5_6ELb0ES3_mN6thrust23THRUST_200600_302600_NS10device_ptrIiEEPS6_SD_NS0_5tupleIJSC_S6_EEENSE_IJSD_SD_EEES6_PlJ7is_evenIiEEEE10hipError_tPvRmT3_T4_T5_T6_T7_T9_mT8_P12ihipStream_tbDpT10_ENKUlT_T0_E_clISt17integral_constantIbLb0EES12_IbLb1EEEEDaSY_SZ_EUlSY_E_NS1_11comp_targetILNS1_3genE8ELNS1_11target_archE1030ELNS1_3gpuE2ELNS1_3repE0EEENS1_30default_config_static_selectorELNS0_4arch9wavefront6targetE0EEEvT1_ ; -- Begin function _ZN7rocprim17ROCPRIM_400000_NS6detail17trampoline_kernelINS0_14default_configENS1_25partition_config_selectorILNS1_17partition_subalgoE6EiNS0_10empty_typeEbEEZZNS1_14partition_implILS5_6ELb0ES3_mN6thrust23THRUST_200600_302600_NS10device_ptrIiEEPS6_SD_NS0_5tupleIJSC_S6_EEENSE_IJSD_SD_EEES6_PlJ7is_evenIiEEEE10hipError_tPvRmT3_T4_T5_T6_T7_T9_mT8_P12ihipStream_tbDpT10_ENKUlT_T0_E_clISt17integral_constantIbLb0EES12_IbLb1EEEEDaSY_SZ_EUlSY_E_NS1_11comp_targetILNS1_3genE8ELNS1_11target_archE1030ELNS1_3gpuE2ELNS1_3repE0EEENS1_30default_config_static_selectorELNS0_4arch9wavefront6targetE0EEEvT1_
	.globl	_ZN7rocprim17ROCPRIM_400000_NS6detail17trampoline_kernelINS0_14default_configENS1_25partition_config_selectorILNS1_17partition_subalgoE6EiNS0_10empty_typeEbEEZZNS1_14partition_implILS5_6ELb0ES3_mN6thrust23THRUST_200600_302600_NS10device_ptrIiEEPS6_SD_NS0_5tupleIJSC_S6_EEENSE_IJSD_SD_EEES6_PlJ7is_evenIiEEEE10hipError_tPvRmT3_T4_T5_T6_T7_T9_mT8_P12ihipStream_tbDpT10_ENKUlT_T0_E_clISt17integral_constantIbLb0EES12_IbLb1EEEEDaSY_SZ_EUlSY_E_NS1_11comp_targetILNS1_3genE8ELNS1_11target_archE1030ELNS1_3gpuE2ELNS1_3repE0EEENS1_30default_config_static_selectorELNS0_4arch9wavefront6targetE0EEEvT1_
	.p2align	8
	.type	_ZN7rocprim17ROCPRIM_400000_NS6detail17trampoline_kernelINS0_14default_configENS1_25partition_config_selectorILNS1_17partition_subalgoE6EiNS0_10empty_typeEbEEZZNS1_14partition_implILS5_6ELb0ES3_mN6thrust23THRUST_200600_302600_NS10device_ptrIiEEPS6_SD_NS0_5tupleIJSC_S6_EEENSE_IJSD_SD_EEES6_PlJ7is_evenIiEEEE10hipError_tPvRmT3_T4_T5_T6_T7_T9_mT8_P12ihipStream_tbDpT10_ENKUlT_T0_E_clISt17integral_constantIbLb0EES12_IbLb1EEEEDaSY_SZ_EUlSY_E_NS1_11comp_targetILNS1_3genE8ELNS1_11target_archE1030ELNS1_3gpuE2ELNS1_3repE0EEENS1_30default_config_static_selectorELNS0_4arch9wavefront6targetE0EEEvT1_,@function
_ZN7rocprim17ROCPRIM_400000_NS6detail17trampoline_kernelINS0_14default_configENS1_25partition_config_selectorILNS1_17partition_subalgoE6EiNS0_10empty_typeEbEEZZNS1_14partition_implILS5_6ELb0ES3_mN6thrust23THRUST_200600_302600_NS10device_ptrIiEEPS6_SD_NS0_5tupleIJSC_S6_EEENSE_IJSD_SD_EEES6_PlJ7is_evenIiEEEE10hipError_tPvRmT3_T4_T5_T6_T7_T9_mT8_P12ihipStream_tbDpT10_ENKUlT_T0_E_clISt17integral_constantIbLb0EES12_IbLb1EEEEDaSY_SZ_EUlSY_E_NS1_11comp_targetILNS1_3genE8ELNS1_11target_archE1030ELNS1_3gpuE2ELNS1_3repE0EEENS1_30default_config_static_selectorELNS0_4arch9wavefront6targetE0EEEvT1_: ; @_ZN7rocprim17ROCPRIM_400000_NS6detail17trampoline_kernelINS0_14default_configENS1_25partition_config_selectorILNS1_17partition_subalgoE6EiNS0_10empty_typeEbEEZZNS1_14partition_implILS5_6ELb0ES3_mN6thrust23THRUST_200600_302600_NS10device_ptrIiEEPS6_SD_NS0_5tupleIJSC_S6_EEENSE_IJSD_SD_EEES6_PlJ7is_evenIiEEEE10hipError_tPvRmT3_T4_T5_T6_T7_T9_mT8_P12ihipStream_tbDpT10_ENKUlT_T0_E_clISt17integral_constantIbLb0EES12_IbLb1EEEEDaSY_SZ_EUlSY_E_NS1_11comp_targetILNS1_3genE8ELNS1_11target_archE1030ELNS1_3gpuE2ELNS1_3repE0EEENS1_30default_config_static_selectorELNS0_4arch9wavefront6targetE0EEEvT1_
; %bb.0:
	.section	.rodata,"a",@progbits
	.p2align	6, 0x0
	.amdhsa_kernel _ZN7rocprim17ROCPRIM_400000_NS6detail17trampoline_kernelINS0_14default_configENS1_25partition_config_selectorILNS1_17partition_subalgoE6EiNS0_10empty_typeEbEEZZNS1_14partition_implILS5_6ELb0ES3_mN6thrust23THRUST_200600_302600_NS10device_ptrIiEEPS6_SD_NS0_5tupleIJSC_S6_EEENSE_IJSD_SD_EEES6_PlJ7is_evenIiEEEE10hipError_tPvRmT3_T4_T5_T6_T7_T9_mT8_P12ihipStream_tbDpT10_ENKUlT_T0_E_clISt17integral_constantIbLb0EES12_IbLb1EEEEDaSY_SZ_EUlSY_E_NS1_11comp_targetILNS1_3genE8ELNS1_11target_archE1030ELNS1_3gpuE2ELNS1_3repE0EEENS1_30default_config_static_selectorELNS0_4arch9wavefront6targetE0EEEvT1_
		.amdhsa_group_segment_fixed_size 0
		.amdhsa_private_segment_fixed_size 0
		.amdhsa_kernarg_size 128
		.amdhsa_user_sgpr_count 15
		.amdhsa_user_sgpr_dispatch_ptr 0
		.amdhsa_user_sgpr_queue_ptr 0
		.amdhsa_user_sgpr_kernarg_segment_ptr 1
		.amdhsa_user_sgpr_dispatch_id 0
		.amdhsa_user_sgpr_private_segment_size 0
		.amdhsa_wavefront_size32 1
		.amdhsa_uses_dynamic_stack 0
		.amdhsa_enable_private_segment 0
		.amdhsa_system_sgpr_workgroup_id_x 1
		.amdhsa_system_sgpr_workgroup_id_y 0
		.amdhsa_system_sgpr_workgroup_id_z 0
		.amdhsa_system_sgpr_workgroup_info 0
		.amdhsa_system_vgpr_workitem_id 0
		.amdhsa_next_free_vgpr 1
		.amdhsa_next_free_sgpr 1
		.amdhsa_reserve_vcc 0
		.amdhsa_float_round_mode_32 0
		.amdhsa_float_round_mode_16_64 0
		.amdhsa_float_denorm_mode_32 3
		.amdhsa_float_denorm_mode_16_64 3
		.amdhsa_dx10_clamp 1
		.amdhsa_ieee_mode 1
		.amdhsa_fp16_overflow 0
		.amdhsa_workgroup_processor_mode 1
		.amdhsa_memory_ordered 1
		.amdhsa_forward_progress 0
		.amdhsa_shared_vgpr_count 0
		.amdhsa_exception_fp_ieee_invalid_op 0
		.amdhsa_exception_fp_denorm_src 0
		.amdhsa_exception_fp_ieee_div_zero 0
		.amdhsa_exception_fp_ieee_overflow 0
		.amdhsa_exception_fp_ieee_underflow 0
		.amdhsa_exception_fp_ieee_inexact 0
		.amdhsa_exception_int_div_zero 0
	.end_amdhsa_kernel
	.section	.text._ZN7rocprim17ROCPRIM_400000_NS6detail17trampoline_kernelINS0_14default_configENS1_25partition_config_selectorILNS1_17partition_subalgoE6EiNS0_10empty_typeEbEEZZNS1_14partition_implILS5_6ELb0ES3_mN6thrust23THRUST_200600_302600_NS10device_ptrIiEEPS6_SD_NS0_5tupleIJSC_S6_EEENSE_IJSD_SD_EEES6_PlJ7is_evenIiEEEE10hipError_tPvRmT3_T4_T5_T6_T7_T9_mT8_P12ihipStream_tbDpT10_ENKUlT_T0_E_clISt17integral_constantIbLb0EES12_IbLb1EEEEDaSY_SZ_EUlSY_E_NS1_11comp_targetILNS1_3genE8ELNS1_11target_archE1030ELNS1_3gpuE2ELNS1_3repE0EEENS1_30default_config_static_selectorELNS0_4arch9wavefront6targetE0EEEvT1_,"axG",@progbits,_ZN7rocprim17ROCPRIM_400000_NS6detail17trampoline_kernelINS0_14default_configENS1_25partition_config_selectorILNS1_17partition_subalgoE6EiNS0_10empty_typeEbEEZZNS1_14partition_implILS5_6ELb0ES3_mN6thrust23THRUST_200600_302600_NS10device_ptrIiEEPS6_SD_NS0_5tupleIJSC_S6_EEENSE_IJSD_SD_EEES6_PlJ7is_evenIiEEEE10hipError_tPvRmT3_T4_T5_T6_T7_T9_mT8_P12ihipStream_tbDpT10_ENKUlT_T0_E_clISt17integral_constantIbLb0EES12_IbLb1EEEEDaSY_SZ_EUlSY_E_NS1_11comp_targetILNS1_3genE8ELNS1_11target_archE1030ELNS1_3gpuE2ELNS1_3repE0EEENS1_30default_config_static_selectorELNS0_4arch9wavefront6targetE0EEEvT1_,comdat
.Lfunc_end927:
	.size	_ZN7rocprim17ROCPRIM_400000_NS6detail17trampoline_kernelINS0_14default_configENS1_25partition_config_selectorILNS1_17partition_subalgoE6EiNS0_10empty_typeEbEEZZNS1_14partition_implILS5_6ELb0ES3_mN6thrust23THRUST_200600_302600_NS10device_ptrIiEEPS6_SD_NS0_5tupleIJSC_S6_EEENSE_IJSD_SD_EEES6_PlJ7is_evenIiEEEE10hipError_tPvRmT3_T4_T5_T6_T7_T9_mT8_P12ihipStream_tbDpT10_ENKUlT_T0_E_clISt17integral_constantIbLb0EES12_IbLb1EEEEDaSY_SZ_EUlSY_E_NS1_11comp_targetILNS1_3genE8ELNS1_11target_archE1030ELNS1_3gpuE2ELNS1_3repE0EEENS1_30default_config_static_selectorELNS0_4arch9wavefront6targetE0EEEvT1_, .Lfunc_end927-_ZN7rocprim17ROCPRIM_400000_NS6detail17trampoline_kernelINS0_14default_configENS1_25partition_config_selectorILNS1_17partition_subalgoE6EiNS0_10empty_typeEbEEZZNS1_14partition_implILS5_6ELb0ES3_mN6thrust23THRUST_200600_302600_NS10device_ptrIiEEPS6_SD_NS0_5tupleIJSC_S6_EEENSE_IJSD_SD_EEES6_PlJ7is_evenIiEEEE10hipError_tPvRmT3_T4_T5_T6_T7_T9_mT8_P12ihipStream_tbDpT10_ENKUlT_T0_E_clISt17integral_constantIbLb0EES12_IbLb1EEEEDaSY_SZ_EUlSY_E_NS1_11comp_targetILNS1_3genE8ELNS1_11target_archE1030ELNS1_3gpuE2ELNS1_3repE0EEENS1_30default_config_static_selectorELNS0_4arch9wavefront6targetE0EEEvT1_
                                        ; -- End function
	.section	.AMDGPU.csdata,"",@progbits
; Kernel info:
; codeLenInByte = 0
; NumSgprs: 0
; NumVgprs: 0
; ScratchSize: 0
; MemoryBound: 0
; FloatMode: 240
; IeeeMode: 1
; LDSByteSize: 0 bytes/workgroup (compile time only)
; SGPRBlocks: 0
; VGPRBlocks: 0
; NumSGPRsForWavesPerEU: 1
; NumVGPRsForWavesPerEU: 1
; Occupancy: 16
; WaveLimiterHint : 0
; COMPUTE_PGM_RSRC2:SCRATCH_EN: 0
; COMPUTE_PGM_RSRC2:USER_SGPR: 15
; COMPUTE_PGM_RSRC2:TRAP_HANDLER: 0
; COMPUTE_PGM_RSRC2:TGID_X_EN: 1
; COMPUTE_PGM_RSRC2:TGID_Y_EN: 0
; COMPUTE_PGM_RSRC2:TGID_Z_EN: 0
; COMPUTE_PGM_RSRC2:TIDIG_COMP_CNT: 0
	.text
	.p2alignl 7, 3214868480
	.fill 96, 4, 3214868480
	.type	__hip_cuid_2c4099a0bebb8118,@object ; @__hip_cuid_2c4099a0bebb8118
	.section	.bss,"aw",@nobits
	.globl	__hip_cuid_2c4099a0bebb8118
__hip_cuid_2c4099a0bebb8118:
	.byte	0                               ; 0x0
	.size	__hip_cuid_2c4099a0bebb8118, 1

	.ident	"AMD clang version 19.0.0git (https://github.com/RadeonOpenCompute/llvm-project roc-6.4.0 25133 c7fe45cf4b819c5991fe208aaa96edf142730f1d)"
	.section	".note.GNU-stack","",@progbits
	.addrsig
	.addrsig_sym __hip_cuid_2c4099a0bebb8118
	.amdgpu_metadata
---
amdhsa.kernels:
  - .args:
      - .offset:         0
        .size:           4
        .value_kind:     by_value
      - .address_space:  global
        .offset:         8
        .size:           8
        .value_kind:     global_buffer
      - .address_space:  global
        .offset:         16
        .size:           8
        .value_kind:     global_buffer
    .group_segment_fixed_size: 0
    .kernarg_segment_align: 8
    .kernarg_segment_size: 24
    .language:       OpenCL C
    .language_version:
      - 2
      - 0
    .max_flat_workgroup_size: 256
    .name:           _Z10CopyKerneliPiS_
    .private_segment_fixed_size: 0
    .sgpr_count:     9
    .sgpr_spill_count: 0
    .symbol:         _Z10CopyKerneliPiS_.kd
    .uniform_work_group_size: 1
    .uses_dynamic_stack: false
    .vgpr_count:     2
    .vgpr_spill_count: 0
    .wavefront_size: 32
    .workgroup_processor_mode: 1
  - .args:
      - .offset:         0
        .size:           4
        .value_kind:     by_value
      - .address_space:  global
        .offset:         8
        .size:           8
        .value_kind:     global_buffer
      - .address_space:  global
        .offset:         16
        .size:           8
        .value_kind:     global_buffer
      - .address_space:  global
        .offset:         24
        .size:           8
        .value_kind:     global_buffer
    .group_segment_fixed_size: 0
    .kernarg_segment_align: 8
    .kernarg_segment_size: 32
    .language:       OpenCL C
    .language_version:
      - 2
      - 0
    .max_flat_workgroup_size: 256
    .name:           _Z12CopyIfKerneliPiS_S_
    .private_segment_fixed_size: 0
    .sgpr_count:     14
    .sgpr_spill_count: 0
    .symbol:         _Z12CopyIfKerneliPiS_S_.kd
    .uniform_work_group_size: 1
    .uses_dynamic_stack: false
    .vgpr_count:     3
    .vgpr_spill_count: 0
    .wavefront_size: 32
    .workgroup_processor_mode: 1
  - .args:
      - .offset:         0
        .size:           16
        .value_kind:     by_value
      - .offset:         16
        .size:           8
        .value_kind:     by_value
      - .offset:         24
        .size:           8
        .value_kind:     by_value
    .group_segment_fixed_size: 0
    .kernarg_segment_align: 8
    .kernarg_segment_size: 32
    .language:       OpenCL C
    .language_version:
      - 2
      - 0
    .max_flat_workgroup_size: 256
    .name:           _ZN6thrust23THRUST_200600_302600_NS11hip_rocprim14__parallel_for6kernelILj256ENS1_20__uninitialized_fill7functorINS0_10device_ptrIiEEiEEmLj1EEEvT0_T1_SA_
    .private_segment_fixed_size: 0
    .sgpr_count:     18
    .sgpr_spill_count: 0
    .symbol:         _ZN6thrust23THRUST_200600_302600_NS11hip_rocprim14__parallel_for6kernelILj256ENS1_20__uninitialized_fill7functorINS0_10device_ptrIiEEiEEmLj1EEEvT0_T1_SA_.kd
    .uniform_work_group_size: 1
    .uses_dynamic_stack: false
    .vgpr_count:     3
    .vgpr_spill_count: 0
    .wavefront_size: 32
    .workgroup_processor_mode: 1
  - .args:
      - .offset:         0
        .size:           32
        .value_kind:     by_value
      - .offset:         32
        .size:           8
        .value_kind:     by_value
      - .offset:         40
        .size:           8
        .value_kind:     by_value
    .group_segment_fixed_size: 0
    .kernarg_segment_align: 8
    .kernarg_segment_size: 48
    .language:       OpenCL C
    .language_version:
      - 2
      - 0
    .max_flat_workgroup_size: 256
    .name:           _ZN6thrust23THRUST_200600_302600_NS11hip_rocprim14__parallel_for6kernelILj256ENS1_11__transform17unary_transform_fINS0_6detail15normal_iteratorINS0_10device_ptrIiEEEENS0_16discard_iteratorINS0_11use_defaultEEENS4_14no_stencil_tagENS0_8identityIiEENS4_21always_true_predicateEEElLj1EEEvT0_T1_SK_
    .private_segment_fixed_size: 0
    .sgpr_count:     0
    .sgpr_spill_count: 0
    .symbol:         _ZN6thrust23THRUST_200600_302600_NS11hip_rocprim14__parallel_for6kernelILj256ENS1_11__transform17unary_transform_fINS0_6detail15normal_iteratorINS0_10device_ptrIiEEEENS0_16discard_iteratorINS0_11use_defaultEEENS4_14no_stencil_tagENS0_8identityIiEENS4_21always_true_predicateEEElLj1EEEvT0_T1_SK_.kd
    .uniform_work_group_size: 1
    .uses_dynamic_stack: false
    .vgpr_count:     0
    .vgpr_spill_count: 0
    .wavefront_size: 32
    .workgroup_processor_mode: 1
  - .args:
      - .offset:         0
        .size:           48
        .value_kind:     by_value
      - .offset:         48
        .size:           8
        .value_kind:     by_value
      - .offset:         56
        .size:           8
        .value_kind:     by_value
    .group_segment_fixed_size: 0
    .kernarg_segment_align: 8
    .kernarg_segment_size: 64
    .language:       OpenCL C
    .language_version:
      - 2
      - 0
    .max_flat_workgroup_size: 256
    .name:           _ZN6thrust23THRUST_200600_302600_NS11hip_rocprim14__parallel_for6kernelILj256ENS1_11__transform17unary_transform_fINS0_12zip_iteratorINS0_5tupleINS0_6detail15normal_iteratorINS0_10device_ptrIiEEEESC_NS0_9null_typeESD_SD_SD_SD_SD_SD_SD_EEEENS6_INS7_INS0_16discard_iteratorINS0_11use_defaultEEESC_SD_SD_SD_SD_SD_SD_SD_SD_EEEENS4_14no_stencil_tagENS0_8identityINS7_IiiSD_SD_SD_SD_SD_SD_SD_SD_EEEENS4_21always_true_predicateEEElLj1EEEvT0_T1_SS_
    .private_segment_fixed_size: 0
    .sgpr_count:     18
    .sgpr_spill_count: 0
    .symbol:         _ZN6thrust23THRUST_200600_302600_NS11hip_rocprim14__parallel_for6kernelILj256ENS1_11__transform17unary_transform_fINS0_12zip_iteratorINS0_5tupleINS0_6detail15normal_iteratorINS0_10device_ptrIiEEEESC_NS0_9null_typeESD_SD_SD_SD_SD_SD_SD_EEEENS6_INS7_INS0_16discard_iteratorINS0_11use_defaultEEESC_SD_SD_SD_SD_SD_SD_SD_SD_EEEENS4_14no_stencil_tagENS0_8identityINS7_IiiSD_SD_SD_SD_SD_SD_SD_SD_EEEENS4_21always_true_predicateEEElLj1EEEvT0_T1_SS_.kd
    .uniform_work_group_size: 1
    .uses_dynamic_stack: false
    .vgpr_count:     5
    .vgpr_spill_count: 0
    .wavefront_size: 32
    .workgroup_processor_mode: 1
  - .args:
      - .offset:         0
        .size:           72
        .value_kind:     by_value
    .group_segment_fixed_size: 0
    .kernarg_segment_align: 8
    .kernarg_segment_size: 72
    .language:       OpenCL C
    .language_version:
      - 2
      - 0
    .max_flat_workgroup_size: 128
    .name:           _ZN7rocprim17ROCPRIM_400000_NS6detail17trampoline_kernelINS0_14default_configENS1_22reduce_config_selectorIN6thrust23THRUST_200600_302600_NS5tupleIblNS6_9null_typeES8_S8_S8_S8_S8_S8_S8_EEEEZNS1_11reduce_implILb1ES3_PS9_SC_S9_NS6_11hip_rocprim9__find_if7functorIS9_EEEE10hipError_tPvRmT1_T2_T3_mT4_P12ihipStream_tbEUlT_E0_NS1_11comp_targetILNS1_3genE0ELNS1_11target_archE4294967295ELNS1_3gpuE0ELNS1_3repE0EEENS1_30default_config_static_selectorELNS0_4arch9wavefront6targetE0EEEvSK_
    .private_segment_fixed_size: 0
    .sgpr_count:     0
    .sgpr_spill_count: 0
    .symbol:         _ZN7rocprim17ROCPRIM_400000_NS6detail17trampoline_kernelINS0_14default_configENS1_22reduce_config_selectorIN6thrust23THRUST_200600_302600_NS5tupleIblNS6_9null_typeES8_S8_S8_S8_S8_S8_S8_EEEEZNS1_11reduce_implILb1ES3_PS9_SC_S9_NS6_11hip_rocprim9__find_if7functorIS9_EEEE10hipError_tPvRmT1_T2_T3_mT4_P12ihipStream_tbEUlT_E0_NS1_11comp_targetILNS1_3genE0ELNS1_11target_archE4294967295ELNS1_3gpuE0ELNS1_3repE0EEENS1_30default_config_static_selectorELNS0_4arch9wavefront6targetE0EEEvSK_.kd
    .uniform_work_group_size: 1
    .uses_dynamic_stack: false
    .vgpr_count:     0
    .vgpr_spill_count: 0
    .wavefront_size: 32
    .workgroup_processor_mode: 1
  - .args:
      - .offset:         0
        .size:           72
        .value_kind:     by_value
    .group_segment_fixed_size: 0
    .kernarg_segment_align: 8
    .kernarg_segment_size: 72
    .language:       OpenCL C
    .language_version:
      - 2
      - 0
    .max_flat_workgroup_size: 256
    .name:           _ZN7rocprim17ROCPRIM_400000_NS6detail17trampoline_kernelINS0_14default_configENS1_22reduce_config_selectorIN6thrust23THRUST_200600_302600_NS5tupleIblNS6_9null_typeES8_S8_S8_S8_S8_S8_S8_EEEEZNS1_11reduce_implILb1ES3_PS9_SC_S9_NS6_11hip_rocprim9__find_if7functorIS9_EEEE10hipError_tPvRmT1_T2_T3_mT4_P12ihipStream_tbEUlT_E0_NS1_11comp_targetILNS1_3genE5ELNS1_11target_archE942ELNS1_3gpuE9ELNS1_3repE0EEENS1_30default_config_static_selectorELNS0_4arch9wavefront6targetE0EEEvSK_
    .private_segment_fixed_size: 0
    .sgpr_count:     0
    .sgpr_spill_count: 0
    .symbol:         _ZN7rocprim17ROCPRIM_400000_NS6detail17trampoline_kernelINS0_14default_configENS1_22reduce_config_selectorIN6thrust23THRUST_200600_302600_NS5tupleIblNS6_9null_typeES8_S8_S8_S8_S8_S8_S8_EEEEZNS1_11reduce_implILb1ES3_PS9_SC_S9_NS6_11hip_rocprim9__find_if7functorIS9_EEEE10hipError_tPvRmT1_T2_T3_mT4_P12ihipStream_tbEUlT_E0_NS1_11comp_targetILNS1_3genE5ELNS1_11target_archE942ELNS1_3gpuE9ELNS1_3repE0EEENS1_30default_config_static_selectorELNS0_4arch9wavefront6targetE0EEEvSK_.kd
    .uniform_work_group_size: 1
    .uses_dynamic_stack: false
    .vgpr_count:     0
    .vgpr_spill_count: 0
    .wavefront_size: 32
    .workgroup_processor_mode: 1
  - .args:
      - .offset:         0
        .size:           72
        .value_kind:     by_value
    .group_segment_fixed_size: 0
    .kernarg_segment_align: 8
    .kernarg_segment_size: 72
    .language:       OpenCL C
    .language_version:
      - 2
      - 0
    .max_flat_workgroup_size: 256
    .name:           _ZN7rocprim17ROCPRIM_400000_NS6detail17trampoline_kernelINS0_14default_configENS1_22reduce_config_selectorIN6thrust23THRUST_200600_302600_NS5tupleIblNS6_9null_typeES8_S8_S8_S8_S8_S8_S8_EEEEZNS1_11reduce_implILb1ES3_PS9_SC_S9_NS6_11hip_rocprim9__find_if7functorIS9_EEEE10hipError_tPvRmT1_T2_T3_mT4_P12ihipStream_tbEUlT_E0_NS1_11comp_targetILNS1_3genE4ELNS1_11target_archE910ELNS1_3gpuE8ELNS1_3repE0EEENS1_30default_config_static_selectorELNS0_4arch9wavefront6targetE0EEEvSK_
    .private_segment_fixed_size: 0
    .sgpr_count:     0
    .sgpr_spill_count: 0
    .symbol:         _ZN7rocprim17ROCPRIM_400000_NS6detail17trampoline_kernelINS0_14default_configENS1_22reduce_config_selectorIN6thrust23THRUST_200600_302600_NS5tupleIblNS6_9null_typeES8_S8_S8_S8_S8_S8_S8_EEEEZNS1_11reduce_implILb1ES3_PS9_SC_S9_NS6_11hip_rocprim9__find_if7functorIS9_EEEE10hipError_tPvRmT1_T2_T3_mT4_P12ihipStream_tbEUlT_E0_NS1_11comp_targetILNS1_3genE4ELNS1_11target_archE910ELNS1_3gpuE8ELNS1_3repE0EEENS1_30default_config_static_selectorELNS0_4arch9wavefront6targetE0EEEvSK_.kd
    .uniform_work_group_size: 1
    .uses_dynamic_stack: false
    .vgpr_count:     0
    .vgpr_spill_count: 0
    .wavefront_size: 32
    .workgroup_processor_mode: 1
  - .args:
      - .offset:         0
        .size:           72
        .value_kind:     by_value
    .group_segment_fixed_size: 0
    .kernarg_segment_align: 8
    .kernarg_segment_size: 72
    .language:       OpenCL C
    .language_version:
      - 2
      - 0
    .max_flat_workgroup_size: 128
    .name:           _ZN7rocprim17ROCPRIM_400000_NS6detail17trampoline_kernelINS0_14default_configENS1_22reduce_config_selectorIN6thrust23THRUST_200600_302600_NS5tupleIblNS6_9null_typeES8_S8_S8_S8_S8_S8_S8_EEEEZNS1_11reduce_implILb1ES3_PS9_SC_S9_NS6_11hip_rocprim9__find_if7functorIS9_EEEE10hipError_tPvRmT1_T2_T3_mT4_P12ihipStream_tbEUlT_E0_NS1_11comp_targetILNS1_3genE3ELNS1_11target_archE908ELNS1_3gpuE7ELNS1_3repE0EEENS1_30default_config_static_selectorELNS0_4arch9wavefront6targetE0EEEvSK_
    .private_segment_fixed_size: 0
    .sgpr_count:     0
    .sgpr_spill_count: 0
    .symbol:         _ZN7rocprim17ROCPRIM_400000_NS6detail17trampoline_kernelINS0_14default_configENS1_22reduce_config_selectorIN6thrust23THRUST_200600_302600_NS5tupleIblNS6_9null_typeES8_S8_S8_S8_S8_S8_S8_EEEEZNS1_11reduce_implILb1ES3_PS9_SC_S9_NS6_11hip_rocprim9__find_if7functorIS9_EEEE10hipError_tPvRmT1_T2_T3_mT4_P12ihipStream_tbEUlT_E0_NS1_11comp_targetILNS1_3genE3ELNS1_11target_archE908ELNS1_3gpuE7ELNS1_3repE0EEENS1_30default_config_static_selectorELNS0_4arch9wavefront6targetE0EEEvSK_.kd
    .uniform_work_group_size: 1
    .uses_dynamic_stack: false
    .vgpr_count:     0
    .vgpr_spill_count: 0
    .wavefront_size: 32
    .workgroup_processor_mode: 1
  - .args:
      - .offset:         0
        .size:           72
        .value_kind:     by_value
    .group_segment_fixed_size: 0
    .kernarg_segment_align: 8
    .kernarg_segment_size: 72
    .language:       OpenCL C
    .language_version:
      - 2
      - 0
    .max_flat_workgroup_size: 128
    .name:           _ZN7rocprim17ROCPRIM_400000_NS6detail17trampoline_kernelINS0_14default_configENS1_22reduce_config_selectorIN6thrust23THRUST_200600_302600_NS5tupleIblNS6_9null_typeES8_S8_S8_S8_S8_S8_S8_EEEEZNS1_11reduce_implILb1ES3_PS9_SC_S9_NS6_11hip_rocprim9__find_if7functorIS9_EEEE10hipError_tPvRmT1_T2_T3_mT4_P12ihipStream_tbEUlT_E0_NS1_11comp_targetILNS1_3genE2ELNS1_11target_archE906ELNS1_3gpuE6ELNS1_3repE0EEENS1_30default_config_static_selectorELNS0_4arch9wavefront6targetE0EEEvSK_
    .private_segment_fixed_size: 0
    .sgpr_count:     0
    .sgpr_spill_count: 0
    .symbol:         _ZN7rocprim17ROCPRIM_400000_NS6detail17trampoline_kernelINS0_14default_configENS1_22reduce_config_selectorIN6thrust23THRUST_200600_302600_NS5tupleIblNS6_9null_typeES8_S8_S8_S8_S8_S8_S8_EEEEZNS1_11reduce_implILb1ES3_PS9_SC_S9_NS6_11hip_rocprim9__find_if7functorIS9_EEEE10hipError_tPvRmT1_T2_T3_mT4_P12ihipStream_tbEUlT_E0_NS1_11comp_targetILNS1_3genE2ELNS1_11target_archE906ELNS1_3gpuE6ELNS1_3repE0EEENS1_30default_config_static_selectorELNS0_4arch9wavefront6targetE0EEEvSK_.kd
    .uniform_work_group_size: 1
    .uses_dynamic_stack: false
    .vgpr_count:     0
    .vgpr_spill_count: 0
    .wavefront_size: 32
    .workgroup_processor_mode: 1
  - .args:
      - .offset:         0
        .size:           72
        .value_kind:     by_value
    .group_segment_fixed_size: 0
    .kernarg_segment_align: 8
    .kernarg_segment_size: 72
    .language:       OpenCL C
    .language_version:
      - 2
      - 0
    .max_flat_workgroup_size: 256
    .name:           _ZN7rocprim17ROCPRIM_400000_NS6detail17trampoline_kernelINS0_14default_configENS1_22reduce_config_selectorIN6thrust23THRUST_200600_302600_NS5tupleIblNS6_9null_typeES8_S8_S8_S8_S8_S8_S8_EEEEZNS1_11reduce_implILb1ES3_PS9_SC_S9_NS6_11hip_rocprim9__find_if7functorIS9_EEEE10hipError_tPvRmT1_T2_T3_mT4_P12ihipStream_tbEUlT_E0_NS1_11comp_targetILNS1_3genE10ELNS1_11target_archE1201ELNS1_3gpuE5ELNS1_3repE0EEENS1_30default_config_static_selectorELNS0_4arch9wavefront6targetE0EEEvSK_
    .private_segment_fixed_size: 0
    .sgpr_count:     0
    .sgpr_spill_count: 0
    .symbol:         _ZN7rocprim17ROCPRIM_400000_NS6detail17trampoline_kernelINS0_14default_configENS1_22reduce_config_selectorIN6thrust23THRUST_200600_302600_NS5tupleIblNS6_9null_typeES8_S8_S8_S8_S8_S8_S8_EEEEZNS1_11reduce_implILb1ES3_PS9_SC_S9_NS6_11hip_rocprim9__find_if7functorIS9_EEEE10hipError_tPvRmT1_T2_T3_mT4_P12ihipStream_tbEUlT_E0_NS1_11comp_targetILNS1_3genE10ELNS1_11target_archE1201ELNS1_3gpuE5ELNS1_3repE0EEENS1_30default_config_static_selectorELNS0_4arch9wavefront6targetE0EEEvSK_.kd
    .uniform_work_group_size: 1
    .uses_dynamic_stack: false
    .vgpr_count:     0
    .vgpr_spill_count: 0
    .wavefront_size: 32
    .workgroup_processor_mode: 1
  - .args:
      - .offset:         0
        .size:           72
        .value_kind:     by_value
    .group_segment_fixed_size: 0
    .kernarg_segment_align: 8
    .kernarg_segment_size: 72
    .language:       OpenCL C
    .language_version:
      - 2
      - 0
    .max_flat_workgroup_size: 256
    .name:           _ZN7rocprim17ROCPRIM_400000_NS6detail17trampoline_kernelINS0_14default_configENS1_22reduce_config_selectorIN6thrust23THRUST_200600_302600_NS5tupleIblNS6_9null_typeES8_S8_S8_S8_S8_S8_S8_EEEEZNS1_11reduce_implILb1ES3_PS9_SC_S9_NS6_11hip_rocprim9__find_if7functorIS9_EEEE10hipError_tPvRmT1_T2_T3_mT4_P12ihipStream_tbEUlT_E0_NS1_11comp_targetILNS1_3genE10ELNS1_11target_archE1200ELNS1_3gpuE4ELNS1_3repE0EEENS1_30default_config_static_selectorELNS0_4arch9wavefront6targetE0EEEvSK_
    .private_segment_fixed_size: 0
    .sgpr_count:     0
    .sgpr_spill_count: 0
    .symbol:         _ZN7rocprim17ROCPRIM_400000_NS6detail17trampoline_kernelINS0_14default_configENS1_22reduce_config_selectorIN6thrust23THRUST_200600_302600_NS5tupleIblNS6_9null_typeES8_S8_S8_S8_S8_S8_S8_EEEEZNS1_11reduce_implILb1ES3_PS9_SC_S9_NS6_11hip_rocprim9__find_if7functorIS9_EEEE10hipError_tPvRmT1_T2_T3_mT4_P12ihipStream_tbEUlT_E0_NS1_11comp_targetILNS1_3genE10ELNS1_11target_archE1200ELNS1_3gpuE4ELNS1_3repE0EEENS1_30default_config_static_selectorELNS0_4arch9wavefront6targetE0EEEvSK_.kd
    .uniform_work_group_size: 1
    .uses_dynamic_stack: false
    .vgpr_count:     0
    .vgpr_spill_count: 0
    .wavefront_size: 32
    .workgroup_processor_mode: 1
  - .args:
      - .offset:         0
        .size:           72
        .value_kind:     by_value
    .group_segment_fixed_size: 256
    .kernarg_segment_align: 8
    .kernarg_segment_size: 72
    .language:       OpenCL C
    .language_version:
      - 2
      - 0
    .max_flat_workgroup_size: 256
    .name:           _ZN7rocprim17ROCPRIM_400000_NS6detail17trampoline_kernelINS0_14default_configENS1_22reduce_config_selectorIN6thrust23THRUST_200600_302600_NS5tupleIblNS6_9null_typeES8_S8_S8_S8_S8_S8_S8_EEEEZNS1_11reduce_implILb1ES3_PS9_SC_S9_NS6_11hip_rocprim9__find_if7functorIS9_EEEE10hipError_tPvRmT1_T2_T3_mT4_P12ihipStream_tbEUlT_E0_NS1_11comp_targetILNS1_3genE9ELNS1_11target_archE1100ELNS1_3gpuE3ELNS1_3repE0EEENS1_30default_config_static_selectorELNS0_4arch9wavefront6targetE0EEEvSK_
    .private_segment_fixed_size: 0
    .sgpr_count:     22
    .sgpr_spill_count: 0
    .symbol:         _ZN7rocprim17ROCPRIM_400000_NS6detail17trampoline_kernelINS0_14default_configENS1_22reduce_config_selectorIN6thrust23THRUST_200600_302600_NS5tupleIblNS6_9null_typeES8_S8_S8_S8_S8_S8_S8_EEEEZNS1_11reduce_implILb1ES3_PS9_SC_S9_NS6_11hip_rocprim9__find_if7functorIS9_EEEE10hipError_tPvRmT1_T2_T3_mT4_P12ihipStream_tbEUlT_E0_NS1_11comp_targetILNS1_3genE9ELNS1_11target_archE1100ELNS1_3gpuE3ELNS1_3repE0EEENS1_30default_config_static_selectorELNS0_4arch9wavefront6targetE0EEEvSK_.kd
    .uniform_work_group_size: 1
    .uses_dynamic_stack: false
    .vgpr_count:     16
    .vgpr_spill_count: 0
    .wavefront_size: 32
    .workgroup_processor_mode: 1
  - .args:
      - .offset:         0
        .size:           72
        .value_kind:     by_value
    .group_segment_fixed_size: 0
    .kernarg_segment_align: 8
    .kernarg_segment_size: 72
    .language:       OpenCL C
    .language_version:
      - 2
      - 0
    .max_flat_workgroup_size: 256
    .name:           _ZN7rocprim17ROCPRIM_400000_NS6detail17trampoline_kernelINS0_14default_configENS1_22reduce_config_selectorIN6thrust23THRUST_200600_302600_NS5tupleIblNS6_9null_typeES8_S8_S8_S8_S8_S8_S8_EEEEZNS1_11reduce_implILb1ES3_PS9_SC_S9_NS6_11hip_rocprim9__find_if7functorIS9_EEEE10hipError_tPvRmT1_T2_T3_mT4_P12ihipStream_tbEUlT_E0_NS1_11comp_targetILNS1_3genE8ELNS1_11target_archE1030ELNS1_3gpuE2ELNS1_3repE0EEENS1_30default_config_static_selectorELNS0_4arch9wavefront6targetE0EEEvSK_
    .private_segment_fixed_size: 0
    .sgpr_count:     0
    .sgpr_spill_count: 0
    .symbol:         _ZN7rocprim17ROCPRIM_400000_NS6detail17trampoline_kernelINS0_14default_configENS1_22reduce_config_selectorIN6thrust23THRUST_200600_302600_NS5tupleIblNS6_9null_typeES8_S8_S8_S8_S8_S8_S8_EEEEZNS1_11reduce_implILb1ES3_PS9_SC_S9_NS6_11hip_rocprim9__find_if7functorIS9_EEEE10hipError_tPvRmT1_T2_T3_mT4_P12ihipStream_tbEUlT_E0_NS1_11comp_targetILNS1_3genE8ELNS1_11target_archE1030ELNS1_3gpuE2ELNS1_3repE0EEENS1_30default_config_static_selectorELNS0_4arch9wavefront6targetE0EEEvSK_.kd
    .uniform_work_group_size: 1
    .uses_dynamic_stack: false
    .vgpr_count:     0
    .vgpr_spill_count: 0
    .wavefront_size: 32
    .workgroup_processor_mode: 1
  - .args:
      - .offset:         0
        .size:           56
        .value_kind:     by_value
    .group_segment_fixed_size: 0
    .kernarg_segment_align: 8
    .kernarg_segment_size: 56
    .language:       OpenCL C
    .language_version:
      - 2
      - 0
    .max_flat_workgroup_size: 128
    .name:           _ZN7rocprim17ROCPRIM_400000_NS6detail17trampoline_kernelINS0_14default_configENS1_22reduce_config_selectorIN6thrust23THRUST_200600_302600_NS5tupleIblNS6_9null_typeES8_S8_S8_S8_S8_S8_S8_EEEEZNS1_11reduce_implILb1ES3_PS9_SC_S9_NS6_11hip_rocprim9__find_if7functorIS9_EEEE10hipError_tPvRmT1_T2_T3_mT4_P12ihipStream_tbEUlT_E1_NS1_11comp_targetILNS1_3genE0ELNS1_11target_archE4294967295ELNS1_3gpuE0ELNS1_3repE0EEENS1_30default_config_static_selectorELNS0_4arch9wavefront6targetE0EEEvSK_
    .private_segment_fixed_size: 0
    .sgpr_count:     0
    .sgpr_spill_count: 0
    .symbol:         _ZN7rocprim17ROCPRIM_400000_NS6detail17trampoline_kernelINS0_14default_configENS1_22reduce_config_selectorIN6thrust23THRUST_200600_302600_NS5tupleIblNS6_9null_typeES8_S8_S8_S8_S8_S8_S8_EEEEZNS1_11reduce_implILb1ES3_PS9_SC_S9_NS6_11hip_rocprim9__find_if7functorIS9_EEEE10hipError_tPvRmT1_T2_T3_mT4_P12ihipStream_tbEUlT_E1_NS1_11comp_targetILNS1_3genE0ELNS1_11target_archE4294967295ELNS1_3gpuE0ELNS1_3repE0EEENS1_30default_config_static_selectorELNS0_4arch9wavefront6targetE0EEEvSK_.kd
    .uniform_work_group_size: 1
    .uses_dynamic_stack: false
    .vgpr_count:     0
    .vgpr_spill_count: 0
    .wavefront_size: 32
    .workgroup_processor_mode: 1
  - .args:
      - .offset:         0
        .size:           56
        .value_kind:     by_value
    .group_segment_fixed_size: 0
    .kernarg_segment_align: 8
    .kernarg_segment_size: 56
    .language:       OpenCL C
    .language_version:
      - 2
      - 0
    .max_flat_workgroup_size: 256
    .name:           _ZN7rocprim17ROCPRIM_400000_NS6detail17trampoline_kernelINS0_14default_configENS1_22reduce_config_selectorIN6thrust23THRUST_200600_302600_NS5tupleIblNS6_9null_typeES8_S8_S8_S8_S8_S8_S8_EEEEZNS1_11reduce_implILb1ES3_PS9_SC_S9_NS6_11hip_rocprim9__find_if7functorIS9_EEEE10hipError_tPvRmT1_T2_T3_mT4_P12ihipStream_tbEUlT_E1_NS1_11comp_targetILNS1_3genE5ELNS1_11target_archE942ELNS1_3gpuE9ELNS1_3repE0EEENS1_30default_config_static_selectorELNS0_4arch9wavefront6targetE0EEEvSK_
    .private_segment_fixed_size: 0
    .sgpr_count:     0
    .sgpr_spill_count: 0
    .symbol:         _ZN7rocprim17ROCPRIM_400000_NS6detail17trampoline_kernelINS0_14default_configENS1_22reduce_config_selectorIN6thrust23THRUST_200600_302600_NS5tupleIblNS6_9null_typeES8_S8_S8_S8_S8_S8_S8_EEEEZNS1_11reduce_implILb1ES3_PS9_SC_S9_NS6_11hip_rocprim9__find_if7functorIS9_EEEE10hipError_tPvRmT1_T2_T3_mT4_P12ihipStream_tbEUlT_E1_NS1_11comp_targetILNS1_3genE5ELNS1_11target_archE942ELNS1_3gpuE9ELNS1_3repE0EEENS1_30default_config_static_selectorELNS0_4arch9wavefront6targetE0EEEvSK_.kd
    .uniform_work_group_size: 1
    .uses_dynamic_stack: false
    .vgpr_count:     0
    .vgpr_spill_count: 0
    .wavefront_size: 32
    .workgroup_processor_mode: 1
  - .args:
      - .offset:         0
        .size:           56
        .value_kind:     by_value
    .group_segment_fixed_size: 0
    .kernarg_segment_align: 8
    .kernarg_segment_size: 56
    .language:       OpenCL C
    .language_version:
      - 2
      - 0
    .max_flat_workgroup_size: 256
    .name:           _ZN7rocprim17ROCPRIM_400000_NS6detail17trampoline_kernelINS0_14default_configENS1_22reduce_config_selectorIN6thrust23THRUST_200600_302600_NS5tupleIblNS6_9null_typeES8_S8_S8_S8_S8_S8_S8_EEEEZNS1_11reduce_implILb1ES3_PS9_SC_S9_NS6_11hip_rocprim9__find_if7functorIS9_EEEE10hipError_tPvRmT1_T2_T3_mT4_P12ihipStream_tbEUlT_E1_NS1_11comp_targetILNS1_3genE4ELNS1_11target_archE910ELNS1_3gpuE8ELNS1_3repE0EEENS1_30default_config_static_selectorELNS0_4arch9wavefront6targetE0EEEvSK_
    .private_segment_fixed_size: 0
    .sgpr_count:     0
    .sgpr_spill_count: 0
    .symbol:         _ZN7rocprim17ROCPRIM_400000_NS6detail17trampoline_kernelINS0_14default_configENS1_22reduce_config_selectorIN6thrust23THRUST_200600_302600_NS5tupleIblNS6_9null_typeES8_S8_S8_S8_S8_S8_S8_EEEEZNS1_11reduce_implILb1ES3_PS9_SC_S9_NS6_11hip_rocprim9__find_if7functorIS9_EEEE10hipError_tPvRmT1_T2_T3_mT4_P12ihipStream_tbEUlT_E1_NS1_11comp_targetILNS1_3genE4ELNS1_11target_archE910ELNS1_3gpuE8ELNS1_3repE0EEENS1_30default_config_static_selectorELNS0_4arch9wavefront6targetE0EEEvSK_.kd
    .uniform_work_group_size: 1
    .uses_dynamic_stack: false
    .vgpr_count:     0
    .vgpr_spill_count: 0
    .wavefront_size: 32
    .workgroup_processor_mode: 1
  - .args:
      - .offset:         0
        .size:           56
        .value_kind:     by_value
    .group_segment_fixed_size: 0
    .kernarg_segment_align: 8
    .kernarg_segment_size: 56
    .language:       OpenCL C
    .language_version:
      - 2
      - 0
    .max_flat_workgroup_size: 128
    .name:           _ZN7rocprim17ROCPRIM_400000_NS6detail17trampoline_kernelINS0_14default_configENS1_22reduce_config_selectorIN6thrust23THRUST_200600_302600_NS5tupleIblNS6_9null_typeES8_S8_S8_S8_S8_S8_S8_EEEEZNS1_11reduce_implILb1ES3_PS9_SC_S9_NS6_11hip_rocprim9__find_if7functorIS9_EEEE10hipError_tPvRmT1_T2_T3_mT4_P12ihipStream_tbEUlT_E1_NS1_11comp_targetILNS1_3genE3ELNS1_11target_archE908ELNS1_3gpuE7ELNS1_3repE0EEENS1_30default_config_static_selectorELNS0_4arch9wavefront6targetE0EEEvSK_
    .private_segment_fixed_size: 0
    .sgpr_count:     0
    .sgpr_spill_count: 0
    .symbol:         _ZN7rocprim17ROCPRIM_400000_NS6detail17trampoline_kernelINS0_14default_configENS1_22reduce_config_selectorIN6thrust23THRUST_200600_302600_NS5tupleIblNS6_9null_typeES8_S8_S8_S8_S8_S8_S8_EEEEZNS1_11reduce_implILb1ES3_PS9_SC_S9_NS6_11hip_rocprim9__find_if7functorIS9_EEEE10hipError_tPvRmT1_T2_T3_mT4_P12ihipStream_tbEUlT_E1_NS1_11comp_targetILNS1_3genE3ELNS1_11target_archE908ELNS1_3gpuE7ELNS1_3repE0EEENS1_30default_config_static_selectorELNS0_4arch9wavefront6targetE0EEEvSK_.kd
    .uniform_work_group_size: 1
    .uses_dynamic_stack: false
    .vgpr_count:     0
    .vgpr_spill_count: 0
    .wavefront_size: 32
    .workgroup_processor_mode: 1
  - .args:
      - .offset:         0
        .size:           56
        .value_kind:     by_value
    .group_segment_fixed_size: 0
    .kernarg_segment_align: 8
    .kernarg_segment_size: 56
    .language:       OpenCL C
    .language_version:
      - 2
      - 0
    .max_flat_workgroup_size: 128
    .name:           _ZN7rocprim17ROCPRIM_400000_NS6detail17trampoline_kernelINS0_14default_configENS1_22reduce_config_selectorIN6thrust23THRUST_200600_302600_NS5tupleIblNS6_9null_typeES8_S8_S8_S8_S8_S8_S8_EEEEZNS1_11reduce_implILb1ES3_PS9_SC_S9_NS6_11hip_rocprim9__find_if7functorIS9_EEEE10hipError_tPvRmT1_T2_T3_mT4_P12ihipStream_tbEUlT_E1_NS1_11comp_targetILNS1_3genE2ELNS1_11target_archE906ELNS1_3gpuE6ELNS1_3repE0EEENS1_30default_config_static_selectorELNS0_4arch9wavefront6targetE0EEEvSK_
    .private_segment_fixed_size: 0
    .sgpr_count:     0
    .sgpr_spill_count: 0
    .symbol:         _ZN7rocprim17ROCPRIM_400000_NS6detail17trampoline_kernelINS0_14default_configENS1_22reduce_config_selectorIN6thrust23THRUST_200600_302600_NS5tupleIblNS6_9null_typeES8_S8_S8_S8_S8_S8_S8_EEEEZNS1_11reduce_implILb1ES3_PS9_SC_S9_NS6_11hip_rocprim9__find_if7functorIS9_EEEE10hipError_tPvRmT1_T2_T3_mT4_P12ihipStream_tbEUlT_E1_NS1_11comp_targetILNS1_3genE2ELNS1_11target_archE906ELNS1_3gpuE6ELNS1_3repE0EEENS1_30default_config_static_selectorELNS0_4arch9wavefront6targetE0EEEvSK_.kd
    .uniform_work_group_size: 1
    .uses_dynamic_stack: false
    .vgpr_count:     0
    .vgpr_spill_count: 0
    .wavefront_size: 32
    .workgroup_processor_mode: 1
  - .args:
      - .offset:         0
        .size:           56
        .value_kind:     by_value
    .group_segment_fixed_size: 0
    .kernarg_segment_align: 8
    .kernarg_segment_size: 56
    .language:       OpenCL C
    .language_version:
      - 2
      - 0
    .max_flat_workgroup_size: 256
    .name:           _ZN7rocprim17ROCPRIM_400000_NS6detail17trampoline_kernelINS0_14default_configENS1_22reduce_config_selectorIN6thrust23THRUST_200600_302600_NS5tupleIblNS6_9null_typeES8_S8_S8_S8_S8_S8_S8_EEEEZNS1_11reduce_implILb1ES3_PS9_SC_S9_NS6_11hip_rocprim9__find_if7functorIS9_EEEE10hipError_tPvRmT1_T2_T3_mT4_P12ihipStream_tbEUlT_E1_NS1_11comp_targetILNS1_3genE10ELNS1_11target_archE1201ELNS1_3gpuE5ELNS1_3repE0EEENS1_30default_config_static_selectorELNS0_4arch9wavefront6targetE0EEEvSK_
    .private_segment_fixed_size: 0
    .sgpr_count:     0
    .sgpr_spill_count: 0
    .symbol:         _ZN7rocprim17ROCPRIM_400000_NS6detail17trampoline_kernelINS0_14default_configENS1_22reduce_config_selectorIN6thrust23THRUST_200600_302600_NS5tupleIblNS6_9null_typeES8_S8_S8_S8_S8_S8_S8_EEEEZNS1_11reduce_implILb1ES3_PS9_SC_S9_NS6_11hip_rocprim9__find_if7functorIS9_EEEE10hipError_tPvRmT1_T2_T3_mT4_P12ihipStream_tbEUlT_E1_NS1_11comp_targetILNS1_3genE10ELNS1_11target_archE1201ELNS1_3gpuE5ELNS1_3repE0EEENS1_30default_config_static_selectorELNS0_4arch9wavefront6targetE0EEEvSK_.kd
    .uniform_work_group_size: 1
    .uses_dynamic_stack: false
    .vgpr_count:     0
    .vgpr_spill_count: 0
    .wavefront_size: 32
    .workgroup_processor_mode: 1
  - .args:
      - .offset:         0
        .size:           56
        .value_kind:     by_value
    .group_segment_fixed_size: 0
    .kernarg_segment_align: 8
    .kernarg_segment_size: 56
    .language:       OpenCL C
    .language_version:
      - 2
      - 0
    .max_flat_workgroup_size: 256
    .name:           _ZN7rocprim17ROCPRIM_400000_NS6detail17trampoline_kernelINS0_14default_configENS1_22reduce_config_selectorIN6thrust23THRUST_200600_302600_NS5tupleIblNS6_9null_typeES8_S8_S8_S8_S8_S8_S8_EEEEZNS1_11reduce_implILb1ES3_PS9_SC_S9_NS6_11hip_rocprim9__find_if7functorIS9_EEEE10hipError_tPvRmT1_T2_T3_mT4_P12ihipStream_tbEUlT_E1_NS1_11comp_targetILNS1_3genE10ELNS1_11target_archE1200ELNS1_3gpuE4ELNS1_3repE0EEENS1_30default_config_static_selectorELNS0_4arch9wavefront6targetE0EEEvSK_
    .private_segment_fixed_size: 0
    .sgpr_count:     0
    .sgpr_spill_count: 0
    .symbol:         _ZN7rocprim17ROCPRIM_400000_NS6detail17trampoline_kernelINS0_14default_configENS1_22reduce_config_selectorIN6thrust23THRUST_200600_302600_NS5tupleIblNS6_9null_typeES8_S8_S8_S8_S8_S8_S8_EEEEZNS1_11reduce_implILb1ES3_PS9_SC_S9_NS6_11hip_rocprim9__find_if7functorIS9_EEEE10hipError_tPvRmT1_T2_T3_mT4_P12ihipStream_tbEUlT_E1_NS1_11comp_targetILNS1_3genE10ELNS1_11target_archE1200ELNS1_3gpuE4ELNS1_3repE0EEENS1_30default_config_static_selectorELNS0_4arch9wavefront6targetE0EEEvSK_.kd
    .uniform_work_group_size: 1
    .uses_dynamic_stack: false
    .vgpr_count:     0
    .vgpr_spill_count: 0
    .wavefront_size: 32
    .workgroup_processor_mode: 1
  - .args:
      - .offset:         0
        .size:           56
        .value_kind:     by_value
    .group_segment_fixed_size: 640
    .kernarg_segment_align: 8
    .kernarg_segment_size: 56
    .language:       OpenCL C
    .language_version:
      - 2
      - 0
    .max_flat_workgroup_size: 256
    .name:           _ZN7rocprim17ROCPRIM_400000_NS6detail17trampoline_kernelINS0_14default_configENS1_22reduce_config_selectorIN6thrust23THRUST_200600_302600_NS5tupleIblNS6_9null_typeES8_S8_S8_S8_S8_S8_S8_EEEEZNS1_11reduce_implILb1ES3_PS9_SC_S9_NS6_11hip_rocprim9__find_if7functorIS9_EEEE10hipError_tPvRmT1_T2_T3_mT4_P12ihipStream_tbEUlT_E1_NS1_11comp_targetILNS1_3genE9ELNS1_11target_archE1100ELNS1_3gpuE3ELNS1_3repE0EEENS1_30default_config_static_selectorELNS0_4arch9wavefront6targetE0EEEvSK_
    .private_segment_fixed_size: 0
    .sgpr_count:     25
    .sgpr_spill_count: 0
    .symbol:         _ZN7rocprim17ROCPRIM_400000_NS6detail17trampoline_kernelINS0_14default_configENS1_22reduce_config_selectorIN6thrust23THRUST_200600_302600_NS5tupleIblNS6_9null_typeES8_S8_S8_S8_S8_S8_S8_EEEEZNS1_11reduce_implILb1ES3_PS9_SC_S9_NS6_11hip_rocprim9__find_if7functorIS9_EEEE10hipError_tPvRmT1_T2_T3_mT4_P12ihipStream_tbEUlT_E1_NS1_11comp_targetILNS1_3genE9ELNS1_11target_archE1100ELNS1_3gpuE3ELNS1_3repE0EEENS1_30default_config_static_selectorELNS0_4arch9wavefront6targetE0EEEvSK_.kd
    .uniform_work_group_size: 1
    .uses_dynamic_stack: false
    .vgpr_count:     30
    .vgpr_spill_count: 0
    .wavefront_size: 32
    .workgroup_processor_mode: 1
  - .args:
      - .offset:         0
        .size:           56
        .value_kind:     by_value
    .group_segment_fixed_size: 0
    .kernarg_segment_align: 8
    .kernarg_segment_size: 56
    .language:       OpenCL C
    .language_version:
      - 2
      - 0
    .max_flat_workgroup_size: 256
    .name:           _ZN7rocprim17ROCPRIM_400000_NS6detail17trampoline_kernelINS0_14default_configENS1_22reduce_config_selectorIN6thrust23THRUST_200600_302600_NS5tupleIblNS6_9null_typeES8_S8_S8_S8_S8_S8_S8_EEEEZNS1_11reduce_implILb1ES3_PS9_SC_S9_NS6_11hip_rocprim9__find_if7functorIS9_EEEE10hipError_tPvRmT1_T2_T3_mT4_P12ihipStream_tbEUlT_E1_NS1_11comp_targetILNS1_3genE8ELNS1_11target_archE1030ELNS1_3gpuE2ELNS1_3repE0EEENS1_30default_config_static_selectorELNS0_4arch9wavefront6targetE0EEEvSK_
    .private_segment_fixed_size: 0
    .sgpr_count:     0
    .sgpr_spill_count: 0
    .symbol:         _ZN7rocprim17ROCPRIM_400000_NS6detail17trampoline_kernelINS0_14default_configENS1_22reduce_config_selectorIN6thrust23THRUST_200600_302600_NS5tupleIblNS6_9null_typeES8_S8_S8_S8_S8_S8_S8_EEEEZNS1_11reduce_implILb1ES3_PS9_SC_S9_NS6_11hip_rocprim9__find_if7functorIS9_EEEE10hipError_tPvRmT1_T2_T3_mT4_P12ihipStream_tbEUlT_E1_NS1_11comp_targetILNS1_3genE8ELNS1_11target_archE1030ELNS1_3gpuE2ELNS1_3repE0EEENS1_30default_config_static_selectorELNS0_4arch9wavefront6targetE0EEEvSK_.kd
    .uniform_work_group_size: 1
    .uses_dynamic_stack: false
    .vgpr_count:     0
    .vgpr_spill_count: 0
    .wavefront_size: 32
    .workgroup_processor_mode: 1
  - .args:
      - .offset:         0
        .size:           104
        .value_kind:     by_value
    .group_segment_fixed_size: 0
    .kernarg_segment_align: 8
    .kernarg_segment_size: 104
    .language:       OpenCL C
    .language_version:
      - 2
      - 0
    .max_flat_workgroup_size: 128
    .name:           _ZN7rocprim17ROCPRIM_400000_NS6detail17trampoline_kernelINS0_14default_configENS1_22reduce_config_selectorIN6thrust23THRUST_200600_302600_NS5tupleIblNS6_9null_typeES8_S8_S8_S8_S8_S8_S8_EEEEZNS1_11reduce_implILb1ES3_NS6_12zip_iteratorINS7_INS6_11hip_rocprim26transform_input_iterator_tIbNSD_35transform_pair_of_input_iterators_tIbNS6_6detail15normal_iteratorINS6_10device_ptrIKiEEEESL_NS6_8equal_toIiEEEENSG_9not_fun_tINSD_8identityEEEEENSD_19counting_iterator_tIlEES8_S8_S8_S8_S8_S8_S8_S8_EEEEPS9_S9_NSD_9__find_if7functorIS9_EEEE10hipError_tPvRmT1_T2_T3_mT4_P12ihipStream_tbEUlT_E0_NS1_11comp_targetILNS1_3genE0ELNS1_11target_archE4294967295ELNS1_3gpuE0ELNS1_3repE0EEENS1_30default_config_static_selectorELNS0_4arch9wavefront6targetE0EEEvS14_
    .private_segment_fixed_size: 0
    .sgpr_count:     0
    .sgpr_spill_count: 0
    .symbol:         _ZN7rocprim17ROCPRIM_400000_NS6detail17trampoline_kernelINS0_14default_configENS1_22reduce_config_selectorIN6thrust23THRUST_200600_302600_NS5tupleIblNS6_9null_typeES8_S8_S8_S8_S8_S8_S8_EEEEZNS1_11reduce_implILb1ES3_NS6_12zip_iteratorINS7_INS6_11hip_rocprim26transform_input_iterator_tIbNSD_35transform_pair_of_input_iterators_tIbNS6_6detail15normal_iteratorINS6_10device_ptrIKiEEEESL_NS6_8equal_toIiEEEENSG_9not_fun_tINSD_8identityEEEEENSD_19counting_iterator_tIlEES8_S8_S8_S8_S8_S8_S8_S8_EEEEPS9_S9_NSD_9__find_if7functorIS9_EEEE10hipError_tPvRmT1_T2_T3_mT4_P12ihipStream_tbEUlT_E0_NS1_11comp_targetILNS1_3genE0ELNS1_11target_archE4294967295ELNS1_3gpuE0ELNS1_3repE0EEENS1_30default_config_static_selectorELNS0_4arch9wavefront6targetE0EEEvS14_.kd
    .uniform_work_group_size: 1
    .uses_dynamic_stack: false
    .vgpr_count:     0
    .vgpr_spill_count: 0
    .wavefront_size: 32
    .workgroup_processor_mode: 1
  - .args:
      - .offset:         0
        .size:           104
        .value_kind:     by_value
    .group_segment_fixed_size: 0
    .kernarg_segment_align: 8
    .kernarg_segment_size: 104
    .language:       OpenCL C
    .language_version:
      - 2
      - 0
    .max_flat_workgroup_size: 256
    .name:           _ZN7rocprim17ROCPRIM_400000_NS6detail17trampoline_kernelINS0_14default_configENS1_22reduce_config_selectorIN6thrust23THRUST_200600_302600_NS5tupleIblNS6_9null_typeES8_S8_S8_S8_S8_S8_S8_EEEEZNS1_11reduce_implILb1ES3_NS6_12zip_iteratorINS7_INS6_11hip_rocprim26transform_input_iterator_tIbNSD_35transform_pair_of_input_iterators_tIbNS6_6detail15normal_iteratorINS6_10device_ptrIKiEEEESL_NS6_8equal_toIiEEEENSG_9not_fun_tINSD_8identityEEEEENSD_19counting_iterator_tIlEES8_S8_S8_S8_S8_S8_S8_S8_EEEEPS9_S9_NSD_9__find_if7functorIS9_EEEE10hipError_tPvRmT1_T2_T3_mT4_P12ihipStream_tbEUlT_E0_NS1_11comp_targetILNS1_3genE5ELNS1_11target_archE942ELNS1_3gpuE9ELNS1_3repE0EEENS1_30default_config_static_selectorELNS0_4arch9wavefront6targetE0EEEvS14_
    .private_segment_fixed_size: 0
    .sgpr_count:     0
    .sgpr_spill_count: 0
    .symbol:         _ZN7rocprim17ROCPRIM_400000_NS6detail17trampoline_kernelINS0_14default_configENS1_22reduce_config_selectorIN6thrust23THRUST_200600_302600_NS5tupleIblNS6_9null_typeES8_S8_S8_S8_S8_S8_S8_EEEEZNS1_11reduce_implILb1ES3_NS6_12zip_iteratorINS7_INS6_11hip_rocprim26transform_input_iterator_tIbNSD_35transform_pair_of_input_iterators_tIbNS6_6detail15normal_iteratorINS6_10device_ptrIKiEEEESL_NS6_8equal_toIiEEEENSG_9not_fun_tINSD_8identityEEEEENSD_19counting_iterator_tIlEES8_S8_S8_S8_S8_S8_S8_S8_EEEEPS9_S9_NSD_9__find_if7functorIS9_EEEE10hipError_tPvRmT1_T2_T3_mT4_P12ihipStream_tbEUlT_E0_NS1_11comp_targetILNS1_3genE5ELNS1_11target_archE942ELNS1_3gpuE9ELNS1_3repE0EEENS1_30default_config_static_selectorELNS0_4arch9wavefront6targetE0EEEvS14_.kd
    .uniform_work_group_size: 1
    .uses_dynamic_stack: false
    .vgpr_count:     0
    .vgpr_spill_count: 0
    .wavefront_size: 32
    .workgroup_processor_mode: 1
  - .args:
      - .offset:         0
        .size:           104
        .value_kind:     by_value
    .group_segment_fixed_size: 0
    .kernarg_segment_align: 8
    .kernarg_segment_size: 104
    .language:       OpenCL C
    .language_version:
      - 2
      - 0
    .max_flat_workgroup_size: 256
    .name:           _ZN7rocprim17ROCPRIM_400000_NS6detail17trampoline_kernelINS0_14default_configENS1_22reduce_config_selectorIN6thrust23THRUST_200600_302600_NS5tupleIblNS6_9null_typeES8_S8_S8_S8_S8_S8_S8_EEEEZNS1_11reduce_implILb1ES3_NS6_12zip_iteratorINS7_INS6_11hip_rocprim26transform_input_iterator_tIbNSD_35transform_pair_of_input_iterators_tIbNS6_6detail15normal_iteratorINS6_10device_ptrIKiEEEESL_NS6_8equal_toIiEEEENSG_9not_fun_tINSD_8identityEEEEENSD_19counting_iterator_tIlEES8_S8_S8_S8_S8_S8_S8_S8_EEEEPS9_S9_NSD_9__find_if7functorIS9_EEEE10hipError_tPvRmT1_T2_T3_mT4_P12ihipStream_tbEUlT_E0_NS1_11comp_targetILNS1_3genE4ELNS1_11target_archE910ELNS1_3gpuE8ELNS1_3repE0EEENS1_30default_config_static_selectorELNS0_4arch9wavefront6targetE0EEEvS14_
    .private_segment_fixed_size: 0
    .sgpr_count:     0
    .sgpr_spill_count: 0
    .symbol:         _ZN7rocprim17ROCPRIM_400000_NS6detail17trampoline_kernelINS0_14default_configENS1_22reduce_config_selectorIN6thrust23THRUST_200600_302600_NS5tupleIblNS6_9null_typeES8_S8_S8_S8_S8_S8_S8_EEEEZNS1_11reduce_implILb1ES3_NS6_12zip_iteratorINS7_INS6_11hip_rocprim26transform_input_iterator_tIbNSD_35transform_pair_of_input_iterators_tIbNS6_6detail15normal_iteratorINS6_10device_ptrIKiEEEESL_NS6_8equal_toIiEEEENSG_9not_fun_tINSD_8identityEEEEENSD_19counting_iterator_tIlEES8_S8_S8_S8_S8_S8_S8_S8_EEEEPS9_S9_NSD_9__find_if7functorIS9_EEEE10hipError_tPvRmT1_T2_T3_mT4_P12ihipStream_tbEUlT_E0_NS1_11comp_targetILNS1_3genE4ELNS1_11target_archE910ELNS1_3gpuE8ELNS1_3repE0EEENS1_30default_config_static_selectorELNS0_4arch9wavefront6targetE0EEEvS14_.kd
    .uniform_work_group_size: 1
    .uses_dynamic_stack: false
    .vgpr_count:     0
    .vgpr_spill_count: 0
    .wavefront_size: 32
    .workgroup_processor_mode: 1
  - .args:
      - .offset:         0
        .size:           104
        .value_kind:     by_value
    .group_segment_fixed_size: 0
    .kernarg_segment_align: 8
    .kernarg_segment_size: 104
    .language:       OpenCL C
    .language_version:
      - 2
      - 0
    .max_flat_workgroup_size: 128
    .name:           _ZN7rocprim17ROCPRIM_400000_NS6detail17trampoline_kernelINS0_14default_configENS1_22reduce_config_selectorIN6thrust23THRUST_200600_302600_NS5tupleIblNS6_9null_typeES8_S8_S8_S8_S8_S8_S8_EEEEZNS1_11reduce_implILb1ES3_NS6_12zip_iteratorINS7_INS6_11hip_rocprim26transform_input_iterator_tIbNSD_35transform_pair_of_input_iterators_tIbNS6_6detail15normal_iteratorINS6_10device_ptrIKiEEEESL_NS6_8equal_toIiEEEENSG_9not_fun_tINSD_8identityEEEEENSD_19counting_iterator_tIlEES8_S8_S8_S8_S8_S8_S8_S8_EEEEPS9_S9_NSD_9__find_if7functorIS9_EEEE10hipError_tPvRmT1_T2_T3_mT4_P12ihipStream_tbEUlT_E0_NS1_11comp_targetILNS1_3genE3ELNS1_11target_archE908ELNS1_3gpuE7ELNS1_3repE0EEENS1_30default_config_static_selectorELNS0_4arch9wavefront6targetE0EEEvS14_
    .private_segment_fixed_size: 0
    .sgpr_count:     0
    .sgpr_spill_count: 0
    .symbol:         _ZN7rocprim17ROCPRIM_400000_NS6detail17trampoline_kernelINS0_14default_configENS1_22reduce_config_selectorIN6thrust23THRUST_200600_302600_NS5tupleIblNS6_9null_typeES8_S8_S8_S8_S8_S8_S8_EEEEZNS1_11reduce_implILb1ES3_NS6_12zip_iteratorINS7_INS6_11hip_rocprim26transform_input_iterator_tIbNSD_35transform_pair_of_input_iterators_tIbNS6_6detail15normal_iteratorINS6_10device_ptrIKiEEEESL_NS6_8equal_toIiEEEENSG_9not_fun_tINSD_8identityEEEEENSD_19counting_iterator_tIlEES8_S8_S8_S8_S8_S8_S8_S8_EEEEPS9_S9_NSD_9__find_if7functorIS9_EEEE10hipError_tPvRmT1_T2_T3_mT4_P12ihipStream_tbEUlT_E0_NS1_11comp_targetILNS1_3genE3ELNS1_11target_archE908ELNS1_3gpuE7ELNS1_3repE0EEENS1_30default_config_static_selectorELNS0_4arch9wavefront6targetE0EEEvS14_.kd
    .uniform_work_group_size: 1
    .uses_dynamic_stack: false
    .vgpr_count:     0
    .vgpr_spill_count: 0
    .wavefront_size: 32
    .workgroup_processor_mode: 1
  - .args:
      - .offset:         0
        .size:           104
        .value_kind:     by_value
    .group_segment_fixed_size: 0
    .kernarg_segment_align: 8
    .kernarg_segment_size: 104
    .language:       OpenCL C
    .language_version:
      - 2
      - 0
    .max_flat_workgroup_size: 128
    .name:           _ZN7rocprim17ROCPRIM_400000_NS6detail17trampoline_kernelINS0_14default_configENS1_22reduce_config_selectorIN6thrust23THRUST_200600_302600_NS5tupleIblNS6_9null_typeES8_S8_S8_S8_S8_S8_S8_EEEEZNS1_11reduce_implILb1ES3_NS6_12zip_iteratorINS7_INS6_11hip_rocprim26transform_input_iterator_tIbNSD_35transform_pair_of_input_iterators_tIbNS6_6detail15normal_iteratorINS6_10device_ptrIKiEEEESL_NS6_8equal_toIiEEEENSG_9not_fun_tINSD_8identityEEEEENSD_19counting_iterator_tIlEES8_S8_S8_S8_S8_S8_S8_S8_EEEEPS9_S9_NSD_9__find_if7functorIS9_EEEE10hipError_tPvRmT1_T2_T3_mT4_P12ihipStream_tbEUlT_E0_NS1_11comp_targetILNS1_3genE2ELNS1_11target_archE906ELNS1_3gpuE6ELNS1_3repE0EEENS1_30default_config_static_selectorELNS0_4arch9wavefront6targetE0EEEvS14_
    .private_segment_fixed_size: 0
    .sgpr_count:     0
    .sgpr_spill_count: 0
    .symbol:         _ZN7rocprim17ROCPRIM_400000_NS6detail17trampoline_kernelINS0_14default_configENS1_22reduce_config_selectorIN6thrust23THRUST_200600_302600_NS5tupleIblNS6_9null_typeES8_S8_S8_S8_S8_S8_S8_EEEEZNS1_11reduce_implILb1ES3_NS6_12zip_iteratorINS7_INS6_11hip_rocprim26transform_input_iterator_tIbNSD_35transform_pair_of_input_iterators_tIbNS6_6detail15normal_iteratorINS6_10device_ptrIKiEEEESL_NS6_8equal_toIiEEEENSG_9not_fun_tINSD_8identityEEEEENSD_19counting_iterator_tIlEES8_S8_S8_S8_S8_S8_S8_S8_EEEEPS9_S9_NSD_9__find_if7functorIS9_EEEE10hipError_tPvRmT1_T2_T3_mT4_P12ihipStream_tbEUlT_E0_NS1_11comp_targetILNS1_3genE2ELNS1_11target_archE906ELNS1_3gpuE6ELNS1_3repE0EEENS1_30default_config_static_selectorELNS0_4arch9wavefront6targetE0EEEvS14_.kd
    .uniform_work_group_size: 1
    .uses_dynamic_stack: false
    .vgpr_count:     0
    .vgpr_spill_count: 0
    .wavefront_size: 32
    .workgroup_processor_mode: 1
  - .args:
      - .offset:         0
        .size:           104
        .value_kind:     by_value
    .group_segment_fixed_size: 0
    .kernarg_segment_align: 8
    .kernarg_segment_size: 104
    .language:       OpenCL C
    .language_version:
      - 2
      - 0
    .max_flat_workgroup_size: 256
    .name:           _ZN7rocprim17ROCPRIM_400000_NS6detail17trampoline_kernelINS0_14default_configENS1_22reduce_config_selectorIN6thrust23THRUST_200600_302600_NS5tupleIblNS6_9null_typeES8_S8_S8_S8_S8_S8_S8_EEEEZNS1_11reduce_implILb1ES3_NS6_12zip_iteratorINS7_INS6_11hip_rocprim26transform_input_iterator_tIbNSD_35transform_pair_of_input_iterators_tIbNS6_6detail15normal_iteratorINS6_10device_ptrIKiEEEESL_NS6_8equal_toIiEEEENSG_9not_fun_tINSD_8identityEEEEENSD_19counting_iterator_tIlEES8_S8_S8_S8_S8_S8_S8_S8_EEEEPS9_S9_NSD_9__find_if7functorIS9_EEEE10hipError_tPvRmT1_T2_T3_mT4_P12ihipStream_tbEUlT_E0_NS1_11comp_targetILNS1_3genE10ELNS1_11target_archE1201ELNS1_3gpuE5ELNS1_3repE0EEENS1_30default_config_static_selectorELNS0_4arch9wavefront6targetE0EEEvS14_
    .private_segment_fixed_size: 0
    .sgpr_count:     0
    .sgpr_spill_count: 0
    .symbol:         _ZN7rocprim17ROCPRIM_400000_NS6detail17trampoline_kernelINS0_14default_configENS1_22reduce_config_selectorIN6thrust23THRUST_200600_302600_NS5tupleIblNS6_9null_typeES8_S8_S8_S8_S8_S8_S8_EEEEZNS1_11reduce_implILb1ES3_NS6_12zip_iteratorINS7_INS6_11hip_rocprim26transform_input_iterator_tIbNSD_35transform_pair_of_input_iterators_tIbNS6_6detail15normal_iteratorINS6_10device_ptrIKiEEEESL_NS6_8equal_toIiEEEENSG_9not_fun_tINSD_8identityEEEEENSD_19counting_iterator_tIlEES8_S8_S8_S8_S8_S8_S8_S8_EEEEPS9_S9_NSD_9__find_if7functorIS9_EEEE10hipError_tPvRmT1_T2_T3_mT4_P12ihipStream_tbEUlT_E0_NS1_11comp_targetILNS1_3genE10ELNS1_11target_archE1201ELNS1_3gpuE5ELNS1_3repE0EEENS1_30default_config_static_selectorELNS0_4arch9wavefront6targetE0EEEvS14_.kd
    .uniform_work_group_size: 1
    .uses_dynamic_stack: false
    .vgpr_count:     0
    .vgpr_spill_count: 0
    .wavefront_size: 32
    .workgroup_processor_mode: 1
  - .args:
      - .offset:         0
        .size:           104
        .value_kind:     by_value
    .group_segment_fixed_size: 0
    .kernarg_segment_align: 8
    .kernarg_segment_size: 104
    .language:       OpenCL C
    .language_version:
      - 2
      - 0
    .max_flat_workgroup_size: 256
    .name:           _ZN7rocprim17ROCPRIM_400000_NS6detail17trampoline_kernelINS0_14default_configENS1_22reduce_config_selectorIN6thrust23THRUST_200600_302600_NS5tupleIblNS6_9null_typeES8_S8_S8_S8_S8_S8_S8_EEEEZNS1_11reduce_implILb1ES3_NS6_12zip_iteratorINS7_INS6_11hip_rocprim26transform_input_iterator_tIbNSD_35transform_pair_of_input_iterators_tIbNS6_6detail15normal_iteratorINS6_10device_ptrIKiEEEESL_NS6_8equal_toIiEEEENSG_9not_fun_tINSD_8identityEEEEENSD_19counting_iterator_tIlEES8_S8_S8_S8_S8_S8_S8_S8_EEEEPS9_S9_NSD_9__find_if7functorIS9_EEEE10hipError_tPvRmT1_T2_T3_mT4_P12ihipStream_tbEUlT_E0_NS1_11comp_targetILNS1_3genE10ELNS1_11target_archE1200ELNS1_3gpuE4ELNS1_3repE0EEENS1_30default_config_static_selectorELNS0_4arch9wavefront6targetE0EEEvS14_
    .private_segment_fixed_size: 0
    .sgpr_count:     0
    .sgpr_spill_count: 0
    .symbol:         _ZN7rocprim17ROCPRIM_400000_NS6detail17trampoline_kernelINS0_14default_configENS1_22reduce_config_selectorIN6thrust23THRUST_200600_302600_NS5tupleIblNS6_9null_typeES8_S8_S8_S8_S8_S8_S8_EEEEZNS1_11reduce_implILb1ES3_NS6_12zip_iteratorINS7_INS6_11hip_rocprim26transform_input_iterator_tIbNSD_35transform_pair_of_input_iterators_tIbNS6_6detail15normal_iteratorINS6_10device_ptrIKiEEEESL_NS6_8equal_toIiEEEENSG_9not_fun_tINSD_8identityEEEEENSD_19counting_iterator_tIlEES8_S8_S8_S8_S8_S8_S8_S8_EEEEPS9_S9_NSD_9__find_if7functorIS9_EEEE10hipError_tPvRmT1_T2_T3_mT4_P12ihipStream_tbEUlT_E0_NS1_11comp_targetILNS1_3genE10ELNS1_11target_archE1200ELNS1_3gpuE4ELNS1_3repE0EEENS1_30default_config_static_selectorELNS0_4arch9wavefront6targetE0EEEvS14_.kd
    .uniform_work_group_size: 1
    .uses_dynamic_stack: false
    .vgpr_count:     0
    .vgpr_spill_count: 0
    .wavefront_size: 32
    .workgroup_processor_mode: 1
  - .args:
      - .offset:         0
        .size:           104
        .value_kind:     by_value
    .group_segment_fixed_size: 256
    .kernarg_segment_align: 8
    .kernarg_segment_size: 104
    .language:       OpenCL C
    .language_version:
      - 2
      - 0
    .max_flat_workgroup_size: 256
    .name:           _ZN7rocprim17ROCPRIM_400000_NS6detail17trampoline_kernelINS0_14default_configENS1_22reduce_config_selectorIN6thrust23THRUST_200600_302600_NS5tupleIblNS6_9null_typeES8_S8_S8_S8_S8_S8_S8_EEEEZNS1_11reduce_implILb1ES3_NS6_12zip_iteratorINS7_INS6_11hip_rocprim26transform_input_iterator_tIbNSD_35transform_pair_of_input_iterators_tIbNS6_6detail15normal_iteratorINS6_10device_ptrIKiEEEESL_NS6_8equal_toIiEEEENSG_9not_fun_tINSD_8identityEEEEENSD_19counting_iterator_tIlEES8_S8_S8_S8_S8_S8_S8_S8_EEEEPS9_S9_NSD_9__find_if7functorIS9_EEEE10hipError_tPvRmT1_T2_T3_mT4_P12ihipStream_tbEUlT_E0_NS1_11comp_targetILNS1_3genE9ELNS1_11target_archE1100ELNS1_3gpuE3ELNS1_3repE0EEENS1_30default_config_static_selectorELNS0_4arch9wavefront6targetE0EEEvS14_
    .private_segment_fixed_size: 0
    .sgpr_count:     30
    .sgpr_spill_count: 0
    .symbol:         _ZN7rocprim17ROCPRIM_400000_NS6detail17trampoline_kernelINS0_14default_configENS1_22reduce_config_selectorIN6thrust23THRUST_200600_302600_NS5tupleIblNS6_9null_typeES8_S8_S8_S8_S8_S8_S8_EEEEZNS1_11reduce_implILb1ES3_NS6_12zip_iteratorINS7_INS6_11hip_rocprim26transform_input_iterator_tIbNSD_35transform_pair_of_input_iterators_tIbNS6_6detail15normal_iteratorINS6_10device_ptrIKiEEEESL_NS6_8equal_toIiEEEENSG_9not_fun_tINSD_8identityEEEEENSD_19counting_iterator_tIlEES8_S8_S8_S8_S8_S8_S8_S8_EEEEPS9_S9_NSD_9__find_if7functorIS9_EEEE10hipError_tPvRmT1_T2_T3_mT4_P12ihipStream_tbEUlT_E0_NS1_11comp_targetILNS1_3genE9ELNS1_11target_archE1100ELNS1_3gpuE3ELNS1_3repE0EEENS1_30default_config_static_selectorELNS0_4arch9wavefront6targetE0EEEvS14_.kd
    .uniform_work_group_size: 1
    .uses_dynamic_stack: false
    .vgpr_count:     16
    .vgpr_spill_count: 0
    .wavefront_size: 32
    .workgroup_processor_mode: 1
  - .args:
      - .offset:         0
        .size:           104
        .value_kind:     by_value
    .group_segment_fixed_size: 0
    .kernarg_segment_align: 8
    .kernarg_segment_size: 104
    .language:       OpenCL C
    .language_version:
      - 2
      - 0
    .max_flat_workgroup_size: 256
    .name:           _ZN7rocprim17ROCPRIM_400000_NS6detail17trampoline_kernelINS0_14default_configENS1_22reduce_config_selectorIN6thrust23THRUST_200600_302600_NS5tupleIblNS6_9null_typeES8_S8_S8_S8_S8_S8_S8_EEEEZNS1_11reduce_implILb1ES3_NS6_12zip_iteratorINS7_INS6_11hip_rocprim26transform_input_iterator_tIbNSD_35transform_pair_of_input_iterators_tIbNS6_6detail15normal_iteratorINS6_10device_ptrIKiEEEESL_NS6_8equal_toIiEEEENSG_9not_fun_tINSD_8identityEEEEENSD_19counting_iterator_tIlEES8_S8_S8_S8_S8_S8_S8_S8_EEEEPS9_S9_NSD_9__find_if7functorIS9_EEEE10hipError_tPvRmT1_T2_T3_mT4_P12ihipStream_tbEUlT_E0_NS1_11comp_targetILNS1_3genE8ELNS1_11target_archE1030ELNS1_3gpuE2ELNS1_3repE0EEENS1_30default_config_static_selectorELNS0_4arch9wavefront6targetE0EEEvS14_
    .private_segment_fixed_size: 0
    .sgpr_count:     0
    .sgpr_spill_count: 0
    .symbol:         _ZN7rocprim17ROCPRIM_400000_NS6detail17trampoline_kernelINS0_14default_configENS1_22reduce_config_selectorIN6thrust23THRUST_200600_302600_NS5tupleIblNS6_9null_typeES8_S8_S8_S8_S8_S8_S8_EEEEZNS1_11reduce_implILb1ES3_NS6_12zip_iteratorINS7_INS6_11hip_rocprim26transform_input_iterator_tIbNSD_35transform_pair_of_input_iterators_tIbNS6_6detail15normal_iteratorINS6_10device_ptrIKiEEEESL_NS6_8equal_toIiEEEENSG_9not_fun_tINSD_8identityEEEEENSD_19counting_iterator_tIlEES8_S8_S8_S8_S8_S8_S8_S8_EEEEPS9_S9_NSD_9__find_if7functorIS9_EEEE10hipError_tPvRmT1_T2_T3_mT4_P12ihipStream_tbEUlT_E0_NS1_11comp_targetILNS1_3genE8ELNS1_11target_archE1030ELNS1_3gpuE2ELNS1_3repE0EEENS1_30default_config_static_selectorELNS0_4arch9wavefront6targetE0EEEvS14_.kd
    .uniform_work_group_size: 1
    .uses_dynamic_stack: false
    .vgpr_count:     0
    .vgpr_spill_count: 0
    .wavefront_size: 32
    .workgroup_processor_mode: 1
  - .args:
      - .offset:         0
        .size:           88
        .value_kind:     by_value
    .group_segment_fixed_size: 0
    .kernarg_segment_align: 8
    .kernarg_segment_size: 88
    .language:       OpenCL C
    .language_version:
      - 2
      - 0
    .max_flat_workgroup_size: 128
    .name:           _ZN7rocprim17ROCPRIM_400000_NS6detail17trampoline_kernelINS0_14default_configENS1_22reduce_config_selectorIN6thrust23THRUST_200600_302600_NS5tupleIblNS6_9null_typeES8_S8_S8_S8_S8_S8_S8_EEEEZNS1_11reduce_implILb1ES3_NS6_12zip_iteratorINS7_INS6_11hip_rocprim26transform_input_iterator_tIbNSD_35transform_pair_of_input_iterators_tIbNS6_6detail15normal_iteratorINS6_10device_ptrIKiEEEESL_NS6_8equal_toIiEEEENSG_9not_fun_tINSD_8identityEEEEENSD_19counting_iterator_tIlEES8_S8_S8_S8_S8_S8_S8_S8_EEEEPS9_S9_NSD_9__find_if7functorIS9_EEEE10hipError_tPvRmT1_T2_T3_mT4_P12ihipStream_tbEUlT_E1_NS1_11comp_targetILNS1_3genE0ELNS1_11target_archE4294967295ELNS1_3gpuE0ELNS1_3repE0EEENS1_30default_config_static_selectorELNS0_4arch9wavefront6targetE0EEEvS14_
    .private_segment_fixed_size: 0
    .sgpr_count:     0
    .sgpr_spill_count: 0
    .symbol:         _ZN7rocprim17ROCPRIM_400000_NS6detail17trampoline_kernelINS0_14default_configENS1_22reduce_config_selectorIN6thrust23THRUST_200600_302600_NS5tupleIblNS6_9null_typeES8_S8_S8_S8_S8_S8_S8_EEEEZNS1_11reduce_implILb1ES3_NS6_12zip_iteratorINS7_INS6_11hip_rocprim26transform_input_iterator_tIbNSD_35transform_pair_of_input_iterators_tIbNS6_6detail15normal_iteratorINS6_10device_ptrIKiEEEESL_NS6_8equal_toIiEEEENSG_9not_fun_tINSD_8identityEEEEENSD_19counting_iterator_tIlEES8_S8_S8_S8_S8_S8_S8_S8_EEEEPS9_S9_NSD_9__find_if7functorIS9_EEEE10hipError_tPvRmT1_T2_T3_mT4_P12ihipStream_tbEUlT_E1_NS1_11comp_targetILNS1_3genE0ELNS1_11target_archE4294967295ELNS1_3gpuE0ELNS1_3repE0EEENS1_30default_config_static_selectorELNS0_4arch9wavefront6targetE0EEEvS14_.kd
    .uniform_work_group_size: 1
    .uses_dynamic_stack: false
    .vgpr_count:     0
    .vgpr_spill_count: 0
    .wavefront_size: 32
    .workgroup_processor_mode: 1
  - .args:
      - .offset:         0
        .size:           88
        .value_kind:     by_value
    .group_segment_fixed_size: 0
    .kernarg_segment_align: 8
    .kernarg_segment_size: 88
    .language:       OpenCL C
    .language_version:
      - 2
      - 0
    .max_flat_workgroup_size: 256
    .name:           _ZN7rocprim17ROCPRIM_400000_NS6detail17trampoline_kernelINS0_14default_configENS1_22reduce_config_selectorIN6thrust23THRUST_200600_302600_NS5tupleIblNS6_9null_typeES8_S8_S8_S8_S8_S8_S8_EEEEZNS1_11reduce_implILb1ES3_NS6_12zip_iteratorINS7_INS6_11hip_rocprim26transform_input_iterator_tIbNSD_35transform_pair_of_input_iterators_tIbNS6_6detail15normal_iteratorINS6_10device_ptrIKiEEEESL_NS6_8equal_toIiEEEENSG_9not_fun_tINSD_8identityEEEEENSD_19counting_iterator_tIlEES8_S8_S8_S8_S8_S8_S8_S8_EEEEPS9_S9_NSD_9__find_if7functorIS9_EEEE10hipError_tPvRmT1_T2_T3_mT4_P12ihipStream_tbEUlT_E1_NS1_11comp_targetILNS1_3genE5ELNS1_11target_archE942ELNS1_3gpuE9ELNS1_3repE0EEENS1_30default_config_static_selectorELNS0_4arch9wavefront6targetE0EEEvS14_
    .private_segment_fixed_size: 0
    .sgpr_count:     0
    .sgpr_spill_count: 0
    .symbol:         _ZN7rocprim17ROCPRIM_400000_NS6detail17trampoline_kernelINS0_14default_configENS1_22reduce_config_selectorIN6thrust23THRUST_200600_302600_NS5tupleIblNS6_9null_typeES8_S8_S8_S8_S8_S8_S8_EEEEZNS1_11reduce_implILb1ES3_NS6_12zip_iteratorINS7_INS6_11hip_rocprim26transform_input_iterator_tIbNSD_35transform_pair_of_input_iterators_tIbNS6_6detail15normal_iteratorINS6_10device_ptrIKiEEEESL_NS6_8equal_toIiEEEENSG_9not_fun_tINSD_8identityEEEEENSD_19counting_iterator_tIlEES8_S8_S8_S8_S8_S8_S8_S8_EEEEPS9_S9_NSD_9__find_if7functorIS9_EEEE10hipError_tPvRmT1_T2_T3_mT4_P12ihipStream_tbEUlT_E1_NS1_11comp_targetILNS1_3genE5ELNS1_11target_archE942ELNS1_3gpuE9ELNS1_3repE0EEENS1_30default_config_static_selectorELNS0_4arch9wavefront6targetE0EEEvS14_.kd
    .uniform_work_group_size: 1
    .uses_dynamic_stack: false
    .vgpr_count:     0
    .vgpr_spill_count: 0
    .wavefront_size: 32
    .workgroup_processor_mode: 1
  - .args:
      - .offset:         0
        .size:           88
        .value_kind:     by_value
    .group_segment_fixed_size: 0
    .kernarg_segment_align: 8
    .kernarg_segment_size: 88
    .language:       OpenCL C
    .language_version:
      - 2
      - 0
    .max_flat_workgroup_size: 256
    .name:           _ZN7rocprim17ROCPRIM_400000_NS6detail17trampoline_kernelINS0_14default_configENS1_22reduce_config_selectorIN6thrust23THRUST_200600_302600_NS5tupleIblNS6_9null_typeES8_S8_S8_S8_S8_S8_S8_EEEEZNS1_11reduce_implILb1ES3_NS6_12zip_iteratorINS7_INS6_11hip_rocprim26transform_input_iterator_tIbNSD_35transform_pair_of_input_iterators_tIbNS6_6detail15normal_iteratorINS6_10device_ptrIKiEEEESL_NS6_8equal_toIiEEEENSG_9not_fun_tINSD_8identityEEEEENSD_19counting_iterator_tIlEES8_S8_S8_S8_S8_S8_S8_S8_EEEEPS9_S9_NSD_9__find_if7functorIS9_EEEE10hipError_tPvRmT1_T2_T3_mT4_P12ihipStream_tbEUlT_E1_NS1_11comp_targetILNS1_3genE4ELNS1_11target_archE910ELNS1_3gpuE8ELNS1_3repE0EEENS1_30default_config_static_selectorELNS0_4arch9wavefront6targetE0EEEvS14_
    .private_segment_fixed_size: 0
    .sgpr_count:     0
    .sgpr_spill_count: 0
    .symbol:         _ZN7rocprim17ROCPRIM_400000_NS6detail17trampoline_kernelINS0_14default_configENS1_22reduce_config_selectorIN6thrust23THRUST_200600_302600_NS5tupleIblNS6_9null_typeES8_S8_S8_S8_S8_S8_S8_EEEEZNS1_11reduce_implILb1ES3_NS6_12zip_iteratorINS7_INS6_11hip_rocprim26transform_input_iterator_tIbNSD_35transform_pair_of_input_iterators_tIbNS6_6detail15normal_iteratorINS6_10device_ptrIKiEEEESL_NS6_8equal_toIiEEEENSG_9not_fun_tINSD_8identityEEEEENSD_19counting_iterator_tIlEES8_S8_S8_S8_S8_S8_S8_S8_EEEEPS9_S9_NSD_9__find_if7functorIS9_EEEE10hipError_tPvRmT1_T2_T3_mT4_P12ihipStream_tbEUlT_E1_NS1_11comp_targetILNS1_3genE4ELNS1_11target_archE910ELNS1_3gpuE8ELNS1_3repE0EEENS1_30default_config_static_selectorELNS0_4arch9wavefront6targetE0EEEvS14_.kd
    .uniform_work_group_size: 1
    .uses_dynamic_stack: false
    .vgpr_count:     0
    .vgpr_spill_count: 0
    .wavefront_size: 32
    .workgroup_processor_mode: 1
  - .args:
      - .offset:         0
        .size:           88
        .value_kind:     by_value
    .group_segment_fixed_size: 0
    .kernarg_segment_align: 8
    .kernarg_segment_size: 88
    .language:       OpenCL C
    .language_version:
      - 2
      - 0
    .max_flat_workgroup_size: 128
    .name:           _ZN7rocprim17ROCPRIM_400000_NS6detail17trampoline_kernelINS0_14default_configENS1_22reduce_config_selectorIN6thrust23THRUST_200600_302600_NS5tupleIblNS6_9null_typeES8_S8_S8_S8_S8_S8_S8_EEEEZNS1_11reduce_implILb1ES3_NS6_12zip_iteratorINS7_INS6_11hip_rocprim26transform_input_iterator_tIbNSD_35transform_pair_of_input_iterators_tIbNS6_6detail15normal_iteratorINS6_10device_ptrIKiEEEESL_NS6_8equal_toIiEEEENSG_9not_fun_tINSD_8identityEEEEENSD_19counting_iterator_tIlEES8_S8_S8_S8_S8_S8_S8_S8_EEEEPS9_S9_NSD_9__find_if7functorIS9_EEEE10hipError_tPvRmT1_T2_T3_mT4_P12ihipStream_tbEUlT_E1_NS1_11comp_targetILNS1_3genE3ELNS1_11target_archE908ELNS1_3gpuE7ELNS1_3repE0EEENS1_30default_config_static_selectorELNS0_4arch9wavefront6targetE0EEEvS14_
    .private_segment_fixed_size: 0
    .sgpr_count:     0
    .sgpr_spill_count: 0
    .symbol:         _ZN7rocprim17ROCPRIM_400000_NS6detail17trampoline_kernelINS0_14default_configENS1_22reduce_config_selectorIN6thrust23THRUST_200600_302600_NS5tupleIblNS6_9null_typeES8_S8_S8_S8_S8_S8_S8_EEEEZNS1_11reduce_implILb1ES3_NS6_12zip_iteratorINS7_INS6_11hip_rocprim26transform_input_iterator_tIbNSD_35transform_pair_of_input_iterators_tIbNS6_6detail15normal_iteratorINS6_10device_ptrIKiEEEESL_NS6_8equal_toIiEEEENSG_9not_fun_tINSD_8identityEEEEENSD_19counting_iterator_tIlEES8_S8_S8_S8_S8_S8_S8_S8_EEEEPS9_S9_NSD_9__find_if7functorIS9_EEEE10hipError_tPvRmT1_T2_T3_mT4_P12ihipStream_tbEUlT_E1_NS1_11comp_targetILNS1_3genE3ELNS1_11target_archE908ELNS1_3gpuE7ELNS1_3repE0EEENS1_30default_config_static_selectorELNS0_4arch9wavefront6targetE0EEEvS14_.kd
    .uniform_work_group_size: 1
    .uses_dynamic_stack: false
    .vgpr_count:     0
    .vgpr_spill_count: 0
    .wavefront_size: 32
    .workgroup_processor_mode: 1
  - .args:
      - .offset:         0
        .size:           88
        .value_kind:     by_value
    .group_segment_fixed_size: 0
    .kernarg_segment_align: 8
    .kernarg_segment_size: 88
    .language:       OpenCL C
    .language_version:
      - 2
      - 0
    .max_flat_workgroup_size: 128
    .name:           _ZN7rocprim17ROCPRIM_400000_NS6detail17trampoline_kernelINS0_14default_configENS1_22reduce_config_selectorIN6thrust23THRUST_200600_302600_NS5tupleIblNS6_9null_typeES8_S8_S8_S8_S8_S8_S8_EEEEZNS1_11reduce_implILb1ES3_NS6_12zip_iteratorINS7_INS6_11hip_rocprim26transform_input_iterator_tIbNSD_35transform_pair_of_input_iterators_tIbNS6_6detail15normal_iteratorINS6_10device_ptrIKiEEEESL_NS6_8equal_toIiEEEENSG_9not_fun_tINSD_8identityEEEEENSD_19counting_iterator_tIlEES8_S8_S8_S8_S8_S8_S8_S8_EEEEPS9_S9_NSD_9__find_if7functorIS9_EEEE10hipError_tPvRmT1_T2_T3_mT4_P12ihipStream_tbEUlT_E1_NS1_11comp_targetILNS1_3genE2ELNS1_11target_archE906ELNS1_3gpuE6ELNS1_3repE0EEENS1_30default_config_static_selectorELNS0_4arch9wavefront6targetE0EEEvS14_
    .private_segment_fixed_size: 0
    .sgpr_count:     0
    .sgpr_spill_count: 0
    .symbol:         _ZN7rocprim17ROCPRIM_400000_NS6detail17trampoline_kernelINS0_14default_configENS1_22reduce_config_selectorIN6thrust23THRUST_200600_302600_NS5tupleIblNS6_9null_typeES8_S8_S8_S8_S8_S8_S8_EEEEZNS1_11reduce_implILb1ES3_NS6_12zip_iteratorINS7_INS6_11hip_rocprim26transform_input_iterator_tIbNSD_35transform_pair_of_input_iterators_tIbNS6_6detail15normal_iteratorINS6_10device_ptrIKiEEEESL_NS6_8equal_toIiEEEENSG_9not_fun_tINSD_8identityEEEEENSD_19counting_iterator_tIlEES8_S8_S8_S8_S8_S8_S8_S8_EEEEPS9_S9_NSD_9__find_if7functorIS9_EEEE10hipError_tPvRmT1_T2_T3_mT4_P12ihipStream_tbEUlT_E1_NS1_11comp_targetILNS1_3genE2ELNS1_11target_archE906ELNS1_3gpuE6ELNS1_3repE0EEENS1_30default_config_static_selectorELNS0_4arch9wavefront6targetE0EEEvS14_.kd
    .uniform_work_group_size: 1
    .uses_dynamic_stack: false
    .vgpr_count:     0
    .vgpr_spill_count: 0
    .wavefront_size: 32
    .workgroup_processor_mode: 1
  - .args:
      - .offset:         0
        .size:           88
        .value_kind:     by_value
    .group_segment_fixed_size: 0
    .kernarg_segment_align: 8
    .kernarg_segment_size: 88
    .language:       OpenCL C
    .language_version:
      - 2
      - 0
    .max_flat_workgroup_size: 256
    .name:           _ZN7rocprim17ROCPRIM_400000_NS6detail17trampoline_kernelINS0_14default_configENS1_22reduce_config_selectorIN6thrust23THRUST_200600_302600_NS5tupleIblNS6_9null_typeES8_S8_S8_S8_S8_S8_S8_EEEEZNS1_11reduce_implILb1ES3_NS6_12zip_iteratorINS7_INS6_11hip_rocprim26transform_input_iterator_tIbNSD_35transform_pair_of_input_iterators_tIbNS6_6detail15normal_iteratorINS6_10device_ptrIKiEEEESL_NS6_8equal_toIiEEEENSG_9not_fun_tINSD_8identityEEEEENSD_19counting_iterator_tIlEES8_S8_S8_S8_S8_S8_S8_S8_EEEEPS9_S9_NSD_9__find_if7functorIS9_EEEE10hipError_tPvRmT1_T2_T3_mT4_P12ihipStream_tbEUlT_E1_NS1_11comp_targetILNS1_3genE10ELNS1_11target_archE1201ELNS1_3gpuE5ELNS1_3repE0EEENS1_30default_config_static_selectorELNS0_4arch9wavefront6targetE0EEEvS14_
    .private_segment_fixed_size: 0
    .sgpr_count:     0
    .sgpr_spill_count: 0
    .symbol:         _ZN7rocprim17ROCPRIM_400000_NS6detail17trampoline_kernelINS0_14default_configENS1_22reduce_config_selectorIN6thrust23THRUST_200600_302600_NS5tupleIblNS6_9null_typeES8_S8_S8_S8_S8_S8_S8_EEEEZNS1_11reduce_implILb1ES3_NS6_12zip_iteratorINS7_INS6_11hip_rocprim26transform_input_iterator_tIbNSD_35transform_pair_of_input_iterators_tIbNS6_6detail15normal_iteratorINS6_10device_ptrIKiEEEESL_NS6_8equal_toIiEEEENSG_9not_fun_tINSD_8identityEEEEENSD_19counting_iterator_tIlEES8_S8_S8_S8_S8_S8_S8_S8_EEEEPS9_S9_NSD_9__find_if7functorIS9_EEEE10hipError_tPvRmT1_T2_T3_mT4_P12ihipStream_tbEUlT_E1_NS1_11comp_targetILNS1_3genE10ELNS1_11target_archE1201ELNS1_3gpuE5ELNS1_3repE0EEENS1_30default_config_static_selectorELNS0_4arch9wavefront6targetE0EEEvS14_.kd
    .uniform_work_group_size: 1
    .uses_dynamic_stack: false
    .vgpr_count:     0
    .vgpr_spill_count: 0
    .wavefront_size: 32
    .workgroup_processor_mode: 1
  - .args:
      - .offset:         0
        .size:           88
        .value_kind:     by_value
    .group_segment_fixed_size: 0
    .kernarg_segment_align: 8
    .kernarg_segment_size: 88
    .language:       OpenCL C
    .language_version:
      - 2
      - 0
    .max_flat_workgroup_size: 256
    .name:           _ZN7rocprim17ROCPRIM_400000_NS6detail17trampoline_kernelINS0_14default_configENS1_22reduce_config_selectorIN6thrust23THRUST_200600_302600_NS5tupleIblNS6_9null_typeES8_S8_S8_S8_S8_S8_S8_EEEEZNS1_11reduce_implILb1ES3_NS6_12zip_iteratorINS7_INS6_11hip_rocprim26transform_input_iterator_tIbNSD_35transform_pair_of_input_iterators_tIbNS6_6detail15normal_iteratorINS6_10device_ptrIKiEEEESL_NS6_8equal_toIiEEEENSG_9not_fun_tINSD_8identityEEEEENSD_19counting_iterator_tIlEES8_S8_S8_S8_S8_S8_S8_S8_EEEEPS9_S9_NSD_9__find_if7functorIS9_EEEE10hipError_tPvRmT1_T2_T3_mT4_P12ihipStream_tbEUlT_E1_NS1_11comp_targetILNS1_3genE10ELNS1_11target_archE1200ELNS1_3gpuE4ELNS1_3repE0EEENS1_30default_config_static_selectorELNS0_4arch9wavefront6targetE0EEEvS14_
    .private_segment_fixed_size: 0
    .sgpr_count:     0
    .sgpr_spill_count: 0
    .symbol:         _ZN7rocprim17ROCPRIM_400000_NS6detail17trampoline_kernelINS0_14default_configENS1_22reduce_config_selectorIN6thrust23THRUST_200600_302600_NS5tupleIblNS6_9null_typeES8_S8_S8_S8_S8_S8_S8_EEEEZNS1_11reduce_implILb1ES3_NS6_12zip_iteratorINS7_INS6_11hip_rocprim26transform_input_iterator_tIbNSD_35transform_pair_of_input_iterators_tIbNS6_6detail15normal_iteratorINS6_10device_ptrIKiEEEESL_NS6_8equal_toIiEEEENSG_9not_fun_tINSD_8identityEEEEENSD_19counting_iterator_tIlEES8_S8_S8_S8_S8_S8_S8_S8_EEEEPS9_S9_NSD_9__find_if7functorIS9_EEEE10hipError_tPvRmT1_T2_T3_mT4_P12ihipStream_tbEUlT_E1_NS1_11comp_targetILNS1_3genE10ELNS1_11target_archE1200ELNS1_3gpuE4ELNS1_3repE0EEENS1_30default_config_static_selectorELNS0_4arch9wavefront6targetE0EEEvS14_.kd
    .uniform_work_group_size: 1
    .uses_dynamic_stack: false
    .vgpr_count:     0
    .vgpr_spill_count: 0
    .wavefront_size: 32
    .workgroup_processor_mode: 1
  - .args:
      - .offset:         0
        .size:           88
        .value_kind:     by_value
    .group_segment_fixed_size: 640
    .kernarg_segment_align: 8
    .kernarg_segment_size: 88
    .language:       OpenCL C
    .language_version:
      - 2
      - 0
    .max_flat_workgroup_size: 256
    .name:           _ZN7rocprim17ROCPRIM_400000_NS6detail17trampoline_kernelINS0_14default_configENS1_22reduce_config_selectorIN6thrust23THRUST_200600_302600_NS5tupleIblNS6_9null_typeES8_S8_S8_S8_S8_S8_S8_EEEEZNS1_11reduce_implILb1ES3_NS6_12zip_iteratorINS7_INS6_11hip_rocprim26transform_input_iterator_tIbNSD_35transform_pair_of_input_iterators_tIbNS6_6detail15normal_iteratorINS6_10device_ptrIKiEEEESL_NS6_8equal_toIiEEEENSG_9not_fun_tINSD_8identityEEEEENSD_19counting_iterator_tIlEES8_S8_S8_S8_S8_S8_S8_S8_EEEEPS9_S9_NSD_9__find_if7functorIS9_EEEE10hipError_tPvRmT1_T2_T3_mT4_P12ihipStream_tbEUlT_E1_NS1_11comp_targetILNS1_3genE9ELNS1_11target_archE1100ELNS1_3gpuE3ELNS1_3repE0EEENS1_30default_config_static_selectorELNS0_4arch9wavefront6targetE0EEEvS14_
    .private_segment_fixed_size: 0
    .sgpr_count:     34
    .sgpr_spill_count: 0
    .symbol:         _ZN7rocprim17ROCPRIM_400000_NS6detail17trampoline_kernelINS0_14default_configENS1_22reduce_config_selectorIN6thrust23THRUST_200600_302600_NS5tupleIblNS6_9null_typeES8_S8_S8_S8_S8_S8_S8_EEEEZNS1_11reduce_implILb1ES3_NS6_12zip_iteratorINS7_INS6_11hip_rocprim26transform_input_iterator_tIbNSD_35transform_pair_of_input_iterators_tIbNS6_6detail15normal_iteratorINS6_10device_ptrIKiEEEESL_NS6_8equal_toIiEEEENSG_9not_fun_tINSD_8identityEEEEENSD_19counting_iterator_tIlEES8_S8_S8_S8_S8_S8_S8_S8_EEEEPS9_S9_NSD_9__find_if7functorIS9_EEEE10hipError_tPvRmT1_T2_T3_mT4_P12ihipStream_tbEUlT_E1_NS1_11comp_targetILNS1_3genE9ELNS1_11target_archE1100ELNS1_3gpuE3ELNS1_3repE0EEENS1_30default_config_static_selectorELNS0_4arch9wavefront6targetE0EEEvS14_.kd
    .uniform_work_group_size: 1
    .uses_dynamic_stack: false
    .vgpr_count:     27
    .vgpr_spill_count: 0
    .wavefront_size: 32
    .workgroup_processor_mode: 1
  - .args:
      - .offset:         0
        .size:           88
        .value_kind:     by_value
    .group_segment_fixed_size: 0
    .kernarg_segment_align: 8
    .kernarg_segment_size: 88
    .language:       OpenCL C
    .language_version:
      - 2
      - 0
    .max_flat_workgroup_size: 256
    .name:           _ZN7rocprim17ROCPRIM_400000_NS6detail17trampoline_kernelINS0_14default_configENS1_22reduce_config_selectorIN6thrust23THRUST_200600_302600_NS5tupleIblNS6_9null_typeES8_S8_S8_S8_S8_S8_S8_EEEEZNS1_11reduce_implILb1ES3_NS6_12zip_iteratorINS7_INS6_11hip_rocprim26transform_input_iterator_tIbNSD_35transform_pair_of_input_iterators_tIbNS6_6detail15normal_iteratorINS6_10device_ptrIKiEEEESL_NS6_8equal_toIiEEEENSG_9not_fun_tINSD_8identityEEEEENSD_19counting_iterator_tIlEES8_S8_S8_S8_S8_S8_S8_S8_EEEEPS9_S9_NSD_9__find_if7functorIS9_EEEE10hipError_tPvRmT1_T2_T3_mT4_P12ihipStream_tbEUlT_E1_NS1_11comp_targetILNS1_3genE8ELNS1_11target_archE1030ELNS1_3gpuE2ELNS1_3repE0EEENS1_30default_config_static_selectorELNS0_4arch9wavefront6targetE0EEEvS14_
    .private_segment_fixed_size: 0
    .sgpr_count:     0
    .sgpr_spill_count: 0
    .symbol:         _ZN7rocprim17ROCPRIM_400000_NS6detail17trampoline_kernelINS0_14default_configENS1_22reduce_config_selectorIN6thrust23THRUST_200600_302600_NS5tupleIblNS6_9null_typeES8_S8_S8_S8_S8_S8_S8_EEEEZNS1_11reduce_implILb1ES3_NS6_12zip_iteratorINS7_INS6_11hip_rocprim26transform_input_iterator_tIbNSD_35transform_pair_of_input_iterators_tIbNS6_6detail15normal_iteratorINS6_10device_ptrIKiEEEESL_NS6_8equal_toIiEEEENSG_9not_fun_tINSD_8identityEEEEENSD_19counting_iterator_tIlEES8_S8_S8_S8_S8_S8_S8_S8_EEEEPS9_S9_NSD_9__find_if7functorIS9_EEEE10hipError_tPvRmT1_T2_T3_mT4_P12ihipStream_tbEUlT_E1_NS1_11comp_targetILNS1_3genE8ELNS1_11target_archE1030ELNS1_3gpuE2ELNS1_3repE0EEENS1_30default_config_static_selectorELNS0_4arch9wavefront6targetE0EEEvS14_.kd
    .uniform_work_group_size: 1
    .uses_dynamic_stack: false
    .vgpr_count:     0
    .vgpr_spill_count: 0
    .wavefront_size: 32
    .workgroup_processor_mode: 1
  - .args:
      - .offset:         0
        .size:           16
        .value_kind:     by_value
      - .offset:         16
        .size:           8
        .value_kind:     by_value
      - .offset:         24
        .size:           8
        .value_kind:     by_value
    .group_segment_fixed_size: 0
    .kernarg_segment_align: 8
    .kernarg_segment_size: 32
    .language:       OpenCL C
    .language_version:
      - 2
      - 0
    .max_flat_workgroup_size: 256
    .name:           _ZN6thrust23THRUST_200600_302600_NS11hip_rocprim14__parallel_for6kernelILj256ENS1_10for_each_fINS0_7pointerINS0_5tupleIblNS0_9null_typeES7_S7_S7_S7_S7_S7_S7_EENS1_3tagENS0_11use_defaultESA_EENS0_6detail16wrapped_functionINSC_23allocator_traits_detail24construct1_via_allocatorINSC_18no_throw_allocatorINSC_19temporary_allocatorIS8_S9_EEEEEEvEEEEmLj1EEEvT0_T1_SO_
    .private_segment_fixed_size: 0
    .sgpr_count:     18
    .sgpr_spill_count: 0
    .symbol:         _ZN6thrust23THRUST_200600_302600_NS11hip_rocprim14__parallel_for6kernelILj256ENS1_10for_each_fINS0_7pointerINS0_5tupleIblNS0_9null_typeES7_S7_S7_S7_S7_S7_S7_EENS1_3tagENS0_11use_defaultESA_EENS0_6detail16wrapped_functionINSC_23allocator_traits_detail24construct1_via_allocatorINSC_18no_throw_allocatorINSC_19temporary_allocatorIS8_S9_EEEEEEvEEEEmLj1EEEvT0_T1_SO_.kd
    .uniform_work_group_size: 1
    .uses_dynamic_stack: false
    .vgpr_count:     5
    .vgpr_spill_count: 0
    .wavefront_size: 32
    .workgroup_processor_mode: 1
  - .args:
      - .offset:         0
        .size:           16
        .value_kind:     by_value
      - .offset:         16
        .size:           8
        .value_kind:     by_value
      - .offset:         24
        .size:           8
        .value_kind:     by_value
    .group_segment_fixed_size: 0
    .kernarg_segment_align: 8
    .kernarg_segment_size: 32
    .language:       OpenCL C
    .language_version:
      - 2
      - 0
    .max_flat_workgroup_size: 256
    .name:           _ZN6thrust23THRUST_200600_302600_NS11hip_rocprim14__parallel_for6kernelILj256ENS1_10for_each_fINS0_7pointerINS0_5tupleIblNS0_9null_typeES7_S7_S7_S7_S7_S7_S7_EENS1_3tagENS0_11use_defaultESA_EENS0_6detail16wrapped_functionINSC_23allocator_traits_detail5gozerEvEEEElLj1EEEvT0_T1_SJ_
    .private_segment_fixed_size: 0
    .sgpr_count:     0
    .sgpr_spill_count: 0
    .symbol:         _ZN6thrust23THRUST_200600_302600_NS11hip_rocprim14__parallel_for6kernelILj256ENS1_10for_each_fINS0_7pointerINS0_5tupleIblNS0_9null_typeES7_S7_S7_S7_S7_S7_S7_EENS1_3tagENS0_11use_defaultESA_EENS0_6detail16wrapped_functionINSC_23allocator_traits_detail5gozerEvEEEElLj1EEEvT0_T1_SJ_.kd
    .uniform_work_group_size: 1
    .uses_dynamic_stack: false
    .vgpr_count:     0
    .vgpr_spill_count: 0
    .wavefront_size: 32
    .workgroup_processor_mode: 1
  - .args:
      - .offset:         0
        .size:           16
        .value_kind:     by_value
      - .offset:         16
        .size:           8
        .value_kind:     by_value
      - .offset:         24
        .size:           8
        .value_kind:     by_value
    .group_segment_fixed_size: 0
    .kernarg_segment_align: 8
    .kernarg_segment_size: 32
    .language:       OpenCL C
    .language_version:
      - 2
      - 0
    .max_flat_workgroup_size: 256
    .name:           _ZN6thrust23THRUST_200600_302600_NS11hip_rocprim14__parallel_for6kernelILj256ENS1_20__uninitialized_copy7functorIPNS0_5tupleIblNS0_9null_typeES7_S7_S7_S7_S7_S7_S7_EENS0_7pointerIS8_NS1_3tagENS0_11use_defaultESC_EEEEmLj1EEEvT0_T1_SG_
    .private_segment_fixed_size: 0
    .sgpr_count:     18
    .sgpr_spill_count: 0
    .symbol:         _ZN6thrust23THRUST_200600_302600_NS11hip_rocprim14__parallel_for6kernelILj256ENS1_20__uninitialized_copy7functorIPNS0_5tupleIblNS0_9null_typeES7_S7_S7_S7_S7_S7_S7_EENS0_7pointerIS8_NS1_3tagENS0_11use_defaultESC_EEEEmLj1EEEvT0_T1_SG_.kd
    .uniform_work_group_size: 1
    .uses_dynamic_stack: false
    .vgpr_count:     7
    .vgpr_spill_count: 0
    .wavefront_size: 32
    .workgroup_processor_mode: 1
  - .args:
      - .offset:         0
        .size:           16
        .value_kind:     by_value
      - .offset:         16
        .size:           8
        .value_kind:     by_value
      - .offset:         24
        .size:           8
        .value_kind:     by_value
    .group_segment_fixed_size: 0
    .kernarg_segment_align: 8
    .kernarg_segment_size: 32
    .language:       OpenCL C
    .language_version:
      - 2
      - 0
    .max_flat_workgroup_size: 256
    .name:           _ZN6thrust23THRUST_200600_302600_NS11hip_rocprim14__parallel_for6kernelILj256ENS1_10for_each_fINS0_7pointerI10large_dataNS1_3tagENS0_11use_defaultES8_EENS0_6detail16wrapped_functionINSA_23allocator_traits_detail24construct1_via_allocatorINSA_18no_throw_allocatorINSA_19temporary_allocatorIS6_S7_EEEEEEvEEEEmLj1EEEvT0_T1_SM_
    .private_segment_fixed_size: 0
    .sgpr_count:     18
    .sgpr_spill_count: 0
    .symbol:         _ZN6thrust23THRUST_200600_302600_NS11hip_rocprim14__parallel_for6kernelILj256ENS1_10for_each_fINS0_7pointerI10large_dataNS1_3tagENS0_11use_defaultES8_EENS0_6detail16wrapped_functionINSA_23allocator_traits_detail24construct1_via_allocatorINSA_18no_throw_allocatorINSA_19temporary_allocatorIS6_S7_EEEEEEvEEEEmLj1EEEvT0_T1_SM_.kd
    .uniform_work_group_size: 1
    .uses_dynamic_stack: false
    .vgpr_count:     4
    .vgpr_spill_count: 0
    .wavefront_size: 32
    .workgroup_processor_mode: 1
  - .args:
      - .offset:         0
        .size:           16
        .value_kind:     by_value
      - .offset:         16
        .size:           8
        .value_kind:     by_value
      - .offset:         24
        .size:           8
        .value_kind:     by_value
    .group_segment_fixed_size: 0
    .kernarg_segment_align: 8
    .kernarg_segment_size: 32
    .language:       OpenCL C
    .language_version:
      - 2
      - 0
    .max_flat_workgroup_size: 256
    .name:           _ZN6thrust23THRUST_200600_302600_NS11hip_rocprim14__parallel_for6kernelILj256ENS1_10for_each_fINS0_7pointerI10large_dataNS1_3tagENS0_11use_defaultES8_EENS0_6detail16wrapped_functionINSA_23allocator_traits_detail5gozerEvEEEElLj1EEEvT0_T1_SH_
    .private_segment_fixed_size: 0
    .sgpr_count:     0
    .sgpr_spill_count: 0
    .symbol:         _ZN6thrust23THRUST_200600_302600_NS11hip_rocprim14__parallel_for6kernelILj256ENS1_10for_each_fINS0_7pointerI10large_dataNS1_3tagENS0_11use_defaultES8_EENS0_6detail16wrapped_functionINSA_23allocator_traits_detail5gozerEvEEEElLj1EEEvT0_T1_SH_.kd
    .uniform_work_group_size: 1
    .uses_dynamic_stack: false
    .vgpr_count:     0
    .vgpr_spill_count: 0
    .wavefront_size: 32
    .workgroup_processor_mode: 1
  - .args:
      - .offset:         0
        .size:           24
        .value_kind:     by_value
      - .offset:         24
        .size:           8
        .value_kind:     by_value
      - .offset:         32
        .size:           8
        .value_kind:     by_value
    .group_segment_fixed_size: 0
    .kernarg_segment_align: 8
    .kernarg_segment_size: 40
    .language:       OpenCL C
    .language_version:
      - 2
      - 0
    .max_flat_workgroup_size: 256
    .name:           _ZN6thrust23THRUST_200600_302600_NS11hip_rocprim14__parallel_for6kernelILj256ENS1_11__transform17unary_transform_fINS0_7pointerI10large_dataNS1_3tagENS0_11use_defaultES9_EENS0_10device_ptrIS7_EENS4_14no_stencil_tagENS0_8identityIS7_EENS4_21always_true_predicateEEElLj1EEEvT0_T1_SJ_
    .private_segment_fixed_size: 0
    .sgpr_count:     18
    .sgpr_spill_count: 0
    .symbol:         _ZN6thrust23THRUST_200600_302600_NS11hip_rocprim14__parallel_for6kernelILj256ENS1_11__transform17unary_transform_fINS0_7pointerI10large_dataNS1_3tagENS0_11use_defaultES9_EENS0_10device_ptrIS7_EENS4_14no_stencil_tagENS0_8identityIS7_EENS4_21always_true_predicateEEElLj1EEEvT0_T1_SJ_.kd
    .uniform_work_group_size: 1
    .uses_dynamic_stack: false
    .vgpr_count:     5
    .vgpr_spill_count: 0
    .wavefront_size: 32
    .workgroup_processor_mode: 1
  - .args:
      - .offset:         0
        .size:           16
        .value_kind:     by_value
      - .offset:         16
        .size:           8
        .value_kind:     by_value
      - .offset:         24
        .size:           8
        .value_kind:     by_value
    .group_segment_fixed_size: 0
    .kernarg_segment_align: 8
    .kernarg_segment_size: 32
    .language:       OpenCL C
    .language_version:
      - 2
      - 0
    .max_flat_workgroup_size: 256
    .name:           _ZN6thrust23THRUST_200600_302600_NS11hip_rocprim14__parallel_for6kernelILj256ENS1_20__uninitialized_copy7functorINS0_7pointerI10large_dataNS1_3tagENS0_11use_defaultES9_EESA_EEmLj1EEEvT0_T1_SD_
    .private_segment_fixed_size: 0
    .sgpr_count:     18
    .sgpr_spill_count: 0
    .symbol:         _ZN6thrust23THRUST_200600_302600_NS11hip_rocprim14__parallel_for6kernelILj256ENS1_20__uninitialized_copy7functorINS0_7pointerI10large_dataNS1_3tagENS0_11use_defaultES9_EESA_EEmLj1EEEvT0_T1_SD_.kd
    .uniform_work_group_size: 1
    .uses_dynamic_stack: false
    .vgpr_count:     5
    .vgpr_spill_count: 0
    .wavefront_size: 32
    .workgroup_processor_mode: 1
  - .args:
      - .offset:         0
        .size:           16
        .value_kind:     by_value
      - .offset:         16
        .size:           8
        .value_kind:     by_value
      - .offset:         24
        .size:           8
        .value_kind:     by_value
    .group_segment_fixed_size: 0
    .kernarg_segment_align: 8
    .kernarg_segment_size: 32
    .language:       OpenCL C
    .language_version:
      - 2
      - 0
    .max_flat_workgroup_size: 256
    .name:           _ZN6thrust23THRUST_200600_302600_NS11hip_rocprim14__parallel_for6kernelILj256ENS1_20__uninitialized_copy7functorINS0_6detail15normal_iteratorINS0_10device_ptrI10large_dataEEEENS0_7pointerIS9_NS1_3tagENS0_11use_defaultESE_EEEEmLj1EEEvT0_T1_SI_
    .private_segment_fixed_size: 0
    .sgpr_count:     18
    .sgpr_spill_count: 0
    .symbol:         _ZN6thrust23THRUST_200600_302600_NS11hip_rocprim14__parallel_for6kernelILj256ENS1_20__uninitialized_copy7functorINS0_6detail15normal_iteratorINS0_10device_ptrI10large_dataEEEENS0_7pointerIS9_NS1_3tagENS0_11use_defaultESE_EEEEmLj1EEEvT0_T1_SI_.kd
    .uniform_work_group_size: 1
    .uses_dynamic_stack: false
    .vgpr_count:     5
    .vgpr_spill_count: 0
    .wavefront_size: 32
    .workgroup_processor_mode: 1
  - .args:
      - .offset:         0
        .size:           520
        .value_kind:     by_value
      - .offset:         520
        .size:           8
        .value_kind:     by_value
      - .offset:         528
        .size:           8
        .value_kind:     by_value
    .group_segment_fixed_size: 0
    .kernarg_segment_align: 8
    .kernarg_segment_size: 536
    .language:       OpenCL C
    .language_version:
      - 2
      - 0
    .max_flat_workgroup_size: 256
    .name:           _ZN6thrust23THRUST_200600_302600_NS11hip_rocprim14__parallel_for6kernelILj256ENS1_20__uninitialized_fill7functorINS0_10device_ptrI10large_dataEES7_EEmLj1EEEvT0_T1_SB_
    .private_segment_fixed_size: 0
    .sgpr_count:     18
    .sgpr_spill_count: 0
    .symbol:         _ZN6thrust23THRUST_200600_302600_NS11hip_rocprim14__parallel_for6kernelILj256ENS1_20__uninitialized_fill7functorINS0_10device_ptrI10large_dataEES7_EEmLj1EEEvT0_T1_SB_.kd
    .uniform_work_group_size: 1
    .uses_dynamic_stack: false
    .vgpr_count:     3
    .vgpr_spill_count: 0
    .wavefront_size: 32
    .workgroup_processor_mode: 1
  - .args:
      - .offset:         0
        .size:           16
        .value_kind:     by_value
      - .offset:         16
        .size:           8
        .value_kind:     by_value
      - .offset:         24
        .size:           8
        .value_kind:     by_value
    .group_segment_fixed_size: 0
    .kernarg_segment_align: 8
    .kernarg_segment_size: 32
    .language:       OpenCL C
    .language_version:
      - 2
      - 0
    .max_flat_workgroup_size: 256
    .name:           _ZN6thrust23THRUST_200600_302600_NS11hip_rocprim14__parallel_for6kernelILj256ENS1_10for_each_fINS0_10device_ptrI10large_dataEENS0_6detail16wrapped_functionINS8_23allocator_traits_detail5gozerEvEEEElLj1EEEvT0_T1_SF_
    .private_segment_fixed_size: 0
    .sgpr_count:     0
    .sgpr_spill_count: 0
    .symbol:         _ZN6thrust23THRUST_200600_302600_NS11hip_rocprim14__parallel_for6kernelILj256ENS1_10for_each_fINS0_10device_ptrI10large_dataEENS0_6detail16wrapped_functionINS8_23allocator_traits_detail5gozerEvEEEElLj1EEEvT0_T1_SF_.kd
    .uniform_work_group_size: 1
    .uses_dynamic_stack: false
    .vgpr_count:     0
    .vgpr_spill_count: 0
    .wavefront_size: 32
    .workgroup_processor_mode: 1
  - .args:
      - .offset:         0
        .size:           24
        .value_kind:     by_value
      - .offset:         24
        .size:           8
        .value_kind:     by_value
      - .offset:         32
        .size:           8
        .value_kind:     by_value
    .group_segment_fixed_size: 0
    .kernarg_segment_align: 8
    .kernarg_segment_size: 40
    .language:       OpenCL C
    .language_version:
      - 2
      - 0
    .max_flat_workgroup_size: 256
    .name:           _ZN6thrust23THRUST_200600_302600_NS11hip_rocprim14__parallel_for6kernelILj256ENS1_11__transform17unary_transform_fINS0_6detail15normal_iteratorINS0_10device_ptrI10large_dataEEEESB_NS4_14no_stencil_tagENS0_8identityIS9_EENS4_21always_true_predicateEEElLj1EEEvT0_T1_SI_
    .private_segment_fixed_size: 0
    .sgpr_count:     18
    .sgpr_spill_count: 0
    .symbol:         _ZN6thrust23THRUST_200600_302600_NS11hip_rocprim14__parallel_for6kernelILj256ENS1_11__transform17unary_transform_fINS0_6detail15normal_iteratorINS0_10device_ptrI10large_dataEEEESB_NS4_14no_stencil_tagENS0_8identityIS9_EENS4_21always_true_predicateEEElLj1EEEvT0_T1_SI_.kd
    .uniform_work_group_size: 1
    .uses_dynamic_stack: false
    .vgpr_count:     5
    .vgpr_spill_count: 0
    .wavefront_size: 32
    .workgroup_processor_mode: 1
  - .args:
      - .offset:         0
        .size:           24
        .value_kind:     by_value
      - .offset:         24
        .size:           8
        .value_kind:     by_value
      - .offset:         32
        .size:           8
        .value_kind:     by_value
    .group_segment_fixed_size: 0
    .kernarg_segment_align: 8
    .kernarg_segment_size: 40
    .language:       OpenCL C
    .language_version:
      - 2
      - 0
    .max_flat_workgroup_size: 256
    .name:           _ZN6thrust23THRUST_200600_302600_NS11hip_rocprim14__parallel_for6kernelILj256ENS1_11__transform17unary_transform_fINS0_10device_ptrI10large_dataEES8_NS4_14no_stencil_tagENS0_8identityIS7_EENS4_21always_true_predicateEEElLj1EEEvT0_T1_SF_
    .private_segment_fixed_size: 0
    .sgpr_count:     18
    .sgpr_spill_count: 0
    .symbol:         _ZN6thrust23THRUST_200600_302600_NS11hip_rocprim14__parallel_for6kernelILj256ENS1_11__transform17unary_transform_fINS0_10device_ptrI10large_dataEES8_NS4_14no_stencil_tagENS0_8identityIS7_EENS4_21always_true_predicateEEElLj1EEEvT0_T1_SF_.kd
    .uniform_work_group_size: 1
    .uses_dynamic_stack: false
    .vgpr_count:     5
    .vgpr_spill_count: 0
    .wavefront_size: 32
    .workgroup_processor_mode: 1
  - .args:
      - .offset:         0
        .size:           16
        .value_kind:     by_value
      - .offset:         16
        .size:           8
        .value_kind:     by_value
      - .offset:         24
        .size:           8
        .value_kind:     by_value
    .group_segment_fixed_size: 0
    .kernarg_segment_align: 8
    .kernarg_segment_size: 32
    .language:       OpenCL C
    .language_version:
      - 2
      - 0
    .max_flat_workgroup_size: 256
    .name:           _ZN6thrust23THRUST_200600_302600_NS11hip_rocprim14__parallel_for6kernelILj256ENS1_20__uninitialized_copy7functorINS0_10device_ptrI10large_dataEENS0_7pointerIS7_NS1_3tagENS0_11use_defaultESB_EEEEmLj1EEEvT0_T1_SF_
    .private_segment_fixed_size: 0
    .sgpr_count:     18
    .sgpr_spill_count: 0
    .symbol:         _ZN6thrust23THRUST_200600_302600_NS11hip_rocprim14__parallel_for6kernelILj256ENS1_20__uninitialized_copy7functorINS0_10device_ptrI10large_dataEENS0_7pointerIS7_NS1_3tagENS0_11use_defaultESB_EEEEmLj1EEEvT0_T1_SF_.kd
    .uniform_work_group_size: 1
    .uses_dynamic_stack: false
    .vgpr_count:     5
    .vgpr_spill_count: 0
    .wavefront_size: 32
    .workgroup_processor_mode: 1
  - .args:
      - .offset:         0
        .size:           16
        .value_kind:     by_value
      - .offset:         16
        .size:           8
        .value_kind:     by_value
      - .offset:         24
        .size:           8
        .value_kind:     by_value
    .group_segment_fixed_size: 0
    .kernarg_segment_align: 8
    .kernarg_segment_size: 32
    .language:       OpenCL C
    .language_version:
      - 2
      - 0
    .max_flat_workgroup_size: 256
    .name:           _ZN6thrust23THRUST_200600_302600_NS11hip_rocprim14__parallel_for6kernelILj256ENS1_20__uninitialized_fill7functorINS0_10device_ptrIdEEdEEmLj1EEEvT0_T1_SA_
    .private_segment_fixed_size: 0
    .sgpr_count:     18
    .sgpr_spill_count: 0
    .symbol:         _ZN6thrust23THRUST_200600_302600_NS11hip_rocprim14__parallel_for6kernelILj256ENS1_20__uninitialized_fill7functorINS0_10device_ptrIdEEdEEmLj1EEEvT0_T1_SA_.kd
    .uniform_work_group_size: 1
    .uses_dynamic_stack: false
    .vgpr_count:     4
    .vgpr_spill_count: 0
    .wavefront_size: 32
    .workgroup_processor_mode: 1
  - .args:
      - .offset:         0
        .size:           16
        .value_kind:     by_value
      - .offset:         16
        .size:           8
        .value_kind:     by_value
      - .offset:         24
        .size:           8
        .value_kind:     by_value
    .group_segment_fixed_size: 0
    .kernarg_segment_align: 8
    .kernarg_segment_size: 32
    .language:       OpenCL C
    .language_version:
      - 2
      - 0
    .max_flat_workgroup_size: 256
    .name:           _ZN6thrust23THRUST_200600_302600_NS11hip_rocprim14__parallel_for6kernelILj256ENS1_20__uninitialized_fill7functorINS0_10device_ptrIfEEfEEmLj1EEEvT0_T1_SA_
    .private_segment_fixed_size: 0
    .sgpr_count:     18
    .sgpr_spill_count: 0
    .symbol:         _ZN6thrust23THRUST_200600_302600_NS11hip_rocprim14__parallel_for6kernelILj256ENS1_20__uninitialized_fill7functorINS0_10device_ptrIfEEfEEmLj1EEEvT0_T1_SA_.kd
    .uniform_work_group_size: 1
    .uses_dynamic_stack: false
    .vgpr_count:     3
    .vgpr_spill_count: 0
    .wavefront_size: 32
    .workgroup_processor_mode: 1
  - .args:
      - .offset:         0
        .size:           16
        .value_kind:     by_value
      - .offset:         16
        .size:           8
        .value_kind:     by_value
      - .offset:         24
        .size:           8
        .value_kind:     by_value
    .group_segment_fixed_size: 0
    .kernarg_segment_align: 8
    .kernarg_segment_size: 32
    .language:       OpenCL C
    .language_version:
      - 2
      - 0
    .max_flat_workgroup_size: 256
    .name:           _ZN6thrust23THRUST_200600_302600_NS11hip_rocprim14__parallel_for6kernelILj256ENS1_20__uninitialized_fill7functorINS0_10device_ptrIyEEyEEmLj1EEEvT0_T1_SA_
    .private_segment_fixed_size: 0
    .sgpr_count:     18
    .sgpr_spill_count: 0
    .symbol:         _ZN6thrust23THRUST_200600_302600_NS11hip_rocprim14__parallel_for6kernelILj256ENS1_20__uninitialized_fill7functorINS0_10device_ptrIyEEyEEmLj1EEEvT0_T1_SA_.kd
    .uniform_work_group_size: 1
    .uses_dynamic_stack: false
    .vgpr_count:     4
    .vgpr_spill_count: 0
    .wavefront_size: 32
    .workgroup_processor_mode: 1
  - .args:
      - .offset:         0
        .size:           16
        .value_kind:     by_value
      - .offset:         16
        .size:           8
        .value_kind:     by_value
      - .offset:         24
        .size:           8
        .value_kind:     by_value
    .group_segment_fixed_size: 0
    .kernarg_segment_align: 8
    .kernarg_segment_size: 32
    .language:       OpenCL C
    .language_version:
      - 2
      - 0
    .max_flat_workgroup_size: 256
    .name:           _ZN6thrust23THRUST_200600_302600_NS11hip_rocprim14__parallel_for6kernelILj256ENS1_20__uninitialized_fill7functorINS0_10device_ptrIjEEjEEmLj1EEEvT0_T1_SA_
    .private_segment_fixed_size: 0
    .sgpr_count:     18
    .sgpr_spill_count: 0
    .symbol:         _ZN6thrust23THRUST_200600_302600_NS11hip_rocprim14__parallel_for6kernelILj256ENS1_20__uninitialized_fill7functorINS0_10device_ptrIjEEjEEmLj1EEEvT0_T1_SA_.kd
    .uniform_work_group_size: 1
    .uses_dynamic_stack: false
    .vgpr_count:     3
    .vgpr_spill_count: 0
    .wavefront_size: 32
    .workgroup_processor_mode: 1
  - .args:
      - .offset:         0
        .size:           16
        .value_kind:     by_value
      - .offset:         16
        .size:           8
        .value_kind:     by_value
      - .offset:         24
        .size:           8
        .value_kind:     by_value
    .group_segment_fixed_size: 0
    .kernarg_segment_align: 8
    .kernarg_segment_size: 32
    .language:       OpenCL C
    .language_version:
      - 2
      - 0
    .max_flat_workgroup_size: 256
    .name:           _ZN6thrust23THRUST_200600_302600_NS11hip_rocprim14__parallel_for6kernelILj256ENS1_20__uninitialized_fill7functorINS0_10device_ptrItEEtEEmLj1EEEvT0_T1_SA_
    .private_segment_fixed_size: 0
    .sgpr_count:     18
    .sgpr_spill_count: 0
    .symbol:         _ZN6thrust23THRUST_200600_302600_NS11hip_rocprim14__parallel_for6kernelILj256ENS1_20__uninitialized_fill7functorINS0_10device_ptrItEEtEEmLj1EEEvT0_T1_SA_.kd
    .uniform_work_group_size: 1
    .uses_dynamic_stack: false
    .vgpr_count:     3
    .vgpr_spill_count: 0
    .wavefront_size: 32
    .workgroup_processor_mode: 1
  - .args:
      - .offset:         0
        .size:           16
        .value_kind:     by_value
      - .offset:         16
        .size:           8
        .value_kind:     by_value
      - .offset:         24
        .size:           8
        .value_kind:     by_value
    .group_segment_fixed_size: 0
    .kernarg_segment_align: 8
    .kernarg_segment_size: 32
    .language:       OpenCL C
    .language_version:
      - 2
      - 0
    .max_flat_workgroup_size: 256
    .name:           _ZN6thrust23THRUST_200600_302600_NS11hip_rocprim14__parallel_for6kernelILj256ENS1_20__uninitialized_fill7functorINS0_10device_ptrIxEExEEmLj1EEEvT0_T1_SA_
    .private_segment_fixed_size: 0
    .sgpr_count:     18
    .sgpr_spill_count: 0
    .symbol:         _ZN6thrust23THRUST_200600_302600_NS11hip_rocprim14__parallel_for6kernelILj256ENS1_20__uninitialized_fill7functorINS0_10device_ptrIxEExEEmLj1EEEvT0_T1_SA_.kd
    .uniform_work_group_size: 1
    .uses_dynamic_stack: false
    .vgpr_count:     4
    .vgpr_spill_count: 0
    .wavefront_size: 32
    .workgroup_processor_mode: 1
  - .args:
      - .offset:         0
        .size:           16
        .value_kind:     by_value
      - .offset:         16
        .size:           8
        .value_kind:     by_value
      - .offset:         24
        .size:           8
        .value_kind:     by_value
    .group_segment_fixed_size: 0
    .kernarg_segment_align: 8
    .kernarg_segment_size: 32
    .language:       OpenCL C
    .language_version:
      - 2
      - 0
    .max_flat_workgroup_size: 256
    .name:           _ZN6thrust23THRUST_200600_302600_NS11hip_rocprim14__parallel_for6kernelILj256ENS1_20__uninitialized_fill7functorINS0_10device_ptrIsEEsEEmLj1EEEvT0_T1_SA_
    .private_segment_fixed_size: 0
    .sgpr_count:     18
    .sgpr_spill_count: 0
    .symbol:         _ZN6thrust23THRUST_200600_302600_NS11hip_rocprim14__parallel_for6kernelILj256ENS1_20__uninitialized_fill7functorINS0_10device_ptrIsEEsEEmLj1EEEvT0_T1_SA_.kd
    .uniform_work_group_size: 1
    .uses_dynamic_stack: false
    .vgpr_count:     3
    .vgpr_spill_count: 0
    .wavefront_size: 32
    .workgroup_processor_mode: 1
  - .args:
      - .offset:         0
        .size:           24
        .value_kind:     by_value
      - .offset:         24
        .size:           8
        .value_kind:     by_value
      - .offset:         32
        .size:           8
        .value_kind:     by_value
    .group_segment_fixed_size: 0
    .kernarg_segment_align: 8
    .kernarg_segment_size: 40
    .language:       OpenCL C
    .language_version:
      - 2
      - 0
    .max_flat_workgroup_size: 256
    .name:           _ZN6thrust23THRUST_200600_302600_NS11hip_rocprim14__parallel_for6kernelILj256ENS1_11__transform17unary_transform_fINS0_6detail15normal_iteratorINS0_10device_ptrI10large_dataEEEENS7_INS8_IfEEEENS4_14no_stencil_tagENS0_8identityIS9_EENS4_21always_true_predicateEEElLj1EEEvT0_T1_SK_
    .private_segment_fixed_size: 0
    .sgpr_count:     18
    .sgpr_spill_count: 0
    .symbol:         _ZN6thrust23THRUST_200600_302600_NS11hip_rocprim14__parallel_for6kernelILj256ENS1_11__transform17unary_transform_fINS0_6detail15normal_iteratorINS0_10device_ptrI10large_dataEEEENS7_INS8_IfEEEENS4_14no_stencil_tagENS0_8identityIS9_EENS4_21always_true_predicateEEElLj1EEEvT0_T1_SK_.kd
    .uniform_work_group_size: 1
    .uses_dynamic_stack: false
    .vgpr_count:     5
    .vgpr_spill_count: 0
    .wavefront_size: 32
    .workgroup_processor_mode: 1
  - .args:
      - .offset:         0
        .size:           24
        .value_kind:     by_value
      - .offset:         24
        .size:           8
        .value_kind:     by_value
      - .offset:         32
        .size:           8
        .value_kind:     by_value
    .group_segment_fixed_size: 0
    .kernarg_segment_align: 8
    .kernarg_segment_size: 40
    .language:       OpenCL C
    .language_version:
      - 2
      - 0
    .max_flat_workgroup_size: 256
    .name:           _ZN6thrust23THRUST_200600_302600_NS11hip_rocprim14__parallel_for6kernelILj256ENS1_11__transform17unary_transform_fINS0_10device_ptrI10large_dataEENS6_IfEENS4_14no_stencil_tagENS0_8identityIS7_EENS4_21always_true_predicateEEElLj1EEEvT0_T1_SG_
    .private_segment_fixed_size: 0
    .sgpr_count:     18
    .sgpr_spill_count: 0
    .symbol:         _ZN6thrust23THRUST_200600_302600_NS11hip_rocprim14__parallel_for6kernelILj256ENS1_11__transform17unary_transform_fINS0_10device_ptrI10large_dataEENS6_IfEENS4_14no_stencil_tagENS0_8identityIS7_EENS4_21always_true_predicateEEElLj1EEEvT0_T1_SG_.kd
    .uniform_work_group_size: 1
    .uses_dynamic_stack: false
    .vgpr_count:     5
    .vgpr_spill_count: 0
    .wavefront_size: 32
    .workgroup_processor_mode: 1
  - .args:
      - .offset:         0
        .size:           16
        .value_kind:     by_value
      - .offset:         16
        .size:           8
        .value_kind:     by_value
      - .offset:         24
        .size:           8
        .value_kind:     by_value
    .group_segment_fixed_size: 0
    .kernarg_segment_align: 8
    .kernarg_segment_size: 32
    .language:       OpenCL C
    .language_version:
      - 2
      - 0
    .max_flat_workgroup_size: 256
    .name:           _ZN6thrust23THRUST_200600_302600_NS11hip_rocprim14__parallel_for6kernelILj256ENS1_20__uninitialized_copy7functorINS0_6detail15normal_iteratorINS0_10device_ptrIdEEEENS0_7pointerIdNS1_3tagENS0_11use_defaultESD_EEEEmLj1EEEvT0_T1_SH_
    .private_segment_fixed_size: 0
    .sgpr_count:     18
    .sgpr_spill_count: 0
    .symbol:         _ZN6thrust23THRUST_200600_302600_NS11hip_rocprim14__parallel_for6kernelILj256ENS1_20__uninitialized_copy7functorINS0_6detail15normal_iteratorINS0_10device_ptrIdEEEENS0_7pointerIdNS1_3tagENS0_11use_defaultESD_EEEEmLj1EEEvT0_T1_SH_.kd
    .uniform_work_group_size: 1
    .uses_dynamic_stack: false
    .vgpr_count:     5
    .vgpr_spill_count: 0
    .wavefront_size: 32
    .workgroup_processor_mode: 1
  - .args:
      - .offset:         0
        .size:           24
        .value_kind:     by_value
      - .offset:         24
        .size:           8
        .value_kind:     by_value
      - .offset:         32
        .size:           8
        .value_kind:     by_value
    .group_segment_fixed_size: 0
    .kernarg_segment_align: 8
    .kernarg_segment_size: 40
    .language:       OpenCL C
    .language_version:
      - 2
      - 0
    .max_flat_workgroup_size: 256
    .name:           _ZN6thrust23THRUST_200600_302600_NS11hip_rocprim14__parallel_for6kernelILj256ENS1_11__transform17unary_transform_fINS0_6detail15normal_iteratorINS0_10device_ptrIdEEEENS7_INS8_IfEEEENS4_14no_stencil_tagENS0_8identityIdEENS4_21always_true_predicateEEElLj1EEEvT0_T1_SJ_
    .private_segment_fixed_size: 0
    .sgpr_count:     18
    .sgpr_spill_count: 0
    .symbol:         _ZN6thrust23THRUST_200600_302600_NS11hip_rocprim14__parallel_for6kernelILj256ENS1_11__transform17unary_transform_fINS0_6detail15normal_iteratorINS0_10device_ptrIdEEEENS7_INS8_IfEEEENS4_14no_stencil_tagENS0_8identityIdEENS4_21always_true_predicateEEElLj1EEEvT0_T1_SJ_.kd
    .uniform_work_group_size: 1
    .uses_dynamic_stack: false
    .vgpr_count:     5
    .vgpr_spill_count: 0
    .wavefront_size: 32
    .workgroup_processor_mode: 1
  - .args:
      - .offset:         0
        .size:           24
        .value_kind:     by_value
      - .offset:         24
        .size:           8
        .value_kind:     by_value
      - .offset:         32
        .size:           8
        .value_kind:     by_value
    .group_segment_fixed_size: 0
    .kernarg_segment_align: 8
    .kernarg_segment_size: 40
    .language:       OpenCL C
    .language_version:
      - 2
      - 0
    .max_flat_workgroup_size: 256
    .name:           _ZN6thrust23THRUST_200600_302600_NS11hip_rocprim14__parallel_for6kernelILj256ENS1_11__transform17unary_transform_fINS0_10device_ptrIdEENS6_IfEENS4_14no_stencil_tagENS0_8identityIdEENS4_21always_true_predicateEEElLj1EEEvT0_T1_SF_
    .private_segment_fixed_size: 0
    .sgpr_count:     18
    .sgpr_spill_count: 0
    .symbol:         _ZN6thrust23THRUST_200600_302600_NS11hip_rocprim14__parallel_for6kernelILj256ENS1_11__transform17unary_transform_fINS0_10device_ptrIdEENS6_IfEENS4_14no_stencil_tagENS0_8identityIdEENS4_21always_true_predicateEEElLj1EEEvT0_T1_SF_.kd
    .uniform_work_group_size: 1
    .uses_dynamic_stack: false
    .vgpr_count:     5
    .vgpr_spill_count: 0
    .wavefront_size: 32
    .workgroup_processor_mode: 1
  - .args:
      - .offset:         0
        .size:           16
        .value_kind:     by_value
      - .offset:         16
        .size:           8
        .value_kind:     by_value
      - .offset:         24
        .size:           8
        .value_kind:     by_value
    .group_segment_fixed_size: 0
    .kernarg_segment_align: 8
    .kernarg_segment_size: 32
    .language:       OpenCL C
    .language_version:
      - 2
      - 0
    .max_flat_workgroup_size: 256
    .name:           _ZN6thrust23THRUST_200600_302600_NS11hip_rocprim14__parallel_for6kernelILj256ENS1_20__uninitialized_copy7functorINS0_6detail15normal_iteratorINS0_10device_ptrIyEEEENS0_7pointerIyNS1_3tagENS0_11use_defaultESD_EEEEmLj1EEEvT0_T1_SH_
    .private_segment_fixed_size: 0
    .sgpr_count:     18
    .sgpr_spill_count: 0
    .symbol:         _ZN6thrust23THRUST_200600_302600_NS11hip_rocprim14__parallel_for6kernelILj256ENS1_20__uninitialized_copy7functorINS0_6detail15normal_iteratorINS0_10device_ptrIyEEEENS0_7pointerIyNS1_3tagENS0_11use_defaultESD_EEEEmLj1EEEvT0_T1_SH_.kd
    .uniform_work_group_size: 1
    .uses_dynamic_stack: false
    .vgpr_count:     5
    .vgpr_spill_count: 0
    .wavefront_size: 32
    .workgroup_processor_mode: 1
  - .args:
      - .offset:         0
        .size:           24
        .value_kind:     by_value
      - .offset:         24
        .size:           8
        .value_kind:     by_value
      - .offset:         32
        .size:           8
        .value_kind:     by_value
    .group_segment_fixed_size: 0
    .kernarg_segment_align: 8
    .kernarg_segment_size: 40
    .language:       OpenCL C
    .language_version:
      - 2
      - 0
    .max_flat_workgroup_size: 256
    .name:           _ZN6thrust23THRUST_200600_302600_NS11hip_rocprim14__parallel_for6kernelILj256ENS1_11__transform17unary_transform_fINS0_6detail15normal_iteratorINS0_10device_ptrIyEEEENS7_INS8_IfEEEENS4_14no_stencil_tagENS0_8identityIyEENS4_21always_true_predicateEEElLj1EEEvT0_T1_SJ_
    .private_segment_fixed_size: 0
    .sgpr_count:     18
    .sgpr_spill_count: 0
    .symbol:         _ZN6thrust23THRUST_200600_302600_NS11hip_rocprim14__parallel_for6kernelILj256ENS1_11__transform17unary_transform_fINS0_6detail15normal_iteratorINS0_10device_ptrIyEEEENS7_INS8_IfEEEENS4_14no_stencil_tagENS0_8identityIyEENS4_21always_true_predicateEEElLj1EEEvT0_T1_SJ_.kd
    .uniform_work_group_size: 1
    .uses_dynamic_stack: false
    .vgpr_count:     6
    .vgpr_spill_count: 0
    .wavefront_size: 32
    .workgroup_processor_mode: 1
  - .args:
      - .offset:         0
        .size:           24
        .value_kind:     by_value
      - .offset:         24
        .size:           8
        .value_kind:     by_value
      - .offset:         32
        .size:           8
        .value_kind:     by_value
    .group_segment_fixed_size: 0
    .kernarg_segment_align: 8
    .kernarg_segment_size: 40
    .language:       OpenCL C
    .language_version:
      - 2
      - 0
    .max_flat_workgroup_size: 256
    .name:           _ZN6thrust23THRUST_200600_302600_NS11hip_rocprim14__parallel_for6kernelILj256ENS1_11__transform17unary_transform_fINS0_10device_ptrIyEENS6_IfEENS4_14no_stencil_tagENS0_8identityIyEENS4_21always_true_predicateEEElLj1EEEvT0_T1_SF_
    .private_segment_fixed_size: 0
    .sgpr_count:     18
    .sgpr_spill_count: 0
    .symbol:         _ZN6thrust23THRUST_200600_302600_NS11hip_rocprim14__parallel_for6kernelILj256ENS1_11__transform17unary_transform_fINS0_10device_ptrIyEENS6_IfEENS4_14no_stencil_tagENS0_8identityIyEENS4_21always_true_predicateEEElLj1EEEvT0_T1_SF_.kd
    .uniform_work_group_size: 1
    .uses_dynamic_stack: false
    .vgpr_count:     6
    .vgpr_spill_count: 0
    .wavefront_size: 32
    .workgroup_processor_mode: 1
  - .args:
      - .offset:         0
        .size:           16
        .value_kind:     by_value
      - .offset:         16
        .size:           8
        .value_kind:     by_value
      - .offset:         24
        .size:           8
        .value_kind:     by_value
    .group_segment_fixed_size: 0
    .kernarg_segment_align: 8
    .kernarg_segment_size: 32
    .language:       OpenCL C
    .language_version:
      - 2
      - 0
    .max_flat_workgroup_size: 256
    .name:           _ZN6thrust23THRUST_200600_302600_NS11hip_rocprim14__parallel_for6kernelILj256ENS1_20__uninitialized_copy7functorINS0_6detail15normal_iteratorINS0_10device_ptrIjEEEENS0_7pointerIjNS1_3tagENS0_11use_defaultESD_EEEEmLj1EEEvT0_T1_SH_
    .private_segment_fixed_size: 0
    .sgpr_count:     18
    .sgpr_spill_count: 0
    .symbol:         _ZN6thrust23THRUST_200600_302600_NS11hip_rocprim14__parallel_for6kernelILj256ENS1_20__uninitialized_copy7functorINS0_6detail15normal_iteratorINS0_10device_ptrIjEEEENS0_7pointerIjNS1_3tagENS0_11use_defaultESD_EEEEmLj1EEEvT0_T1_SH_.kd
    .uniform_work_group_size: 1
    .uses_dynamic_stack: false
    .vgpr_count:     5
    .vgpr_spill_count: 0
    .wavefront_size: 32
    .workgroup_processor_mode: 1
  - .args:
      - .offset:         0
        .size:           24
        .value_kind:     by_value
      - .offset:         24
        .size:           8
        .value_kind:     by_value
      - .offset:         32
        .size:           8
        .value_kind:     by_value
    .group_segment_fixed_size: 0
    .kernarg_segment_align: 8
    .kernarg_segment_size: 40
    .language:       OpenCL C
    .language_version:
      - 2
      - 0
    .max_flat_workgroup_size: 256
    .name:           _ZN6thrust23THRUST_200600_302600_NS11hip_rocprim14__parallel_for6kernelILj256ENS1_11__transform17unary_transform_fINS0_6detail15normal_iteratorINS0_10device_ptrIjEEEENS7_INS8_IfEEEENS4_14no_stencil_tagENS0_8identityIjEENS4_21always_true_predicateEEElLj1EEEvT0_T1_SJ_
    .private_segment_fixed_size: 0
    .sgpr_count:     18
    .sgpr_spill_count: 0
    .symbol:         _ZN6thrust23THRUST_200600_302600_NS11hip_rocprim14__parallel_for6kernelILj256ENS1_11__transform17unary_transform_fINS0_6detail15normal_iteratorINS0_10device_ptrIjEEEENS7_INS8_IfEEEENS4_14no_stencil_tagENS0_8identityIjEENS4_21always_true_predicateEEElLj1EEEvT0_T1_SJ_.kd
    .uniform_work_group_size: 1
    .uses_dynamic_stack: false
    .vgpr_count:     5
    .vgpr_spill_count: 0
    .wavefront_size: 32
    .workgroup_processor_mode: 1
  - .args:
      - .offset:         0
        .size:           24
        .value_kind:     by_value
      - .offset:         24
        .size:           8
        .value_kind:     by_value
      - .offset:         32
        .size:           8
        .value_kind:     by_value
    .group_segment_fixed_size: 0
    .kernarg_segment_align: 8
    .kernarg_segment_size: 40
    .language:       OpenCL C
    .language_version:
      - 2
      - 0
    .max_flat_workgroup_size: 256
    .name:           _ZN6thrust23THRUST_200600_302600_NS11hip_rocprim14__parallel_for6kernelILj256ENS1_11__transform17unary_transform_fINS0_10device_ptrIjEENS6_IfEENS4_14no_stencil_tagENS0_8identityIjEENS4_21always_true_predicateEEElLj1EEEvT0_T1_SF_
    .private_segment_fixed_size: 0
    .sgpr_count:     18
    .sgpr_spill_count: 0
    .symbol:         _ZN6thrust23THRUST_200600_302600_NS11hip_rocprim14__parallel_for6kernelILj256ENS1_11__transform17unary_transform_fINS0_10device_ptrIjEENS6_IfEENS4_14no_stencil_tagENS0_8identityIjEENS4_21always_true_predicateEEElLj1EEEvT0_T1_SF_.kd
    .uniform_work_group_size: 1
    .uses_dynamic_stack: false
    .vgpr_count:     5
    .vgpr_spill_count: 0
    .wavefront_size: 32
    .workgroup_processor_mode: 1
  - .args:
      - .offset:         0
        .size:           16
        .value_kind:     by_value
      - .offset:         16
        .size:           8
        .value_kind:     by_value
      - .offset:         24
        .size:           8
        .value_kind:     by_value
    .group_segment_fixed_size: 0
    .kernarg_segment_align: 8
    .kernarg_segment_size: 32
    .language:       OpenCL C
    .language_version:
      - 2
      - 0
    .max_flat_workgroup_size: 256
    .name:           _ZN6thrust23THRUST_200600_302600_NS11hip_rocprim14__parallel_for6kernelILj256ENS1_20__uninitialized_copy7functorINS0_6detail15normal_iteratorINS0_10device_ptrItEEEENS0_7pointerItNS1_3tagENS0_11use_defaultESD_EEEEmLj1EEEvT0_T1_SH_
    .private_segment_fixed_size: 0
    .sgpr_count:     18
    .sgpr_spill_count: 0
    .symbol:         _ZN6thrust23THRUST_200600_302600_NS11hip_rocprim14__parallel_for6kernelILj256ENS1_20__uninitialized_copy7functorINS0_6detail15normal_iteratorINS0_10device_ptrItEEEENS0_7pointerItNS1_3tagENS0_11use_defaultESD_EEEEmLj1EEEvT0_T1_SH_.kd
    .uniform_work_group_size: 1
    .uses_dynamic_stack: false
    .vgpr_count:     5
    .vgpr_spill_count: 0
    .wavefront_size: 32
    .workgroup_processor_mode: 1
  - .args:
      - .offset:         0
        .size:           24
        .value_kind:     by_value
      - .offset:         24
        .size:           8
        .value_kind:     by_value
      - .offset:         32
        .size:           8
        .value_kind:     by_value
    .group_segment_fixed_size: 0
    .kernarg_segment_align: 8
    .kernarg_segment_size: 40
    .language:       OpenCL C
    .language_version:
      - 2
      - 0
    .max_flat_workgroup_size: 256
    .name:           _ZN6thrust23THRUST_200600_302600_NS11hip_rocprim14__parallel_for6kernelILj256ENS1_11__transform17unary_transform_fINS0_6detail15normal_iteratorINS0_10device_ptrItEEEENS7_INS8_IfEEEENS4_14no_stencil_tagENS0_8identityItEENS4_21always_true_predicateEEElLj1EEEvT0_T1_SJ_
    .private_segment_fixed_size: 0
    .sgpr_count:     18
    .sgpr_spill_count: 0
    .symbol:         _ZN6thrust23THRUST_200600_302600_NS11hip_rocprim14__parallel_for6kernelILj256ENS1_11__transform17unary_transform_fINS0_6detail15normal_iteratorINS0_10device_ptrItEEEENS7_INS8_IfEEEENS4_14no_stencil_tagENS0_8identityItEENS4_21always_true_predicateEEElLj1EEEvT0_T1_SJ_.kd
    .uniform_work_group_size: 1
    .uses_dynamic_stack: false
    .vgpr_count:     5
    .vgpr_spill_count: 0
    .wavefront_size: 32
    .workgroup_processor_mode: 1
  - .args:
      - .offset:         0
        .size:           24
        .value_kind:     by_value
      - .offset:         24
        .size:           8
        .value_kind:     by_value
      - .offset:         32
        .size:           8
        .value_kind:     by_value
    .group_segment_fixed_size: 0
    .kernarg_segment_align: 8
    .kernarg_segment_size: 40
    .language:       OpenCL C
    .language_version:
      - 2
      - 0
    .max_flat_workgroup_size: 256
    .name:           _ZN6thrust23THRUST_200600_302600_NS11hip_rocprim14__parallel_for6kernelILj256ENS1_11__transform17unary_transform_fINS0_10device_ptrItEENS6_IfEENS4_14no_stencil_tagENS0_8identityItEENS4_21always_true_predicateEEElLj1EEEvT0_T1_SF_
    .private_segment_fixed_size: 0
    .sgpr_count:     18
    .sgpr_spill_count: 0
    .symbol:         _ZN6thrust23THRUST_200600_302600_NS11hip_rocprim14__parallel_for6kernelILj256ENS1_11__transform17unary_transform_fINS0_10device_ptrItEENS6_IfEENS4_14no_stencil_tagENS0_8identityItEENS4_21always_true_predicateEEElLj1EEEvT0_T1_SF_.kd
    .uniform_work_group_size: 1
    .uses_dynamic_stack: false
    .vgpr_count:     5
    .vgpr_spill_count: 0
    .wavefront_size: 32
    .workgroup_processor_mode: 1
  - .args:
      - .offset:         0
        .size:           16
        .value_kind:     by_value
      - .offset:         16
        .size:           8
        .value_kind:     by_value
      - .offset:         24
        .size:           8
        .value_kind:     by_value
    .group_segment_fixed_size: 0
    .kernarg_segment_align: 8
    .kernarg_segment_size: 32
    .language:       OpenCL C
    .language_version:
      - 2
      - 0
    .max_flat_workgroup_size: 256
    .name:           _ZN6thrust23THRUST_200600_302600_NS11hip_rocprim14__parallel_for6kernelILj256ENS1_20__uninitialized_copy7functorINS0_6detail15normal_iteratorINS0_10device_ptrIxEEEENS0_7pointerIxNS1_3tagENS0_11use_defaultESD_EEEEmLj1EEEvT0_T1_SH_
    .private_segment_fixed_size: 0
    .sgpr_count:     18
    .sgpr_spill_count: 0
    .symbol:         _ZN6thrust23THRUST_200600_302600_NS11hip_rocprim14__parallel_for6kernelILj256ENS1_20__uninitialized_copy7functorINS0_6detail15normal_iteratorINS0_10device_ptrIxEEEENS0_7pointerIxNS1_3tagENS0_11use_defaultESD_EEEEmLj1EEEvT0_T1_SH_.kd
    .uniform_work_group_size: 1
    .uses_dynamic_stack: false
    .vgpr_count:     5
    .vgpr_spill_count: 0
    .wavefront_size: 32
    .workgroup_processor_mode: 1
  - .args:
      - .offset:         0
        .size:           24
        .value_kind:     by_value
      - .offset:         24
        .size:           8
        .value_kind:     by_value
      - .offset:         32
        .size:           8
        .value_kind:     by_value
    .group_segment_fixed_size: 0
    .kernarg_segment_align: 8
    .kernarg_segment_size: 40
    .language:       OpenCL C
    .language_version:
      - 2
      - 0
    .max_flat_workgroup_size: 256
    .name:           _ZN6thrust23THRUST_200600_302600_NS11hip_rocprim14__parallel_for6kernelILj256ENS1_11__transform17unary_transform_fINS0_6detail15normal_iteratorINS0_10device_ptrIxEEEENS7_INS8_IfEEEENS4_14no_stencil_tagENS0_8identityIxEENS4_21always_true_predicateEEElLj1EEEvT0_T1_SJ_
    .private_segment_fixed_size: 0
    .sgpr_count:     18
    .sgpr_spill_count: 0
    .symbol:         _ZN6thrust23THRUST_200600_302600_NS11hip_rocprim14__parallel_for6kernelILj256ENS1_11__transform17unary_transform_fINS0_6detail15normal_iteratorINS0_10device_ptrIxEEEENS7_INS8_IfEEEENS4_14no_stencil_tagENS0_8identityIxEENS4_21always_true_predicateEEElLj1EEEvT0_T1_SJ_.kd
    .uniform_work_group_size: 1
    .uses_dynamic_stack: false
    .vgpr_count:     7
    .vgpr_spill_count: 0
    .wavefront_size: 32
    .workgroup_processor_mode: 1
  - .args:
      - .offset:         0
        .size:           24
        .value_kind:     by_value
      - .offset:         24
        .size:           8
        .value_kind:     by_value
      - .offset:         32
        .size:           8
        .value_kind:     by_value
    .group_segment_fixed_size: 0
    .kernarg_segment_align: 8
    .kernarg_segment_size: 40
    .language:       OpenCL C
    .language_version:
      - 2
      - 0
    .max_flat_workgroup_size: 256
    .name:           _ZN6thrust23THRUST_200600_302600_NS11hip_rocprim14__parallel_for6kernelILj256ENS1_11__transform17unary_transform_fINS0_10device_ptrIxEENS6_IfEENS4_14no_stencil_tagENS0_8identityIxEENS4_21always_true_predicateEEElLj1EEEvT0_T1_SF_
    .private_segment_fixed_size: 0
    .sgpr_count:     18
    .sgpr_spill_count: 0
    .symbol:         _ZN6thrust23THRUST_200600_302600_NS11hip_rocprim14__parallel_for6kernelILj256ENS1_11__transform17unary_transform_fINS0_10device_ptrIxEENS6_IfEENS4_14no_stencil_tagENS0_8identityIxEENS4_21always_true_predicateEEElLj1EEEvT0_T1_SF_.kd
    .uniform_work_group_size: 1
    .uses_dynamic_stack: false
    .vgpr_count:     7
    .vgpr_spill_count: 0
    .wavefront_size: 32
    .workgroup_processor_mode: 1
  - .args:
      - .offset:         0
        .size:           16
        .value_kind:     by_value
      - .offset:         16
        .size:           8
        .value_kind:     by_value
      - .offset:         24
        .size:           8
        .value_kind:     by_value
    .group_segment_fixed_size: 0
    .kernarg_segment_align: 8
    .kernarg_segment_size: 32
    .language:       OpenCL C
    .language_version:
      - 2
      - 0
    .max_flat_workgroup_size: 256
    .name:           _ZN6thrust23THRUST_200600_302600_NS11hip_rocprim14__parallel_for6kernelILj256ENS1_20__uninitialized_copy7functorINS0_6detail15normal_iteratorINS0_10device_ptrIiEEEENS0_7pointerIiNS1_3tagENS0_11use_defaultESD_EEEEmLj1EEEvT0_T1_SH_
    .private_segment_fixed_size: 0
    .sgpr_count:     18
    .sgpr_spill_count: 0
    .symbol:         _ZN6thrust23THRUST_200600_302600_NS11hip_rocprim14__parallel_for6kernelILj256ENS1_20__uninitialized_copy7functorINS0_6detail15normal_iteratorINS0_10device_ptrIiEEEENS0_7pointerIiNS1_3tagENS0_11use_defaultESD_EEEEmLj1EEEvT0_T1_SH_.kd
    .uniform_work_group_size: 1
    .uses_dynamic_stack: false
    .vgpr_count:     5
    .vgpr_spill_count: 0
    .wavefront_size: 32
    .workgroup_processor_mode: 1
  - .args:
      - .offset:         0
        .size:           24
        .value_kind:     by_value
      - .offset:         24
        .size:           8
        .value_kind:     by_value
      - .offset:         32
        .size:           8
        .value_kind:     by_value
    .group_segment_fixed_size: 0
    .kernarg_segment_align: 8
    .kernarg_segment_size: 40
    .language:       OpenCL C
    .language_version:
      - 2
      - 0
    .max_flat_workgroup_size: 256
    .name:           _ZN6thrust23THRUST_200600_302600_NS11hip_rocprim14__parallel_for6kernelILj256ENS1_11__transform17unary_transform_fINS0_6detail15normal_iteratorINS0_10device_ptrIiEEEENS7_INS8_IfEEEENS4_14no_stencil_tagENS0_8identityIiEENS4_21always_true_predicateEEElLj1EEEvT0_T1_SJ_
    .private_segment_fixed_size: 0
    .sgpr_count:     18
    .sgpr_spill_count: 0
    .symbol:         _ZN6thrust23THRUST_200600_302600_NS11hip_rocprim14__parallel_for6kernelILj256ENS1_11__transform17unary_transform_fINS0_6detail15normal_iteratorINS0_10device_ptrIiEEEENS7_INS8_IfEEEENS4_14no_stencil_tagENS0_8identityIiEENS4_21always_true_predicateEEElLj1EEEvT0_T1_SJ_.kd
    .uniform_work_group_size: 1
    .uses_dynamic_stack: false
    .vgpr_count:     5
    .vgpr_spill_count: 0
    .wavefront_size: 32
    .workgroup_processor_mode: 1
  - .args:
      - .offset:         0
        .size:           24
        .value_kind:     by_value
      - .offset:         24
        .size:           8
        .value_kind:     by_value
      - .offset:         32
        .size:           8
        .value_kind:     by_value
    .group_segment_fixed_size: 0
    .kernarg_segment_align: 8
    .kernarg_segment_size: 40
    .language:       OpenCL C
    .language_version:
      - 2
      - 0
    .max_flat_workgroup_size: 256
    .name:           _ZN6thrust23THRUST_200600_302600_NS11hip_rocprim14__parallel_for6kernelILj256ENS1_11__transform17unary_transform_fINS0_10device_ptrIiEENS6_IfEENS4_14no_stencil_tagENS0_8identityIiEENS4_21always_true_predicateEEElLj1EEEvT0_T1_SF_
    .private_segment_fixed_size: 0
    .sgpr_count:     18
    .sgpr_spill_count: 0
    .symbol:         _ZN6thrust23THRUST_200600_302600_NS11hip_rocprim14__parallel_for6kernelILj256ENS1_11__transform17unary_transform_fINS0_10device_ptrIiEENS6_IfEENS4_14no_stencil_tagENS0_8identityIiEENS4_21always_true_predicateEEElLj1EEEvT0_T1_SF_.kd
    .uniform_work_group_size: 1
    .uses_dynamic_stack: false
    .vgpr_count:     5
    .vgpr_spill_count: 0
    .wavefront_size: 32
    .workgroup_processor_mode: 1
  - .args:
      - .offset:         0
        .size:           16
        .value_kind:     by_value
      - .offset:         16
        .size:           8
        .value_kind:     by_value
      - .offset:         24
        .size:           8
        .value_kind:     by_value
    .group_segment_fixed_size: 0
    .kernarg_segment_align: 8
    .kernarg_segment_size: 32
    .language:       OpenCL C
    .language_version:
      - 2
      - 0
    .max_flat_workgroup_size: 256
    .name:           _ZN6thrust23THRUST_200600_302600_NS11hip_rocprim14__parallel_for6kernelILj256ENS1_20__uninitialized_copy7functorINS0_6detail15normal_iteratorINS0_10device_ptrIsEEEENS0_7pointerIsNS1_3tagENS0_11use_defaultESD_EEEEmLj1EEEvT0_T1_SH_
    .private_segment_fixed_size: 0
    .sgpr_count:     18
    .sgpr_spill_count: 0
    .symbol:         _ZN6thrust23THRUST_200600_302600_NS11hip_rocprim14__parallel_for6kernelILj256ENS1_20__uninitialized_copy7functorINS0_6detail15normal_iteratorINS0_10device_ptrIsEEEENS0_7pointerIsNS1_3tagENS0_11use_defaultESD_EEEEmLj1EEEvT0_T1_SH_.kd
    .uniform_work_group_size: 1
    .uses_dynamic_stack: false
    .vgpr_count:     5
    .vgpr_spill_count: 0
    .wavefront_size: 32
    .workgroup_processor_mode: 1
  - .args:
      - .offset:         0
        .size:           24
        .value_kind:     by_value
      - .offset:         24
        .size:           8
        .value_kind:     by_value
      - .offset:         32
        .size:           8
        .value_kind:     by_value
    .group_segment_fixed_size: 0
    .kernarg_segment_align: 8
    .kernarg_segment_size: 40
    .language:       OpenCL C
    .language_version:
      - 2
      - 0
    .max_flat_workgroup_size: 256
    .name:           _ZN6thrust23THRUST_200600_302600_NS11hip_rocprim14__parallel_for6kernelILj256ENS1_11__transform17unary_transform_fINS0_6detail15normal_iteratorINS0_10device_ptrIsEEEENS7_INS8_IfEEEENS4_14no_stencil_tagENS0_8identityIsEENS4_21always_true_predicateEEElLj1EEEvT0_T1_SJ_
    .private_segment_fixed_size: 0
    .sgpr_count:     18
    .sgpr_spill_count: 0
    .symbol:         _ZN6thrust23THRUST_200600_302600_NS11hip_rocprim14__parallel_for6kernelILj256ENS1_11__transform17unary_transform_fINS0_6detail15normal_iteratorINS0_10device_ptrIsEEEENS7_INS8_IfEEEENS4_14no_stencil_tagENS0_8identityIsEENS4_21always_true_predicateEEElLj1EEEvT0_T1_SJ_.kd
    .uniform_work_group_size: 1
    .uses_dynamic_stack: false
    .vgpr_count:     5
    .vgpr_spill_count: 0
    .wavefront_size: 32
    .workgroup_processor_mode: 1
  - .args:
      - .offset:         0
        .size:           24
        .value_kind:     by_value
      - .offset:         24
        .size:           8
        .value_kind:     by_value
      - .offset:         32
        .size:           8
        .value_kind:     by_value
    .group_segment_fixed_size: 0
    .kernarg_segment_align: 8
    .kernarg_segment_size: 40
    .language:       OpenCL C
    .language_version:
      - 2
      - 0
    .max_flat_workgroup_size: 256
    .name:           _ZN6thrust23THRUST_200600_302600_NS11hip_rocprim14__parallel_for6kernelILj256ENS1_11__transform17unary_transform_fINS0_10device_ptrIsEENS6_IfEENS4_14no_stencil_tagENS0_8identityIsEENS4_21always_true_predicateEEElLj1EEEvT0_T1_SF_
    .private_segment_fixed_size: 0
    .sgpr_count:     18
    .sgpr_spill_count: 0
    .symbol:         _ZN6thrust23THRUST_200600_302600_NS11hip_rocprim14__parallel_for6kernelILj256ENS1_11__transform17unary_transform_fINS0_10device_ptrIsEENS6_IfEENS4_14no_stencil_tagENS0_8identityIsEENS4_21always_true_predicateEEElLj1EEEvT0_T1_SF_.kd
    .uniform_work_group_size: 1
    .uses_dynamic_stack: false
    .vgpr_count:     5
    .vgpr_spill_count: 0
    .wavefront_size: 32
    .workgroup_processor_mode: 1
  - .args:
      - .offset:         0
        .size:           24
        .value_kind:     by_value
      - .offset:         24
        .size:           8
        .value_kind:     by_value
      - .offset:         32
        .size:           8
        .value_kind:     by_value
    .group_segment_fixed_size: 0
    .kernarg_segment_align: 8
    .kernarg_segment_size: 40
    .language:       OpenCL C
    .language_version:
      - 2
      - 0
    .max_flat_workgroup_size: 256
    .name:           _ZN6thrust23THRUST_200600_302600_NS11hip_rocprim14__parallel_for6kernelILj256ENS1_11__transform17unary_transform_fINS0_7pointerIdNS1_3tagENS0_11use_defaultES8_EENS0_6detail15normal_iteratorINS0_10device_ptrIfEEEENS4_14no_stencil_tagENS0_8identityIdEENS4_21always_true_predicateEEElLj1EEEvT0_T1_SL_
    .private_segment_fixed_size: 0
    .sgpr_count:     18
    .sgpr_spill_count: 0
    .symbol:         _ZN6thrust23THRUST_200600_302600_NS11hip_rocprim14__parallel_for6kernelILj256ENS1_11__transform17unary_transform_fINS0_7pointerIdNS1_3tagENS0_11use_defaultES8_EENS0_6detail15normal_iteratorINS0_10device_ptrIfEEEENS4_14no_stencil_tagENS0_8identityIdEENS4_21always_true_predicateEEElLj1EEEvT0_T1_SL_.kd
    .uniform_work_group_size: 1
    .uses_dynamic_stack: false
    .vgpr_count:     5
    .vgpr_spill_count: 0
    .wavefront_size: 32
    .workgroup_processor_mode: 1
  - .args:
      - .offset:         0
        .size:           24
        .value_kind:     by_value
      - .offset:         24
        .size:           8
        .value_kind:     by_value
      - .offset:         32
        .size:           8
        .value_kind:     by_value
    .group_segment_fixed_size: 0
    .kernarg_segment_align: 8
    .kernarg_segment_size: 40
    .language:       OpenCL C
    .language_version:
      - 2
      - 0
    .max_flat_workgroup_size: 256
    .name:           _ZN6thrust23THRUST_200600_302600_NS11hip_rocprim14__parallel_for6kernelILj256ENS1_11__transform17unary_transform_fINS0_7pointerIyNS1_3tagENS0_11use_defaultES8_EENS0_6detail15normal_iteratorINS0_10device_ptrIfEEEENS4_14no_stencil_tagENS0_8identityIyEENS4_21always_true_predicateEEElLj1EEEvT0_T1_SL_
    .private_segment_fixed_size: 0
    .sgpr_count:     18
    .sgpr_spill_count: 0
    .symbol:         _ZN6thrust23THRUST_200600_302600_NS11hip_rocprim14__parallel_for6kernelILj256ENS1_11__transform17unary_transform_fINS0_7pointerIyNS1_3tagENS0_11use_defaultES8_EENS0_6detail15normal_iteratorINS0_10device_ptrIfEEEENS4_14no_stencil_tagENS0_8identityIyEENS4_21always_true_predicateEEElLj1EEEvT0_T1_SL_.kd
    .uniform_work_group_size: 1
    .uses_dynamic_stack: false
    .vgpr_count:     6
    .vgpr_spill_count: 0
    .wavefront_size: 32
    .workgroup_processor_mode: 1
  - .args:
      - .offset:         0
        .size:           24
        .value_kind:     by_value
      - .offset:         24
        .size:           8
        .value_kind:     by_value
      - .offset:         32
        .size:           8
        .value_kind:     by_value
    .group_segment_fixed_size: 0
    .kernarg_segment_align: 8
    .kernarg_segment_size: 40
    .language:       OpenCL C
    .language_version:
      - 2
      - 0
    .max_flat_workgroup_size: 256
    .name:           _ZN6thrust23THRUST_200600_302600_NS11hip_rocprim14__parallel_for6kernelILj256ENS1_11__transform17unary_transform_fINS0_7pointerIjNS1_3tagENS0_11use_defaultES8_EENS0_6detail15normal_iteratorINS0_10device_ptrIfEEEENS4_14no_stencil_tagENS0_8identityIjEENS4_21always_true_predicateEEElLj1EEEvT0_T1_SL_
    .private_segment_fixed_size: 0
    .sgpr_count:     18
    .sgpr_spill_count: 0
    .symbol:         _ZN6thrust23THRUST_200600_302600_NS11hip_rocprim14__parallel_for6kernelILj256ENS1_11__transform17unary_transform_fINS0_7pointerIjNS1_3tagENS0_11use_defaultES8_EENS0_6detail15normal_iteratorINS0_10device_ptrIfEEEENS4_14no_stencil_tagENS0_8identityIjEENS4_21always_true_predicateEEElLj1EEEvT0_T1_SL_.kd
    .uniform_work_group_size: 1
    .uses_dynamic_stack: false
    .vgpr_count:     5
    .vgpr_spill_count: 0
    .wavefront_size: 32
    .workgroup_processor_mode: 1
  - .args:
      - .offset:         0
        .size:           24
        .value_kind:     by_value
      - .offset:         24
        .size:           8
        .value_kind:     by_value
      - .offset:         32
        .size:           8
        .value_kind:     by_value
    .group_segment_fixed_size: 0
    .kernarg_segment_align: 8
    .kernarg_segment_size: 40
    .language:       OpenCL C
    .language_version:
      - 2
      - 0
    .max_flat_workgroup_size: 256
    .name:           _ZN6thrust23THRUST_200600_302600_NS11hip_rocprim14__parallel_for6kernelILj256ENS1_11__transform17unary_transform_fINS0_7pointerItNS1_3tagENS0_11use_defaultES8_EENS0_6detail15normal_iteratorINS0_10device_ptrIfEEEENS4_14no_stencil_tagENS0_8identityItEENS4_21always_true_predicateEEElLj1EEEvT0_T1_SL_
    .private_segment_fixed_size: 0
    .sgpr_count:     18
    .sgpr_spill_count: 0
    .symbol:         _ZN6thrust23THRUST_200600_302600_NS11hip_rocprim14__parallel_for6kernelILj256ENS1_11__transform17unary_transform_fINS0_7pointerItNS1_3tagENS0_11use_defaultES8_EENS0_6detail15normal_iteratorINS0_10device_ptrIfEEEENS4_14no_stencil_tagENS0_8identityItEENS4_21always_true_predicateEEElLj1EEEvT0_T1_SL_.kd
    .uniform_work_group_size: 1
    .uses_dynamic_stack: false
    .vgpr_count:     5
    .vgpr_spill_count: 0
    .wavefront_size: 32
    .workgroup_processor_mode: 1
  - .args:
      - .offset:         0
        .size:           24
        .value_kind:     by_value
      - .offset:         24
        .size:           8
        .value_kind:     by_value
      - .offset:         32
        .size:           8
        .value_kind:     by_value
    .group_segment_fixed_size: 0
    .kernarg_segment_align: 8
    .kernarg_segment_size: 40
    .language:       OpenCL C
    .language_version:
      - 2
      - 0
    .max_flat_workgroup_size: 256
    .name:           _ZN6thrust23THRUST_200600_302600_NS11hip_rocprim14__parallel_for6kernelILj256ENS1_11__transform17unary_transform_fINS0_7pointerIxNS1_3tagENS0_11use_defaultES8_EENS0_6detail15normal_iteratorINS0_10device_ptrIfEEEENS4_14no_stencil_tagENS0_8identityIxEENS4_21always_true_predicateEEElLj1EEEvT0_T1_SL_
    .private_segment_fixed_size: 0
    .sgpr_count:     18
    .sgpr_spill_count: 0
    .symbol:         _ZN6thrust23THRUST_200600_302600_NS11hip_rocprim14__parallel_for6kernelILj256ENS1_11__transform17unary_transform_fINS0_7pointerIxNS1_3tagENS0_11use_defaultES8_EENS0_6detail15normal_iteratorINS0_10device_ptrIfEEEENS4_14no_stencil_tagENS0_8identityIxEENS4_21always_true_predicateEEElLj1EEEvT0_T1_SL_.kd
    .uniform_work_group_size: 1
    .uses_dynamic_stack: false
    .vgpr_count:     7
    .vgpr_spill_count: 0
    .wavefront_size: 32
    .workgroup_processor_mode: 1
  - .args:
      - .offset:         0
        .size:           24
        .value_kind:     by_value
      - .offset:         24
        .size:           8
        .value_kind:     by_value
      - .offset:         32
        .size:           8
        .value_kind:     by_value
    .group_segment_fixed_size: 0
    .kernarg_segment_align: 8
    .kernarg_segment_size: 40
    .language:       OpenCL C
    .language_version:
      - 2
      - 0
    .max_flat_workgroup_size: 256
    .name:           _ZN6thrust23THRUST_200600_302600_NS11hip_rocprim14__parallel_for6kernelILj256ENS1_11__transform17unary_transform_fINS0_7pointerIiNS1_3tagENS0_11use_defaultES8_EENS0_6detail15normal_iteratorINS0_10device_ptrIfEEEENS4_14no_stencil_tagENS0_8identityIiEENS4_21always_true_predicateEEElLj1EEEvT0_T1_SL_
    .private_segment_fixed_size: 0
    .sgpr_count:     18
    .sgpr_spill_count: 0
    .symbol:         _ZN6thrust23THRUST_200600_302600_NS11hip_rocprim14__parallel_for6kernelILj256ENS1_11__transform17unary_transform_fINS0_7pointerIiNS1_3tagENS0_11use_defaultES8_EENS0_6detail15normal_iteratorINS0_10device_ptrIfEEEENS4_14no_stencil_tagENS0_8identityIiEENS4_21always_true_predicateEEElLj1EEEvT0_T1_SL_.kd
    .uniform_work_group_size: 1
    .uses_dynamic_stack: false
    .vgpr_count:     5
    .vgpr_spill_count: 0
    .wavefront_size: 32
    .workgroup_processor_mode: 1
  - .args:
      - .offset:         0
        .size:           24
        .value_kind:     by_value
      - .offset:         24
        .size:           8
        .value_kind:     by_value
      - .offset:         32
        .size:           8
        .value_kind:     by_value
    .group_segment_fixed_size: 0
    .kernarg_segment_align: 8
    .kernarg_segment_size: 40
    .language:       OpenCL C
    .language_version:
      - 2
      - 0
    .max_flat_workgroup_size: 256
    .name:           _ZN6thrust23THRUST_200600_302600_NS11hip_rocprim14__parallel_for6kernelILj256ENS1_11__transform17unary_transform_fINS0_7pointerIsNS1_3tagENS0_11use_defaultES8_EENS0_6detail15normal_iteratorINS0_10device_ptrIfEEEENS4_14no_stencil_tagENS0_8identityIsEENS4_21always_true_predicateEEElLj1EEEvT0_T1_SL_
    .private_segment_fixed_size: 0
    .sgpr_count:     18
    .sgpr_spill_count: 0
    .symbol:         _ZN6thrust23THRUST_200600_302600_NS11hip_rocprim14__parallel_for6kernelILj256ENS1_11__transform17unary_transform_fINS0_7pointerIsNS1_3tagENS0_11use_defaultES8_EENS0_6detail15normal_iteratorINS0_10device_ptrIfEEEENS4_14no_stencil_tagENS0_8identityIsEENS4_21always_true_predicateEEElLj1EEEvT0_T1_SL_.kd
    .uniform_work_group_size: 1
    .uses_dynamic_stack: false
    .vgpr_count:     5
    .vgpr_spill_count: 0
    .wavefront_size: 32
    .workgroup_processor_mode: 1
  - .args:
      - .offset:         0
        .size:           16
        .value_kind:     by_value
      - .offset:         16
        .size:           8
        .value_kind:     by_value
      - .offset:         24
        .size:           8
        .value_kind:     by_value
    .group_segment_fixed_size: 0
    .kernarg_segment_align: 8
    .kernarg_segment_size: 32
    .language:       OpenCL C
    .language_version:
      - 2
      - 0
    .max_flat_workgroup_size: 256
    .name:           _ZN6thrust23THRUST_200600_302600_NS11hip_rocprim14__parallel_for6kernelILj256ENS1_20__uninitialized_fill7functorINS0_10device_ptrIbEEbEEmLj1EEEvT0_T1_SA_
    .private_segment_fixed_size: 0
    .sgpr_count:     18
    .sgpr_spill_count: 0
    .symbol:         _ZN6thrust23THRUST_200600_302600_NS11hip_rocprim14__parallel_for6kernelILj256ENS1_20__uninitialized_fill7functorINS0_10device_ptrIbEEbEEmLj1EEEvT0_T1_SA_.kd
    .uniform_work_group_size: 1
    .uses_dynamic_stack: false
    .vgpr_count:     3
    .vgpr_spill_count: 0
    .wavefront_size: 32
    .workgroup_processor_mode: 1
  - .args:
      - .offset:         0
        .size:           24
        .value_kind:     by_value
      - .offset:         24
        .size:           8
        .value_kind:     by_value
      - .offset:         32
        .size:           8
        .value_kind:     by_value
    .group_segment_fixed_size: 0
    .kernarg_segment_align: 8
    .kernarg_segment_size: 40
    .language:       OpenCL C
    .language_version:
      - 2
      - 0
    .max_flat_workgroup_size: 256
    .name:           _ZN6thrust23THRUST_200600_302600_NS11hip_rocprim14__parallel_for6kernelILj256ENS1_11__transform17unary_transform_fINS0_7pointerI10large_dataNS1_3tagENS0_11use_defaultES9_EENS0_6detail15normal_iteratorINS0_10device_ptrIS7_EEEENS4_14no_stencil_tagENS0_8identityIS7_EENS4_21always_true_predicateEEElLj1EEEvT0_T1_SM_
    .private_segment_fixed_size: 0
    .sgpr_count:     18
    .sgpr_spill_count: 0
    .symbol:         _ZN6thrust23THRUST_200600_302600_NS11hip_rocprim14__parallel_for6kernelILj256ENS1_11__transform17unary_transform_fINS0_7pointerI10large_dataNS1_3tagENS0_11use_defaultES9_EENS0_6detail15normal_iteratorINS0_10device_ptrIS7_EEEENS4_14no_stencil_tagENS0_8identityIS7_EENS4_21always_true_predicateEEElLj1EEEvT0_T1_SM_.kd
    .uniform_work_group_size: 1
    .uses_dynamic_stack: false
    .vgpr_count:     5
    .vgpr_spill_count: 0
    .wavefront_size: 32
    .workgroup_processor_mode: 1
  - .args:
      - .offset:         0
        .size:           16
        .value_kind:     by_value
      - .offset:         16
        .size:           8
        .value_kind:     by_value
      - .offset:         24
        .size:           8
        .value_kind:     by_value
    .group_segment_fixed_size: 0
    .kernarg_segment_align: 8
    .kernarg_segment_size: 32
    .language:       OpenCL C
    .language_version:
      - 2
      - 0
    .max_flat_workgroup_size: 256
    .name:           _ZN6thrust23THRUST_200600_302600_NS11hip_rocprim14__parallel_for6kernelILj256ENS1_20__uninitialized_copy7functorINS0_6detail15normal_iteratorINS0_10device_ptrIfEEEENS0_7pointerIfNS1_3tagENS0_11use_defaultESD_EEEEmLj1EEEvT0_T1_SH_
    .private_segment_fixed_size: 0
    .sgpr_count:     18
    .sgpr_spill_count: 0
    .symbol:         _ZN6thrust23THRUST_200600_302600_NS11hip_rocprim14__parallel_for6kernelILj256ENS1_20__uninitialized_copy7functorINS0_6detail15normal_iteratorINS0_10device_ptrIfEEEENS0_7pointerIfNS1_3tagENS0_11use_defaultESD_EEEEmLj1EEEvT0_T1_SH_.kd
    .uniform_work_group_size: 1
    .uses_dynamic_stack: false
    .vgpr_count:     5
    .vgpr_spill_count: 0
    .wavefront_size: 32
    .workgroup_processor_mode: 1
  - .args:
      - .offset:         0
        .size:           40
        .value_kind:     by_value
    .group_segment_fixed_size: 0
    .kernarg_segment_align: 8
    .kernarg_segment_size: 40
    .language:       OpenCL C
    .language_version:
      - 2
      - 0
    .max_flat_workgroup_size: 256
    .name:           _ZN7rocprim17ROCPRIM_400000_NS6detail17trampoline_kernelINS0_14default_configENS1_25transform_config_selectorI10large_dataLb0EEEZNS1_14transform_implILb0ES3_S6_N6thrust23THRUST_200600_302600_NS6detail15normal_iteratorINS9_10device_ptrIS5_EEEENSB_INS9_7pointerIhNS9_11hip_rocprim5par_tENS9_11use_defaultESI_EEEEZNSG_9__copy_if7copy_ifISH_SE_SE_7is_evenIS5_EEENSt9enable_ifIXntltstNSt15iterator_traitsIT0_E10value_typeELi512EET1_E4typeERNSG_16execution_policyIT_EESR_SR_SU_T2_EUlRKSY_E_EE10hipError_tS11_T3_mT4_P12ihipStream_tbEUlSY_E_NS1_11comp_targetILNS1_3genE0ELNS1_11target_archE4294967295ELNS1_3gpuE0ELNS1_3repE0EEENS1_30default_config_static_selectorELNS0_4arch9wavefront6targetE0EEEvSU_
    .private_segment_fixed_size: 0
    .sgpr_count:     0
    .sgpr_spill_count: 0
    .symbol:         _ZN7rocprim17ROCPRIM_400000_NS6detail17trampoline_kernelINS0_14default_configENS1_25transform_config_selectorI10large_dataLb0EEEZNS1_14transform_implILb0ES3_S6_N6thrust23THRUST_200600_302600_NS6detail15normal_iteratorINS9_10device_ptrIS5_EEEENSB_INS9_7pointerIhNS9_11hip_rocprim5par_tENS9_11use_defaultESI_EEEEZNSG_9__copy_if7copy_ifISH_SE_SE_7is_evenIS5_EEENSt9enable_ifIXntltstNSt15iterator_traitsIT0_E10value_typeELi512EET1_E4typeERNSG_16execution_policyIT_EESR_SR_SU_T2_EUlRKSY_E_EE10hipError_tS11_T3_mT4_P12ihipStream_tbEUlSY_E_NS1_11comp_targetILNS1_3genE0ELNS1_11target_archE4294967295ELNS1_3gpuE0ELNS1_3repE0EEENS1_30default_config_static_selectorELNS0_4arch9wavefront6targetE0EEEvSU_.kd
    .uniform_work_group_size: 1
    .uses_dynamic_stack: false
    .vgpr_count:     0
    .vgpr_spill_count: 0
    .wavefront_size: 32
    .workgroup_processor_mode: 1
  - .args:
      - .offset:         0
        .size:           40
        .value_kind:     by_value
    .group_segment_fixed_size: 0
    .kernarg_segment_align: 8
    .kernarg_segment_size: 40
    .language:       OpenCL C
    .language_version:
      - 2
      - 0
    .max_flat_workgroup_size: 256
    .name:           _ZN7rocprim17ROCPRIM_400000_NS6detail17trampoline_kernelINS0_14default_configENS1_25transform_config_selectorI10large_dataLb0EEEZNS1_14transform_implILb0ES3_S6_N6thrust23THRUST_200600_302600_NS6detail15normal_iteratorINS9_10device_ptrIS5_EEEENSB_INS9_7pointerIhNS9_11hip_rocprim5par_tENS9_11use_defaultESI_EEEEZNSG_9__copy_if7copy_ifISH_SE_SE_7is_evenIS5_EEENSt9enable_ifIXntltstNSt15iterator_traitsIT0_E10value_typeELi512EET1_E4typeERNSG_16execution_policyIT_EESR_SR_SU_T2_EUlRKSY_E_EE10hipError_tS11_T3_mT4_P12ihipStream_tbEUlSY_E_NS1_11comp_targetILNS1_3genE5ELNS1_11target_archE942ELNS1_3gpuE9ELNS1_3repE0EEENS1_30default_config_static_selectorELNS0_4arch9wavefront6targetE0EEEvSU_
    .private_segment_fixed_size: 0
    .sgpr_count:     0
    .sgpr_spill_count: 0
    .symbol:         _ZN7rocprim17ROCPRIM_400000_NS6detail17trampoline_kernelINS0_14default_configENS1_25transform_config_selectorI10large_dataLb0EEEZNS1_14transform_implILb0ES3_S6_N6thrust23THRUST_200600_302600_NS6detail15normal_iteratorINS9_10device_ptrIS5_EEEENSB_INS9_7pointerIhNS9_11hip_rocprim5par_tENS9_11use_defaultESI_EEEEZNSG_9__copy_if7copy_ifISH_SE_SE_7is_evenIS5_EEENSt9enable_ifIXntltstNSt15iterator_traitsIT0_E10value_typeELi512EET1_E4typeERNSG_16execution_policyIT_EESR_SR_SU_T2_EUlRKSY_E_EE10hipError_tS11_T3_mT4_P12ihipStream_tbEUlSY_E_NS1_11comp_targetILNS1_3genE5ELNS1_11target_archE942ELNS1_3gpuE9ELNS1_3repE0EEENS1_30default_config_static_selectorELNS0_4arch9wavefront6targetE0EEEvSU_.kd
    .uniform_work_group_size: 1
    .uses_dynamic_stack: false
    .vgpr_count:     0
    .vgpr_spill_count: 0
    .wavefront_size: 32
    .workgroup_processor_mode: 1
  - .args:
      - .offset:         0
        .size:           40
        .value_kind:     by_value
    .group_segment_fixed_size: 0
    .kernarg_segment_align: 8
    .kernarg_segment_size: 40
    .language:       OpenCL C
    .language_version:
      - 2
      - 0
    .max_flat_workgroup_size: 256
    .name:           _ZN7rocprim17ROCPRIM_400000_NS6detail17trampoline_kernelINS0_14default_configENS1_25transform_config_selectorI10large_dataLb0EEEZNS1_14transform_implILb0ES3_S6_N6thrust23THRUST_200600_302600_NS6detail15normal_iteratorINS9_10device_ptrIS5_EEEENSB_INS9_7pointerIhNS9_11hip_rocprim5par_tENS9_11use_defaultESI_EEEEZNSG_9__copy_if7copy_ifISH_SE_SE_7is_evenIS5_EEENSt9enable_ifIXntltstNSt15iterator_traitsIT0_E10value_typeELi512EET1_E4typeERNSG_16execution_policyIT_EESR_SR_SU_T2_EUlRKSY_E_EE10hipError_tS11_T3_mT4_P12ihipStream_tbEUlSY_E_NS1_11comp_targetILNS1_3genE4ELNS1_11target_archE910ELNS1_3gpuE8ELNS1_3repE0EEENS1_30default_config_static_selectorELNS0_4arch9wavefront6targetE0EEEvSU_
    .private_segment_fixed_size: 0
    .sgpr_count:     0
    .sgpr_spill_count: 0
    .symbol:         _ZN7rocprim17ROCPRIM_400000_NS6detail17trampoline_kernelINS0_14default_configENS1_25transform_config_selectorI10large_dataLb0EEEZNS1_14transform_implILb0ES3_S6_N6thrust23THRUST_200600_302600_NS6detail15normal_iteratorINS9_10device_ptrIS5_EEEENSB_INS9_7pointerIhNS9_11hip_rocprim5par_tENS9_11use_defaultESI_EEEEZNSG_9__copy_if7copy_ifISH_SE_SE_7is_evenIS5_EEENSt9enable_ifIXntltstNSt15iterator_traitsIT0_E10value_typeELi512EET1_E4typeERNSG_16execution_policyIT_EESR_SR_SU_T2_EUlRKSY_E_EE10hipError_tS11_T3_mT4_P12ihipStream_tbEUlSY_E_NS1_11comp_targetILNS1_3genE4ELNS1_11target_archE910ELNS1_3gpuE8ELNS1_3repE0EEENS1_30default_config_static_selectorELNS0_4arch9wavefront6targetE0EEEvSU_.kd
    .uniform_work_group_size: 1
    .uses_dynamic_stack: false
    .vgpr_count:     0
    .vgpr_spill_count: 0
    .wavefront_size: 32
    .workgroup_processor_mode: 1
  - .args:
      - .offset:         0
        .size:           40
        .value_kind:     by_value
    .group_segment_fixed_size: 0
    .kernarg_segment_align: 8
    .kernarg_segment_size: 40
    .language:       OpenCL C
    .language_version:
      - 2
      - 0
    .max_flat_workgroup_size: 256
    .name:           _ZN7rocprim17ROCPRIM_400000_NS6detail17trampoline_kernelINS0_14default_configENS1_25transform_config_selectorI10large_dataLb0EEEZNS1_14transform_implILb0ES3_S6_N6thrust23THRUST_200600_302600_NS6detail15normal_iteratorINS9_10device_ptrIS5_EEEENSB_INS9_7pointerIhNS9_11hip_rocprim5par_tENS9_11use_defaultESI_EEEEZNSG_9__copy_if7copy_ifISH_SE_SE_7is_evenIS5_EEENSt9enable_ifIXntltstNSt15iterator_traitsIT0_E10value_typeELi512EET1_E4typeERNSG_16execution_policyIT_EESR_SR_SU_T2_EUlRKSY_E_EE10hipError_tS11_T3_mT4_P12ihipStream_tbEUlSY_E_NS1_11comp_targetILNS1_3genE3ELNS1_11target_archE908ELNS1_3gpuE7ELNS1_3repE0EEENS1_30default_config_static_selectorELNS0_4arch9wavefront6targetE0EEEvSU_
    .private_segment_fixed_size: 0
    .sgpr_count:     0
    .sgpr_spill_count: 0
    .symbol:         _ZN7rocprim17ROCPRIM_400000_NS6detail17trampoline_kernelINS0_14default_configENS1_25transform_config_selectorI10large_dataLb0EEEZNS1_14transform_implILb0ES3_S6_N6thrust23THRUST_200600_302600_NS6detail15normal_iteratorINS9_10device_ptrIS5_EEEENSB_INS9_7pointerIhNS9_11hip_rocprim5par_tENS9_11use_defaultESI_EEEEZNSG_9__copy_if7copy_ifISH_SE_SE_7is_evenIS5_EEENSt9enable_ifIXntltstNSt15iterator_traitsIT0_E10value_typeELi512EET1_E4typeERNSG_16execution_policyIT_EESR_SR_SU_T2_EUlRKSY_E_EE10hipError_tS11_T3_mT4_P12ihipStream_tbEUlSY_E_NS1_11comp_targetILNS1_3genE3ELNS1_11target_archE908ELNS1_3gpuE7ELNS1_3repE0EEENS1_30default_config_static_selectorELNS0_4arch9wavefront6targetE0EEEvSU_.kd
    .uniform_work_group_size: 1
    .uses_dynamic_stack: false
    .vgpr_count:     0
    .vgpr_spill_count: 0
    .wavefront_size: 32
    .workgroup_processor_mode: 1
  - .args:
      - .offset:         0
        .size:           40
        .value_kind:     by_value
    .group_segment_fixed_size: 0
    .kernarg_segment_align: 8
    .kernarg_segment_size: 40
    .language:       OpenCL C
    .language_version:
      - 2
      - 0
    .max_flat_workgroup_size: 256
    .name:           _ZN7rocprim17ROCPRIM_400000_NS6detail17trampoline_kernelINS0_14default_configENS1_25transform_config_selectorI10large_dataLb0EEEZNS1_14transform_implILb0ES3_S6_N6thrust23THRUST_200600_302600_NS6detail15normal_iteratorINS9_10device_ptrIS5_EEEENSB_INS9_7pointerIhNS9_11hip_rocprim5par_tENS9_11use_defaultESI_EEEEZNSG_9__copy_if7copy_ifISH_SE_SE_7is_evenIS5_EEENSt9enable_ifIXntltstNSt15iterator_traitsIT0_E10value_typeELi512EET1_E4typeERNSG_16execution_policyIT_EESR_SR_SU_T2_EUlRKSY_E_EE10hipError_tS11_T3_mT4_P12ihipStream_tbEUlSY_E_NS1_11comp_targetILNS1_3genE2ELNS1_11target_archE906ELNS1_3gpuE6ELNS1_3repE0EEENS1_30default_config_static_selectorELNS0_4arch9wavefront6targetE0EEEvSU_
    .private_segment_fixed_size: 0
    .sgpr_count:     0
    .sgpr_spill_count: 0
    .symbol:         _ZN7rocprim17ROCPRIM_400000_NS6detail17trampoline_kernelINS0_14default_configENS1_25transform_config_selectorI10large_dataLb0EEEZNS1_14transform_implILb0ES3_S6_N6thrust23THRUST_200600_302600_NS6detail15normal_iteratorINS9_10device_ptrIS5_EEEENSB_INS9_7pointerIhNS9_11hip_rocprim5par_tENS9_11use_defaultESI_EEEEZNSG_9__copy_if7copy_ifISH_SE_SE_7is_evenIS5_EEENSt9enable_ifIXntltstNSt15iterator_traitsIT0_E10value_typeELi512EET1_E4typeERNSG_16execution_policyIT_EESR_SR_SU_T2_EUlRKSY_E_EE10hipError_tS11_T3_mT4_P12ihipStream_tbEUlSY_E_NS1_11comp_targetILNS1_3genE2ELNS1_11target_archE906ELNS1_3gpuE6ELNS1_3repE0EEENS1_30default_config_static_selectorELNS0_4arch9wavefront6targetE0EEEvSU_.kd
    .uniform_work_group_size: 1
    .uses_dynamic_stack: false
    .vgpr_count:     0
    .vgpr_spill_count: 0
    .wavefront_size: 32
    .workgroup_processor_mode: 1
  - .args:
      - .offset:         0
        .size:           40
        .value_kind:     by_value
    .group_segment_fixed_size: 0
    .kernarg_segment_align: 8
    .kernarg_segment_size: 40
    .language:       OpenCL C
    .language_version:
      - 2
      - 0
    .max_flat_workgroup_size: 256
    .name:           _ZN7rocprim17ROCPRIM_400000_NS6detail17trampoline_kernelINS0_14default_configENS1_25transform_config_selectorI10large_dataLb0EEEZNS1_14transform_implILb0ES3_S6_N6thrust23THRUST_200600_302600_NS6detail15normal_iteratorINS9_10device_ptrIS5_EEEENSB_INS9_7pointerIhNS9_11hip_rocprim5par_tENS9_11use_defaultESI_EEEEZNSG_9__copy_if7copy_ifISH_SE_SE_7is_evenIS5_EEENSt9enable_ifIXntltstNSt15iterator_traitsIT0_E10value_typeELi512EET1_E4typeERNSG_16execution_policyIT_EESR_SR_SU_T2_EUlRKSY_E_EE10hipError_tS11_T3_mT4_P12ihipStream_tbEUlSY_E_NS1_11comp_targetILNS1_3genE10ELNS1_11target_archE1201ELNS1_3gpuE5ELNS1_3repE0EEENS1_30default_config_static_selectorELNS0_4arch9wavefront6targetE0EEEvSU_
    .private_segment_fixed_size: 0
    .sgpr_count:     0
    .sgpr_spill_count: 0
    .symbol:         _ZN7rocprim17ROCPRIM_400000_NS6detail17trampoline_kernelINS0_14default_configENS1_25transform_config_selectorI10large_dataLb0EEEZNS1_14transform_implILb0ES3_S6_N6thrust23THRUST_200600_302600_NS6detail15normal_iteratorINS9_10device_ptrIS5_EEEENSB_INS9_7pointerIhNS9_11hip_rocprim5par_tENS9_11use_defaultESI_EEEEZNSG_9__copy_if7copy_ifISH_SE_SE_7is_evenIS5_EEENSt9enable_ifIXntltstNSt15iterator_traitsIT0_E10value_typeELi512EET1_E4typeERNSG_16execution_policyIT_EESR_SR_SU_T2_EUlRKSY_E_EE10hipError_tS11_T3_mT4_P12ihipStream_tbEUlSY_E_NS1_11comp_targetILNS1_3genE10ELNS1_11target_archE1201ELNS1_3gpuE5ELNS1_3repE0EEENS1_30default_config_static_selectorELNS0_4arch9wavefront6targetE0EEEvSU_.kd
    .uniform_work_group_size: 1
    .uses_dynamic_stack: false
    .vgpr_count:     0
    .vgpr_spill_count: 0
    .wavefront_size: 32
    .workgroup_processor_mode: 1
  - .args:
      - .offset:         0
        .size:           40
        .value_kind:     by_value
    .group_segment_fixed_size: 0
    .kernarg_segment_align: 8
    .kernarg_segment_size: 40
    .language:       OpenCL C
    .language_version:
      - 2
      - 0
    .max_flat_workgroup_size: 256
    .name:           _ZN7rocprim17ROCPRIM_400000_NS6detail17trampoline_kernelINS0_14default_configENS1_25transform_config_selectorI10large_dataLb0EEEZNS1_14transform_implILb0ES3_S6_N6thrust23THRUST_200600_302600_NS6detail15normal_iteratorINS9_10device_ptrIS5_EEEENSB_INS9_7pointerIhNS9_11hip_rocprim5par_tENS9_11use_defaultESI_EEEEZNSG_9__copy_if7copy_ifISH_SE_SE_7is_evenIS5_EEENSt9enable_ifIXntltstNSt15iterator_traitsIT0_E10value_typeELi512EET1_E4typeERNSG_16execution_policyIT_EESR_SR_SU_T2_EUlRKSY_E_EE10hipError_tS11_T3_mT4_P12ihipStream_tbEUlSY_E_NS1_11comp_targetILNS1_3genE10ELNS1_11target_archE1200ELNS1_3gpuE4ELNS1_3repE0EEENS1_30default_config_static_selectorELNS0_4arch9wavefront6targetE0EEEvSU_
    .private_segment_fixed_size: 0
    .sgpr_count:     0
    .sgpr_spill_count: 0
    .symbol:         _ZN7rocprim17ROCPRIM_400000_NS6detail17trampoline_kernelINS0_14default_configENS1_25transform_config_selectorI10large_dataLb0EEEZNS1_14transform_implILb0ES3_S6_N6thrust23THRUST_200600_302600_NS6detail15normal_iteratorINS9_10device_ptrIS5_EEEENSB_INS9_7pointerIhNS9_11hip_rocprim5par_tENS9_11use_defaultESI_EEEEZNSG_9__copy_if7copy_ifISH_SE_SE_7is_evenIS5_EEENSt9enable_ifIXntltstNSt15iterator_traitsIT0_E10value_typeELi512EET1_E4typeERNSG_16execution_policyIT_EESR_SR_SU_T2_EUlRKSY_E_EE10hipError_tS11_T3_mT4_P12ihipStream_tbEUlSY_E_NS1_11comp_targetILNS1_3genE10ELNS1_11target_archE1200ELNS1_3gpuE4ELNS1_3repE0EEENS1_30default_config_static_selectorELNS0_4arch9wavefront6targetE0EEEvSU_.kd
    .uniform_work_group_size: 1
    .uses_dynamic_stack: false
    .vgpr_count:     0
    .vgpr_spill_count: 0
    .wavefront_size: 32
    .workgroup_processor_mode: 1
  - .args:
      - .offset:         0
        .size:           40
        .value_kind:     by_value
      - .offset:         40
        .size:           4
        .value_kind:     hidden_block_count_x
      - .offset:         44
        .size:           4
        .value_kind:     hidden_block_count_y
      - .offset:         48
        .size:           4
        .value_kind:     hidden_block_count_z
      - .offset:         52
        .size:           2
        .value_kind:     hidden_group_size_x
      - .offset:         54
        .size:           2
        .value_kind:     hidden_group_size_y
      - .offset:         56
        .size:           2
        .value_kind:     hidden_group_size_z
      - .offset:         58
        .size:           2
        .value_kind:     hidden_remainder_x
      - .offset:         60
        .size:           2
        .value_kind:     hidden_remainder_y
      - .offset:         62
        .size:           2
        .value_kind:     hidden_remainder_z
      - .offset:         80
        .size:           8
        .value_kind:     hidden_global_offset_x
      - .offset:         88
        .size:           8
        .value_kind:     hidden_global_offset_y
      - .offset:         96
        .size:           8
        .value_kind:     hidden_global_offset_z
      - .offset:         104
        .size:           2
        .value_kind:     hidden_grid_dims
    .group_segment_fixed_size: 0
    .kernarg_segment_align: 8
    .kernarg_segment_size: 296
    .language:       OpenCL C
    .language_version:
      - 2
      - 0
    .max_flat_workgroup_size: 256
    .name:           _ZN7rocprim17ROCPRIM_400000_NS6detail17trampoline_kernelINS0_14default_configENS1_25transform_config_selectorI10large_dataLb0EEEZNS1_14transform_implILb0ES3_S6_N6thrust23THRUST_200600_302600_NS6detail15normal_iteratorINS9_10device_ptrIS5_EEEENSB_INS9_7pointerIhNS9_11hip_rocprim5par_tENS9_11use_defaultESI_EEEEZNSG_9__copy_if7copy_ifISH_SE_SE_7is_evenIS5_EEENSt9enable_ifIXntltstNSt15iterator_traitsIT0_E10value_typeELi512EET1_E4typeERNSG_16execution_policyIT_EESR_SR_SU_T2_EUlRKSY_E_EE10hipError_tS11_T3_mT4_P12ihipStream_tbEUlSY_E_NS1_11comp_targetILNS1_3genE9ELNS1_11target_archE1100ELNS1_3gpuE3ELNS1_3repE0EEENS1_30default_config_static_selectorELNS0_4arch9wavefront6targetE0EEEvSU_
    .private_segment_fixed_size: 0
    .sgpr_count:     18
    .sgpr_spill_count: 0
    .symbol:         _ZN7rocprim17ROCPRIM_400000_NS6detail17trampoline_kernelINS0_14default_configENS1_25transform_config_selectorI10large_dataLb0EEEZNS1_14transform_implILb0ES3_S6_N6thrust23THRUST_200600_302600_NS6detail15normal_iteratorINS9_10device_ptrIS5_EEEENSB_INS9_7pointerIhNS9_11hip_rocprim5par_tENS9_11use_defaultESI_EEEEZNSG_9__copy_if7copy_ifISH_SE_SE_7is_evenIS5_EEENSt9enable_ifIXntltstNSt15iterator_traitsIT0_E10value_typeELi512EET1_E4typeERNSG_16execution_policyIT_EESR_SR_SU_T2_EUlRKSY_E_EE10hipError_tS11_T3_mT4_P12ihipStream_tbEUlSY_E_NS1_11comp_targetILNS1_3genE9ELNS1_11target_archE1100ELNS1_3gpuE3ELNS1_3repE0EEENS1_30default_config_static_selectorELNS0_4arch9wavefront6targetE0EEEvSU_.kd
    .uniform_work_group_size: 1
    .uses_dynamic_stack: false
    .vgpr_count:     4
    .vgpr_spill_count: 0
    .wavefront_size: 32
    .workgroup_processor_mode: 1
  - .args:
      - .offset:         0
        .size:           40
        .value_kind:     by_value
    .group_segment_fixed_size: 0
    .kernarg_segment_align: 8
    .kernarg_segment_size: 40
    .language:       OpenCL C
    .language_version:
      - 2
      - 0
    .max_flat_workgroup_size: 256
    .name:           _ZN7rocprim17ROCPRIM_400000_NS6detail17trampoline_kernelINS0_14default_configENS1_25transform_config_selectorI10large_dataLb0EEEZNS1_14transform_implILb0ES3_S6_N6thrust23THRUST_200600_302600_NS6detail15normal_iteratorINS9_10device_ptrIS5_EEEENSB_INS9_7pointerIhNS9_11hip_rocprim5par_tENS9_11use_defaultESI_EEEEZNSG_9__copy_if7copy_ifISH_SE_SE_7is_evenIS5_EEENSt9enable_ifIXntltstNSt15iterator_traitsIT0_E10value_typeELi512EET1_E4typeERNSG_16execution_policyIT_EESR_SR_SU_T2_EUlRKSY_E_EE10hipError_tS11_T3_mT4_P12ihipStream_tbEUlSY_E_NS1_11comp_targetILNS1_3genE8ELNS1_11target_archE1030ELNS1_3gpuE2ELNS1_3repE0EEENS1_30default_config_static_selectorELNS0_4arch9wavefront6targetE0EEEvSU_
    .private_segment_fixed_size: 0
    .sgpr_count:     0
    .sgpr_spill_count: 0
    .symbol:         _ZN7rocprim17ROCPRIM_400000_NS6detail17trampoline_kernelINS0_14default_configENS1_25transform_config_selectorI10large_dataLb0EEEZNS1_14transform_implILb0ES3_S6_N6thrust23THRUST_200600_302600_NS6detail15normal_iteratorINS9_10device_ptrIS5_EEEENSB_INS9_7pointerIhNS9_11hip_rocprim5par_tENS9_11use_defaultESI_EEEEZNSG_9__copy_if7copy_ifISH_SE_SE_7is_evenIS5_EEENSt9enable_ifIXntltstNSt15iterator_traitsIT0_E10value_typeELi512EET1_E4typeERNSG_16execution_policyIT_EESR_SR_SU_T2_EUlRKSY_E_EE10hipError_tS11_T3_mT4_P12ihipStream_tbEUlSY_E_NS1_11comp_targetILNS1_3genE8ELNS1_11target_archE1030ELNS1_3gpuE2ELNS1_3repE0EEENS1_30default_config_static_selectorELNS0_4arch9wavefront6targetE0EEEvSU_.kd
    .uniform_work_group_size: 1
    .uses_dynamic_stack: false
    .vgpr_count:     0
    .vgpr_spill_count: 0
    .wavefront_size: 32
    .workgroup_processor_mode: 1
  - .args:
      - .address_space:  global
        .offset:         0
        .size:           8
        .value_kind:     global_buffer
      - .offset:         8
        .size:           4
        .value_kind:     by_value
      - .offset:         12
        .size:           1
        .value_kind:     by_value
      - .offset:         16
        .size:           4
        .value_kind:     by_value
      - .address_space:  global
        .offset:         24
        .size:           8
        .value_kind:     global_buffer
      - .offset:         32
        .size:           4
        .value_kind:     hidden_block_count_x
      - .offset:         36
        .size:           4
        .value_kind:     hidden_block_count_y
      - .offset:         40
        .size:           4
        .value_kind:     hidden_block_count_z
      - .offset:         44
        .size:           2
        .value_kind:     hidden_group_size_x
      - .offset:         46
        .size:           2
        .value_kind:     hidden_group_size_y
      - .offset:         48
        .size:           2
        .value_kind:     hidden_group_size_z
      - .offset:         50
        .size:           2
        .value_kind:     hidden_remainder_x
      - .offset:         52
        .size:           2
        .value_kind:     hidden_remainder_y
      - .offset:         54
        .size:           2
        .value_kind:     hidden_remainder_z
      - .offset:         72
        .size:           8
        .value_kind:     hidden_global_offset_x
      - .offset:         80
        .size:           8
        .value_kind:     hidden_global_offset_y
      - .offset:         88
        .size:           8
        .value_kind:     hidden_global_offset_z
      - .offset:         96
        .size:           2
        .value_kind:     hidden_grid_dims
    .group_segment_fixed_size: 0
    .kernarg_segment_align: 8
    .kernarg_segment_size: 288
    .language:       OpenCL C
    .language_version:
      - 2
      - 0
    .max_flat_workgroup_size: 256
    .name:           _ZN7rocprim17ROCPRIM_400000_NS6detail31init_lookback_scan_state_kernelINS1_19lookback_scan_stateIhLb0ELb1EEENS1_16block_id_wrapperIjLb0EEEEEvT_jT0_jPNS7_10value_typeE
    .private_segment_fixed_size: 0
    .sgpr_count:     18
    .sgpr_spill_count: 0
    .symbol:         _ZN7rocprim17ROCPRIM_400000_NS6detail31init_lookback_scan_state_kernelINS1_19lookback_scan_stateIhLb0ELb1EEENS1_16block_id_wrapperIjLb0EEEEEvT_jT0_jPNS7_10value_typeE.kd
    .uniform_work_group_size: 1
    .uses_dynamic_stack: false
    .vgpr_count:     6
    .vgpr_spill_count: 0
    .wavefront_size: 32
    .workgroup_processor_mode: 1
  - .args:
      - .offset:         0
        .size:           96
        .value_kind:     by_value
    .group_segment_fixed_size: 0
    .kernarg_segment_align: 8
    .kernarg_segment_size: 96
    .language:       OpenCL C
    .language_version:
      - 2
      - 0
    .max_flat_workgroup_size: 256
    .name:           _ZN7rocprim17ROCPRIM_400000_NS6detail17trampoline_kernelINS0_14default_configENS1_20scan_config_selectorIhEEZZNS1_9scan_implILNS1_25lookback_scan_determinismE0ELb0ELb0ES3_N6thrust23THRUST_200600_302600_NS6detail15normal_iteratorINS9_7pointerIhNS9_11hip_rocprim5par_tENS9_11use_defaultESF_EEEENSB_INSC_IjSE_SF_SF_EEEEhNS9_4plusIvEEhEEDaPvRmT3_T4_T5_mT6_P12ihipStream_tbENKUlT_T0_E_clISt17integral_constantIbLb0EESZ_EEDaSU_SV_EUlSU_E_NS1_11comp_targetILNS1_3genE0ELNS1_11target_archE4294967295ELNS1_3gpuE0ELNS1_3repE0EEENS1_30default_config_static_selectorELNS0_4arch9wavefront6targetE0EEEvT1_
    .private_segment_fixed_size: 0
    .sgpr_count:     0
    .sgpr_spill_count: 0
    .symbol:         _ZN7rocprim17ROCPRIM_400000_NS6detail17trampoline_kernelINS0_14default_configENS1_20scan_config_selectorIhEEZZNS1_9scan_implILNS1_25lookback_scan_determinismE0ELb0ELb0ES3_N6thrust23THRUST_200600_302600_NS6detail15normal_iteratorINS9_7pointerIhNS9_11hip_rocprim5par_tENS9_11use_defaultESF_EEEENSB_INSC_IjSE_SF_SF_EEEEhNS9_4plusIvEEhEEDaPvRmT3_T4_T5_mT6_P12ihipStream_tbENKUlT_T0_E_clISt17integral_constantIbLb0EESZ_EEDaSU_SV_EUlSU_E_NS1_11comp_targetILNS1_3genE0ELNS1_11target_archE4294967295ELNS1_3gpuE0ELNS1_3repE0EEENS1_30default_config_static_selectorELNS0_4arch9wavefront6targetE0EEEvT1_.kd
    .uniform_work_group_size: 1
    .uses_dynamic_stack: false
    .vgpr_count:     0
    .vgpr_spill_count: 0
    .wavefront_size: 32
    .workgroup_processor_mode: 1
  - .args:
      - .offset:         0
        .size:           96
        .value_kind:     by_value
    .group_segment_fixed_size: 0
    .kernarg_segment_align: 8
    .kernarg_segment_size: 96
    .language:       OpenCL C
    .language_version:
      - 2
      - 0
    .max_flat_workgroup_size: 256
    .name:           _ZN7rocprim17ROCPRIM_400000_NS6detail17trampoline_kernelINS0_14default_configENS1_20scan_config_selectorIhEEZZNS1_9scan_implILNS1_25lookback_scan_determinismE0ELb0ELb0ES3_N6thrust23THRUST_200600_302600_NS6detail15normal_iteratorINS9_7pointerIhNS9_11hip_rocprim5par_tENS9_11use_defaultESF_EEEENSB_INSC_IjSE_SF_SF_EEEEhNS9_4plusIvEEhEEDaPvRmT3_T4_T5_mT6_P12ihipStream_tbENKUlT_T0_E_clISt17integral_constantIbLb0EESZ_EEDaSU_SV_EUlSU_E_NS1_11comp_targetILNS1_3genE5ELNS1_11target_archE942ELNS1_3gpuE9ELNS1_3repE0EEENS1_30default_config_static_selectorELNS0_4arch9wavefront6targetE0EEEvT1_
    .private_segment_fixed_size: 0
    .sgpr_count:     0
    .sgpr_spill_count: 0
    .symbol:         _ZN7rocprim17ROCPRIM_400000_NS6detail17trampoline_kernelINS0_14default_configENS1_20scan_config_selectorIhEEZZNS1_9scan_implILNS1_25lookback_scan_determinismE0ELb0ELb0ES3_N6thrust23THRUST_200600_302600_NS6detail15normal_iteratorINS9_7pointerIhNS9_11hip_rocprim5par_tENS9_11use_defaultESF_EEEENSB_INSC_IjSE_SF_SF_EEEEhNS9_4plusIvEEhEEDaPvRmT3_T4_T5_mT6_P12ihipStream_tbENKUlT_T0_E_clISt17integral_constantIbLb0EESZ_EEDaSU_SV_EUlSU_E_NS1_11comp_targetILNS1_3genE5ELNS1_11target_archE942ELNS1_3gpuE9ELNS1_3repE0EEENS1_30default_config_static_selectorELNS0_4arch9wavefront6targetE0EEEvT1_.kd
    .uniform_work_group_size: 1
    .uses_dynamic_stack: false
    .vgpr_count:     0
    .vgpr_spill_count: 0
    .wavefront_size: 32
    .workgroup_processor_mode: 1
  - .args:
      - .offset:         0
        .size:           96
        .value_kind:     by_value
    .group_segment_fixed_size: 0
    .kernarg_segment_align: 8
    .kernarg_segment_size: 96
    .language:       OpenCL C
    .language_version:
      - 2
      - 0
    .max_flat_workgroup_size: 256
    .name:           _ZN7rocprim17ROCPRIM_400000_NS6detail17trampoline_kernelINS0_14default_configENS1_20scan_config_selectorIhEEZZNS1_9scan_implILNS1_25lookback_scan_determinismE0ELb0ELb0ES3_N6thrust23THRUST_200600_302600_NS6detail15normal_iteratorINS9_7pointerIhNS9_11hip_rocprim5par_tENS9_11use_defaultESF_EEEENSB_INSC_IjSE_SF_SF_EEEEhNS9_4plusIvEEhEEDaPvRmT3_T4_T5_mT6_P12ihipStream_tbENKUlT_T0_E_clISt17integral_constantIbLb0EESZ_EEDaSU_SV_EUlSU_E_NS1_11comp_targetILNS1_3genE4ELNS1_11target_archE910ELNS1_3gpuE8ELNS1_3repE0EEENS1_30default_config_static_selectorELNS0_4arch9wavefront6targetE0EEEvT1_
    .private_segment_fixed_size: 0
    .sgpr_count:     0
    .sgpr_spill_count: 0
    .symbol:         _ZN7rocprim17ROCPRIM_400000_NS6detail17trampoline_kernelINS0_14default_configENS1_20scan_config_selectorIhEEZZNS1_9scan_implILNS1_25lookback_scan_determinismE0ELb0ELb0ES3_N6thrust23THRUST_200600_302600_NS6detail15normal_iteratorINS9_7pointerIhNS9_11hip_rocprim5par_tENS9_11use_defaultESF_EEEENSB_INSC_IjSE_SF_SF_EEEEhNS9_4plusIvEEhEEDaPvRmT3_T4_T5_mT6_P12ihipStream_tbENKUlT_T0_E_clISt17integral_constantIbLb0EESZ_EEDaSU_SV_EUlSU_E_NS1_11comp_targetILNS1_3genE4ELNS1_11target_archE910ELNS1_3gpuE8ELNS1_3repE0EEENS1_30default_config_static_selectorELNS0_4arch9wavefront6targetE0EEEvT1_.kd
    .uniform_work_group_size: 1
    .uses_dynamic_stack: false
    .vgpr_count:     0
    .vgpr_spill_count: 0
    .wavefront_size: 32
    .workgroup_processor_mode: 1
  - .args:
      - .offset:         0
        .size:           96
        .value_kind:     by_value
    .group_segment_fixed_size: 0
    .kernarg_segment_align: 8
    .kernarg_segment_size: 96
    .language:       OpenCL C
    .language_version:
      - 2
      - 0
    .max_flat_workgroup_size: 256
    .name:           _ZN7rocprim17ROCPRIM_400000_NS6detail17trampoline_kernelINS0_14default_configENS1_20scan_config_selectorIhEEZZNS1_9scan_implILNS1_25lookback_scan_determinismE0ELb0ELb0ES3_N6thrust23THRUST_200600_302600_NS6detail15normal_iteratorINS9_7pointerIhNS9_11hip_rocprim5par_tENS9_11use_defaultESF_EEEENSB_INSC_IjSE_SF_SF_EEEEhNS9_4plusIvEEhEEDaPvRmT3_T4_T5_mT6_P12ihipStream_tbENKUlT_T0_E_clISt17integral_constantIbLb0EESZ_EEDaSU_SV_EUlSU_E_NS1_11comp_targetILNS1_3genE3ELNS1_11target_archE908ELNS1_3gpuE7ELNS1_3repE0EEENS1_30default_config_static_selectorELNS0_4arch9wavefront6targetE0EEEvT1_
    .private_segment_fixed_size: 0
    .sgpr_count:     0
    .sgpr_spill_count: 0
    .symbol:         _ZN7rocprim17ROCPRIM_400000_NS6detail17trampoline_kernelINS0_14default_configENS1_20scan_config_selectorIhEEZZNS1_9scan_implILNS1_25lookback_scan_determinismE0ELb0ELb0ES3_N6thrust23THRUST_200600_302600_NS6detail15normal_iteratorINS9_7pointerIhNS9_11hip_rocprim5par_tENS9_11use_defaultESF_EEEENSB_INSC_IjSE_SF_SF_EEEEhNS9_4plusIvEEhEEDaPvRmT3_T4_T5_mT6_P12ihipStream_tbENKUlT_T0_E_clISt17integral_constantIbLb0EESZ_EEDaSU_SV_EUlSU_E_NS1_11comp_targetILNS1_3genE3ELNS1_11target_archE908ELNS1_3gpuE7ELNS1_3repE0EEENS1_30default_config_static_selectorELNS0_4arch9wavefront6targetE0EEEvT1_.kd
    .uniform_work_group_size: 1
    .uses_dynamic_stack: false
    .vgpr_count:     0
    .vgpr_spill_count: 0
    .wavefront_size: 32
    .workgroup_processor_mode: 1
  - .args:
      - .offset:         0
        .size:           96
        .value_kind:     by_value
    .group_segment_fixed_size: 0
    .kernarg_segment_align: 8
    .kernarg_segment_size: 96
    .language:       OpenCL C
    .language_version:
      - 2
      - 0
    .max_flat_workgroup_size: 256
    .name:           _ZN7rocprim17ROCPRIM_400000_NS6detail17trampoline_kernelINS0_14default_configENS1_20scan_config_selectorIhEEZZNS1_9scan_implILNS1_25lookback_scan_determinismE0ELb0ELb0ES3_N6thrust23THRUST_200600_302600_NS6detail15normal_iteratorINS9_7pointerIhNS9_11hip_rocprim5par_tENS9_11use_defaultESF_EEEENSB_INSC_IjSE_SF_SF_EEEEhNS9_4plusIvEEhEEDaPvRmT3_T4_T5_mT6_P12ihipStream_tbENKUlT_T0_E_clISt17integral_constantIbLb0EESZ_EEDaSU_SV_EUlSU_E_NS1_11comp_targetILNS1_3genE2ELNS1_11target_archE906ELNS1_3gpuE6ELNS1_3repE0EEENS1_30default_config_static_selectorELNS0_4arch9wavefront6targetE0EEEvT1_
    .private_segment_fixed_size: 0
    .sgpr_count:     0
    .sgpr_spill_count: 0
    .symbol:         _ZN7rocprim17ROCPRIM_400000_NS6detail17trampoline_kernelINS0_14default_configENS1_20scan_config_selectorIhEEZZNS1_9scan_implILNS1_25lookback_scan_determinismE0ELb0ELb0ES3_N6thrust23THRUST_200600_302600_NS6detail15normal_iteratorINS9_7pointerIhNS9_11hip_rocprim5par_tENS9_11use_defaultESF_EEEENSB_INSC_IjSE_SF_SF_EEEEhNS9_4plusIvEEhEEDaPvRmT3_T4_T5_mT6_P12ihipStream_tbENKUlT_T0_E_clISt17integral_constantIbLb0EESZ_EEDaSU_SV_EUlSU_E_NS1_11comp_targetILNS1_3genE2ELNS1_11target_archE906ELNS1_3gpuE6ELNS1_3repE0EEENS1_30default_config_static_selectorELNS0_4arch9wavefront6targetE0EEEvT1_.kd
    .uniform_work_group_size: 1
    .uses_dynamic_stack: false
    .vgpr_count:     0
    .vgpr_spill_count: 0
    .wavefront_size: 32
    .workgroup_processor_mode: 1
  - .args:
      - .offset:         0
        .size:           96
        .value_kind:     by_value
    .group_segment_fixed_size: 0
    .kernarg_segment_align: 8
    .kernarg_segment_size: 96
    .language:       OpenCL C
    .language_version:
      - 2
      - 0
    .max_flat_workgroup_size: 256
    .name:           _ZN7rocprim17ROCPRIM_400000_NS6detail17trampoline_kernelINS0_14default_configENS1_20scan_config_selectorIhEEZZNS1_9scan_implILNS1_25lookback_scan_determinismE0ELb0ELb0ES3_N6thrust23THRUST_200600_302600_NS6detail15normal_iteratorINS9_7pointerIhNS9_11hip_rocprim5par_tENS9_11use_defaultESF_EEEENSB_INSC_IjSE_SF_SF_EEEEhNS9_4plusIvEEhEEDaPvRmT3_T4_T5_mT6_P12ihipStream_tbENKUlT_T0_E_clISt17integral_constantIbLb0EESZ_EEDaSU_SV_EUlSU_E_NS1_11comp_targetILNS1_3genE10ELNS1_11target_archE1201ELNS1_3gpuE5ELNS1_3repE0EEENS1_30default_config_static_selectorELNS0_4arch9wavefront6targetE0EEEvT1_
    .private_segment_fixed_size: 0
    .sgpr_count:     0
    .sgpr_spill_count: 0
    .symbol:         _ZN7rocprim17ROCPRIM_400000_NS6detail17trampoline_kernelINS0_14default_configENS1_20scan_config_selectorIhEEZZNS1_9scan_implILNS1_25lookback_scan_determinismE0ELb0ELb0ES3_N6thrust23THRUST_200600_302600_NS6detail15normal_iteratorINS9_7pointerIhNS9_11hip_rocprim5par_tENS9_11use_defaultESF_EEEENSB_INSC_IjSE_SF_SF_EEEEhNS9_4plusIvEEhEEDaPvRmT3_T4_T5_mT6_P12ihipStream_tbENKUlT_T0_E_clISt17integral_constantIbLb0EESZ_EEDaSU_SV_EUlSU_E_NS1_11comp_targetILNS1_3genE10ELNS1_11target_archE1201ELNS1_3gpuE5ELNS1_3repE0EEENS1_30default_config_static_selectorELNS0_4arch9wavefront6targetE0EEEvT1_.kd
    .uniform_work_group_size: 1
    .uses_dynamic_stack: false
    .vgpr_count:     0
    .vgpr_spill_count: 0
    .wavefront_size: 32
    .workgroup_processor_mode: 1
  - .args:
      - .offset:         0
        .size:           96
        .value_kind:     by_value
    .group_segment_fixed_size: 0
    .kernarg_segment_align: 8
    .kernarg_segment_size: 96
    .language:       OpenCL C
    .language_version:
      - 2
      - 0
    .max_flat_workgroup_size: 256
    .name:           _ZN7rocprim17ROCPRIM_400000_NS6detail17trampoline_kernelINS0_14default_configENS1_20scan_config_selectorIhEEZZNS1_9scan_implILNS1_25lookback_scan_determinismE0ELb0ELb0ES3_N6thrust23THRUST_200600_302600_NS6detail15normal_iteratorINS9_7pointerIhNS9_11hip_rocprim5par_tENS9_11use_defaultESF_EEEENSB_INSC_IjSE_SF_SF_EEEEhNS9_4plusIvEEhEEDaPvRmT3_T4_T5_mT6_P12ihipStream_tbENKUlT_T0_E_clISt17integral_constantIbLb0EESZ_EEDaSU_SV_EUlSU_E_NS1_11comp_targetILNS1_3genE10ELNS1_11target_archE1200ELNS1_3gpuE4ELNS1_3repE0EEENS1_30default_config_static_selectorELNS0_4arch9wavefront6targetE0EEEvT1_
    .private_segment_fixed_size: 0
    .sgpr_count:     0
    .sgpr_spill_count: 0
    .symbol:         _ZN7rocprim17ROCPRIM_400000_NS6detail17trampoline_kernelINS0_14default_configENS1_20scan_config_selectorIhEEZZNS1_9scan_implILNS1_25lookback_scan_determinismE0ELb0ELb0ES3_N6thrust23THRUST_200600_302600_NS6detail15normal_iteratorINS9_7pointerIhNS9_11hip_rocprim5par_tENS9_11use_defaultESF_EEEENSB_INSC_IjSE_SF_SF_EEEEhNS9_4plusIvEEhEEDaPvRmT3_T4_T5_mT6_P12ihipStream_tbENKUlT_T0_E_clISt17integral_constantIbLb0EESZ_EEDaSU_SV_EUlSU_E_NS1_11comp_targetILNS1_3genE10ELNS1_11target_archE1200ELNS1_3gpuE4ELNS1_3repE0EEENS1_30default_config_static_selectorELNS0_4arch9wavefront6targetE0EEEvT1_.kd
    .uniform_work_group_size: 1
    .uses_dynamic_stack: false
    .vgpr_count:     0
    .vgpr_spill_count: 0
    .wavefront_size: 32
    .workgroup_processor_mode: 1
  - .args:
      - .offset:         0
        .size:           96
        .value_kind:     by_value
    .group_segment_fixed_size: 6144
    .kernarg_segment_align: 8
    .kernarg_segment_size: 96
    .language:       OpenCL C
    .language_version:
      - 2
      - 0
    .max_flat_workgroup_size: 256
    .name:           _ZN7rocprim17ROCPRIM_400000_NS6detail17trampoline_kernelINS0_14default_configENS1_20scan_config_selectorIhEEZZNS1_9scan_implILNS1_25lookback_scan_determinismE0ELb0ELb0ES3_N6thrust23THRUST_200600_302600_NS6detail15normal_iteratorINS9_7pointerIhNS9_11hip_rocprim5par_tENS9_11use_defaultESF_EEEENSB_INSC_IjSE_SF_SF_EEEEhNS9_4plusIvEEhEEDaPvRmT3_T4_T5_mT6_P12ihipStream_tbENKUlT_T0_E_clISt17integral_constantIbLb0EESZ_EEDaSU_SV_EUlSU_E_NS1_11comp_targetILNS1_3genE9ELNS1_11target_archE1100ELNS1_3gpuE3ELNS1_3repE0EEENS1_30default_config_static_selectorELNS0_4arch9wavefront6targetE0EEEvT1_
    .private_segment_fixed_size: 0
    .sgpr_count:     26
    .sgpr_spill_count: 0
    .symbol:         _ZN7rocprim17ROCPRIM_400000_NS6detail17trampoline_kernelINS0_14default_configENS1_20scan_config_selectorIhEEZZNS1_9scan_implILNS1_25lookback_scan_determinismE0ELb0ELb0ES3_N6thrust23THRUST_200600_302600_NS6detail15normal_iteratorINS9_7pointerIhNS9_11hip_rocprim5par_tENS9_11use_defaultESF_EEEENSB_INSC_IjSE_SF_SF_EEEEhNS9_4plusIvEEhEEDaPvRmT3_T4_T5_mT6_P12ihipStream_tbENKUlT_T0_E_clISt17integral_constantIbLb0EESZ_EEDaSU_SV_EUlSU_E_NS1_11comp_targetILNS1_3genE9ELNS1_11target_archE1100ELNS1_3gpuE3ELNS1_3repE0EEENS1_30default_config_static_selectorELNS0_4arch9wavefront6targetE0EEEvT1_.kd
    .uniform_work_group_size: 1
    .uses_dynamic_stack: false
    .vgpr_count:     55
    .vgpr_spill_count: 0
    .wavefront_size: 32
    .workgroup_processor_mode: 1
  - .args:
      - .offset:         0
        .size:           96
        .value_kind:     by_value
    .group_segment_fixed_size: 0
    .kernarg_segment_align: 8
    .kernarg_segment_size: 96
    .language:       OpenCL C
    .language_version:
      - 2
      - 0
    .max_flat_workgroup_size: 256
    .name:           _ZN7rocprim17ROCPRIM_400000_NS6detail17trampoline_kernelINS0_14default_configENS1_20scan_config_selectorIhEEZZNS1_9scan_implILNS1_25lookback_scan_determinismE0ELb0ELb0ES3_N6thrust23THRUST_200600_302600_NS6detail15normal_iteratorINS9_7pointerIhNS9_11hip_rocprim5par_tENS9_11use_defaultESF_EEEENSB_INSC_IjSE_SF_SF_EEEEhNS9_4plusIvEEhEEDaPvRmT3_T4_T5_mT6_P12ihipStream_tbENKUlT_T0_E_clISt17integral_constantIbLb0EESZ_EEDaSU_SV_EUlSU_E_NS1_11comp_targetILNS1_3genE8ELNS1_11target_archE1030ELNS1_3gpuE2ELNS1_3repE0EEENS1_30default_config_static_selectorELNS0_4arch9wavefront6targetE0EEEvT1_
    .private_segment_fixed_size: 0
    .sgpr_count:     0
    .sgpr_spill_count: 0
    .symbol:         _ZN7rocprim17ROCPRIM_400000_NS6detail17trampoline_kernelINS0_14default_configENS1_20scan_config_selectorIhEEZZNS1_9scan_implILNS1_25lookback_scan_determinismE0ELb0ELb0ES3_N6thrust23THRUST_200600_302600_NS6detail15normal_iteratorINS9_7pointerIhNS9_11hip_rocprim5par_tENS9_11use_defaultESF_EEEENSB_INSC_IjSE_SF_SF_EEEEhNS9_4plusIvEEhEEDaPvRmT3_T4_T5_mT6_P12ihipStream_tbENKUlT_T0_E_clISt17integral_constantIbLb0EESZ_EEDaSU_SV_EUlSU_E_NS1_11comp_targetILNS1_3genE8ELNS1_11target_archE1030ELNS1_3gpuE2ELNS1_3repE0EEENS1_30default_config_static_selectorELNS0_4arch9wavefront6targetE0EEEvT1_.kd
    .uniform_work_group_size: 1
    .uses_dynamic_stack: false
    .vgpr_count:     0
    .vgpr_spill_count: 0
    .wavefront_size: 32
    .workgroup_processor_mode: 1
  - .args:
      - .offset:         0
        .size:           40
        .value_kind:     by_value
    .group_segment_fixed_size: 0
    .kernarg_segment_align: 8
    .kernarg_segment_size: 40
    .language:       OpenCL C
    .language_version:
      - 2
      - 0
    .max_flat_workgroup_size: 128
    .name:           _ZN7rocprim17ROCPRIM_400000_NS6detail17trampoline_kernelINS0_14default_configENS1_25transform_config_selectorIhLb1EEEZNS1_14transform_implILb1ES3_S5_PhS7_NS0_8identityIhEEEE10hipError_tT2_T3_mT4_P12ihipStream_tbEUlT_E_NS1_11comp_targetILNS1_3genE0ELNS1_11target_archE4294967295ELNS1_3gpuE0ELNS1_3repE0EEENS1_30default_config_static_selectorELNS0_4arch9wavefront6targetE0EEEvT1_
    .private_segment_fixed_size: 0
    .sgpr_count:     0
    .sgpr_spill_count: 0
    .symbol:         _ZN7rocprim17ROCPRIM_400000_NS6detail17trampoline_kernelINS0_14default_configENS1_25transform_config_selectorIhLb1EEEZNS1_14transform_implILb1ES3_S5_PhS7_NS0_8identityIhEEEE10hipError_tT2_T3_mT4_P12ihipStream_tbEUlT_E_NS1_11comp_targetILNS1_3genE0ELNS1_11target_archE4294967295ELNS1_3gpuE0ELNS1_3repE0EEENS1_30default_config_static_selectorELNS0_4arch9wavefront6targetE0EEEvT1_.kd
    .uniform_work_group_size: 1
    .uses_dynamic_stack: false
    .vgpr_count:     0
    .vgpr_spill_count: 0
    .wavefront_size: 32
    .workgroup_processor_mode: 1
  - .args:
      - .offset:         0
        .size:           40
        .value_kind:     by_value
    .group_segment_fixed_size: 0
    .kernarg_segment_align: 8
    .kernarg_segment_size: 40
    .language:       OpenCL C
    .language_version:
      - 2
      - 0
    .max_flat_workgroup_size: 1024
    .name:           _ZN7rocprim17ROCPRIM_400000_NS6detail17trampoline_kernelINS0_14default_configENS1_25transform_config_selectorIhLb1EEEZNS1_14transform_implILb1ES3_S5_PhS7_NS0_8identityIhEEEE10hipError_tT2_T3_mT4_P12ihipStream_tbEUlT_E_NS1_11comp_targetILNS1_3genE10ELNS1_11target_archE1201ELNS1_3gpuE5ELNS1_3repE0EEENS1_30default_config_static_selectorELNS0_4arch9wavefront6targetE0EEEvT1_
    .private_segment_fixed_size: 0
    .sgpr_count:     0
    .sgpr_spill_count: 0
    .symbol:         _ZN7rocprim17ROCPRIM_400000_NS6detail17trampoline_kernelINS0_14default_configENS1_25transform_config_selectorIhLb1EEEZNS1_14transform_implILb1ES3_S5_PhS7_NS0_8identityIhEEEE10hipError_tT2_T3_mT4_P12ihipStream_tbEUlT_E_NS1_11comp_targetILNS1_3genE10ELNS1_11target_archE1201ELNS1_3gpuE5ELNS1_3repE0EEENS1_30default_config_static_selectorELNS0_4arch9wavefront6targetE0EEEvT1_.kd
    .uniform_work_group_size: 1
    .uses_dynamic_stack: false
    .vgpr_count:     0
    .vgpr_spill_count: 0
    .wavefront_size: 32
    .workgroup_processor_mode: 1
  - .args:
      - .offset:         0
        .size:           40
        .value_kind:     by_value
    .group_segment_fixed_size: 0
    .kernarg_segment_align: 8
    .kernarg_segment_size: 40
    .language:       OpenCL C
    .language_version:
      - 2
      - 0
    .max_flat_workgroup_size: 256
    .name:           _ZN7rocprim17ROCPRIM_400000_NS6detail17trampoline_kernelINS0_14default_configENS1_25transform_config_selectorIhLb1EEEZNS1_14transform_implILb1ES3_S5_PhS7_NS0_8identityIhEEEE10hipError_tT2_T3_mT4_P12ihipStream_tbEUlT_E_NS1_11comp_targetILNS1_3genE5ELNS1_11target_archE942ELNS1_3gpuE9ELNS1_3repE0EEENS1_30default_config_static_selectorELNS0_4arch9wavefront6targetE0EEEvT1_
    .private_segment_fixed_size: 0
    .sgpr_count:     0
    .sgpr_spill_count: 0
    .symbol:         _ZN7rocprim17ROCPRIM_400000_NS6detail17trampoline_kernelINS0_14default_configENS1_25transform_config_selectorIhLb1EEEZNS1_14transform_implILb1ES3_S5_PhS7_NS0_8identityIhEEEE10hipError_tT2_T3_mT4_P12ihipStream_tbEUlT_E_NS1_11comp_targetILNS1_3genE5ELNS1_11target_archE942ELNS1_3gpuE9ELNS1_3repE0EEENS1_30default_config_static_selectorELNS0_4arch9wavefront6targetE0EEEvT1_.kd
    .uniform_work_group_size: 1
    .uses_dynamic_stack: false
    .vgpr_count:     0
    .vgpr_spill_count: 0
    .wavefront_size: 32
    .workgroup_processor_mode: 1
  - .args:
      - .offset:         0
        .size:           40
        .value_kind:     by_value
    .group_segment_fixed_size: 0
    .kernarg_segment_align: 8
    .kernarg_segment_size: 40
    .language:       OpenCL C
    .language_version:
      - 2
      - 0
    .max_flat_workgroup_size: 1024
    .name:           _ZN7rocprim17ROCPRIM_400000_NS6detail17trampoline_kernelINS0_14default_configENS1_25transform_config_selectorIhLb1EEEZNS1_14transform_implILb1ES3_S5_PhS7_NS0_8identityIhEEEE10hipError_tT2_T3_mT4_P12ihipStream_tbEUlT_E_NS1_11comp_targetILNS1_3genE4ELNS1_11target_archE910ELNS1_3gpuE8ELNS1_3repE0EEENS1_30default_config_static_selectorELNS0_4arch9wavefront6targetE0EEEvT1_
    .private_segment_fixed_size: 0
    .sgpr_count:     0
    .sgpr_spill_count: 0
    .symbol:         _ZN7rocprim17ROCPRIM_400000_NS6detail17trampoline_kernelINS0_14default_configENS1_25transform_config_selectorIhLb1EEEZNS1_14transform_implILb1ES3_S5_PhS7_NS0_8identityIhEEEE10hipError_tT2_T3_mT4_P12ihipStream_tbEUlT_E_NS1_11comp_targetILNS1_3genE4ELNS1_11target_archE910ELNS1_3gpuE8ELNS1_3repE0EEENS1_30default_config_static_selectorELNS0_4arch9wavefront6targetE0EEEvT1_.kd
    .uniform_work_group_size: 1
    .uses_dynamic_stack: false
    .vgpr_count:     0
    .vgpr_spill_count: 0
    .wavefront_size: 32
    .workgroup_processor_mode: 1
  - .args:
      - .offset:         0
        .size:           40
        .value_kind:     by_value
    .group_segment_fixed_size: 0
    .kernarg_segment_align: 8
    .kernarg_segment_size: 40
    .language:       OpenCL C
    .language_version:
      - 2
      - 0
    .max_flat_workgroup_size: 128
    .name:           _ZN7rocprim17ROCPRIM_400000_NS6detail17trampoline_kernelINS0_14default_configENS1_25transform_config_selectorIhLb1EEEZNS1_14transform_implILb1ES3_S5_PhS7_NS0_8identityIhEEEE10hipError_tT2_T3_mT4_P12ihipStream_tbEUlT_E_NS1_11comp_targetILNS1_3genE3ELNS1_11target_archE908ELNS1_3gpuE7ELNS1_3repE0EEENS1_30default_config_static_selectorELNS0_4arch9wavefront6targetE0EEEvT1_
    .private_segment_fixed_size: 0
    .sgpr_count:     0
    .sgpr_spill_count: 0
    .symbol:         _ZN7rocprim17ROCPRIM_400000_NS6detail17trampoline_kernelINS0_14default_configENS1_25transform_config_selectorIhLb1EEEZNS1_14transform_implILb1ES3_S5_PhS7_NS0_8identityIhEEEE10hipError_tT2_T3_mT4_P12ihipStream_tbEUlT_E_NS1_11comp_targetILNS1_3genE3ELNS1_11target_archE908ELNS1_3gpuE7ELNS1_3repE0EEENS1_30default_config_static_selectorELNS0_4arch9wavefront6targetE0EEEvT1_.kd
    .uniform_work_group_size: 1
    .uses_dynamic_stack: false
    .vgpr_count:     0
    .vgpr_spill_count: 0
    .wavefront_size: 32
    .workgroup_processor_mode: 1
  - .args:
      - .offset:         0
        .size:           40
        .value_kind:     by_value
    .group_segment_fixed_size: 0
    .kernarg_segment_align: 8
    .kernarg_segment_size: 40
    .language:       OpenCL C
    .language_version:
      - 2
      - 0
    .max_flat_workgroup_size: 512
    .name:           _ZN7rocprim17ROCPRIM_400000_NS6detail17trampoline_kernelINS0_14default_configENS1_25transform_config_selectorIhLb1EEEZNS1_14transform_implILb1ES3_S5_PhS7_NS0_8identityIhEEEE10hipError_tT2_T3_mT4_P12ihipStream_tbEUlT_E_NS1_11comp_targetILNS1_3genE2ELNS1_11target_archE906ELNS1_3gpuE6ELNS1_3repE0EEENS1_30default_config_static_selectorELNS0_4arch9wavefront6targetE0EEEvT1_
    .private_segment_fixed_size: 0
    .sgpr_count:     0
    .sgpr_spill_count: 0
    .symbol:         _ZN7rocprim17ROCPRIM_400000_NS6detail17trampoline_kernelINS0_14default_configENS1_25transform_config_selectorIhLb1EEEZNS1_14transform_implILb1ES3_S5_PhS7_NS0_8identityIhEEEE10hipError_tT2_T3_mT4_P12ihipStream_tbEUlT_E_NS1_11comp_targetILNS1_3genE2ELNS1_11target_archE906ELNS1_3gpuE6ELNS1_3repE0EEENS1_30default_config_static_selectorELNS0_4arch9wavefront6targetE0EEEvT1_.kd
    .uniform_work_group_size: 1
    .uses_dynamic_stack: false
    .vgpr_count:     0
    .vgpr_spill_count: 0
    .wavefront_size: 32
    .workgroup_processor_mode: 1
  - .args:
      - .offset:         0
        .size:           40
        .value_kind:     by_value
      - .offset:         40
        .size:           4
        .value_kind:     hidden_block_count_x
      - .offset:         44
        .size:           4
        .value_kind:     hidden_block_count_y
      - .offset:         48
        .size:           4
        .value_kind:     hidden_block_count_z
      - .offset:         52
        .size:           2
        .value_kind:     hidden_group_size_x
      - .offset:         54
        .size:           2
        .value_kind:     hidden_group_size_y
      - .offset:         56
        .size:           2
        .value_kind:     hidden_group_size_z
      - .offset:         58
        .size:           2
        .value_kind:     hidden_remainder_x
      - .offset:         60
        .size:           2
        .value_kind:     hidden_remainder_y
      - .offset:         62
        .size:           2
        .value_kind:     hidden_remainder_z
      - .offset:         80
        .size:           8
        .value_kind:     hidden_global_offset_x
      - .offset:         88
        .size:           8
        .value_kind:     hidden_global_offset_y
      - .offset:         96
        .size:           8
        .value_kind:     hidden_global_offset_z
      - .offset:         104
        .size:           2
        .value_kind:     hidden_grid_dims
    .group_segment_fixed_size: 0
    .kernarg_segment_align: 8
    .kernarg_segment_size: 296
    .language:       OpenCL C
    .language_version:
      - 2
      - 0
    .max_flat_workgroup_size: 1024
    .name:           _ZN7rocprim17ROCPRIM_400000_NS6detail17trampoline_kernelINS0_14default_configENS1_25transform_config_selectorIhLb1EEEZNS1_14transform_implILb1ES3_S5_PhS7_NS0_8identityIhEEEE10hipError_tT2_T3_mT4_P12ihipStream_tbEUlT_E_NS1_11comp_targetILNS1_3genE9ELNS1_11target_archE1100ELNS1_3gpuE3ELNS1_3repE0EEENS1_30default_config_static_selectorELNS0_4arch9wavefront6targetE0EEEvT1_
    .private_segment_fixed_size: 0
    .sgpr_count:     23
    .sgpr_spill_count: 0
    .symbol:         _ZN7rocprim17ROCPRIM_400000_NS6detail17trampoline_kernelINS0_14default_configENS1_25transform_config_selectorIhLb1EEEZNS1_14transform_implILb1ES3_S5_PhS7_NS0_8identityIhEEEE10hipError_tT2_T3_mT4_P12ihipStream_tbEUlT_E_NS1_11comp_targetILNS1_3genE9ELNS1_11target_archE1100ELNS1_3gpuE3ELNS1_3repE0EEENS1_30default_config_static_selectorELNS0_4arch9wavefront6targetE0EEEvT1_.kd
    .uniform_work_group_size: 1
    .uses_dynamic_stack: false
    .vgpr_count:     18
    .vgpr_spill_count: 0
    .wavefront_size: 32
    .workgroup_processor_mode: 1
  - .args:
      - .offset:         0
        .size:           40
        .value_kind:     by_value
    .group_segment_fixed_size: 0
    .kernarg_segment_align: 8
    .kernarg_segment_size: 40
    .language:       OpenCL C
    .language_version:
      - 2
      - 0
    .max_flat_workgroup_size: 1024
    .name:           _ZN7rocprim17ROCPRIM_400000_NS6detail17trampoline_kernelINS0_14default_configENS1_25transform_config_selectorIhLb1EEEZNS1_14transform_implILb1ES3_S5_PhS7_NS0_8identityIhEEEE10hipError_tT2_T3_mT4_P12ihipStream_tbEUlT_E_NS1_11comp_targetILNS1_3genE8ELNS1_11target_archE1030ELNS1_3gpuE2ELNS1_3repE0EEENS1_30default_config_static_selectorELNS0_4arch9wavefront6targetE0EEEvT1_
    .private_segment_fixed_size: 0
    .sgpr_count:     0
    .sgpr_spill_count: 0
    .symbol:         _ZN7rocprim17ROCPRIM_400000_NS6detail17trampoline_kernelINS0_14default_configENS1_25transform_config_selectorIhLb1EEEZNS1_14transform_implILb1ES3_S5_PhS7_NS0_8identityIhEEEE10hipError_tT2_T3_mT4_P12ihipStream_tbEUlT_E_NS1_11comp_targetILNS1_3genE8ELNS1_11target_archE1030ELNS1_3gpuE2ELNS1_3repE0EEENS1_30default_config_static_selectorELNS0_4arch9wavefront6targetE0EEEvT1_.kd
    .uniform_work_group_size: 1
    .uses_dynamic_stack: false
    .vgpr_count:     0
    .vgpr_spill_count: 0
    .wavefront_size: 32
    .workgroup_processor_mode: 1
  - .args:
      - .offset:         0
        .size:           32
        .value_kind:     by_value
    .group_segment_fixed_size: 0
    .kernarg_segment_align: 8
    .kernarg_segment_size: 32
    .language:       OpenCL C
    .language_version:
      - 2
      - 0
    .max_flat_workgroup_size: 256
    .name:           _ZN7rocprim17ROCPRIM_400000_NS6detail17trampoline_kernelINS0_14default_configENS1_20scan_config_selectorIhEEZZNS1_9scan_implILNS1_25lookback_scan_determinismE0ELb0ELb0ES3_N6thrust23THRUST_200600_302600_NS6detail15normal_iteratorINS9_7pointerIhNS9_11hip_rocprim5par_tENS9_11use_defaultESF_EEEENSB_INSC_IjSE_SF_SF_EEEEhNS9_4plusIvEEhEEDaPvRmT3_T4_T5_mT6_P12ihipStream_tbENKUlT_T0_E_clISt17integral_constantIbLb0EESZ_EEDaSU_SV_EUlSU_E0_NS1_11comp_targetILNS1_3genE0ELNS1_11target_archE4294967295ELNS1_3gpuE0ELNS1_3repE0EEENS1_30default_config_static_selectorELNS0_4arch9wavefront6targetE0EEEvT1_
    .private_segment_fixed_size: 0
    .sgpr_count:     0
    .sgpr_spill_count: 0
    .symbol:         _ZN7rocprim17ROCPRIM_400000_NS6detail17trampoline_kernelINS0_14default_configENS1_20scan_config_selectorIhEEZZNS1_9scan_implILNS1_25lookback_scan_determinismE0ELb0ELb0ES3_N6thrust23THRUST_200600_302600_NS6detail15normal_iteratorINS9_7pointerIhNS9_11hip_rocprim5par_tENS9_11use_defaultESF_EEEENSB_INSC_IjSE_SF_SF_EEEEhNS9_4plusIvEEhEEDaPvRmT3_T4_T5_mT6_P12ihipStream_tbENKUlT_T0_E_clISt17integral_constantIbLb0EESZ_EEDaSU_SV_EUlSU_E0_NS1_11comp_targetILNS1_3genE0ELNS1_11target_archE4294967295ELNS1_3gpuE0ELNS1_3repE0EEENS1_30default_config_static_selectorELNS0_4arch9wavefront6targetE0EEEvT1_.kd
    .uniform_work_group_size: 1
    .uses_dynamic_stack: false
    .vgpr_count:     0
    .vgpr_spill_count: 0
    .wavefront_size: 32
    .workgroup_processor_mode: 1
  - .args:
      - .offset:         0
        .size:           32
        .value_kind:     by_value
    .group_segment_fixed_size: 0
    .kernarg_segment_align: 8
    .kernarg_segment_size: 32
    .language:       OpenCL C
    .language_version:
      - 2
      - 0
    .max_flat_workgroup_size: 256
    .name:           _ZN7rocprim17ROCPRIM_400000_NS6detail17trampoline_kernelINS0_14default_configENS1_20scan_config_selectorIhEEZZNS1_9scan_implILNS1_25lookback_scan_determinismE0ELb0ELb0ES3_N6thrust23THRUST_200600_302600_NS6detail15normal_iteratorINS9_7pointerIhNS9_11hip_rocprim5par_tENS9_11use_defaultESF_EEEENSB_INSC_IjSE_SF_SF_EEEEhNS9_4plusIvEEhEEDaPvRmT3_T4_T5_mT6_P12ihipStream_tbENKUlT_T0_E_clISt17integral_constantIbLb0EESZ_EEDaSU_SV_EUlSU_E0_NS1_11comp_targetILNS1_3genE5ELNS1_11target_archE942ELNS1_3gpuE9ELNS1_3repE0EEENS1_30default_config_static_selectorELNS0_4arch9wavefront6targetE0EEEvT1_
    .private_segment_fixed_size: 0
    .sgpr_count:     0
    .sgpr_spill_count: 0
    .symbol:         _ZN7rocprim17ROCPRIM_400000_NS6detail17trampoline_kernelINS0_14default_configENS1_20scan_config_selectorIhEEZZNS1_9scan_implILNS1_25lookback_scan_determinismE0ELb0ELb0ES3_N6thrust23THRUST_200600_302600_NS6detail15normal_iteratorINS9_7pointerIhNS9_11hip_rocprim5par_tENS9_11use_defaultESF_EEEENSB_INSC_IjSE_SF_SF_EEEEhNS9_4plusIvEEhEEDaPvRmT3_T4_T5_mT6_P12ihipStream_tbENKUlT_T0_E_clISt17integral_constantIbLb0EESZ_EEDaSU_SV_EUlSU_E0_NS1_11comp_targetILNS1_3genE5ELNS1_11target_archE942ELNS1_3gpuE9ELNS1_3repE0EEENS1_30default_config_static_selectorELNS0_4arch9wavefront6targetE0EEEvT1_.kd
    .uniform_work_group_size: 1
    .uses_dynamic_stack: false
    .vgpr_count:     0
    .vgpr_spill_count: 0
    .wavefront_size: 32
    .workgroup_processor_mode: 1
  - .args:
      - .offset:         0
        .size:           32
        .value_kind:     by_value
    .group_segment_fixed_size: 0
    .kernarg_segment_align: 8
    .kernarg_segment_size: 32
    .language:       OpenCL C
    .language_version:
      - 2
      - 0
    .max_flat_workgroup_size: 256
    .name:           _ZN7rocprim17ROCPRIM_400000_NS6detail17trampoline_kernelINS0_14default_configENS1_20scan_config_selectorIhEEZZNS1_9scan_implILNS1_25lookback_scan_determinismE0ELb0ELb0ES3_N6thrust23THRUST_200600_302600_NS6detail15normal_iteratorINS9_7pointerIhNS9_11hip_rocprim5par_tENS9_11use_defaultESF_EEEENSB_INSC_IjSE_SF_SF_EEEEhNS9_4plusIvEEhEEDaPvRmT3_T4_T5_mT6_P12ihipStream_tbENKUlT_T0_E_clISt17integral_constantIbLb0EESZ_EEDaSU_SV_EUlSU_E0_NS1_11comp_targetILNS1_3genE4ELNS1_11target_archE910ELNS1_3gpuE8ELNS1_3repE0EEENS1_30default_config_static_selectorELNS0_4arch9wavefront6targetE0EEEvT1_
    .private_segment_fixed_size: 0
    .sgpr_count:     0
    .sgpr_spill_count: 0
    .symbol:         _ZN7rocprim17ROCPRIM_400000_NS6detail17trampoline_kernelINS0_14default_configENS1_20scan_config_selectorIhEEZZNS1_9scan_implILNS1_25lookback_scan_determinismE0ELb0ELb0ES3_N6thrust23THRUST_200600_302600_NS6detail15normal_iteratorINS9_7pointerIhNS9_11hip_rocprim5par_tENS9_11use_defaultESF_EEEENSB_INSC_IjSE_SF_SF_EEEEhNS9_4plusIvEEhEEDaPvRmT3_T4_T5_mT6_P12ihipStream_tbENKUlT_T0_E_clISt17integral_constantIbLb0EESZ_EEDaSU_SV_EUlSU_E0_NS1_11comp_targetILNS1_3genE4ELNS1_11target_archE910ELNS1_3gpuE8ELNS1_3repE0EEENS1_30default_config_static_selectorELNS0_4arch9wavefront6targetE0EEEvT1_.kd
    .uniform_work_group_size: 1
    .uses_dynamic_stack: false
    .vgpr_count:     0
    .vgpr_spill_count: 0
    .wavefront_size: 32
    .workgroup_processor_mode: 1
  - .args:
      - .offset:         0
        .size:           32
        .value_kind:     by_value
    .group_segment_fixed_size: 0
    .kernarg_segment_align: 8
    .kernarg_segment_size: 32
    .language:       OpenCL C
    .language_version:
      - 2
      - 0
    .max_flat_workgroup_size: 256
    .name:           _ZN7rocprim17ROCPRIM_400000_NS6detail17trampoline_kernelINS0_14default_configENS1_20scan_config_selectorIhEEZZNS1_9scan_implILNS1_25lookback_scan_determinismE0ELb0ELb0ES3_N6thrust23THRUST_200600_302600_NS6detail15normal_iteratorINS9_7pointerIhNS9_11hip_rocprim5par_tENS9_11use_defaultESF_EEEENSB_INSC_IjSE_SF_SF_EEEEhNS9_4plusIvEEhEEDaPvRmT3_T4_T5_mT6_P12ihipStream_tbENKUlT_T0_E_clISt17integral_constantIbLb0EESZ_EEDaSU_SV_EUlSU_E0_NS1_11comp_targetILNS1_3genE3ELNS1_11target_archE908ELNS1_3gpuE7ELNS1_3repE0EEENS1_30default_config_static_selectorELNS0_4arch9wavefront6targetE0EEEvT1_
    .private_segment_fixed_size: 0
    .sgpr_count:     0
    .sgpr_spill_count: 0
    .symbol:         _ZN7rocprim17ROCPRIM_400000_NS6detail17trampoline_kernelINS0_14default_configENS1_20scan_config_selectorIhEEZZNS1_9scan_implILNS1_25lookback_scan_determinismE0ELb0ELb0ES3_N6thrust23THRUST_200600_302600_NS6detail15normal_iteratorINS9_7pointerIhNS9_11hip_rocprim5par_tENS9_11use_defaultESF_EEEENSB_INSC_IjSE_SF_SF_EEEEhNS9_4plusIvEEhEEDaPvRmT3_T4_T5_mT6_P12ihipStream_tbENKUlT_T0_E_clISt17integral_constantIbLb0EESZ_EEDaSU_SV_EUlSU_E0_NS1_11comp_targetILNS1_3genE3ELNS1_11target_archE908ELNS1_3gpuE7ELNS1_3repE0EEENS1_30default_config_static_selectorELNS0_4arch9wavefront6targetE0EEEvT1_.kd
    .uniform_work_group_size: 1
    .uses_dynamic_stack: false
    .vgpr_count:     0
    .vgpr_spill_count: 0
    .wavefront_size: 32
    .workgroup_processor_mode: 1
  - .args:
      - .offset:         0
        .size:           32
        .value_kind:     by_value
    .group_segment_fixed_size: 0
    .kernarg_segment_align: 8
    .kernarg_segment_size: 32
    .language:       OpenCL C
    .language_version:
      - 2
      - 0
    .max_flat_workgroup_size: 256
    .name:           _ZN7rocprim17ROCPRIM_400000_NS6detail17trampoline_kernelINS0_14default_configENS1_20scan_config_selectorIhEEZZNS1_9scan_implILNS1_25lookback_scan_determinismE0ELb0ELb0ES3_N6thrust23THRUST_200600_302600_NS6detail15normal_iteratorINS9_7pointerIhNS9_11hip_rocprim5par_tENS9_11use_defaultESF_EEEENSB_INSC_IjSE_SF_SF_EEEEhNS9_4plusIvEEhEEDaPvRmT3_T4_T5_mT6_P12ihipStream_tbENKUlT_T0_E_clISt17integral_constantIbLb0EESZ_EEDaSU_SV_EUlSU_E0_NS1_11comp_targetILNS1_3genE2ELNS1_11target_archE906ELNS1_3gpuE6ELNS1_3repE0EEENS1_30default_config_static_selectorELNS0_4arch9wavefront6targetE0EEEvT1_
    .private_segment_fixed_size: 0
    .sgpr_count:     0
    .sgpr_spill_count: 0
    .symbol:         _ZN7rocprim17ROCPRIM_400000_NS6detail17trampoline_kernelINS0_14default_configENS1_20scan_config_selectorIhEEZZNS1_9scan_implILNS1_25lookback_scan_determinismE0ELb0ELb0ES3_N6thrust23THRUST_200600_302600_NS6detail15normal_iteratorINS9_7pointerIhNS9_11hip_rocprim5par_tENS9_11use_defaultESF_EEEENSB_INSC_IjSE_SF_SF_EEEEhNS9_4plusIvEEhEEDaPvRmT3_T4_T5_mT6_P12ihipStream_tbENKUlT_T0_E_clISt17integral_constantIbLb0EESZ_EEDaSU_SV_EUlSU_E0_NS1_11comp_targetILNS1_3genE2ELNS1_11target_archE906ELNS1_3gpuE6ELNS1_3repE0EEENS1_30default_config_static_selectorELNS0_4arch9wavefront6targetE0EEEvT1_.kd
    .uniform_work_group_size: 1
    .uses_dynamic_stack: false
    .vgpr_count:     0
    .vgpr_spill_count: 0
    .wavefront_size: 32
    .workgroup_processor_mode: 1
  - .args:
      - .offset:         0
        .size:           32
        .value_kind:     by_value
    .group_segment_fixed_size: 0
    .kernarg_segment_align: 8
    .kernarg_segment_size: 32
    .language:       OpenCL C
    .language_version:
      - 2
      - 0
    .max_flat_workgroup_size: 256
    .name:           _ZN7rocprim17ROCPRIM_400000_NS6detail17trampoline_kernelINS0_14default_configENS1_20scan_config_selectorIhEEZZNS1_9scan_implILNS1_25lookback_scan_determinismE0ELb0ELb0ES3_N6thrust23THRUST_200600_302600_NS6detail15normal_iteratorINS9_7pointerIhNS9_11hip_rocprim5par_tENS9_11use_defaultESF_EEEENSB_INSC_IjSE_SF_SF_EEEEhNS9_4plusIvEEhEEDaPvRmT3_T4_T5_mT6_P12ihipStream_tbENKUlT_T0_E_clISt17integral_constantIbLb0EESZ_EEDaSU_SV_EUlSU_E0_NS1_11comp_targetILNS1_3genE10ELNS1_11target_archE1201ELNS1_3gpuE5ELNS1_3repE0EEENS1_30default_config_static_selectorELNS0_4arch9wavefront6targetE0EEEvT1_
    .private_segment_fixed_size: 0
    .sgpr_count:     0
    .sgpr_spill_count: 0
    .symbol:         _ZN7rocprim17ROCPRIM_400000_NS6detail17trampoline_kernelINS0_14default_configENS1_20scan_config_selectorIhEEZZNS1_9scan_implILNS1_25lookback_scan_determinismE0ELb0ELb0ES3_N6thrust23THRUST_200600_302600_NS6detail15normal_iteratorINS9_7pointerIhNS9_11hip_rocprim5par_tENS9_11use_defaultESF_EEEENSB_INSC_IjSE_SF_SF_EEEEhNS9_4plusIvEEhEEDaPvRmT3_T4_T5_mT6_P12ihipStream_tbENKUlT_T0_E_clISt17integral_constantIbLb0EESZ_EEDaSU_SV_EUlSU_E0_NS1_11comp_targetILNS1_3genE10ELNS1_11target_archE1201ELNS1_3gpuE5ELNS1_3repE0EEENS1_30default_config_static_selectorELNS0_4arch9wavefront6targetE0EEEvT1_.kd
    .uniform_work_group_size: 1
    .uses_dynamic_stack: false
    .vgpr_count:     0
    .vgpr_spill_count: 0
    .wavefront_size: 32
    .workgroup_processor_mode: 1
  - .args:
      - .offset:         0
        .size:           32
        .value_kind:     by_value
    .group_segment_fixed_size: 0
    .kernarg_segment_align: 8
    .kernarg_segment_size: 32
    .language:       OpenCL C
    .language_version:
      - 2
      - 0
    .max_flat_workgroup_size: 256
    .name:           _ZN7rocprim17ROCPRIM_400000_NS6detail17trampoline_kernelINS0_14default_configENS1_20scan_config_selectorIhEEZZNS1_9scan_implILNS1_25lookback_scan_determinismE0ELb0ELb0ES3_N6thrust23THRUST_200600_302600_NS6detail15normal_iteratorINS9_7pointerIhNS9_11hip_rocprim5par_tENS9_11use_defaultESF_EEEENSB_INSC_IjSE_SF_SF_EEEEhNS9_4plusIvEEhEEDaPvRmT3_T4_T5_mT6_P12ihipStream_tbENKUlT_T0_E_clISt17integral_constantIbLb0EESZ_EEDaSU_SV_EUlSU_E0_NS1_11comp_targetILNS1_3genE10ELNS1_11target_archE1200ELNS1_3gpuE4ELNS1_3repE0EEENS1_30default_config_static_selectorELNS0_4arch9wavefront6targetE0EEEvT1_
    .private_segment_fixed_size: 0
    .sgpr_count:     0
    .sgpr_spill_count: 0
    .symbol:         _ZN7rocprim17ROCPRIM_400000_NS6detail17trampoline_kernelINS0_14default_configENS1_20scan_config_selectorIhEEZZNS1_9scan_implILNS1_25lookback_scan_determinismE0ELb0ELb0ES3_N6thrust23THRUST_200600_302600_NS6detail15normal_iteratorINS9_7pointerIhNS9_11hip_rocprim5par_tENS9_11use_defaultESF_EEEENSB_INSC_IjSE_SF_SF_EEEEhNS9_4plusIvEEhEEDaPvRmT3_T4_T5_mT6_P12ihipStream_tbENKUlT_T0_E_clISt17integral_constantIbLb0EESZ_EEDaSU_SV_EUlSU_E0_NS1_11comp_targetILNS1_3genE10ELNS1_11target_archE1200ELNS1_3gpuE4ELNS1_3repE0EEENS1_30default_config_static_selectorELNS0_4arch9wavefront6targetE0EEEvT1_.kd
    .uniform_work_group_size: 1
    .uses_dynamic_stack: false
    .vgpr_count:     0
    .vgpr_spill_count: 0
    .wavefront_size: 32
    .workgroup_processor_mode: 1
  - .args:
      - .offset:         0
        .size:           32
        .value_kind:     by_value
    .group_segment_fixed_size: 6144
    .kernarg_segment_align: 8
    .kernarg_segment_size: 32
    .language:       OpenCL C
    .language_version:
      - 2
      - 0
    .max_flat_workgroup_size: 256
    .name:           _ZN7rocprim17ROCPRIM_400000_NS6detail17trampoline_kernelINS0_14default_configENS1_20scan_config_selectorIhEEZZNS1_9scan_implILNS1_25lookback_scan_determinismE0ELb0ELb0ES3_N6thrust23THRUST_200600_302600_NS6detail15normal_iteratorINS9_7pointerIhNS9_11hip_rocprim5par_tENS9_11use_defaultESF_EEEENSB_INSC_IjSE_SF_SF_EEEEhNS9_4plusIvEEhEEDaPvRmT3_T4_T5_mT6_P12ihipStream_tbENKUlT_T0_E_clISt17integral_constantIbLb0EESZ_EEDaSU_SV_EUlSU_E0_NS1_11comp_targetILNS1_3genE9ELNS1_11target_archE1100ELNS1_3gpuE3ELNS1_3repE0EEENS1_30default_config_static_selectorELNS0_4arch9wavefront6targetE0EEEvT1_
    .private_segment_fixed_size: 0
    .sgpr_count:     34
    .sgpr_spill_count: 0
    .symbol:         _ZN7rocprim17ROCPRIM_400000_NS6detail17trampoline_kernelINS0_14default_configENS1_20scan_config_selectorIhEEZZNS1_9scan_implILNS1_25lookback_scan_determinismE0ELb0ELb0ES3_N6thrust23THRUST_200600_302600_NS6detail15normal_iteratorINS9_7pointerIhNS9_11hip_rocprim5par_tENS9_11use_defaultESF_EEEENSB_INSC_IjSE_SF_SF_EEEEhNS9_4plusIvEEhEEDaPvRmT3_T4_T5_mT6_P12ihipStream_tbENKUlT_T0_E_clISt17integral_constantIbLb0EESZ_EEDaSU_SV_EUlSU_E0_NS1_11comp_targetILNS1_3genE9ELNS1_11target_archE1100ELNS1_3gpuE3ELNS1_3repE0EEENS1_30default_config_static_selectorELNS0_4arch9wavefront6targetE0EEEvT1_.kd
    .uniform_work_group_size: 1
    .uses_dynamic_stack: false
    .vgpr_count:     54
    .vgpr_spill_count: 0
    .wavefront_size: 32
    .workgroup_processor_mode: 1
  - .args:
      - .offset:         0
        .size:           32
        .value_kind:     by_value
    .group_segment_fixed_size: 0
    .kernarg_segment_align: 8
    .kernarg_segment_size: 32
    .language:       OpenCL C
    .language_version:
      - 2
      - 0
    .max_flat_workgroup_size: 256
    .name:           _ZN7rocprim17ROCPRIM_400000_NS6detail17trampoline_kernelINS0_14default_configENS1_20scan_config_selectorIhEEZZNS1_9scan_implILNS1_25lookback_scan_determinismE0ELb0ELb0ES3_N6thrust23THRUST_200600_302600_NS6detail15normal_iteratorINS9_7pointerIhNS9_11hip_rocprim5par_tENS9_11use_defaultESF_EEEENSB_INSC_IjSE_SF_SF_EEEEhNS9_4plusIvEEhEEDaPvRmT3_T4_T5_mT6_P12ihipStream_tbENKUlT_T0_E_clISt17integral_constantIbLb0EESZ_EEDaSU_SV_EUlSU_E0_NS1_11comp_targetILNS1_3genE8ELNS1_11target_archE1030ELNS1_3gpuE2ELNS1_3repE0EEENS1_30default_config_static_selectorELNS0_4arch9wavefront6targetE0EEEvT1_
    .private_segment_fixed_size: 0
    .sgpr_count:     0
    .sgpr_spill_count: 0
    .symbol:         _ZN7rocprim17ROCPRIM_400000_NS6detail17trampoline_kernelINS0_14default_configENS1_20scan_config_selectorIhEEZZNS1_9scan_implILNS1_25lookback_scan_determinismE0ELb0ELb0ES3_N6thrust23THRUST_200600_302600_NS6detail15normal_iteratorINS9_7pointerIhNS9_11hip_rocprim5par_tENS9_11use_defaultESF_EEEENSB_INSC_IjSE_SF_SF_EEEEhNS9_4plusIvEEhEEDaPvRmT3_T4_T5_mT6_P12ihipStream_tbENKUlT_T0_E_clISt17integral_constantIbLb0EESZ_EEDaSU_SV_EUlSU_E0_NS1_11comp_targetILNS1_3genE8ELNS1_11target_archE1030ELNS1_3gpuE2ELNS1_3repE0EEENS1_30default_config_static_selectorELNS0_4arch9wavefront6targetE0EEEvT1_.kd
    .uniform_work_group_size: 1
    .uses_dynamic_stack: false
    .vgpr_count:     0
    .vgpr_spill_count: 0
    .wavefront_size: 32
    .workgroup_processor_mode: 1
  - .args:
      - .address_space:  global
        .offset:         0
        .size:           8
        .value_kind:     global_buffer
      - .offset:         8
        .size:           4
        .value_kind:     by_value
      - .address_space:  global
        .offset:         16
        .size:           8
        .value_kind:     global_buffer
      - .offset:         24
        .size:           4
        .value_kind:     by_value
      - .address_space:  global
        .offset:         32
        .size:           8
        .value_kind:     global_buffer
      - .offset:         40
        .size:           4
        .value_kind:     hidden_block_count_x
      - .offset:         44
        .size:           4
        .value_kind:     hidden_block_count_y
      - .offset:         48
        .size:           4
        .value_kind:     hidden_block_count_z
      - .offset:         52
        .size:           2
        .value_kind:     hidden_group_size_x
      - .offset:         54
        .size:           2
        .value_kind:     hidden_group_size_y
      - .offset:         56
        .size:           2
        .value_kind:     hidden_group_size_z
      - .offset:         58
        .size:           2
        .value_kind:     hidden_remainder_x
      - .offset:         60
        .size:           2
        .value_kind:     hidden_remainder_y
      - .offset:         62
        .size:           2
        .value_kind:     hidden_remainder_z
      - .offset:         80
        .size:           8
        .value_kind:     hidden_global_offset_x
      - .offset:         88
        .size:           8
        .value_kind:     hidden_global_offset_y
      - .offset:         96
        .size:           8
        .value_kind:     hidden_global_offset_z
      - .offset:         104
        .size:           2
        .value_kind:     hidden_grid_dims
    .group_segment_fixed_size: 0
    .kernarg_segment_align: 8
    .kernarg_segment_size: 296
    .language:       OpenCL C
    .language_version:
      - 2
      - 0
    .max_flat_workgroup_size: 256
    .name:           _ZN7rocprim17ROCPRIM_400000_NS6detail31init_lookback_scan_state_kernelINS1_19lookback_scan_stateIhLb1ELb1EEENS1_16block_id_wrapperIjLb1EEEEEvT_jT0_jPNS7_10value_typeE
    .private_segment_fixed_size: 0
    .sgpr_count:     18
    .sgpr_spill_count: 0
    .symbol:         _ZN7rocprim17ROCPRIM_400000_NS6detail31init_lookback_scan_state_kernelINS1_19lookback_scan_stateIhLb1ELb1EEENS1_16block_id_wrapperIjLb1EEEEEvT_jT0_jPNS7_10value_typeE.kd
    .uniform_work_group_size: 1
    .uses_dynamic_stack: false
    .vgpr_count:     6
    .vgpr_spill_count: 0
    .wavefront_size: 32
    .workgroup_processor_mode: 1
  - .args:
      - .offset:         0
        .size:           96
        .value_kind:     by_value
    .group_segment_fixed_size: 0
    .kernarg_segment_align: 8
    .kernarg_segment_size: 96
    .language:       OpenCL C
    .language_version:
      - 2
      - 0
    .max_flat_workgroup_size: 256
    .name:           _ZN7rocprim17ROCPRIM_400000_NS6detail17trampoline_kernelINS0_14default_configENS1_20scan_config_selectorIhEEZZNS1_9scan_implILNS1_25lookback_scan_determinismE0ELb0ELb0ES3_N6thrust23THRUST_200600_302600_NS6detail15normal_iteratorINS9_7pointerIhNS9_11hip_rocprim5par_tENS9_11use_defaultESF_EEEENSB_INSC_IjSE_SF_SF_EEEEhNS9_4plusIvEEhEEDaPvRmT3_T4_T5_mT6_P12ihipStream_tbENKUlT_T0_E_clISt17integral_constantIbLb1EESZ_EEDaSU_SV_EUlSU_E_NS1_11comp_targetILNS1_3genE0ELNS1_11target_archE4294967295ELNS1_3gpuE0ELNS1_3repE0EEENS1_30default_config_static_selectorELNS0_4arch9wavefront6targetE0EEEvT1_
    .private_segment_fixed_size: 0
    .sgpr_count:     0
    .sgpr_spill_count: 0
    .symbol:         _ZN7rocprim17ROCPRIM_400000_NS6detail17trampoline_kernelINS0_14default_configENS1_20scan_config_selectorIhEEZZNS1_9scan_implILNS1_25lookback_scan_determinismE0ELb0ELb0ES3_N6thrust23THRUST_200600_302600_NS6detail15normal_iteratorINS9_7pointerIhNS9_11hip_rocprim5par_tENS9_11use_defaultESF_EEEENSB_INSC_IjSE_SF_SF_EEEEhNS9_4plusIvEEhEEDaPvRmT3_T4_T5_mT6_P12ihipStream_tbENKUlT_T0_E_clISt17integral_constantIbLb1EESZ_EEDaSU_SV_EUlSU_E_NS1_11comp_targetILNS1_3genE0ELNS1_11target_archE4294967295ELNS1_3gpuE0ELNS1_3repE0EEENS1_30default_config_static_selectorELNS0_4arch9wavefront6targetE0EEEvT1_.kd
    .uniform_work_group_size: 1
    .uses_dynamic_stack: false
    .vgpr_count:     0
    .vgpr_spill_count: 0
    .wavefront_size: 32
    .workgroup_processor_mode: 1
  - .args:
      - .offset:         0
        .size:           96
        .value_kind:     by_value
    .group_segment_fixed_size: 0
    .kernarg_segment_align: 8
    .kernarg_segment_size: 96
    .language:       OpenCL C
    .language_version:
      - 2
      - 0
    .max_flat_workgroup_size: 256
    .name:           _ZN7rocprim17ROCPRIM_400000_NS6detail17trampoline_kernelINS0_14default_configENS1_20scan_config_selectorIhEEZZNS1_9scan_implILNS1_25lookback_scan_determinismE0ELb0ELb0ES3_N6thrust23THRUST_200600_302600_NS6detail15normal_iteratorINS9_7pointerIhNS9_11hip_rocprim5par_tENS9_11use_defaultESF_EEEENSB_INSC_IjSE_SF_SF_EEEEhNS9_4plusIvEEhEEDaPvRmT3_T4_T5_mT6_P12ihipStream_tbENKUlT_T0_E_clISt17integral_constantIbLb1EESZ_EEDaSU_SV_EUlSU_E_NS1_11comp_targetILNS1_3genE5ELNS1_11target_archE942ELNS1_3gpuE9ELNS1_3repE0EEENS1_30default_config_static_selectorELNS0_4arch9wavefront6targetE0EEEvT1_
    .private_segment_fixed_size: 0
    .sgpr_count:     0
    .sgpr_spill_count: 0
    .symbol:         _ZN7rocprim17ROCPRIM_400000_NS6detail17trampoline_kernelINS0_14default_configENS1_20scan_config_selectorIhEEZZNS1_9scan_implILNS1_25lookback_scan_determinismE0ELb0ELb0ES3_N6thrust23THRUST_200600_302600_NS6detail15normal_iteratorINS9_7pointerIhNS9_11hip_rocprim5par_tENS9_11use_defaultESF_EEEENSB_INSC_IjSE_SF_SF_EEEEhNS9_4plusIvEEhEEDaPvRmT3_T4_T5_mT6_P12ihipStream_tbENKUlT_T0_E_clISt17integral_constantIbLb1EESZ_EEDaSU_SV_EUlSU_E_NS1_11comp_targetILNS1_3genE5ELNS1_11target_archE942ELNS1_3gpuE9ELNS1_3repE0EEENS1_30default_config_static_selectorELNS0_4arch9wavefront6targetE0EEEvT1_.kd
    .uniform_work_group_size: 1
    .uses_dynamic_stack: false
    .vgpr_count:     0
    .vgpr_spill_count: 0
    .wavefront_size: 32
    .workgroup_processor_mode: 1
  - .args:
      - .offset:         0
        .size:           96
        .value_kind:     by_value
    .group_segment_fixed_size: 0
    .kernarg_segment_align: 8
    .kernarg_segment_size: 96
    .language:       OpenCL C
    .language_version:
      - 2
      - 0
    .max_flat_workgroup_size: 256
    .name:           _ZN7rocprim17ROCPRIM_400000_NS6detail17trampoline_kernelINS0_14default_configENS1_20scan_config_selectorIhEEZZNS1_9scan_implILNS1_25lookback_scan_determinismE0ELb0ELb0ES3_N6thrust23THRUST_200600_302600_NS6detail15normal_iteratorINS9_7pointerIhNS9_11hip_rocprim5par_tENS9_11use_defaultESF_EEEENSB_INSC_IjSE_SF_SF_EEEEhNS9_4plusIvEEhEEDaPvRmT3_T4_T5_mT6_P12ihipStream_tbENKUlT_T0_E_clISt17integral_constantIbLb1EESZ_EEDaSU_SV_EUlSU_E_NS1_11comp_targetILNS1_3genE4ELNS1_11target_archE910ELNS1_3gpuE8ELNS1_3repE0EEENS1_30default_config_static_selectorELNS0_4arch9wavefront6targetE0EEEvT1_
    .private_segment_fixed_size: 0
    .sgpr_count:     0
    .sgpr_spill_count: 0
    .symbol:         _ZN7rocprim17ROCPRIM_400000_NS6detail17trampoline_kernelINS0_14default_configENS1_20scan_config_selectorIhEEZZNS1_9scan_implILNS1_25lookback_scan_determinismE0ELb0ELb0ES3_N6thrust23THRUST_200600_302600_NS6detail15normal_iteratorINS9_7pointerIhNS9_11hip_rocprim5par_tENS9_11use_defaultESF_EEEENSB_INSC_IjSE_SF_SF_EEEEhNS9_4plusIvEEhEEDaPvRmT3_T4_T5_mT6_P12ihipStream_tbENKUlT_T0_E_clISt17integral_constantIbLb1EESZ_EEDaSU_SV_EUlSU_E_NS1_11comp_targetILNS1_3genE4ELNS1_11target_archE910ELNS1_3gpuE8ELNS1_3repE0EEENS1_30default_config_static_selectorELNS0_4arch9wavefront6targetE0EEEvT1_.kd
    .uniform_work_group_size: 1
    .uses_dynamic_stack: false
    .vgpr_count:     0
    .vgpr_spill_count: 0
    .wavefront_size: 32
    .workgroup_processor_mode: 1
  - .args:
      - .offset:         0
        .size:           96
        .value_kind:     by_value
    .group_segment_fixed_size: 0
    .kernarg_segment_align: 8
    .kernarg_segment_size: 96
    .language:       OpenCL C
    .language_version:
      - 2
      - 0
    .max_flat_workgroup_size: 256
    .name:           _ZN7rocprim17ROCPRIM_400000_NS6detail17trampoline_kernelINS0_14default_configENS1_20scan_config_selectorIhEEZZNS1_9scan_implILNS1_25lookback_scan_determinismE0ELb0ELb0ES3_N6thrust23THRUST_200600_302600_NS6detail15normal_iteratorINS9_7pointerIhNS9_11hip_rocprim5par_tENS9_11use_defaultESF_EEEENSB_INSC_IjSE_SF_SF_EEEEhNS9_4plusIvEEhEEDaPvRmT3_T4_T5_mT6_P12ihipStream_tbENKUlT_T0_E_clISt17integral_constantIbLb1EESZ_EEDaSU_SV_EUlSU_E_NS1_11comp_targetILNS1_3genE3ELNS1_11target_archE908ELNS1_3gpuE7ELNS1_3repE0EEENS1_30default_config_static_selectorELNS0_4arch9wavefront6targetE0EEEvT1_
    .private_segment_fixed_size: 0
    .sgpr_count:     0
    .sgpr_spill_count: 0
    .symbol:         _ZN7rocprim17ROCPRIM_400000_NS6detail17trampoline_kernelINS0_14default_configENS1_20scan_config_selectorIhEEZZNS1_9scan_implILNS1_25lookback_scan_determinismE0ELb0ELb0ES3_N6thrust23THRUST_200600_302600_NS6detail15normal_iteratorINS9_7pointerIhNS9_11hip_rocprim5par_tENS9_11use_defaultESF_EEEENSB_INSC_IjSE_SF_SF_EEEEhNS9_4plusIvEEhEEDaPvRmT3_T4_T5_mT6_P12ihipStream_tbENKUlT_T0_E_clISt17integral_constantIbLb1EESZ_EEDaSU_SV_EUlSU_E_NS1_11comp_targetILNS1_3genE3ELNS1_11target_archE908ELNS1_3gpuE7ELNS1_3repE0EEENS1_30default_config_static_selectorELNS0_4arch9wavefront6targetE0EEEvT1_.kd
    .uniform_work_group_size: 1
    .uses_dynamic_stack: false
    .vgpr_count:     0
    .vgpr_spill_count: 0
    .wavefront_size: 32
    .workgroup_processor_mode: 1
  - .args:
      - .offset:         0
        .size:           96
        .value_kind:     by_value
    .group_segment_fixed_size: 0
    .kernarg_segment_align: 8
    .kernarg_segment_size: 96
    .language:       OpenCL C
    .language_version:
      - 2
      - 0
    .max_flat_workgroup_size: 256
    .name:           _ZN7rocprim17ROCPRIM_400000_NS6detail17trampoline_kernelINS0_14default_configENS1_20scan_config_selectorIhEEZZNS1_9scan_implILNS1_25lookback_scan_determinismE0ELb0ELb0ES3_N6thrust23THRUST_200600_302600_NS6detail15normal_iteratorINS9_7pointerIhNS9_11hip_rocprim5par_tENS9_11use_defaultESF_EEEENSB_INSC_IjSE_SF_SF_EEEEhNS9_4plusIvEEhEEDaPvRmT3_T4_T5_mT6_P12ihipStream_tbENKUlT_T0_E_clISt17integral_constantIbLb1EESZ_EEDaSU_SV_EUlSU_E_NS1_11comp_targetILNS1_3genE2ELNS1_11target_archE906ELNS1_3gpuE6ELNS1_3repE0EEENS1_30default_config_static_selectorELNS0_4arch9wavefront6targetE0EEEvT1_
    .private_segment_fixed_size: 0
    .sgpr_count:     0
    .sgpr_spill_count: 0
    .symbol:         _ZN7rocprim17ROCPRIM_400000_NS6detail17trampoline_kernelINS0_14default_configENS1_20scan_config_selectorIhEEZZNS1_9scan_implILNS1_25lookback_scan_determinismE0ELb0ELb0ES3_N6thrust23THRUST_200600_302600_NS6detail15normal_iteratorINS9_7pointerIhNS9_11hip_rocprim5par_tENS9_11use_defaultESF_EEEENSB_INSC_IjSE_SF_SF_EEEEhNS9_4plusIvEEhEEDaPvRmT3_T4_T5_mT6_P12ihipStream_tbENKUlT_T0_E_clISt17integral_constantIbLb1EESZ_EEDaSU_SV_EUlSU_E_NS1_11comp_targetILNS1_3genE2ELNS1_11target_archE906ELNS1_3gpuE6ELNS1_3repE0EEENS1_30default_config_static_selectorELNS0_4arch9wavefront6targetE0EEEvT1_.kd
    .uniform_work_group_size: 1
    .uses_dynamic_stack: false
    .vgpr_count:     0
    .vgpr_spill_count: 0
    .wavefront_size: 32
    .workgroup_processor_mode: 1
  - .args:
      - .offset:         0
        .size:           96
        .value_kind:     by_value
    .group_segment_fixed_size: 0
    .kernarg_segment_align: 8
    .kernarg_segment_size: 96
    .language:       OpenCL C
    .language_version:
      - 2
      - 0
    .max_flat_workgroup_size: 256
    .name:           _ZN7rocprim17ROCPRIM_400000_NS6detail17trampoline_kernelINS0_14default_configENS1_20scan_config_selectorIhEEZZNS1_9scan_implILNS1_25lookback_scan_determinismE0ELb0ELb0ES3_N6thrust23THRUST_200600_302600_NS6detail15normal_iteratorINS9_7pointerIhNS9_11hip_rocprim5par_tENS9_11use_defaultESF_EEEENSB_INSC_IjSE_SF_SF_EEEEhNS9_4plusIvEEhEEDaPvRmT3_T4_T5_mT6_P12ihipStream_tbENKUlT_T0_E_clISt17integral_constantIbLb1EESZ_EEDaSU_SV_EUlSU_E_NS1_11comp_targetILNS1_3genE10ELNS1_11target_archE1201ELNS1_3gpuE5ELNS1_3repE0EEENS1_30default_config_static_selectorELNS0_4arch9wavefront6targetE0EEEvT1_
    .private_segment_fixed_size: 0
    .sgpr_count:     0
    .sgpr_spill_count: 0
    .symbol:         _ZN7rocprim17ROCPRIM_400000_NS6detail17trampoline_kernelINS0_14default_configENS1_20scan_config_selectorIhEEZZNS1_9scan_implILNS1_25lookback_scan_determinismE0ELb0ELb0ES3_N6thrust23THRUST_200600_302600_NS6detail15normal_iteratorINS9_7pointerIhNS9_11hip_rocprim5par_tENS9_11use_defaultESF_EEEENSB_INSC_IjSE_SF_SF_EEEEhNS9_4plusIvEEhEEDaPvRmT3_T4_T5_mT6_P12ihipStream_tbENKUlT_T0_E_clISt17integral_constantIbLb1EESZ_EEDaSU_SV_EUlSU_E_NS1_11comp_targetILNS1_3genE10ELNS1_11target_archE1201ELNS1_3gpuE5ELNS1_3repE0EEENS1_30default_config_static_selectorELNS0_4arch9wavefront6targetE0EEEvT1_.kd
    .uniform_work_group_size: 1
    .uses_dynamic_stack: false
    .vgpr_count:     0
    .vgpr_spill_count: 0
    .wavefront_size: 32
    .workgroup_processor_mode: 1
  - .args:
      - .offset:         0
        .size:           96
        .value_kind:     by_value
    .group_segment_fixed_size: 0
    .kernarg_segment_align: 8
    .kernarg_segment_size: 96
    .language:       OpenCL C
    .language_version:
      - 2
      - 0
    .max_flat_workgroup_size: 256
    .name:           _ZN7rocprim17ROCPRIM_400000_NS6detail17trampoline_kernelINS0_14default_configENS1_20scan_config_selectorIhEEZZNS1_9scan_implILNS1_25lookback_scan_determinismE0ELb0ELb0ES3_N6thrust23THRUST_200600_302600_NS6detail15normal_iteratorINS9_7pointerIhNS9_11hip_rocprim5par_tENS9_11use_defaultESF_EEEENSB_INSC_IjSE_SF_SF_EEEEhNS9_4plusIvEEhEEDaPvRmT3_T4_T5_mT6_P12ihipStream_tbENKUlT_T0_E_clISt17integral_constantIbLb1EESZ_EEDaSU_SV_EUlSU_E_NS1_11comp_targetILNS1_3genE10ELNS1_11target_archE1200ELNS1_3gpuE4ELNS1_3repE0EEENS1_30default_config_static_selectorELNS0_4arch9wavefront6targetE0EEEvT1_
    .private_segment_fixed_size: 0
    .sgpr_count:     0
    .sgpr_spill_count: 0
    .symbol:         _ZN7rocprim17ROCPRIM_400000_NS6detail17trampoline_kernelINS0_14default_configENS1_20scan_config_selectorIhEEZZNS1_9scan_implILNS1_25lookback_scan_determinismE0ELb0ELb0ES3_N6thrust23THRUST_200600_302600_NS6detail15normal_iteratorINS9_7pointerIhNS9_11hip_rocprim5par_tENS9_11use_defaultESF_EEEENSB_INSC_IjSE_SF_SF_EEEEhNS9_4plusIvEEhEEDaPvRmT3_T4_T5_mT6_P12ihipStream_tbENKUlT_T0_E_clISt17integral_constantIbLb1EESZ_EEDaSU_SV_EUlSU_E_NS1_11comp_targetILNS1_3genE10ELNS1_11target_archE1200ELNS1_3gpuE4ELNS1_3repE0EEENS1_30default_config_static_selectorELNS0_4arch9wavefront6targetE0EEEvT1_.kd
    .uniform_work_group_size: 1
    .uses_dynamic_stack: false
    .vgpr_count:     0
    .vgpr_spill_count: 0
    .wavefront_size: 32
    .workgroup_processor_mode: 1
  - .args:
      - .offset:         0
        .size:           96
        .value_kind:     by_value
    .group_segment_fixed_size: 6144
    .kernarg_segment_align: 8
    .kernarg_segment_size: 96
    .language:       OpenCL C
    .language_version:
      - 2
      - 0
    .max_flat_workgroup_size: 256
    .name:           _ZN7rocprim17ROCPRIM_400000_NS6detail17trampoline_kernelINS0_14default_configENS1_20scan_config_selectorIhEEZZNS1_9scan_implILNS1_25lookback_scan_determinismE0ELb0ELb0ES3_N6thrust23THRUST_200600_302600_NS6detail15normal_iteratorINS9_7pointerIhNS9_11hip_rocprim5par_tENS9_11use_defaultESF_EEEENSB_INSC_IjSE_SF_SF_EEEEhNS9_4plusIvEEhEEDaPvRmT3_T4_T5_mT6_P12ihipStream_tbENKUlT_T0_E_clISt17integral_constantIbLb1EESZ_EEDaSU_SV_EUlSU_E_NS1_11comp_targetILNS1_3genE9ELNS1_11target_archE1100ELNS1_3gpuE3ELNS1_3repE0EEENS1_30default_config_static_selectorELNS0_4arch9wavefront6targetE0EEEvT1_
    .private_segment_fixed_size: 0
    .sgpr_count:     28
    .sgpr_spill_count: 0
    .symbol:         _ZN7rocprim17ROCPRIM_400000_NS6detail17trampoline_kernelINS0_14default_configENS1_20scan_config_selectorIhEEZZNS1_9scan_implILNS1_25lookback_scan_determinismE0ELb0ELb0ES3_N6thrust23THRUST_200600_302600_NS6detail15normal_iteratorINS9_7pointerIhNS9_11hip_rocprim5par_tENS9_11use_defaultESF_EEEENSB_INSC_IjSE_SF_SF_EEEEhNS9_4plusIvEEhEEDaPvRmT3_T4_T5_mT6_P12ihipStream_tbENKUlT_T0_E_clISt17integral_constantIbLb1EESZ_EEDaSU_SV_EUlSU_E_NS1_11comp_targetILNS1_3genE9ELNS1_11target_archE1100ELNS1_3gpuE3ELNS1_3repE0EEENS1_30default_config_static_selectorELNS0_4arch9wavefront6targetE0EEEvT1_.kd
    .uniform_work_group_size: 1
    .uses_dynamic_stack: false
    .vgpr_count:     57
    .vgpr_spill_count: 0
    .wavefront_size: 32
    .workgroup_processor_mode: 1
  - .args:
      - .offset:         0
        .size:           96
        .value_kind:     by_value
    .group_segment_fixed_size: 0
    .kernarg_segment_align: 8
    .kernarg_segment_size: 96
    .language:       OpenCL C
    .language_version:
      - 2
      - 0
    .max_flat_workgroup_size: 256
    .name:           _ZN7rocprim17ROCPRIM_400000_NS6detail17trampoline_kernelINS0_14default_configENS1_20scan_config_selectorIhEEZZNS1_9scan_implILNS1_25lookback_scan_determinismE0ELb0ELb0ES3_N6thrust23THRUST_200600_302600_NS6detail15normal_iteratorINS9_7pointerIhNS9_11hip_rocprim5par_tENS9_11use_defaultESF_EEEENSB_INSC_IjSE_SF_SF_EEEEhNS9_4plusIvEEhEEDaPvRmT3_T4_T5_mT6_P12ihipStream_tbENKUlT_T0_E_clISt17integral_constantIbLb1EESZ_EEDaSU_SV_EUlSU_E_NS1_11comp_targetILNS1_3genE8ELNS1_11target_archE1030ELNS1_3gpuE2ELNS1_3repE0EEENS1_30default_config_static_selectorELNS0_4arch9wavefront6targetE0EEEvT1_
    .private_segment_fixed_size: 0
    .sgpr_count:     0
    .sgpr_spill_count: 0
    .symbol:         _ZN7rocprim17ROCPRIM_400000_NS6detail17trampoline_kernelINS0_14default_configENS1_20scan_config_selectorIhEEZZNS1_9scan_implILNS1_25lookback_scan_determinismE0ELb0ELb0ES3_N6thrust23THRUST_200600_302600_NS6detail15normal_iteratorINS9_7pointerIhNS9_11hip_rocprim5par_tENS9_11use_defaultESF_EEEENSB_INSC_IjSE_SF_SF_EEEEhNS9_4plusIvEEhEEDaPvRmT3_T4_T5_mT6_P12ihipStream_tbENKUlT_T0_E_clISt17integral_constantIbLb1EESZ_EEDaSU_SV_EUlSU_E_NS1_11comp_targetILNS1_3genE8ELNS1_11target_archE1030ELNS1_3gpuE2ELNS1_3repE0EEENS1_30default_config_static_selectorELNS0_4arch9wavefront6targetE0EEEvT1_.kd
    .uniform_work_group_size: 1
    .uses_dynamic_stack: false
    .vgpr_count:     0
    .vgpr_spill_count: 0
    .wavefront_size: 32
    .workgroup_processor_mode: 1
  - .args:
      - .offset:         0
        .size:           32
        .value_kind:     by_value
    .group_segment_fixed_size: 0
    .kernarg_segment_align: 8
    .kernarg_segment_size: 32
    .language:       OpenCL C
    .language_version:
      - 2
      - 0
    .max_flat_workgroup_size: 256
    .name:           _ZN7rocprim17ROCPRIM_400000_NS6detail17trampoline_kernelINS0_14default_configENS1_20scan_config_selectorIhEEZZNS1_9scan_implILNS1_25lookback_scan_determinismE0ELb0ELb0ES3_N6thrust23THRUST_200600_302600_NS6detail15normal_iteratorINS9_7pointerIhNS9_11hip_rocprim5par_tENS9_11use_defaultESF_EEEENSB_INSC_IjSE_SF_SF_EEEEhNS9_4plusIvEEhEEDaPvRmT3_T4_T5_mT6_P12ihipStream_tbENKUlT_T0_E_clISt17integral_constantIbLb1EESZ_EEDaSU_SV_EUlSU_E0_NS1_11comp_targetILNS1_3genE0ELNS1_11target_archE4294967295ELNS1_3gpuE0ELNS1_3repE0EEENS1_30default_config_static_selectorELNS0_4arch9wavefront6targetE0EEEvT1_
    .private_segment_fixed_size: 0
    .sgpr_count:     0
    .sgpr_spill_count: 0
    .symbol:         _ZN7rocprim17ROCPRIM_400000_NS6detail17trampoline_kernelINS0_14default_configENS1_20scan_config_selectorIhEEZZNS1_9scan_implILNS1_25lookback_scan_determinismE0ELb0ELb0ES3_N6thrust23THRUST_200600_302600_NS6detail15normal_iteratorINS9_7pointerIhNS9_11hip_rocprim5par_tENS9_11use_defaultESF_EEEENSB_INSC_IjSE_SF_SF_EEEEhNS9_4plusIvEEhEEDaPvRmT3_T4_T5_mT6_P12ihipStream_tbENKUlT_T0_E_clISt17integral_constantIbLb1EESZ_EEDaSU_SV_EUlSU_E0_NS1_11comp_targetILNS1_3genE0ELNS1_11target_archE4294967295ELNS1_3gpuE0ELNS1_3repE0EEENS1_30default_config_static_selectorELNS0_4arch9wavefront6targetE0EEEvT1_.kd
    .uniform_work_group_size: 1
    .uses_dynamic_stack: false
    .vgpr_count:     0
    .vgpr_spill_count: 0
    .wavefront_size: 32
    .workgroup_processor_mode: 1
  - .args:
      - .offset:         0
        .size:           32
        .value_kind:     by_value
    .group_segment_fixed_size: 0
    .kernarg_segment_align: 8
    .kernarg_segment_size: 32
    .language:       OpenCL C
    .language_version:
      - 2
      - 0
    .max_flat_workgroup_size: 256
    .name:           _ZN7rocprim17ROCPRIM_400000_NS6detail17trampoline_kernelINS0_14default_configENS1_20scan_config_selectorIhEEZZNS1_9scan_implILNS1_25lookback_scan_determinismE0ELb0ELb0ES3_N6thrust23THRUST_200600_302600_NS6detail15normal_iteratorINS9_7pointerIhNS9_11hip_rocprim5par_tENS9_11use_defaultESF_EEEENSB_INSC_IjSE_SF_SF_EEEEhNS9_4plusIvEEhEEDaPvRmT3_T4_T5_mT6_P12ihipStream_tbENKUlT_T0_E_clISt17integral_constantIbLb1EESZ_EEDaSU_SV_EUlSU_E0_NS1_11comp_targetILNS1_3genE5ELNS1_11target_archE942ELNS1_3gpuE9ELNS1_3repE0EEENS1_30default_config_static_selectorELNS0_4arch9wavefront6targetE0EEEvT1_
    .private_segment_fixed_size: 0
    .sgpr_count:     0
    .sgpr_spill_count: 0
    .symbol:         _ZN7rocprim17ROCPRIM_400000_NS6detail17trampoline_kernelINS0_14default_configENS1_20scan_config_selectorIhEEZZNS1_9scan_implILNS1_25lookback_scan_determinismE0ELb0ELb0ES3_N6thrust23THRUST_200600_302600_NS6detail15normal_iteratorINS9_7pointerIhNS9_11hip_rocprim5par_tENS9_11use_defaultESF_EEEENSB_INSC_IjSE_SF_SF_EEEEhNS9_4plusIvEEhEEDaPvRmT3_T4_T5_mT6_P12ihipStream_tbENKUlT_T0_E_clISt17integral_constantIbLb1EESZ_EEDaSU_SV_EUlSU_E0_NS1_11comp_targetILNS1_3genE5ELNS1_11target_archE942ELNS1_3gpuE9ELNS1_3repE0EEENS1_30default_config_static_selectorELNS0_4arch9wavefront6targetE0EEEvT1_.kd
    .uniform_work_group_size: 1
    .uses_dynamic_stack: false
    .vgpr_count:     0
    .vgpr_spill_count: 0
    .wavefront_size: 32
    .workgroup_processor_mode: 1
  - .args:
      - .offset:         0
        .size:           32
        .value_kind:     by_value
    .group_segment_fixed_size: 0
    .kernarg_segment_align: 8
    .kernarg_segment_size: 32
    .language:       OpenCL C
    .language_version:
      - 2
      - 0
    .max_flat_workgroup_size: 256
    .name:           _ZN7rocprim17ROCPRIM_400000_NS6detail17trampoline_kernelINS0_14default_configENS1_20scan_config_selectorIhEEZZNS1_9scan_implILNS1_25lookback_scan_determinismE0ELb0ELb0ES3_N6thrust23THRUST_200600_302600_NS6detail15normal_iteratorINS9_7pointerIhNS9_11hip_rocprim5par_tENS9_11use_defaultESF_EEEENSB_INSC_IjSE_SF_SF_EEEEhNS9_4plusIvEEhEEDaPvRmT3_T4_T5_mT6_P12ihipStream_tbENKUlT_T0_E_clISt17integral_constantIbLb1EESZ_EEDaSU_SV_EUlSU_E0_NS1_11comp_targetILNS1_3genE4ELNS1_11target_archE910ELNS1_3gpuE8ELNS1_3repE0EEENS1_30default_config_static_selectorELNS0_4arch9wavefront6targetE0EEEvT1_
    .private_segment_fixed_size: 0
    .sgpr_count:     0
    .sgpr_spill_count: 0
    .symbol:         _ZN7rocprim17ROCPRIM_400000_NS6detail17trampoline_kernelINS0_14default_configENS1_20scan_config_selectorIhEEZZNS1_9scan_implILNS1_25lookback_scan_determinismE0ELb0ELb0ES3_N6thrust23THRUST_200600_302600_NS6detail15normal_iteratorINS9_7pointerIhNS9_11hip_rocprim5par_tENS9_11use_defaultESF_EEEENSB_INSC_IjSE_SF_SF_EEEEhNS9_4plusIvEEhEEDaPvRmT3_T4_T5_mT6_P12ihipStream_tbENKUlT_T0_E_clISt17integral_constantIbLb1EESZ_EEDaSU_SV_EUlSU_E0_NS1_11comp_targetILNS1_3genE4ELNS1_11target_archE910ELNS1_3gpuE8ELNS1_3repE0EEENS1_30default_config_static_selectorELNS0_4arch9wavefront6targetE0EEEvT1_.kd
    .uniform_work_group_size: 1
    .uses_dynamic_stack: false
    .vgpr_count:     0
    .vgpr_spill_count: 0
    .wavefront_size: 32
    .workgroup_processor_mode: 1
  - .args:
      - .offset:         0
        .size:           32
        .value_kind:     by_value
    .group_segment_fixed_size: 0
    .kernarg_segment_align: 8
    .kernarg_segment_size: 32
    .language:       OpenCL C
    .language_version:
      - 2
      - 0
    .max_flat_workgroup_size: 256
    .name:           _ZN7rocprim17ROCPRIM_400000_NS6detail17trampoline_kernelINS0_14default_configENS1_20scan_config_selectorIhEEZZNS1_9scan_implILNS1_25lookback_scan_determinismE0ELb0ELb0ES3_N6thrust23THRUST_200600_302600_NS6detail15normal_iteratorINS9_7pointerIhNS9_11hip_rocprim5par_tENS9_11use_defaultESF_EEEENSB_INSC_IjSE_SF_SF_EEEEhNS9_4plusIvEEhEEDaPvRmT3_T4_T5_mT6_P12ihipStream_tbENKUlT_T0_E_clISt17integral_constantIbLb1EESZ_EEDaSU_SV_EUlSU_E0_NS1_11comp_targetILNS1_3genE3ELNS1_11target_archE908ELNS1_3gpuE7ELNS1_3repE0EEENS1_30default_config_static_selectorELNS0_4arch9wavefront6targetE0EEEvT1_
    .private_segment_fixed_size: 0
    .sgpr_count:     0
    .sgpr_spill_count: 0
    .symbol:         _ZN7rocprim17ROCPRIM_400000_NS6detail17trampoline_kernelINS0_14default_configENS1_20scan_config_selectorIhEEZZNS1_9scan_implILNS1_25lookback_scan_determinismE0ELb0ELb0ES3_N6thrust23THRUST_200600_302600_NS6detail15normal_iteratorINS9_7pointerIhNS9_11hip_rocprim5par_tENS9_11use_defaultESF_EEEENSB_INSC_IjSE_SF_SF_EEEEhNS9_4plusIvEEhEEDaPvRmT3_T4_T5_mT6_P12ihipStream_tbENKUlT_T0_E_clISt17integral_constantIbLb1EESZ_EEDaSU_SV_EUlSU_E0_NS1_11comp_targetILNS1_3genE3ELNS1_11target_archE908ELNS1_3gpuE7ELNS1_3repE0EEENS1_30default_config_static_selectorELNS0_4arch9wavefront6targetE0EEEvT1_.kd
    .uniform_work_group_size: 1
    .uses_dynamic_stack: false
    .vgpr_count:     0
    .vgpr_spill_count: 0
    .wavefront_size: 32
    .workgroup_processor_mode: 1
  - .args:
      - .offset:         0
        .size:           32
        .value_kind:     by_value
    .group_segment_fixed_size: 0
    .kernarg_segment_align: 8
    .kernarg_segment_size: 32
    .language:       OpenCL C
    .language_version:
      - 2
      - 0
    .max_flat_workgroup_size: 256
    .name:           _ZN7rocprim17ROCPRIM_400000_NS6detail17trampoline_kernelINS0_14default_configENS1_20scan_config_selectorIhEEZZNS1_9scan_implILNS1_25lookback_scan_determinismE0ELb0ELb0ES3_N6thrust23THRUST_200600_302600_NS6detail15normal_iteratorINS9_7pointerIhNS9_11hip_rocprim5par_tENS9_11use_defaultESF_EEEENSB_INSC_IjSE_SF_SF_EEEEhNS9_4plusIvEEhEEDaPvRmT3_T4_T5_mT6_P12ihipStream_tbENKUlT_T0_E_clISt17integral_constantIbLb1EESZ_EEDaSU_SV_EUlSU_E0_NS1_11comp_targetILNS1_3genE2ELNS1_11target_archE906ELNS1_3gpuE6ELNS1_3repE0EEENS1_30default_config_static_selectorELNS0_4arch9wavefront6targetE0EEEvT1_
    .private_segment_fixed_size: 0
    .sgpr_count:     0
    .sgpr_spill_count: 0
    .symbol:         _ZN7rocprim17ROCPRIM_400000_NS6detail17trampoline_kernelINS0_14default_configENS1_20scan_config_selectorIhEEZZNS1_9scan_implILNS1_25lookback_scan_determinismE0ELb0ELb0ES3_N6thrust23THRUST_200600_302600_NS6detail15normal_iteratorINS9_7pointerIhNS9_11hip_rocprim5par_tENS9_11use_defaultESF_EEEENSB_INSC_IjSE_SF_SF_EEEEhNS9_4plusIvEEhEEDaPvRmT3_T4_T5_mT6_P12ihipStream_tbENKUlT_T0_E_clISt17integral_constantIbLb1EESZ_EEDaSU_SV_EUlSU_E0_NS1_11comp_targetILNS1_3genE2ELNS1_11target_archE906ELNS1_3gpuE6ELNS1_3repE0EEENS1_30default_config_static_selectorELNS0_4arch9wavefront6targetE0EEEvT1_.kd
    .uniform_work_group_size: 1
    .uses_dynamic_stack: false
    .vgpr_count:     0
    .vgpr_spill_count: 0
    .wavefront_size: 32
    .workgroup_processor_mode: 1
  - .args:
      - .offset:         0
        .size:           32
        .value_kind:     by_value
    .group_segment_fixed_size: 0
    .kernarg_segment_align: 8
    .kernarg_segment_size: 32
    .language:       OpenCL C
    .language_version:
      - 2
      - 0
    .max_flat_workgroup_size: 256
    .name:           _ZN7rocprim17ROCPRIM_400000_NS6detail17trampoline_kernelINS0_14default_configENS1_20scan_config_selectorIhEEZZNS1_9scan_implILNS1_25lookback_scan_determinismE0ELb0ELb0ES3_N6thrust23THRUST_200600_302600_NS6detail15normal_iteratorINS9_7pointerIhNS9_11hip_rocprim5par_tENS9_11use_defaultESF_EEEENSB_INSC_IjSE_SF_SF_EEEEhNS9_4plusIvEEhEEDaPvRmT3_T4_T5_mT6_P12ihipStream_tbENKUlT_T0_E_clISt17integral_constantIbLb1EESZ_EEDaSU_SV_EUlSU_E0_NS1_11comp_targetILNS1_3genE10ELNS1_11target_archE1201ELNS1_3gpuE5ELNS1_3repE0EEENS1_30default_config_static_selectorELNS0_4arch9wavefront6targetE0EEEvT1_
    .private_segment_fixed_size: 0
    .sgpr_count:     0
    .sgpr_spill_count: 0
    .symbol:         _ZN7rocprim17ROCPRIM_400000_NS6detail17trampoline_kernelINS0_14default_configENS1_20scan_config_selectorIhEEZZNS1_9scan_implILNS1_25lookback_scan_determinismE0ELb0ELb0ES3_N6thrust23THRUST_200600_302600_NS6detail15normal_iteratorINS9_7pointerIhNS9_11hip_rocprim5par_tENS9_11use_defaultESF_EEEENSB_INSC_IjSE_SF_SF_EEEEhNS9_4plusIvEEhEEDaPvRmT3_T4_T5_mT6_P12ihipStream_tbENKUlT_T0_E_clISt17integral_constantIbLb1EESZ_EEDaSU_SV_EUlSU_E0_NS1_11comp_targetILNS1_3genE10ELNS1_11target_archE1201ELNS1_3gpuE5ELNS1_3repE0EEENS1_30default_config_static_selectorELNS0_4arch9wavefront6targetE0EEEvT1_.kd
    .uniform_work_group_size: 1
    .uses_dynamic_stack: false
    .vgpr_count:     0
    .vgpr_spill_count: 0
    .wavefront_size: 32
    .workgroup_processor_mode: 1
  - .args:
      - .offset:         0
        .size:           32
        .value_kind:     by_value
    .group_segment_fixed_size: 0
    .kernarg_segment_align: 8
    .kernarg_segment_size: 32
    .language:       OpenCL C
    .language_version:
      - 2
      - 0
    .max_flat_workgroup_size: 256
    .name:           _ZN7rocprim17ROCPRIM_400000_NS6detail17trampoline_kernelINS0_14default_configENS1_20scan_config_selectorIhEEZZNS1_9scan_implILNS1_25lookback_scan_determinismE0ELb0ELb0ES3_N6thrust23THRUST_200600_302600_NS6detail15normal_iteratorINS9_7pointerIhNS9_11hip_rocprim5par_tENS9_11use_defaultESF_EEEENSB_INSC_IjSE_SF_SF_EEEEhNS9_4plusIvEEhEEDaPvRmT3_T4_T5_mT6_P12ihipStream_tbENKUlT_T0_E_clISt17integral_constantIbLb1EESZ_EEDaSU_SV_EUlSU_E0_NS1_11comp_targetILNS1_3genE10ELNS1_11target_archE1200ELNS1_3gpuE4ELNS1_3repE0EEENS1_30default_config_static_selectorELNS0_4arch9wavefront6targetE0EEEvT1_
    .private_segment_fixed_size: 0
    .sgpr_count:     0
    .sgpr_spill_count: 0
    .symbol:         _ZN7rocprim17ROCPRIM_400000_NS6detail17trampoline_kernelINS0_14default_configENS1_20scan_config_selectorIhEEZZNS1_9scan_implILNS1_25lookback_scan_determinismE0ELb0ELb0ES3_N6thrust23THRUST_200600_302600_NS6detail15normal_iteratorINS9_7pointerIhNS9_11hip_rocprim5par_tENS9_11use_defaultESF_EEEENSB_INSC_IjSE_SF_SF_EEEEhNS9_4plusIvEEhEEDaPvRmT3_T4_T5_mT6_P12ihipStream_tbENKUlT_T0_E_clISt17integral_constantIbLb1EESZ_EEDaSU_SV_EUlSU_E0_NS1_11comp_targetILNS1_3genE10ELNS1_11target_archE1200ELNS1_3gpuE4ELNS1_3repE0EEENS1_30default_config_static_selectorELNS0_4arch9wavefront6targetE0EEEvT1_.kd
    .uniform_work_group_size: 1
    .uses_dynamic_stack: false
    .vgpr_count:     0
    .vgpr_spill_count: 0
    .wavefront_size: 32
    .workgroup_processor_mode: 1
  - .args:
      - .offset:         0
        .size:           32
        .value_kind:     by_value
    .group_segment_fixed_size: 6144
    .kernarg_segment_align: 8
    .kernarg_segment_size: 32
    .language:       OpenCL C
    .language_version:
      - 2
      - 0
    .max_flat_workgroup_size: 256
    .name:           _ZN7rocprim17ROCPRIM_400000_NS6detail17trampoline_kernelINS0_14default_configENS1_20scan_config_selectorIhEEZZNS1_9scan_implILNS1_25lookback_scan_determinismE0ELb0ELb0ES3_N6thrust23THRUST_200600_302600_NS6detail15normal_iteratorINS9_7pointerIhNS9_11hip_rocprim5par_tENS9_11use_defaultESF_EEEENSB_INSC_IjSE_SF_SF_EEEEhNS9_4plusIvEEhEEDaPvRmT3_T4_T5_mT6_P12ihipStream_tbENKUlT_T0_E_clISt17integral_constantIbLb1EESZ_EEDaSU_SV_EUlSU_E0_NS1_11comp_targetILNS1_3genE9ELNS1_11target_archE1100ELNS1_3gpuE3ELNS1_3repE0EEENS1_30default_config_static_selectorELNS0_4arch9wavefront6targetE0EEEvT1_
    .private_segment_fixed_size: 0
    .sgpr_count:     34
    .sgpr_spill_count: 0
    .symbol:         _ZN7rocprim17ROCPRIM_400000_NS6detail17trampoline_kernelINS0_14default_configENS1_20scan_config_selectorIhEEZZNS1_9scan_implILNS1_25lookback_scan_determinismE0ELb0ELb0ES3_N6thrust23THRUST_200600_302600_NS6detail15normal_iteratorINS9_7pointerIhNS9_11hip_rocprim5par_tENS9_11use_defaultESF_EEEENSB_INSC_IjSE_SF_SF_EEEEhNS9_4plusIvEEhEEDaPvRmT3_T4_T5_mT6_P12ihipStream_tbENKUlT_T0_E_clISt17integral_constantIbLb1EESZ_EEDaSU_SV_EUlSU_E0_NS1_11comp_targetILNS1_3genE9ELNS1_11target_archE1100ELNS1_3gpuE3ELNS1_3repE0EEENS1_30default_config_static_selectorELNS0_4arch9wavefront6targetE0EEEvT1_.kd
    .uniform_work_group_size: 1
    .uses_dynamic_stack: false
    .vgpr_count:     54
    .vgpr_spill_count: 0
    .wavefront_size: 32
    .workgroup_processor_mode: 1
  - .args:
      - .offset:         0
        .size:           32
        .value_kind:     by_value
    .group_segment_fixed_size: 0
    .kernarg_segment_align: 8
    .kernarg_segment_size: 32
    .language:       OpenCL C
    .language_version:
      - 2
      - 0
    .max_flat_workgroup_size: 256
    .name:           _ZN7rocprim17ROCPRIM_400000_NS6detail17trampoline_kernelINS0_14default_configENS1_20scan_config_selectorIhEEZZNS1_9scan_implILNS1_25lookback_scan_determinismE0ELb0ELb0ES3_N6thrust23THRUST_200600_302600_NS6detail15normal_iteratorINS9_7pointerIhNS9_11hip_rocprim5par_tENS9_11use_defaultESF_EEEENSB_INSC_IjSE_SF_SF_EEEEhNS9_4plusIvEEhEEDaPvRmT3_T4_T5_mT6_P12ihipStream_tbENKUlT_T0_E_clISt17integral_constantIbLb1EESZ_EEDaSU_SV_EUlSU_E0_NS1_11comp_targetILNS1_3genE8ELNS1_11target_archE1030ELNS1_3gpuE2ELNS1_3repE0EEENS1_30default_config_static_selectorELNS0_4arch9wavefront6targetE0EEEvT1_
    .private_segment_fixed_size: 0
    .sgpr_count:     0
    .sgpr_spill_count: 0
    .symbol:         _ZN7rocprim17ROCPRIM_400000_NS6detail17trampoline_kernelINS0_14default_configENS1_20scan_config_selectorIhEEZZNS1_9scan_implILNS1_25lookback_scan_determinismE0ELb0ELb0ES3_N6thrust23THRUST_200600_302600_NS6detail15normal_iteratorINS9_7pointerIhNS9_11hip_rocprim5par_tENS9_11use_defaultESF_EEEENSB_INSC_IjSE_SF_SF_EEEEhNS9_4plusIvEEhEEDaPvRmT3_T4_T5_mT6_P12ihipStream_tbENKUlT_T0_E_clISt17integral_constantIbLb1EESZ_EEDaSU_SV_EUlSU_E0_NS1_11comp_targetILNS1_3genE8ELNS1_11target_archE1030ELNS1_3gpuE2ELNS1_3repE0EEENS1_30default_config_static_selectorELNS0_4arch9wavefront6targetE0EEEvT1_.kd
    .uniform_work_group_size: 1
    .uses_dynamic_stack: false
    .vgpr_count:     0
    .vgpr_spill_count: 0
    .wavefront_size: 32
    .workgroup_processor_mode: 1
  - .args:
      - .address_space:  global
        .offset:         0
        .size:           8
        .value_kind:     global_buffer
      - .offset:         8
        .size:           4
        .value_kind:     by_value
      - .offset:         12
        .size:           1
        .value_kind:     by_value
      - .offset:         16
        .size:           4
        .value_kind:     by_value
      - .address_space:  global
        .offset:         24
        .size:           8
        .value_kind:     global_buffer
      - .offset:         32
        .size:           4
        .value_kind:     hidden_block_count_x
      - .offset:         36
        .size:           4
        .value_kind:     hidden_block_count_y
      - .offset:         40
        .size:           4
        .value_kind:     hidden_block_count_z
      - .offset:         44
        .size:           2
        .value_kind:     hidden_group_size_x
      - .offset:         46
        .size:           2
        .value_kind:     hidden_group_size_y
      - .offset:         48
        .size:           2
        .value_kind:     hidden_group_size_z
      - .offset:         50
        .size:           2
        .value_kind:     hidden_remainder_x
      - .offset:         52
        .size:           2
        .value_kind:     hidden_remainder_y
      - .offset:         54
        .size:           2
        .value_kind:     hidden_remainder_z
      - .offset:         72
        .size:           8
        .value_kind:     hidden_global_offset_x
      - .offset:         80
        .size:           8
        .value_kind:     hidden_global_offset_y
      - .offset:         88
        .size:           8
        .value_kind:     hidden_global_offset_z
      - .offset:         96
        .size:           2
        .value_kind:     hidden_grid_dims
    .group_segment_fixed_size: 0
    .kernarg_segment_align: 8
    .kernarg_segment_size: 288
    .language:       OpenCL C
    .language_version:
      - 2
      - 0
    .max_flat_workgroup_size: 256
    .name:           _ZN7rocprim17ROCPRIM_400000_NS6detail31init_lookback_scan_state_kernelINS1_19lookback_scan_stateIhLb1ELb1EEENS1_16block_id_wrapperIjLb0EEEEEvT_jT0_jPNS7_10value_typeE
    .private_segment_fixed_size: 0
    .sgpr_count:     18
    .sgpr_spill_count: 0
    .symbol:         _ZN7rocprim17ROCPRIM_400000_NS6detail31init_lookback_scan_state_kernelINS1_19lookback_scan_stateIhLb1ELb1EEENS1_16block_id_wrapperIjLb0EEEEEvT_jT0_jPNS7_10value_typeE.kd
    .uniform_work_group_size: 1
    .uses_dynamic_stack: false
    .vgpr_count:     6
    .vgpr_spill_count: 0
    .wavefront_size: 32
    .workgroup_processor_mode: 1
  - .args:
      - .offset:         0
        .size:           96
        .value_kind:     by_value
    .group_segment_fixed_size: 0
    .kernarg_segment_align: 8
    .kernarg_segment_size: 96
    .language:       OpenCL C
    .language_version:
      - 2
      - 0
    .max_flat_workgroup_size: 256
    .name:           _ZN7rocprim17ROCPRIM_400000_NS6detail17trampoline_kernelINS0_14default_configENS1_20scan_config_selectorIhEEZZNS1_9scan_implILNS1_25lookback_scan_determinismE0ELb0ELb0ES3_N6thrust23THRUST_200600_302600_NS6detail15normal_iteratorINS9_7pointerIhNS9_11hip_rocprim5par_tENS9_11use_defaultESF_EEEENSB_INSC_IjSE_SF_SF_EEEEhNS9_4plusIvEEhEEDaPvRmT3_T4_T5_mT6_P12ihipStream_tbENKUlT_T0_E_clISt17integral_constantIbLb1EESY_IbLb0EEEEDaSU_SV_EUlSU_E_NS1_11comp_targetILNS1_3genE0ELNS1_11target_archE4294967295ELNS1_3gpuE0ELNS1_3repE0EEENS1_30default_config_static_selectorELNS0_4arch9wavefront6targetE0EEEvT1_
    .private_segment_fixed_size: 0
    .sgpr_count:     0
    .sgpr_spill_count: 0
    .symbol:         _ZN7rocprim17ROCPRIM_400000_NS6detail17trampoline_kernelINS0_14default_configENS1_20scan_config_selectorIhEEZZNS1_9scan_implILNS1_25lookback_scan_determinismE0ELb0ELb0ES3_N6thrust23THRUST_200600_302600_NS6detail15normal_iteratorINS9_7pointerIhNS9_11hip_rocprim5par_tENS9_11use_defaultESF_EEEENSB_INSC_IjSE_SF_SF_EEEEhNS9_4plusIvEEhEEDaPvRmT3_T4_T5_mT6_P12ihipStream_tbENKUlT_T0_E_clISt17integral_constantIbLb1EESY_IbLb0EEEEDaSU_SV_EUlSU_E_NS1_11comp_targetILNS1_3genE0ELNS1_11target_archE4294967295ELNS1_3gpuE0ELNS1_3repE0EEENS1_30default_config_static_selectorELNS0_4arch9wavefront6targetE0EEEvT1_.kd
    .uniform_work_group_size: 1
    .uses_dynamic_stack: false
    .vgpr_count:     0
    .vgpr_spill_count: 0
    .wavefront_size: 32
    .workgroup_processor_mode: 1
  - .args:
      - .offset:         0
        .size:           96
        .value_kind:     by_value
    .group_segment_fixed_size: 0
    .kernarg_segment_align: 8
    .kernarg_segment_size: 96
    .language:       OpenCL C
    .language_version:
      - 2
      - 0
    .max_flat_workgroup_size: 256
    .name:           _ZN7rocprim17ROCPRIM_400000_NS6detail17trampoline_kernelINS0_14default_configENS1_20scan_config_selectorIhEEZZNS1_9scan_implILNS1_25lookback_scan_determinismE0ELb0ELb0ES3_N6thrust23THRUST_200600_302600_NS6detail15normal_iteratorINS9_7pointerIhNS9_11hip_rocprim5par_tENS9_11use_defaultESF_EEEENSB_INSC_IjSE_SF_SF_EEEEhNS9_4plusIvEEhEEDaPvRmT3_T4_T5_mT6_P12ihipStream_tbENKUlT_T0_E_clISt17integral_constantIbLb1EESY_IbLb0EEEEDaSU_SV_EUlSU_E_NS1_11comp_targetILNS1_3genE5ELNS1_11target_archE942ELNS1_3gpuE9ELNS1_3repE0EEENS1_30default_config_static_selectorELNS0_4arch9wavefront6targetE0EEEvT1_
    .private_segment_fixed_size: 0
    .sgpr_count:     0
    .sgpr_spill_count: 0
    .symbol:         _ZN7rocprim17ROCPRIM_400000_NS6detail17trampoline_kernelINS0_14default_configENS1_20scan_config_selectorIhEEZZNS1_9scan_implILNS1_25lookback_scan_determinismE0ELb0ELb0ES3_N6thrust23THRUST_200600_302600_NS6detail15normal_iteratorINS9_7pointerIhNS9_11hip_rocprim5par_tENS9_11use_defaultESF_EEEENSB_INSC_IjSE_SF_SF_EEEEhNS9_4plusIvEEhEEDaPvRmT3_T4_T5_mT6_P12ihipStream_tbENKUlT_T0_E_clISt17integral_constantIbLb1EESY_IbLb0EEEEDaSU_SV_EUlSU_E_NS1_11comp_targetILNS1_3genE5ELNS1_11target_archE942ELNS1_3gpuE9ELNS1_3repE0EEENS1_30default_config_static_selectorELNS0_4arch9wavefront6targetE0EEEvT1_.kd
    .uniform_work_group_size: 1
    .uses_dynamic_stack: false
    .vgpr_count:     0
    .vgpr_spill_count: 0
    .wavefront_size: 32
    .workgroup_processor_mode: 1
  - .args:
      - .offset:         0
        .size:           96
        .value_kind:     by_value
    .group_segment_fixed_size: 0
    .kernarg_segment_align: 8
    .kernarg_segment_size: 96
    .language:       OpenCL C
    .language_version:
      - 2
      - 0
    .max_flat_workgroup_size: 256
    .name:           _ZN7rocprim17ROCPRIM_400000_NS6detail17trampoline_kernelINS0_14default_configENS1_20scan_config_selectorIhEEZZNS1_9scan_implILNS1_25lookback_scan_determinismE0ELb0ELb0ES3_N6thrust23THRUST_200600_302600_NS6detail15normal_iteratorINS9_7pointerIhNS9_11hip_rocprim5par_tENS9_11use_defaultESF_EEEENSB_INSC_IjSE_SF_SF_EEEEhNS9_4plusIvEEhEEDaPvRmT3_T4_T5_mT6_P12ihipStream_tbENKUlT_T0_E_clISt17integral_constantIbLb1EESY_IbLb0EEEEDaSU_SV_EUlSU_E_NS1_11comp_targetILNS1_3genE4ELNS1_11target_archE910ELNS1_3gpuE8ELNS1_3repE0EEENS1_30default_config_static_selectorELNS0_4arch9wavefront6targetE0EEEvT1_
    .private_segment_fixed_size: 0
    .sgpr_count:     0
    .sgpr_spill_count: 0
    .symbol:         _ZN7rocprim17ROCPRIM_400000_NS6detail17trampoline_kernelINS0_14default_configENS1_20scan_config_selectorIhEEZZNS1_9scan_implILNS1_25lookback_scan_determinismE0ELb0ELb0ES3_N6thrust23THRUST_200600_302600_NS6detail15normal_iteratorINS9_7pointerIhNS9_11hip_rocprim5par_tENS9_11use_defaultESF_EEEENSB_INSC_IjSE_SF_SF_EEEEhNS9_4plusIvEEhEEDaPvRmT3_T4_T5_mT6_P12ihipStream_tbENKUlT_T0_E_clISt17integral_constantIbLb1EESY_IbLb0EEEEDaSU_SV_EUlSU_E_NS1_11comp_targetILNS1_3genE4ELNS1_11target_archE910ELNS1_3gpuE8ELNS1_3repE0EEENS1_30default_config_static_selectorELNS0_4arch9wavefront6targetE0EEEvT1_.kd
    .uniform_work_group_size: 1
    .uses_dynamic_stack: false
    .vgpr_count:     0
    .vgpr_spill_count: 0
    .wavefront_size: 32
    .workgroup_processor_mode: 1
  - .args:
      - .offset:         0
        .size:           96
        .value_kind:     by_value
    .group_segment_fixed_size: 0
    .kernarg_segment_align: 8
    .kernarg_segment_size: 96
    .language:       OpenCL C
    .language_version:
      - 2
      - 0
    .max_flat_workgroup_size: 256
    .name:           _ZN7rocprim17ROCPRIM_400000_NS6detail17trampoline_kernelINS0_14default_configENS1_20scan_config_selectorIhEEZZNS1_9scan_implILNS1_25lookback_scan_determinismE0ELb0ELb0ES3_N6thrust23THRUST_200600_302600_NS6detail15normal_iteratorINS9_7pointerIhNS9_11hip_rocprim5par_tENS9_11use_defaultESF_EEEENSB_INSC_IjSE_SF_SF_EEEEhNS9_4plusIvEEhEEDaPvRmT3_T4_T5_mT6_P12ihipStream_tbENKUlT_T0_E_clISt17integral_constantIbLb1EESY_IbLb0EEEEDaSU_SV_EUlSU_E_NS1_11comp_targetILNS1_3genE3ELNS1_11target_archE908ELNS1_3gpuE7ELNS1_3repE0EEENS1_30default_config_static_selectorELNS0_4arch9wavefront6targetE0EEEvT1_
    .private_segment_fixed_size: 0
    .sgpr_count:     0
    .sgpr_spill_count: 0
    .symbol:         _ZN7rocprim17ROCPRIM_400000_NS6detail17trampoline_kernelINS0_14default_configENS1_20scan_config_selectorIhEEZZNS1_9scan_implILNS1_25lookback_scan_determinismE0ELb0ELb0ES3_N6thrust23THRUST_200600_302600_NS6detail15normal_iteratorINS9_7pointerIhNS9_11hip_rocprim5par_tENS9_11use_defaultESF_EEEENSB_INSC_IjSE_SF_SF_EEEEhNS9_4plusIvEEhEEDaPvRmT3_T4_T5_mT6_P12ihipStream_tbENKUlT_T0_E_clISt17integral_constantIbLb1EESY_IbLb0EEEEDaSU_SV_EUlSU_E_NS1_11comp_targetILNS1_3genE3ELNS1_11target_archE908ELNS1_3gpuE7ELNS1_3repE0EEENS1_30default_config_static_selectorELNS0_4arch9wavefront6targetE0EEEvT1_.kd
    .uniform_work_group_size: 1
    .uses_dynamic_stack: false
    .vgpr_count:     0
    .vgpr_spill_count: 0
    .wavefront_size: 32
    .workgroup_processor_mode: 1
  - .args:
      - .offset:         0
        .size:           96
        .value_kind:     by_value
    .group_segment_fixed_size: 0
    .kernarg_segment_align: 8
    .kernarg_segment_size: 96
    .language:       OpenCL C
    .language_version:
      - 2
      - 0
    .max_flat_workgroup_size: 256
    .name:           _ZN7rocprim17ROCPRIM_400000_NS6detail17trampoline_kernelINS0_14default_configENS1_20scan_config_selectorIhEEZZNS1_9scan_implILNS1_25lookback_scan_determinismE0ELb0ELb0ES3_N6thrust23THRUST_200600_302600_NS6detail15normal_iteratorINS9_7pointerIhNS9_11hip_rocprim5par_tENS9_11use_defaultESF_EEEENSB_INSC_IjSE_SF_SF_EEEEhNS9_4plusIvEEhEEDaPvRmT3_T4_T5_mT6_P12ihipStream_tbENKUlT_T0_E_clISt17integral_constantIbLb1EESY_IbLb0EEEEDaSU_SV_EUlSU_E_NS1_11comp_targetILNS1_3genE2ELNS1_11target_archE906ELNS1_3gpuE6ELNS1_3repE0EEENS1_30default_config_static_selectorELNS0_4arch9wavefront6targetE0EEEvT1_
    .private_segment_fixed_size: 0
    .sgpr_count:     0
    .sgpr_spill_count: 0
    .symbol:         _ZN7rocprim17ROCPRIM_400000_NS6detail17trampoline_kernelINS0_14default_configENS1_20scan_config_selectorIhEEZZNS1_9scan_implILNS1_25lookback_scan_determinismE0ELb0ELb0ES3_N6thrust23THRUST_200600_302600_NS6detail15normal_iteratorINS9_7pointerIhNS9_11hip_rocprim5par_tENS9_11use_defaultESF_EEEENSB_INSC_IjSE_SF_SF_EEEEhNS9_4plusIvEEhEEDaPvRmT3_T4_T5_mT6_P12ihipStream_tbENKUlT_T0_E_clISt17integral_constantIbLb1EESY_IbLb0EEEEDaSU_SV_EUlSU_E_NS1_11comp_targetILNS1_3genE2ELNS1_11target_archE906ELNS1_3gpuE6ELNS1_3repE0EEENS1_30default_config_static_selectorELNS0_4arch9wavefront6targetE0EEEvT1_.kd
    .uniform_work_group_size: 1
    .uses_dynamic_stack: false
    .vgpr_count:     0
    .vgpr_spill_count: 0
    .wavefront_size: 32
    .workgroup_processor_mode: 1
  - .args:
      - .offset:         0
        .size:           96
        .value_kind:     by_value
    .group_segment_fixed_size: 0
    .kernarg_segment_align: 8
    .kernarg_segment_size: 96
    .language:       OpenCL C
    .language_version:
      - 2
      - 0
    .max_flat_workgroup_size: 256
    .name:           _ZN7rocprim17ROCPRIM_400000_NS6detail17trampoline_kernelINS0_14default_configENS1_20scan_config_selectorIhEEZZNS1_9scan_implILNS1_25lookback_scan_determinismE0ELb0ELb0ES3_N6thrust23THRUST_200600_302600_NS6detail15normal_iteratorINS9_7pointerIhNS9_11hip_rocprim5par_tENS9_11use_defaultESF_EEEENSB_INSC_IjSE_SF_SF_EEEEhNS9_4plusIvEEhEEDaPvRmT3_T4_T5_mT6_P12ihipStream_tbENKUlT_T0_E_clISt17integral_constantIbLb1EESY_IbLb0EEEEDaSU_SV_EUlSU_E_NS1_11comp_targetILNS1_3genE10ELNS1_11target_archE1201ELNS1_3gpuE5ELNS1_3repE0EEENS1_30default_config_static_selectorELNS0_4arch9wavefront6targetE0EEEvT1_
    .private_segment_fixed_size: 0
    .sgpr_count:     0
    .sgpr_spill_count: 0
    .symbol:         _ZN7rocprim17ROCPRIM_400000_NS6detail17trampoline_kernelINS0_14default_configENS1_20scan_config_selectorIhEEZZNS1_9scan_implILNS1_25lookback_scan_determinismE0ELb0ELb0ES3_N6thrust23THRUST_200600_302600_NS6detail15normal_iteratorINS9_7pointerIhNS9_11hip_rocprim5par_tENS9_11use_defaultESF_EEEENSB_INSC_IjSE_SF_SF_EEEEhNS9_4plusIvEEhEEDaPvRmT3_T4_T5_mT6_P12ihipStream_tbENKUlT_T0_E_clISt17integral_constantIbLb1EESY_IbLb0EEEEDaSU_SV_EUlSU_E_NS1_11comp_targetILNS1_3genE10ELNS1_11target_archE1201ELNS1_3gpuE5ELNS1_3repE0EEENS1_30default_config_static_selectorELNS0_4arch9wavefront6targetE0EEEvT1_.kd
    .uniform_work_group_size: 1
    .uses_dynamic_stack: false
    .vgpr_count:     0
    .vgpr_spill_count: 0
    .wavefront_size: 32
    .workgroup_processor_mode: 1
  - .args:
      - .offset:         0
        .size:           96
        .value_kind:     by_value
    .group_segment_fixed_size: 0
    .kernarg_segment_align: 8
    .kernarg_segment_size: 96
    .language:       OpenCL C
    .language_version:
      - 2
      - 0
    .max_flat_workgroup_size: 256
    .name:           _ZN7rocprim17ROCPRIM_400000_NS6detail17trampoline_kernelINS0_14default_configENS1_20scan_config_selectorIhEEZZNS1_9scan_implILNS1_25lookback_scan_determinismE0ELb0ELb0ES3_N6thrust23THRUST_200600_302600_NS6detail15normal_iteratorINS9_7pointerIhNS9_11hip_rocprim5par_tENS9_11use_defaultESF_EEEENSB_INSC_IjSE_SF_SF_EEEEhNS9_4plusIvEEhEEDaPvRmT3_T4_T5_mT6_P12ihipStream_tbENKUlT_T0_E_clISt17integral_constantIbLb1EESY_IbLb0EEEEDaSU_SV_EUlSU_E_NS1_11comp_targetILNS1_3genE10ELNS1_11target_archE1200ELNS1_3gpuE4ELNS1_3repE0EEENS1_30default_config_static_selectorELNS0_4arch9wavefront6targetE0EEEvT1_
    .private_segment_fixed_size: 0
    .sgpr_count:     0
    .sgpr_spill_count: 0
    .symbol:         _ZN7rocprim17ROCPRIM_400000_NS6detail17trampoline_kernelINS0_14default_configENS1_20scan_config_selectorIhEEZZNS1_9scan_implILNS1_25lookback_scan_determinismE0ELb0ELb0ES3_N6thrust23THRUST_200600_302600_NS6detail15normal_iteratorINS9_7pointerIhNS9_11hip_rocprim5par_tENS9_11use_defaultESF_EEEENSB_INSC_IjSE_SF_SF_EEEEhNS9_4plusIvEEhEEDaPvRmT3_T4_T5_mT6_P12ihipStream_tbENKUlT_T0_E_clISt17integral_constantIbLb1EESY_IbLb0EEEEDaSU_SV_EUlSU_E_NS1_11comp_targetILNS1_3genE10ELNS1_11target_archE1200ELNS1_3gpuE4ELNS1_3repE0EEENS1_30default_config_static_selectorELNS0_4arch9wavefront6targetE0EEEvT1_.kd
    .uniform_work_group_size: 1
    .uses_dynamic_stack: false
    .vgpr_count:     0
    .vgpr_spill_count: 0
    .wavefront_size: 32
    .workgroup_processor_mode: 1
  - .args:
      - .offset:         0
        .size:           96
        .value_kind:     by_value
    .group_segment_fixed_size: 6144
    .kernarg_segment_align: 8
    .kernarg_segment_size: 96
    .language:       OpenCL C
    .language_version:
      - 2
      - 0
    .max_flat_workgroup_size: 256
    .name:           _ZN7rocprim17ROCPRIM_400000_NS6detail17trampoline_kernelINS0_14default_configENS1_20scan_config_selectorIhEEZZNS1_9scan_implILNS1_25lookback_scan_determinismE0ELb0ELb0ES3_N6thrust23THRUST_200600_302600_NS6detail15normal_iteratorINS9_7pointerIhNS9_11hip_rocprim5par_tENS9_11use_defaultESF_EEEENSB_INSC_IjSE_SF_SF_EEEEhNS9_4plusIvEEhEEDaPvRmT3_T4_T5_mT6_P12ihipStream_tbENKUlT_T0_E_clISt17integral_constantIbLb1EESY_IbLb0EEEEDaSU_SV_EUlSU_E_NS1_11comp_targetILNS1_3genE9ELNS1_11target_archE1100ELNS1_3gpuE3ELNS1_3repE0EEENS1_30default_config_static_selectorELNS0_4arch9wavefront6targetE0EEEvT1_
    .private_segment_fixed_size: 0
    .sgpr_count:     26
    .sgpr_spill_count: 0
    .symbol:         _ZN7rocprim17ROCPRIM_400000_NS6detail17trampoline_kernelINS0_14default_configENS1_20scan_config_selectorIhEEZZNS1_9scan_implILNS1_25lookback_scan_determinismE0ELb0ELb0ES3_N6thrust23THRUST_200600_302600_NS6detail15normal_iteratorINS9_7pointerIhNS9_11hip_rocprim5par_tENS9_11use_defaultESF_EEEENSB_INSC_IjSE_SF_SF_EEEEhNS9_4plusIvEEhEEDaPvRmT3_T4_T5_mT6_P12ihipStream_tbENKUlT_T0_E_clISt17integral_constantIbLb1EESY_IbLb0EEEEDaSU_SV_EUlSU_E_NS1_11comp_targetILNS1_3genE9ELNS1_11target_archE1100ELNS1_3gpuE3ELNS1_3repE0EEENS1_30default_config_static_selectorELNS0_4arch9wavefront6targetE0EEEvT1_.kd
    .uniform_work_group_size: 1
    .uses_dynamic_stack: false
    .vgpr_count:     55
    .vgpr_spill_count: 0
    .wavefront_size: 32
    .workgroup_processor_mode: 1
  - .args:
      - .offset:         0
        .size:           96
        .value_kind:     by_value
    .group_segment_fixed_size: 0
    .kernarg_segment_align: 8
    .kernarg_segment_size: 96
    .language:       OpenCL C
    .language_version:
      - 2
      - 0
    .max_flat_workgroup_size: 256
    .name:           _ZN7rocprim17ROCPRIM_400000_NS6detail17trampoline_kernelINS0_14default_configENS1_20scan_config_selectorIhEEZZNS1_9scan_implILNS1_25lookback_scan_determinismE0ELb0ELb0ES3_N6thrust23THRUST_200600_302600_NS6detail15normal_iteratorINS9_7pointerIhNS9_11hip_rocprim5par_tENS9_11use_defaultESF_EEEENSB_INSC_IjSE_SF_SF_EEEEhNS9_4plusIvEEhEEDaPvRmT3_T4_T5_mT6_P12ihipStream_tbENKUlT_T0_E_clISt17integral_constantIbLb1EESY_IbLb0EEEEDaSU_SV_EUlSU_E_NS1_11comp_targetILNS1_3genE8ELNS1_11target_archE1030ELNS1_3gpuE2ELNS1_3repE0EEENS1_30default_config_static_selectorELNS0_4arch9wavefront6targetE0EEEvT1_
    .private_segment_fixed_size: 0
    .sgpr_count:     0
    .sgpr_spill_count: 0
    .symbol:         _ZN7rocprim17ROCPRIM_400000_NS6detail17trampoline_kernelINS0_14default_configENS1_20scan_config_selectorIhEEZZNS1_9scan_implILNS1_25lookback_scan_determinismE0ELb0ELb0ES3_N6thrust23THRUST_200600_302600_NS6detail15normal_iteratorINS9_7pointerIhNS9_11hip_rocprim5par_tENS9_11use_defaultESF_EEEENSB_INSC_IjSE_SF_SF_EEEEhNS9_4plusIvEEhEEDaPvRmT3_T4_T5_mT6_P12ihipStream_tbENKUlT_T0_E_clISt17integral_constantIbLb1EESY_IbLb0EEEEDaSU_SV_EUlSU_E_NS1_11comp_targetILNS1_3genE8ELNS1_11target_archE1030ELNS1_3gpuE2ELNS1_3repE0EEENS1_30default_config_static_selectorELNS0_4arch9wavefront6targetE0EEEvT1_.kd
    .uniform_work_group_size: 1
    .uses_dynamic_stack: false
    .vgpr_count:     0
    .vgpr_spill_count: 0
    .wavefront_size: 32
    .workgroup_processor_mode: 1
  - .args:
      - .offset:         0
        .size:           32
        .value_kind:     by_value
    .group_segment_fixed_size: 0
    .kernarg_segment_align: 8
    .kernarg_segment_size: 32
    .language:       OpenCL C
    .language_version:
      - 2
      - 0
    .max_flat_workgroup_size: 256
    .name:           _ZN7rocprim17ROCPRIM_400000_NS6detail17trampoline_kernelINS0_14default_configENS1_20scan_config_selectorIhEEZZNS1_9scan_implILNS1_25lookback_scan_determinismE0ELb0ELb0ES3_N6thrust23THRUST_200600_302600_NS6detail15normal_iteratorINS9_7pointerIhNS9_11hip_rocprim5par_tENS9_11use_defaultESF_EEEENSB_INSC_IjSE_SF_SF_EEEEhNS9_4plusIvEEhEEDaPvRmT3_T4_T5_mT6_P12ihipStream_tbENKUlT_T0_E_clISt17integral_constantIbLb1EESY_IbLb0EEEEDaSU_SV_EUlSU_E0_NS1_11comp_targetILNS1_3genE0ELNS1_11target_archE4294967295ELNS1_3gpuE0ELNS1_3repE0EEENS1_30default_config_static_selectorELNS0_4arch9wavefront6targetE0EEEvT1_
    .private_segment_fixed_size: 0
    .sgpr_count:     0
    .sgpr_spill_count: 0
    .symbol:         _ZN7rocprim17ROCPRIM_400000_NS6detail17trampoline_kernelINS0_14default_configENS1_20scan_config_selectorIhEEZZNS1_9scan_implILNS1_25lookback_scan_determinismE0ELb0ELb0ES3_N6thrust23THRUST_200600_302600_NS6detail15normal_iteratorINS9_7pointerIhNS9_11hip_rocprim5par_tENS9_11use_defaultESF_EEEENSB_INSC_IjSE_SF_SF_EEEEhNS9_4plusIvEEhEEDaPvRmT3_T4_T5_mT6_P12ihipStream_tbENKUlT_T0_E_clISt17integral_constantIbLb1EESY_IbLb0EEEEDaSU_SV_EUlSU_E0_NS1_11comp_targetILNS1_3genE0ELNS1_11target_archE4294967295ELNS1_3gpuE0ELNS1_3repE0EEENS1_30default_config_static_selectorELNS0_4arch9wavefront6targetE0EEEvT1_.kd
    .uniform_work_group_size: 1
    .uses_dynamic_stack: false
    .vgpr_count:     0
    .vgpr_spill_count: 0
    .wavefront_size: 32
    .workgroup_processor_mode: 1
  - .args:
      - .offset:         0
        .size:           32
        .value_kind:     by_value
    .group_segment_fixed_size: 0
    .kernarg_segment_align: 8
    .kernarg_segment_size: 32
    .language:       OpenCL C
    .language_version:
      - 2
      - 0
    .max_flat_workgroup_size: 256
    .name:           _ZN7rocprim17ROCPRIM_400000_NS6detail17trampoline_kernelINS0_14default_configENS1_20scan_config_selectorIhEEZZNS1_9scan_implILNS1_25lookback_scan_determinismE0ELb0ELb0ES3_N6thrust23THRUST_200600_302600_NS6detail15normal_iteratorINS9_7pointerIhNS9_11hip_rocprim5par_tENS9_11use_defaultESF_EEEENSB_INSC_IjSE_SF_SF_EEEEhNS9_4plusIvEEhEEDaPvRmT3_T4_T5_mT6_P12ihipStream_tbENKUlT_T0_E_clISt17integral_constantIbLb1EESY_IbLb0EEEEDaSU_SV_EUlSU_E0_NS1_11comp_targetILNS1_3genE5ELNS1_11target_archE942ELNS1_3gpuE9ELNS1_3repE0EEENS1_30default_config_static_selectorELNS0_4arch9wavefront6targetE0EEEvT1_
    .private_segment_fixed_size: 0
    .sgpr_count:     0
    .sgpr_spill_count: 0
    .symbol:         _ZN7rocprim17ROCPRIM_400000_NS6detail17trampoline_kernelINS0_14default_configENS1_20scan_config_selectorIhEEZZNS1_9scan_implILNS1_25lookback_scan_determinismE0ELb0ELb0ES3_N6thrust23THRUST_200600_302600_NS6detail15normal_iteratorINS9_7pointerIhNS9_11hip_rocprim5par_tENS9_11use_defaultESF_EEEENSB_INSC_IjSE_SF_SF_EEEEhNS9_4plusIvEEhEEDaPvRmT3_T4_T5_mT6_P12ihipStream_tbENKUlT_T0_E_clISt17integral_constantIbLb1EESY_IbLb0EEEEDaSU_SV_EUlSU_E0_NS1_11comp_targetILNS1_3genE5ELNS1_11target_archE942ELNS1_3gpuE9ELNS1_3repE0EEENS1_30default_config_static_selectorELNS0_4arch9wavefront6targetE0EEEvT1_.kd
    .uniform_work_group_size: 1
    .uses_dynamic_stack: false
    .vgpr_count:     0
    .vgpr_spill_count: 0
    .wavefront_size: 32
    .workgroup_processor_mode: 1
  - .args:
      - .offset:         0
        .size:           32
        .value_kind:     by_value
    .group_segment_fixed_size: 0
    .kernarg_segment_align: 8
    .kernarg_segment_size: 32
    .language:       OpenCL C
    .language_version:
      - 2
      - 0
    .max_flat_workgroup_size: 256
    .name:           _ZN7rocprim17ROCPRIM_400000_NS6detail17trampoline_kernelINS0_14default_configENS1_20scan_config_selectorIhEEZZNS1_9scan_implILNS1_25lookback_scan_determinismE0ELb0ELb0ES3_N6thrust23THRUST_200600_302600_NS6detail15normal_iteratorINS9_7pointerIhNS9_11hip_rocprim5par_tENS9_11use_defaultESF_EEEENSB_INSC_IjSE_SF_SF_EEEEhNS9_4plusIvEEhEEDaPvRmT3_T4_T5_mT6_P12ihipStream_tbENKUlT_T0_E_clISt17integral_constantIbLb1EESY_IbLb0EEEEDaSU_SV_EUlSU_E0_NS1_11comp_targetILNS1_3genE4ELNS1_11target_archE910ELNS1_3gpuE8ELNS1_3repE0EEENS1_30default_config_static_selectorELNS0_4arch9wavefront6targetE0EEEvT1_
    .private_segment_fixed_size: 0
    .sgpr_count:     0
    .sgpr_spill_count: 0
    .symbol:         _ZN7rocprim17ROCPRIM_400000_NS6detail17trampoline_kernelINS0_14default_configENS1_20scan_config_selectorIhEEZZNS1_9scan_implILNS1_25lookback_scan_determinismE0ELb0ELb0ES3_N6thrust23THRUST_200600_302600_NS6detail15normal_iteratorINS9_7pointerIhNS9_11hip_rocprim5par_tENS9_11use_defaultESF_EEEENSB_INSC_IjSE_SF_SF_EEEEhNS9_4plusIvEEhEEDaPvRmT3_T4_T5_mT6_P12ihipStream_tbENKUlT_T0_E_clISt17integral_constantIbLb1EESY_IbLb0EEEEDaSU_SV_EUlSU_E0_NS1_11comp_targetILNS1_3genE4ELNS1_11target_archE910ELNS1_3gpuE8ELNS1_3repE0EEENS1_30default_config_static_selectorELNS0_4arch9wavefront6targetE0EEEvT1_.kd
    .uniform_work_group_size: 1
    .uses_dynamic_stack: false
    .vgpr_count:     0
    .vgpr_spill_count: 0
    .wavefront_size: 32
    .workgroup_processor_mode: 1
  - .args:
      - .offset:         0
        .size:           32
        .value_kind:     by_value
    .group_segment_fixed_size: 0
    .kernarg_segment_align: 8
    .kernarg_segment_size: 32
    .language:       OpenCL C
    .language_version:
      - 2
      - 0
    .max_flat_workgroup_size: 256
    .name:           _ZN7rocprim17ROCPRIM_400000_NS6detail17trampoline_kernelINS0_14default_configENS1_20scan_config_selectorIhEEZZNS1_9scan_implILNS1_25lookback_scan_determinismE0ELb0ELb0ES3_N6thrust23THRUST_200600_302600_NS6detail15normal_iteratorINS9_7pointerIhNS9_11hip_rocprim5par_tENS9_11use_defaultESF_EEEENSB_INSC_IjSE_SF_SF_EEEEhNS9_4plusIvEEhEEDaPvRmT3_T4_T5_mT6_P12ihipStream_tbENKUlT_T0_E_clISt17integral_constantIbLb1EESY_IbLb0EEEEDaSU_SV_EUlSU_E0_NS1_11comp_targetILNS1_3genE3ELNS1_11target_archE908ELNS1_3gpuE7ELNS1_3repE0EEENS1_30default_config_static_selectorELNS0_4arch9wavefront6targetE0EEEvT1_
    .private_segment_fixed_size: 0
    .sgpr_count:     0
    .sgpr_spill_count: 0
    .symbol:         _ZN7rocprim17ROCPRIM_400000_NS6detail17trampoline_kernelINS0_14default_configENS1_20scan_config_selectorIhEEZZNS1_9scan_implILNS1_25lookback_scan_determinismE0ELb0ELb0ES3_N6thrust23THRUST_200600_302600_NS6detail15normal_iteratorINS9_7pointerIhNS9_11hip_rocprim5par_tENS9_11use_defaultESF_EEEENSB_INSC_IjSE_SF_SF_EEEEhNS9_4plusIvEEhEEDaPvRmT3_T4_T5_mT6_P12ihipStream_tbENKUlT_T0_E_clISt17integral_constantIbLb1EESY_IbLb0EEEEDaSU_SV_EUlSU_E0_NS1_11comp_targetILNS1_3genE3ELNS1_11target_archE908ELNS1_3gpuE7ELNS1_3repE0EEENS1_30default_config_static_selectorELNS0_4arch9wavefront6targetE0EEEvT1_.kd
    .uniform_work_group_size: 1
    .uses_dynamic_stack: false
    .vgpr_count:     0
    .vgpr_spill_count: 0
    .wavefront_size: 32
    .workgroup_processor_mode: 1
  - .args:
      - .offset:         0
        .size:           32
        .value_kind:     by_value
    .group_segment_fixed_size: 0
    .kernarg_segment_align: 8
    .kernarg_segment_size: 32
    .language:       OpenCL C
    .language_version:
      - 2
      - 0
    .max_flat_workgroup_size: 256
    .name:           _ZN7rocprim17ROCPRIM_400000_NS6detail17trampoline_kernelINS0_14default_configENS1_20scan_config_selectorIhEEZZNS1_9scan_implILNS1_25lookback_scan_determinismE0ELb0ELb0ES3_N6thrust23THRUST_200600_302600_NS6detail15normal_iteratorINS9_7pointerIhNS9_11hip_rocprim5par_tENS9_11use_defaultESF_EEEENSB_INSC_IjSE_SF_SF_EEEEhNS9_4plusIvEEhEEDaPvRmT3_T4_T5_mT6_P12ihipStream_tbENKUlT_T0_E_clISt17integral_constantIbLb1EESY_IbLb0EEEEDaSU_SV_EUlSU_E0_NS1_11comp_targetILNS1_3genE2ELNS1_11target_archE906ELNS1_3gpuE6ELNS1_3repE0EEENS1_30default_config_static_selectorELNS0_4arch9wavefront6targetE0EEEvT1_
    .private_segment_fixed_size: 0
    .sgpr_count:     0
    .sgpr_spill_count: 0
    .symbol:         _ZN7rocprim17ROCPRIM_400000_NS6detail17trampoline_kernelINS0_14default_configENS1_20scan_config_selectorIhEEZZNS1_9scan_implILNS1_25lookback_scan_determinismE0ELb0ELb0ES3_N6thrust23THRUST_200600_302600_NS6detail15normal_iteratorINS9_7pointerIhNS9_11hip_rocprim5par_tENS9_11use_defaultESF_EEEENSB_INSC_IjSE_SF_SF_EEEEhNS9_4plusIvEEhEEDaPvRmT3_T4_T5_mT6_P12ihipStream_tbENKUlT_T0_E_clISt17integral_constantIbLb1EESY_IbLb0EEEEDaSU_SV_EUlSU_E0_NS1_11comp_targetILNS1_3genE2ELNS1_11target_archE906ELNS1_3gpuE6ELNS1_3repE0EEENS1_30default_config_static_selectorELNS0_4arch9wavefront6targetE0EEEvT1_.kd
    .uniform_work_group_size: 1
    .uses_dynamic_stack: false
    .vgpr_count:     0
    .vgpr_spill_count: 0
    .wavefront_size: 32
    .workgroup_processor_mode: 1
  - .args:
      - .offset:         0
        .size:           32
        .value_kind:     by_value
    .group_segment_fixed_size: 0
    .kernarg_segment_align: 8
    .kernarg_segment_size: 32
    .language:       OpenCL C
    .language_version:
      - 2
      - 0
    .max_flat_workgroup_size: 256
    .name:           _ZN7rocprim17ROCPRIM_400000_NS6detail17trampoline_kernelINS0_14default_configENS1_20scan_config_selectorIhEEZZNS1_9scan_implILNS1_25lookback_scan_determinismE0ELb0ELb0ES3_N6thrust23THRUST_200600_302600_NS6detail15normal_iteratorINS9_7pointerIhNS9_11hip_rocprim5par_tENS9_11use_defaultESF_EEEENSB_INSC_IjSE_SF_SF_EEEEhNS9_4plusIvEEhEEDaPvRmT3_T4_T5_mT6_P12ihipStream_tbENKUlT_T0_E_clISt17integral_constantIbLb1EESY_IbLb0EEEEDaSU_SV_EUlSU_E0_NS1_11comp_targetILNS1_3genE10ELNS1_11target_archE1201ELNS1_3gpuE5ELNS1_3repE0EEENS1_30default_config_static_selectorELNS0_4arch9wavefront6targetE0EEEvT1_
    .private_segment_fixed_size: 0
    .sgpr_count:     0
    .sgpr_spill_count: 0
    .symbol:         _ZN7rocprim17ROCPRIM_400000_NS6detail17trampoline_kernelINS0_14default_configENS1_20scan_config_selectorIhEEZZNS1_9scan_implILNS1_25lookback_scan_determinismE0ELb0ELb0ES3_N6thrust23THRUST_200600_302600_NS6detail15normal_iteratorINS9_7pointerIhNS9_11hip_rocprim5par_tENS9_11use_defaultESF_EEEENSB_INSC_IjSE_SF_SF_EEEEhNS9_4plusIvEEhEEDaPvRmT3_T4_T5_mT6_P12ihipStream_tbENKUlT_T0_E_clISt17integral_constantIbLb1EESY_IbLb0EEEEDaSU_SV_EUlSU_E0_NS1_11comp_targetILNS1_3genE10ELNS1_11target_archE1201ELNS1_3gpuE5ELNS1_3repE0EEENS1_30default_config_static_selectorELNS0_4arch9wavefront6targetE0EEEvT1_.kd
    .uniform_work_group_size: 1
    .uses_dynamic_stack: false
    .vgpr_count:     0
    .vgpr_spill_count: 0
    .wavefront_size: 32
    .workgroup_processor_mode: 1
  - .args:
      - .offset:         0
        .size:           32
        .value_kind:     by_value
    .group_segment_fixed_size: 0
    .kernarg_segment_align: 8
    .kernarg_segment_size: 32
    .language:       OpenCL C
    .language_version:
      - 2
      - 0
    .max_flat_workgroup_size: 256
    .name:           _ZN7rocprim17ROCPRIM_400000_NS6detail17trampoline_kernelINS0_14default_configENS1_20scan_config_selectorIhEEZZNS1_9scan_implILNS1_25lookback_scan_determinismE0ELb0ELb0ES3_N6thrust23THRUST_200600_302600_NS6detail15normal_iteratorINS9_7pointerIhNS9_11hip_rocprim5par_tENS9_11use_defaultESF_EEEENSB_INSC_IjSE_SF_SF_EEEEhNS9_4plusIvEEhEEDaPvRmT3_T4_T5_mT6_P12ihipStream_tbENKUlT_T0_E_clISt17integral_constantIbLb1EESY_IbLb0EEEEDaSU_SV_EUlSU_E0_NS1_11comp_targetILNS1_3genE10ELNS1_11target_archE1200ELNS1_3gpuE4ELNS1_3repE0EEENS1_30default_config_static_selectorELNS0_4arch9wavefront6targetE0EEEvT1_
    .private_segment_fixed_size: 0
    .sgpr_count:     0
    .sgpr_spill_count: 0
    .symbol:         _ZN7rocprim17ROCPRIM_400000_NS6detail17trampoline_kernelINS0_14default_configENS1_20scan_config_selectorIhEEZZNS1_9scan_implILNS1_25lookback_scan_determinismE0ELb0ELb0ES3_N6thrust23THRUST_200600_302600_NS6detail15normal_iteratorINS9_7pointerIhNS9_11hip_rocprim5par_tENS9_11use_defaultESF_EEEENSB_INSC_IjSE_SF_SF_EEEEhNS9_4plusIvEEhEEDaPvRmT3_T4_T5_mT6_P12ihipStream_tbENKUlT_T0_E_clISt17integral_constantIbLb1EESY_IbLb0EEEEDaSU_SV_EUlSU_E0_NS1_11comp_targetILNS1_3genE10ELNS1_11target_archE1200ELNS1_3gpuE4ELNS1_3repE0EEENS1_30default_config_static_selectorELNS0_4arch9wavefront6targetE0EEEvT1_.kd
    .uniform_work_group_size: 1
    .uses_dynamic_stack: false
    .vgpr_count:     0
    .vgpr_spill_count: 0
    .wavefront_size: 32
    .workgroup_processor_mode: 1
  - .args:
      - .offset:         0
        .size:           32
        .value_kind:     by_value
    .group_segment_fixed_size: 6144
    .kernarg_segment_align: 8
    .kernarg_segment_size: 32
    .language:       OpenCL C
    .language_version:
      - 2
      - 0
    .max_flat_workgroup_size: 256
    .name:           _ZN7rocprim17ROCPRIM_400000_NS6detail17trampoline_kernelINS0_14default_configENS1_20scan_config_selectorIhEEZZNS1_9scan_implILNS1_25lookback_scan_determinismE0ELb0ELb0ES3_N6thrust23THRUST_200600_302600_NS6detail15normal_iteratorINS9_7pointerIhNS9_11hip_rocprim5par_tENS9_11use_defaultESF_EEEENSB_INSC_IjSE_SF_SF_EEEEhNS9_4plusIvEEhEEDaPvRmT3_T4_T5_mT6_P12ihipStream_tbENKUlT_T0_E_clISt17integral_constantIbLb1EESY_IbLb0EEEEDaSU_SV_EUlSU_E0_NS1_11comp_targetILNS1_3genE9ELNS1_11target_archE1100ELNS1_3gpuE3ELNS1_3repE0EEENS1_30default_config_static_selectorELNS0_4arch9wavefront6targetE0EEEvT1_
    .private_segment_fixed_size: 0
    .sgpr_count:     34
    .sgpr_spill_count: 0
    .symbol:         _ZN7rocprim17ROCPRIM_400000_NS6detail17trampoline_kernelINS0_14default_configENS1_20scan_config_selectorIhEEZZNS1_9scan_implILNS1_25lookback_scan_determinismE0ELb0ELb0ES3_N6thrust23THRUST_200600_302600_NS6detail15normal_iteratorINS9_7pointerIhNS9_11hip_rocprim5par_tENS9_11use_defaultESF_EEEENSB_INSC_IjSE_SF_SF_EEEEhNS9_4plusIvEEhEEDaPvRmT3_T4_T5_mT6_P12ihipStream_tbENKUlT_T0_E_clISt17integral_constantIbLb1EESY_IbLb0EEEEDaSU_SV_EUlSU_E0_NS1_11comp_targetILNS1_3genE9ELNS1_11target_archE1100ELNS1_3gpuE3ELNS1_3repE0EEENS1_30default_config_static_selectorELNS0_4arch9wavefront6targetE0EEEvT1_.kd
    .uniform_work_group_size: 1
    .uses_dynamic_stack: false
    .vgpr_count:     54
    .vgpr_spill_count: 0
    .wavefront_size: 32
    .workgroup_processor_mode: 1
  - .args:
      - .offset:         0
        .size:           32
        .value_kind:     by_value
    .group_segment_fixed_size: 0
    .kernarg_segment_align: 8
    .kernarg_segment_size: 32
    .language:       OpenCL C
    .language_version:
      - 2
      - 0
    .max_flat_workgroup_size: 256
    .name:           _ZN7rocprim17ROCPRIM_400000_NS6detail17trampoline_kernelINS0_14default_configENS1_20scan_config_selectorIhEEZZNS1_9scan_implILNS1_25lookback_scan_determinismE0ELb0ELb0ES3_N6thrust23THRUST_200600_302600_NS6detail15normal_iteratorINS9_7pointerIhNS9_11hip_rocprim5par_tENS9_11use_defaultESF_EEEENSB_INSC_IjSE_SF_SF_EEEEhNS9_4plusIvEEhEEDaPvRmT3_T4_T5_mT6_P12ihipStream_tbENKUlT_T0_E_clISt17integral_constantIbLb1EESY_IbLb0EEEEDaSU_SV_EUlSU_E0_NS1_11comp_targetILNS1_3genE8ELNS1_11target_archE1030ELNS1_3gpuE2ELNS1_3repE0EEENS1_30default_config_static_selectorELNS0_4arch9wavefront6targetE0EEEvT1_
    .private_segment_fixed_size: 0
    .sgpr_count:     0
    .sgpr_spill_count: 0
    .symbol:         _ZN7rocprim17ROCPRIM_400000_NS6detail17trampoline_kernelINS0_14default_configENS1_20scan_config_selectorIhEEZZNS1_9scan_implILNS1_25lookback_scan_determinismE0ELb0ELb0ES3_N6thrust23THRUST_200600_302600_NS6detail15normal_iteratorINS9_7pointerIhNS9_11hip_rocprim5par_tENS9_11use_defaultESF_EEEENSB_INSC_IjSE_SF_SF_EEEEhNS9_4plusIvEEhEEDaPvRmT3_T4_T5_mT6_P12ihipStream_tbENKUlT_T0_E_clISt17integral_constantIbLb1EESY_IbLb0EEEEDaSU_SV_EUlSU_E0_NS1_11comp_targetILNS1_3genE8ELNS1_11target_archE1030ELNS1_3gpuE2ELNS1_3repE0EEENS1_30default_config_static_selectorELNS0_4arch9wavefront6targetE0EEEvT1_.kd
    .uniform_work_group_size: 1
    .uses_dynamic_stack: false
    .vgpr_count:     0
    .vgpr_spill_count: 0
    .wavefront_size: 32
    .workgroup_processor_mode: 1
  - .args:
      - .address_space:  global
        .offset:         0
        .size:           8
        .value_kind:     global_buffer
      - .offset:         8
        .size:           4
        .value_kind:     by_value
      - .address_space:  global
        .offset:         16
        .size:           8
        .value_kind:     global_buffer
      - .offset:         24
        .size:           4
        .value_kind:     by_value
      - .address_space:  global
        .offset:         32
        .size:           8
        .value_kind:     global_buffer
      - .offset:         40
        .size:           4
        .value_kind:     hidden_block_count_x
      - .offset:         44
        .size:           4
        .value_kind:     hidden_block_count_y
      - .offset:         48
        .size:           4
        .value_kind:     hidden_block_count_z
      - .offset:         52
        .size:           2
        .value_kind:     hidden_group_size_x
      - .offset:         54
        .size:           2
        .value_kind:     hidden_group_size_y
      - .offset:         56
        .size:           2
        .value_kind:     hidden_group_size_z
      - .offset:         58
        .size:           2
        .value_kind:     hidden_remainder_x
      - .offset:         60
        .size:           2
        .value_kind:     hidden_remainder_y
      - .offset:         62
        .size:           2
        .value_kind:     hidden_remainder_z
      - .offset:         80
        .size:           8
        .value_kind:     hidden_global_offset_x
      - .offset:         88
        .size:           8
        .value_kind:     hidden_global_offset_y
      - .offset:         96
        .size:           8
        .value_kind:     hidden_global_offset_z
      - .offset:         104
        .size:           2
        .value_kind:     hidden_grid_dims
    .group_segment_fixed_size: 0
    .kernarg_segment_align: 8
    .kernarg_segment_size: 296
    .language:       OpenCL C
    .language_version:
      - 2
      - 0
    .max_flat_workgroup_size: 256
    .name:           _ZN7rocprim17ROCPRIM_400000_NS6detail31init_lookback_scan_state_kernelINS1_19lookback_scan_stateIhLb0ELb1EEENS1_16block_id_wrapperIjLb1EEEEEvT_jT0_jPNS7_10value_typeE
    .private_segment_fixed_size: 0
    .sgpr_count:     18
    .sgpr_spill_count: 0
    .symbol:         _ZN7rocprim17ROCPRIM_400000_NS6detail31init_lookback_scan_state_kernelINS1_19lookback_scan_stateIhLb0ELb1EEENS1_16block_id_wrapperIjLb1EEEEEvT_jT0_jPNS7_10value_typeE.kd
    .uniform_work_group_size: 1
    .uses_dynamic_stack: false
    .vgpr_count:     6
    .vgpr_spill_count: 0
    .wavefront_size: 32
    .workgroup_processor_mode: 1
  - .args:
      - .offset:         0
        .size:           96
        .value_kind:     by_value
    .group_segment_fixed_size: 0
    .kernarg_segment_align: 8
    .kernarg_segment_size: 96
    .language:       OpenCL C
    .language_version:
      - 2
      - 0
    .max_flat_workgroup_size: 256
    .name:           _ZN7rocprim17ROCPRIM_400000_NS6detail17trampoline_kernelINS0_14default_configENS1_20scan_config_selectorIhEEZZNS1_9scan_implILNS1_25lookback_scan_determinismE0ELb0ELb0ES3_N6thrust23THRUST_200600_302600_NS6detail15normal_iteratorINS9_7pointerIhNS9_11hip_rocprim5par_tENS9_11use_defaultESF_EEEENSB_INSC_IjSE_SF_SF_EEEEhNS9_4plusIvEEhEEDaPvRmT3_T4_T5_mT6_P12ihipStream_tbENKUlT_T0_E_clISt17integral_constantIbLb0EESY_IbLb1EEEEDaSU_SV_EUlSU_E_NS1_11comp_targetILNS1_3genE0ELNS1_11target_archE4294967295ELNS1_3gpuE0ELNS1_3repE0EEENS1_30default_config_static_selectorELNS0_4arch9wavefront6targetE0EEEvT1_
    .private_segment_fixed_size: 0
    .sgpr_count:     0
    .sgpr_spill_count: 0
    .symbol:         _ZN7rocprim17ROCPRIM_400000_NS6detail17trampoline_kernelINS0_14default_configENS1_20scan_config_selectorIhEEZZNS1_9scan_implILNS1_25lookback_scan_determinismE0ELb0ELb0ES3_N6thrust23THRUST_200600_302600_NS6detail15normal_iteratorINS9_7pointerIhNS9_11hip_rocprim5par_tENS9_11use_defaultESF_EEEENSB_INSC_IjSE_SF_SF_EEEEhNS9_4plusIvEEhEEDaPvRmT3_T4_T5_mT6_P12ihipStream_tbENKUlT_T0_E_clISt17integral_constantIbLb0EESY_IbLb1EEEEDaSU_SV_EUlSU_E_NS1_11comp_targetILNS1_3genE0ELNS1_11target_archE4294967295ELNS1_3gpuE0ELNS1_3repE0EEENS1_30default_config_static_selectorELNS0_4arch9wavefront6targetE0EEEvT1_.kd
    .uniform_work_group_size: 1
    .uses_dynamic_stack: false
    .vgpr_count:     0
    .vgpr_spill_count: 0
    .wavefront_size: 32
    .workgroup_processor_mode: 1
  - .args:
      - .offset:         0
        .size:           96
        .value_kind:     by_value
    .group_segment_fixed_size: 0
    .kernarg_segment_align: 8
    .kernarg_segment_size: 96
    .language:       OpenCL C
    .language_version:
      - 2
      - 0
    .max_flat_workgroup_size: 256
    .name:           _ZN7rocprim17ROCPRIM_400000_NS6detail17trampoline_kernelINS0_14default_configENS1_20scan_config_selectorIhEEZZNS1_9scan_implILNS1_25lookback_scan_determinismE0ELb0ELb0ES3_N6thrust23THRUST_200600_302600_NS6detail15normal_iteratorINS9_7pointerIhNS9_11hip_rocprim5par_tENS9_11use_defaultESF_EEEENSB_INSC_IjSE_SF_SF_EEEEhNS9_4plusIvEEhEEDaPvRmT3_T4_T5_mT6_P12ihipStream_tbENKUlT_T0_E_clISt17integral_constantIbLb0EESY_IbLb1EEEEDaSU_SV_EUlSU_E_NS1_11comp_targetILNS1_3genE5ELNS1_11target_archE942ELNS1_3gpuE9ELNS1_3repE0EEENS1_30default_config_static_selectorELNS0_4arch9wavefront6targetE0EEEvT1_
    .private_segment_fixed_size: 0
    .sgpr_count:     0
    .sgpr_spill_count: 0
    .symbol:         _ZN7rocprim17ROCPRIM_400000_NS6detail17trampoline_kernelINS0_14default_configENS1_20scan_config_selectorIhEEZZNS1_9scan_implILNS1_25lookback_scan_determinismE0ELb0ELb0ES3_N6thrust23THRUST_200600_302600_NS6detail15normal_iteratorINS9_7pointerIhNS9_11hip_rocprim5par_tENS9_11use_defaultESF_EEEENSB_INSC_IjSE_SF_SF_EEEEhNS9_4plusIvEEhEEDaPvRmT3_T4_T5_mT6_P12ihipStream_tbENKUlT_T0_E_clISt17integral_constantIbLb0EESY_IbLb1EEEEDaSU_SV_EUlSU_E_NS1_11comp_targetILNS1_3genE5ELNS1_11target_archE942ELNS1_3gpuE9ELNS1_3repE0EEENS1_30default_config_static_selectorELNS0_4arch9wavefront6targetE0EEEvT1_.kd
    .uniform_work_group_size: 1
    .uses_dynamic_stack: false
    .vgpr_count:     0
    .vgpr_spill_count: 0
    .wavefront_size: 32
    .workgroup_processor_mode: 1
  - .args:
      - .offset:         0
        .size:           96
        .value_kind:     by_value
    .group_segment_fixed_size: 0
    .kernarg_segment_align: 8
    .kernarg_segment_size: 96
    .language:       OpenCL C
    .language_version:
      - 2
      - 0
    .max_flat_workgroup_size: 256
    .name:           _ZN7rocprim17ROCPRIM_400000_NS6detail17trampoline_kernelINS0_14default_configENS1_20scan_config_selectorIhEEZZNS1_9scan_implILNS1_25lookback_scan_determinismE0ELb0ELb0ES3_N6thrust23THRUST_200600_302600_NS6detail15normal_iteratorINS9_7pointerIhNS9_11hip_rocprim5par_tENS9_11use_defaultESF_EEEENSB_INSC_IjSE_SF_SF_EEEEhNS9_4plusIvEEhEEDaPvRmT3_T4_T5_mT6_P12ihipStream_tbENKUlT_T0_E_clISt17integral_constantIbLb0EESY_IbLb1EEEEDaSU_SV_EUlSU_E_NS1_11comp_targetILNS1_3genE4ELNS1_11target_archE910ELNS1_3gpuE8ELNS1_3repE0EEENS1_30default_config_static_selectorELNS0_4arch9wavefront6targetE0EEEvT1_
    .private_segment_fixed_size: 0
    .sgpr_count:     0
    .sgpr_spill_count: 0
    .symbol:         _ZN7rocprim17ROCPRIM_400000_NS6detail17trampoline_kernelINS0_14default_configENS1_20scan_config_selectorIhEEZZNS1_9scan_implILNS1_25lookback_scan_determinismE0ELb0ELb0ES3_N6thrust23THRUST_200600_302600_NS6detail15normal_iteratorINS9_7pointerIhNS9_11hip_rocprim5par_tENS9_11use_defaultESF_EEEENSB_INSC_IjSE_SF_SF_EEEEhNS9_4plusIvEEhEEDaPvRmT3_T4_T5_mT6_P12ihipStream_tbENKUlT_T0_E_clISt17integral_constantIbLb0EESY_IbLb1EEEEDaSU_SV_EUlSU_E_NS1_11comp_targetILNS1_3genE4ELNS1_11target_archE910ELNS1_3gpuE8ELNS1_3repE0EEENS1_30default_config_static_selectorELNS0_4arch9wavefront6targetE0EEEvT1_.kd
    .uniform_work_group_size: 1
    .uses_dynamic_stack: false
    .vgpr_count:     0
    .vgpr_spill_count: 0
    .wavefront_size: 32
    .workgroup_processor_mode: 1
  - .args:
      - .offset:         0
        .size:           96
        .value_kind:     by_value
    .group_segment_fixed_size: 0
    .kernarg_segment_align: 8
    .kernarg_segment_size: 96
    .language:       OpenCL C
    .language_version:
      - 2
      - 0
    .max_flat_workgroup_size: 256
    .name:           _ZN7rocprim17ROCPRIM_400000_NS6detail17trampoline_kernelINS0_14default_configENS1_20scan_config_selectorIhEEZZNS1_9scan_implILNS1_25lookback_scan_determinismE0ELb0ELb0ES3_N6thrust23THRUST_200600_302600_NS6detail15normal_iteratorINS9_7pointerIhNS9_11hip_rocprim5par_tENS9_11use_defaultESF_EEEENSB_INSC_IjSE_SF_SF_EEEEhNS9_4plusIvEEhEEDaPvRmT3_T4_T5_mT6_P12ihipStream_tbENKUlT_T0_E_clISt17integral_constantIbLb0EESY_IbLb1EEEEDaSU_SV_EUlSU_E_NS1_11comp_targetILNS1_3genE3ELNS1_11target_archE908ELNS1_3gpuE7ELNS1_3repE0EEENS1_30default_config_static_selectorELNS0_4arch9wavefront6targetE0EEEvT1_
    .private_segment_fixed_size: 0
    .sgpr_count:     0
    .sgpr_spill_count: 0
    .symbol:         _ZN7rocprim17ROCPRIM_400000_NS6detail17trampoline_kernelINS0_14default_configENS1_20scan_config_selectorIhEEZZNS1_9scan_implILNS1_25lookback_scan_determinismE0ELb0ELb0ES3_N6thrust23THRUST_200600_302600_NS6detail15normal_iteratorINS9_7pointerIhNS9_11hip_rocprim5par_tENS9_11use_defaultESF_EEEENSB_INSC_IjSE_SF_SF_EEEEhNS9_4plusIvEEhEEDaPvRmT3_T4_T5_mT6_P12ihipStream_tbENKUlT_T0_E_clISt17integral_constantIbLb0EESY_IbLb1EEEEDaSU_SV_EUlSU_E_NS1_11comp_targetILNS1_3genE3ELNS1_11target_archE908ELNS1_3gpuE7ELNS1_3repE0EEENS1_30default_config_static_selectorELNS0_4arch9wavefront6targetE0EEEvT1_.kd
    .uniform_work_group_size: 1
    .uses_dynamic_stack: false
    .vgpr_count:     0
    .vgpr_spill_count: 0
    .wavefront_size: 32
    .workgroup_processor_mode: 1
  - .args:
      - .offset:         0
        .size:           96
        .value_kind:     by_value
    .group_segment_fixed_size: 0
    .kernarg_segment_align: 8
    .kernarg_segment_size: 96
    .language:       OpenCL C
    .language_version:
      - 2
      - 0
    .max_flat_workgroup_size: 256
    .name:           _ZN7rocprim17ROCPRIM_400000_NS6detail17trampoline_kernelINS0_14default_configENS1_20scan_config_selectorIhEEZZNS1_9scan_implILNS1_25lookback_scan_determinismE0ELb0ELb0ES3_N6thrust23THRUST_200600_302600_NS6detail15normal_iteratorINS9_7pointerIhNS9_11hip_rocprim5par_tENS9_11use_defaultESF_EEEENSB_INSC_IjSE_SF_SF_EEEEhNS9_4plusIvEEhEEDaPvRmT3_T4_T5_mT6_P12ihipStream_tbENKUlT_T0_E_clISt17integral_constantIbLb0EESY_IbLb1EEEEDaSU_SV_EUlSU_E_NS1_11comp_targetILNS1_3genE2ELNS1_11target_archE906ELNS1_3gpuE6ELNS1_3repE0EEENS1_30default_config_static_selectorELNS0_4arch9wavefront6targetE0EEEvT1_
    .private_segment_fixed_size: 0
    .sgpr_count:     0
    .sgpr_spill_count: 0
    .symbol:         _ZN7rocprim17ROCPRIM_400000_NS6detail17trampoline_kernelINS0_14default_configENS1_20scan_config_selectorIhEEZZNS1_9scan_implILNS1_25lookback_scan_determinismE0ELb0ELb0ES3_N6thrust23THRUST_200600_302600_NS6detail15normal_iteratorINS9_7pointerIhNS9_11hip_rocprim5par_tENS9_11use_defaultESF_EEEENSB_INSC_IjSE_SF_SF_EEEEhNS9_4plusIvEEhEEDaPvRmT3_T4_T5_mT6_P12ihipStream_tbENKUlT_T0_E_clISt17integral_constantIbLb0EESY_IbLb1EEEEDaSU_SV_EUlSU_E_NS1_11comp_targetILNS1_3genE2ELNS1_11target_archE906ELNS1_3gpuE6ELNS1_3repE0EEENS1_30default_config_static_selectorELNS0_4arch9wavefront6targetE0EEEvT1_.kd
    .uniform_work_group_size: 1
    .uses_dynamic_stack: false
    .vgpr_count:     0
    .vgpr_spill_count: 0
    .wavefront_size: 32
    .workgroup_processor_mode: 1
  - .args:
      - .offset:         0
        .size:           96
        .value_kind:     by_value
    .group_segment_fixed_size: 0
    .kernarg_segment_align: 8
    .kernarg_segment_size: 96
    .language:       OpenCL C
    .language_version:
      - 2
      - 0
    .max_flat_workgroup_size: 256
    .name:           _ZN7rocprim17ROCPRIM_400000_NS6detail17trampoline_kernelINS0_14default_configENS1_20scan_config_selectorIhEEZZNS1_9scan_implILNS1_25lookback_scan_determinismE0ELb0ELb0ES3_N6thrust23THRUST_200600_302600_NS6detail15normal_iteratorINS9_7pointerIhNS9_11hip_rocprim5par_tENS9_11use_defaultESF_EEEENSB_INSC_IjSE_SF_SF_EEEEhNS9_4plusIvEEhEEDaPvRmT3_T4_T5_mT6_P12ihipStream_tbENKUlT_T0_E_clISt17integral_constantIbLb0EESY_IbLb1EEEEDaSU_SV_EUlSU_E_NS1_11comp_targetILNS1_3genE10ELNS1_11target_archE1201ELNS1_3gpuE5ELNS1_3repE0EEENS1_30default_config_static_selectorELNS0_4arch9wavefront6targetE0EEEvT1_
    .private_segment_fixed_size: 0
    .sgpr_count:     0
    .sgpr_spill_count: 0
    .symbol:         _ZN7rocprim17ROCPRIM_400000_NS6detail17trampoline_kernelINS0_14default_configENS1_20scan_config_selectorIhEEZZNS1_9scan_implILNS1_25lookback_scan_determinismE0ELb0ELb0ES3_N6thrust23THRUST_200600_302600_NS6detail15normal_iteratorINS9_7pointerIhNS9_11hip_rocprim5par_tENS9_11use_defaultESF_EEEENSB_INSC_IjSE_SF_SF_EEEEhNS9_4plusIvEEhEEDaPvRmT3_T4_T5_mT6_P12ihipStream_tbENKUlT_T0_E_clISt17integral_constantIbLb0EESY_IbLb1EEEEDaSU_SV_EUlSU_E_NS1_11comp_targetILNS1_3genE10ELNS1_11target_archE1201ELNS1_3gpuE5ELNS1_3repE0EEENS1_30default_config_static_selectorELNS0_4arch9wavefront6targetE0EEEvT1_.kd
    .uniform_work_group_size: 1
    .uses_dynamic_stack: false
    .vgpr_count:     0
    .vgpr_spill_count: 0
    .wavefront_size: 32
    .workgroup_processor_mode: 1
  - .args:
      - .offset:         0
        .size:           96
        .value_kind:     by_value
    .group_segment_fixed_size: 0
    .kernarg_segment_align: 8
    .kernarg_segment_size: 96
    .language:       OpenCL C
    .language_version:
      - 2
      - 0
    .max_flat_workgroup_size: 256
    .name:           _ZN7rocprim17ROCPRIM_400000_NS6detail17trampoline_kernelINS0_14default_configENS1_20scan_config_selectorIhEEZZNS1_9scan_implILNS1_25lookback_scan_determinismE0ELb0ELb0ES3_N6thrust23THRUST_200600_302600_NS6detail15normal_iteratorINS9_7pointerIhNS9_11hip_rocprim5par_tENS9_11use_defaultESF_EEEENSB_INSC_IjSE_SF_SF_EEEEhNS9_4plusIvEEhEEDaPvRmT3_T4_T5_mT6_P12ihipStream_tbENKUlT_T0_E_clISt17integral_constantIbLb0EESY_IbLb1EEEEDaSU_SV_EUlSU_E_NS1_11comp_targetILNS1_3genE10ELNS1_11target_archE1200ELNS1_3gpuE4ELNS1_3repE0EEENS1_30default_config_static_selectorELNS0_4arch9wavefront6targetE0EEEvT1_
    .private_segment_fixed_size: 0
    .sgpr_count:     0
    .sgpr_spill_count: 0
    .symbol:         _ZN7rocprim17ROCPRIM_400000_NS6detail17trampoline_kernelINS0_14default_configENS1_20scan_config_selectorIhEEZZNS1_9scan_implILNS1_25lookback_scan_determinismE0ELb0ELb0ES3_N6thrust23THRUST_200600_302600_NS6detail15normal_iteratorINS9_7pointerIhNS9_11hip_rocprim5par_tENS9_11use_defaultESF_EEEENSB_INSC_IjSE_SF_SF_EEEEhNS9_4plusIvEEhEEDaPvRmT3_T4_T5_mT6_P12ihipStream_tbENKUlT_T0_E_clISt17integral_constantIbLb0EESY_IbLb1EEEEDaSU_SV_EUlSU_E_NS1_11comp_targetILNS1_3genE10ELNS1_11target_archE1200ELNS1_3gpuE4ELNS1_3repE0EEENS1_30default_config_static_selectorELNS0_4arch9wavefront6targetE0EEEvT1_.kd
    .uniform_work_group_size: 1
    .uses_dynamic_stack: false
    .vgpr_count:     0
    .vgpr_spill_count: 0
    .wavefront_size: 32
    .workgroup_processor_mode: 1
  - .args:
      - .offset:         0
        .size:           96
        .value_kind:     by_value
    .group_segment_fixed_size: 6144
    .kernarg_segment_align: 8
    .kernarg_segment_size: 96
    .language:       OpenCL C
    .language_version:
      - 2
      - 0
    .max_flat_workgroup_size: 256
    .name:           _ZN7rocprim17ROCPRIM_400000_NS6detail17trampoline_kernelINS0_14default_configENS1_20scan_config_selectorIhEEZZNS1_9scan_implILNS1_25lookback_scan_determinismE0ELb0ELb0ES3_N6thrust23THRUST_200600_302600_NS6detail15normal_iteratorINS9_7pointerIhNS9_11hip_rocprim5par_tENS9_11use_defaultESF_EEEENSB_INSC_IjSE_SF_SF_EEEEhNS9_4plusIvEEhEEDaPvRmT3_T4_T5_mT6_P12ihipStream_tbENKUlT_T0_E_clISt17integral_constantIbLb0EESY_IbLb1EEEEDaSU_SV_EUlSU_E_NS1_11comp_targetILNS1_3genE9ELNS1_11target_archE1100ELNS1_3gpuE3ELNS1_3repE0EEENS1_30default_config_static_selectorELNS0_4arch9wavefront6targetE0EEEvT1_
    .private_segment_fixed_size: 0
    .sgpr_count:     28
    .sgpr_spill_count: 0
    .symbol:         _ZN7rocprim17ROCPRIM_400000_NS6detail17trampoline_kernelINS0_14default_configENS1_20scan_config_selectorIhEEZZNS1_9scan_implILNS1_25lookback_scan_determinismE0ELb0ELb0ES3_N6thrust23THRUST_200600_302600_NS6detail15normal_iteratorINS9_7pointerIhNS9_11hip_rocprim5par_tENS9_11use_defaultESF_EEEENSB_INSC_IjSE_SF_SF_EEEEhNS9_4plusIvEEhEEDaPvRmT3_T4_T5_mT6_P12ihipStream_tbENKUlT_T0_E_clISt17integral_constantIbLb0EESY_IbLb1EEEEDaSU_SV_EUlSU_E_NS1_11comp_targetILNS1_3genE9ELNS1_11target_archE1100ELNS1_3gpuE3ELNS1_3repE0EEENS1_30default_config_static_selectorELNS0_4arch9wavefront6targetE0EEEvT1_.kd
    .uniform_work_group_size: 1
    .uses_dynamic_stack: false
    .vgpr_count:     57
    .vgpr_spill_count: 0
    .wavefront_size: 32
    .workgroup_processor_mode: 1
  - .args:
      - .offset:         0
        .size:           96
        .value_kind:     by_value
    .group_segment_fixed_size: 0
    .kernarg_segment_align: 8
    .kernarg_segment_size: 96
    .language:       OpenCL C
    .language_version:
      - 2
      - 0
    .max_flat_workgroup_size: 256
    .name:           _ZN7rocprim17ROCPRIM_400000_NS6detail17trampoline_kernelINS0_14default_configENS1_20scan_config_selectorIhEEZZNS1_9scan_implILNS1_25lookback_scan_determinismE0ELb0ELb0ES3_N6thrust23THRUST_200600_302600_NS6detail15normal_iteratorINS9_7pointerIhNS9_11hip_rocprim5par_tENS9_11use_defaultESF_EEEENSB_INSC_IjSE_SF_SF_EEEEhNS9_4plusIvEEhEEDaPvRmT3_T4_T5_mT6_P12ihipStream_tbENKUlT_T0_E_clISt17integral_constantIbLb0EESY_IbLb1EEEEDaSU_SV_EUlSU_E_NS1_11comp_targetILNS1_3genE8ELNS1_11target_archE1030ELNS1_3gpuE2ELNS1_3repE0EEENS1_30default_config_static_selectorELNS0_4arch9wavefront6targetE0EEEvT1_
    .private_segment_fixed_size: 0
    .sgpr_count:     0
    .sgpr_spill_count: 0
    .symbol:         _ZN7rocprim17ROCPRIM_400000_NS6detail17trampoline_kernelINS0_14default_configENS1_20scan_config_selectorIhEEZZNS1_9scan_implILNS1_25lookback_scan_determinismE0ELb0ELb0ES3_N6thrust23THRUST_200600_302600_NS6detail15normal_iteratorINS9_7pointerIhNS9_11hip_rocprim5par_tENS9_11use_defaultESF_EEEENSB_INSC_IjSE_SF_SF_EEEEhNS9_4plusIvEEhEEDaPvRmT3_T4_T5_mT6_P12ihipStream_tbENKUlT_T0_E_clISt17integral_constantIbLb0EESY_IbLb1EEEEDaSU_SV_EUlSU_E_NS1_11comp_targetILNS1_3genE8ELNS1_11target_archE1030ELNS1_3gpuE2ELNS1_3repE0EEENS1_30default_config_static_selectorELNS0_4arch9wavefront6targetE0EEEvT1_.kd
    .uniform_work_group_size: 1
    .uses_dynamic_stack: false
    .vgpr_count:     0
    .vgpr_spill_count: 0
    .wavefront_size: 32
    .workgroup_processor_mode: 1
  - .args:
      - .offset:         0
        .size:           32
        .value_kind:     by_value
    .group_segment_fixed_size: 0
    .kernarg_segment_align: 8
    .kernarg_segment_size: 32
    .language:       OpenCL C
    .language_version:
      - 2
      - 0
    .max_flat_workgroup_size: 256
    .name:           _ZN7rocprim17ROCPRIM_400000_NS6detail17trampoline_kernelINS0_14default_configENS1_20scan_config_selectorIhEEZZNS1_9scan_implILNS1_25lookback_scan_determinismE0ELb0ELb0ES3_N6thrust23THRUST_200600_302600_NS6detail15normal_iteratorINS9_7pointerIhNS9_11hip_rocprim5par_tENS9_11use_defaultESF_EEEENSB_INSC_IjSE_SF_SF_EEEEhNS9_4plusIvEEhEEDaPvRmT3_T4_T5_mT6_P12ihipStream_tbENKUlT_T0_E_clISt17integral_constantIbLb0EESY_IbLb1EEEEDaSU_SV_EUlSU_E0_NS1_11comp_targetILNS1_3genE0ELNS1_11target_archE4294967295ELNS1_3gpuE0ELNS1_3repE0EEENS1_30default_config_static_selectorELNS0_4arch9wavefront6targetE0EEEvT1_
    .private_segment_fixed_size: 0
    .sgpr_count:     0
    .sgpr_spill_count: 0
    .symbol:         _ZN7rocprim17ROCPRIM_400000_NS6detail17trampoline_kernelINS0_14default_configENS1_20scan_config_selectorIhEEZZNS1_9scan_implILNS1_25lookback_scan_determinismE0ELb0ELb0ES3_N6thrust23THRUST_200600_302600_NS6detail15normal_iteratorINS9_7pointerIhNS9_11hip_rocprim5par_tENS9_11use_defaultESF_EEEENSB_INSC_IjSE_SF_SF_EEEEhNS9_4plusIvEEhEEDaPvRmT3_T4_T5_mT6_P12ihipStream_tbENKUlT_T0_E_clISt17integral_constantIbLb0EESY_IbLb1EEEEDaSU_SV_EUlSU_E0_NS1_11comp_targetILNS1_3genE0ELNS1_11target_archE4294967295ELNS1_3gpuE0ELNS1_3repE0EEENS1_30default_config_static_selectorELNS0_4arch9wavefront6targetE0EEEvT1_.kd
    .uniform_work_group_size: 1
    .uses_dynamic_stack: false
    .vgpr_count:     0
    .vgpr_spill_count: 0
    .wavefront_size: 32
    .workgroup_processor_mode: 1
  - .args:
      - .offset:         0
        .size:           32
        .value_kind:     by_value
    .group_segment_fixed_size: 0
    .kernarg_segment_align: 8
    .kernarg_segment_size: 32
    .language:       OpenCL C
    .language_version:
      - 2
      - 0
    .max_flat_workgroup_size: 256
    .name:           _ZN7rocprim17ROCPRIM_400000_NS6detail17trampoline_kernelINS0_14default_configENS1_20scan_config_selectorIhEEZZNS1_9scan_implILNS1_25lookback_scan_determinismE0ELb0ELb0ES3_N6thrust23THRUST_200600_302600_NS6detail15normal_iteratorINS9_7pointerIhNS9_11hip_rocprim5par_tENS9_11use_defaultESF_EEEENSB_INSC_IjSE_SF_SF_EEEEhNS9_4plusIvEEhEEDaPvRmT3_T4_T5_mT6_P12ihipStream_tbENKUlT_T0_E_clISt17integral_constantIbLb0EESY_IbLb1EEEEDaSU_SV_EUlSU_E0_NS1_11comp_targetILNS1_3genE5ELNS1_11target_archE942ELNS1_3gpuE9ELNS1_3repE0EEENS1_30default_config_static_selectorELNS0_4arch9wavefront6targetE0EEEvT1_
    .private_segment_fixed_size: 0
    .sgpr_count:     0
    .sgpr_spill_count: 0
    .symbol:         _ZN7rocprim17ROCPRIM_400000_NS6detail17trampoline_kernelINS0_14default_configENS1_20scan_config_selectorIhEEZZNS1_9scan_implILNS1_25lookback_scan_determinismE0ELb0ELb0ES3_N6thrust23THRUST_200600_302600_NS6detail15normal_iteratorINS9_7pointerIhNS9_11hip_rocprim5par_tENS9_11use_defaultESF_EEEENSB_INSC_IjSE_SF_SF_EEEEhNS9_4plusIvEEhEEDaPvRmT3_T4_T5_mT6_P12ihipStream_tbENKUlT_T0_E_clISt17integral_constantIbLb0EESY_IbLb1EEEEDaSU_SV_EUlSU_E0_NS1_11comp_targetILNS1_3genE5ELNS1_11target_archE942ELNS1_3gpuE9ELNS1_3repE0EEENS1_30default_config_static_selectorELNS0_4arch9wavefront6targetE0EEEvT1_.kd
    .uniform_work_group_size: 1
    .uses_dynamic_stack: false
    .vgpr_count:     0
    .vgpr_spill_count: 0
    .wavefront_size: 32
    .workgroup_processor_mode: 1
  - .args:
      - .offset:         0
        .size:           32
        .value_kind:     by_value
    .group_segment_fixed_size: 0
    .kernarg_segment_align: 8
    .kernarg_segment_size: 32
    .language:       OpenCL C
    .language_version:
      - 2
      - 0
    .max_flat_workgroup_size: 256
    .name:           _ZN7rocprim17ROCPRIM_400000_NS6detail17trampoline_kernelINS0_14default_configENS1_20scan_config_selectorIhEEZZNS1_9scan_implILNS1_25lookback_scan_determinismE0ELb0ELb0ES3_N6thrust23THRUST_200600_302600_NS6detail15normal_iteratorINS9_7pointerIhNS9_11hip_rocprim5par_tENS9_11use_defaultESF_EEEENSB_INSC_IjSE_SF_SF_EEEEhNS9_4plusIvEEhEEDaPvRmT3_T4_T5_mT6_P12ihipStream_tbENKUlT_T0_E_clISt17integral_constantIbLb0EESY_IbLb1EEEEDaSU_SV_EUlSU_E0_NS1_11comp_targetILNS1_3genE4ELNS1_11target_archE910ELNS1_3gpuE8ELNS1_3repE0EEENS1_30default_config_static_selectorELNS0_4arch9wavefront6targetE0EEEvT1_
    .private_segment_fixed_size: 0
    .sgpr_count:     0
    .sgpr_spill_count: 0
    .symbol:         _ZN7rocprim17ROCPRIM_400000_NS6detail17trampoline_kernelINS0_14default_configENS1_20scan_config_selectorIhEEZZNS1_9scan_implILNS1_25lookback_scan_determinismE0ELb0ELb0ES3_N6thrust23THRUST_200600_302600_NS6detail15normal_iteratorINS9_7pointerIhNS9_11hip_rocprim5par_tENS9_11use_defaultESF_EEEENSB_INSC_IjSE_SF_SF_EEEEhNS9_4plusIvEEhEEDaPvRmT3_T4_T5_mT6_P12ihipStream_tbENKUlT_T0_E_clISt17integral_constantIbLb0EESY_IbLb1EEEEDaSU_SV_EUlSU_E0_NS1_11comp_targetILNS1_3genE4ELNS1_11target_archE910ELNS1_3gpuE8ELNS1_3repE0EEENS1_30default_config_static_selectorELNS0_4arch9wavefront6targetE0EEEvT1_.kd
    .uniform_work_group_size: 1
    .uses_dynamic_stack: false
    .vgpr_count:     0
    .vgpr_spill_count: 0
    .wavefront_size: 32
    .workgroup_processor_mode: 1
  - .args:
      - .offset:         0
        .size:           32
        .value_kind:     by_value
    .group_segment_fixed_size: 0
    .kernarg_segment_align: 8
    .kernarg_segment_size: 32
    .language:       OpenCL C
    .language_version:
      - 2
      - 0
    .max_flat_workgroup_size: 256
    .name:           _ZN7rocprim17ROCPRIM_400000_NS6detail17trampoline_kernelINS0_14default_configENS1_20scan_config_selectorIhEEZZNS1_9scan_implILNS1_25lookback_scan_determinismE0ELb0ELb0ES3_N6thrust23THRUST_200600_302600_NS6detail15normal_iteratorINS9_7pointerIhNS9_11hip_rocprim5par_tENS9_11use_defaultESF_EEEENSB_INSC_IjSE_SF_SF_EEEEhNS9_4plusIvEEhEEDaPvRmT3_T4_T5_mT6_P12ihipStream_tbENKUlT_T0_E_clISt17integral_constantIbLb0EESY_IbLb1EEEEDaSU_SV_EUlSU_E0_NS1_11comp_targetILNS1_3genE3ELNS1_11target_archE908ELNS1_3gpuE7ELNS1_3repE0EEENS1_30default_config_static_selectorELNS0_4arch9wavefront6targetE0EEEvT1_
    .private_segment_fixed_size: 0
    .sgpr_count:     0
    .sgpr_spill_count: 0
    .symbol:         _ZN7rocprim17ROCPRIM_400000_NS6detail17trampoline_kernelINS0_14default_configENS1_20scan_config_selectorIhEEZZNS1_9scan_implILNS1_25lookback_scan_determinismE0ELb0ELb0ES3_N6thrust23THRUST_200600_302600_NS6detail15normal_iteratorINS9_7pointerIhNS9_11hip_rocprim5par_tENS9_11use_defaultESF_EEEENSB_INSC_IjSE_SF_SF_EEEEhNS9_4plusIvEEhEEDaPvRmT3_T4_T5_mT6_P12ihipStream_tbENKUlT_T0_E_clISt17integral_constantIbLb0EESY_IbLb1EEEEDaSU_SV_EUlSU_E0_NS1_11comp_targetILNS1_3genE3ELNS1_11target_archE908ELNS1_3gpuE7ELNS1_3repE0EEENS1_30default_config_static_selectorELNS0_4arch9wavefront6targetE0EEEvT1_.kd
    .uniform_work_group_size: 1
    .uses_dynamic_stack: false
    .vgpr_count:     0
    .vgpr_spill_count: 0
    .wavefront_size: 32
    .workgroup_processor_mode: 1
  - .args:
      - .offset:         0
        .size:           32
        .value_kind:     by_value
    .group_segment_fixed_size: 0
    .kernarg_segment_align: 8
    .kernarg_segment_size: 32
    .language:       OpenCL C
    .language_version:
      - 2
      - 0
    .max_flat_workgroup_size: 256
    .name:           _ZN7rocprim17ROCPRIM_400000_NS6detail17trampoline_kernelINS0_14default_configENS1_20scan_config_selectorIhEEZZNS1_9scan_implILNS1_25lookback_scan_determinismE0ELb0ELb0ES3_N6thrust23THRUST_200600_302600_NS6detail15normal_iteratorINS9_7pointerIhNS9_11hip_rocprim5par_tENS9_11use_defaultESF_EEEENSB_INSC_IjSE_SF_SF_EEEEhNS9_4plusIvEEhEEDaPvRmT3_T4_T5_mT6_P12ihipStream_tbENKUlT_T0_E_clISt17integral_constantIbLb0EESY_IbLb1EEEEDaSU_SV_EUlSU_E0_NS1_11comp_targetILNS1_3genE2ELNS1_11target_archE906ELNS1_3gpuE6ELNS1_3repE0EEENS1_30default_config_static_selectorELNS0_4arch9wavefront6targetE0EEEvT1_
    .private_segment_fixed_size: 0
    .sgpr_count:     0
    .sgpr_spill_count: 0
    .symbol:         _ZN7rocprim17ROCPRIM_400000_NS6detail17trampoline_kernelINS0_14default_configENS1_20scan_config_selectorIhEEZZNS1_9scan_implILNS1_25lookback_scan_determinismE0ELb0ELb0ES3_N6thrust23THRUST_200600_302600_NS6detail15normal_iteratorINS9_7pointerIhNS9_11hip_rocprim5par_tENS9_11use_defaultESF_EEEENSB_INSC_IjSE_SF_SF_EEEEhNS9_4plusIvEEhEEDaPvRmT3_T4_T5_mT6_P12ihipStream_tbENKUlT_T0_E_clISt17integral_constantIbLb0EESY_IbLb1EEEEDaSU_SV_EUlSU_E0_NS1_11comp_targetILNS1_3genE2ELNS1_11target_archE906ELNS1_3gpuE6ELNS1_3repE0EEENS1_30default_config_static_selectorELNS0_4arch9wavefront6targetE0EEEvT1_.kd
    .uniform_work_group_size: 1
    .uses_dynamic_stack: false
    .vgpr_count:     0
    .vgpr_spill_count: 0
    .wavefront_size: 32
    .workgroup_processor_mode: 1
  - .args:
      - .offset:         0
        .size:           32
        .value_kind:     by_value
    .group_segment_fixed_size: 0
    .kernarg_segment_align: 8
    .kernarg_segment_size: 32
    .language:       OpenCL C
    .language_version:
      - 2
      - 0
    .max_flat_workgroup_size: 256
    .name:           _ZN7rocprim17ROCPRIM_400000_NS6detail17trampoline_kernelINS0_14default_configENS1_20scan_config_selectorIhEEZZNS1_9scan_implILNS1_25lookback_scan_determinismE0ELb0ELb0ES3_N6thrust23THRUST_200600_302600_NS6detail15normal_iteratorINS9_7pointerIhNS9_11hip_rocprim5par_tENS9_11use_defaultESF_EEEENSB_INSC_IjSE_SF_SF_EEEEhNS9_4plusIvEEhEEDaPvRmT3_T4_T5_mT6_P12ihipStream_tbENKUlT_T0_E_clISt17integral_constantIbLb0EESY_IbLb1EEEEDaSU_SV_EUlSU_E0_NS1_11comp_targetILNS1_3genE10ELNS1_11target_archE1201ELNS1_3gpuE5ELNS1_3repE0EEENS1_30default_config_static_selectorELNS0_4arch9wavefront6targetE0EEEvT1_
    .private_segment_fixed_size: 0
    .sgpr_count:     0
    .sgpr_spill_count: 0
    .symbol:         _ZN7rocprim17ROCPRIM_400000_NS6detail17trampoline_kernelINS0_14default_configENS1_20scan_config_selectorIhEEZZNS1_9scan_implILNS1_25lookback_scan_determinismE0ELb0ELb0ES3_N6thrust23THRUST_200600_302600_NS6detail15normal_iteratorINS9_7pointerIhNS9_11hip_rocprim5par_tENS9_11use_defaultESF_EEEENSB_INSC_IjSE_SF_SF_EEEEhNS9_4plusIvEEhEEDaPvRmT3_T4_T5_mT6_P12ihipStream_tbENKUlT_T0_E_clISt17integral_constantIbLb0EESY_IbLb1EEEEDaSU_SV_EUlSU_E0_NS1_11comp_targetILNS1_3genE10ELNS1_11target_archE1201ELNS1_3gpuE5ELNS1_3repE0EEENS1_30default_config_static_selectorELNS0_4arch9wavefront6targetE0EEEvT1_.kd
    .uniform_work_group_size: 1
    .uses_dynamic_stack: false
    .vgpr_count:     0
    .vgpr_spill_count: 0
    .wavefront_size: 32
    .workgroup_processor_mode: 1
  - .args:
      - .offset:         0
        .size:           32
        .value_kind:     by_value
    .group_segment_fixed_size: 0
    .kernarg_segment_align: 8
    .kernarg_segment_size: 32
    .language:       OpenCL C
    .language_version:
      - 2
      - 0
    .max_flat_workgroup_size: 256
    .name:           _ZN7rocprim17ROCPRIM_400000_NS6detail17trampoline_kernelINS0_14default_configENS1_20scan_config_selectorIhEEZZNS1_9scan_implILNS1_25lookback_scan_determinismE0ELb0ELb0ES3_N6thrust23THRUST_200600_302600_NS6detail15normal_iteratorINS9_7pointerIhNS9_11hip_rocprim5par_tENS9_11use_defaultESF_EEEENSB_INSC_IjSE_SF_SF_EEEEhNS9_4plusIvEEhEEDaPvRmT3_T4_T5_mT6_P12ihipStream_tbENKUlT_T0_E_clISt17integral_constantIbLb0EESY_IbLb1EEEEDaSU_SV_EUlSU_E0_NS1_11comp_targetILNS1_3genE10ELNS1_11target_archE1200ELNS1_3gpuE4ELNS1_3repE0EEENS1_30default_config_static_selectorELNS0_4arch9wavefront6targetE0EEEvT1_
    .private_segment_fixed_size: 0
    .sgpr_count:     0
    .sgpr_spill_count: 0
    .symbol:         _ZN7rocprim17ROCPRIM_400000_NS6detail17trampoline_kernelINS0_14default_configENS1_20scan_config_selectorIhEEZZNS1_9scan_implILNS1_25lookback_scan_determinismE0ELb0ELb0ES3_N6thrust23THRUST_200600_302600_NS6detail15normal_iteratorINS9_7pointerIhNS9_11hip_rocprim5par_tENS9_11use_defaultESF_EEEENSB_INSC_IjSE_SF_SF_EEEEhNS9_4plusIvEEhEEDaPvRmT3_T4_T5_mT6_P12ihipStream_tbENKUlT_T0_E_clISt17integral_constantIbLb0EESY_IbLb1EEEEDaSU_SV_EUlSU_E0_NS1_11comp_targetILNS1_3genE10ELNS1_11target_archE1200ELNS1_3gpuE4ELNS1_3repE0EEENS1_30default_config_static_selectorELNS0_4arch9wavefront6targetE0EEEvT1_.kd
    .uniform_work_group_size: 1
    .uses_dynamic_stack: false
    .vgpr_count:     0
    .vgpr_spill_count: 0
    .wavefront_size: 32
    .workgroup_processor_mode: 1
  - .args:
      - .offset:         0
        .size:           32
        .value_kind:     by_value
    .group_segment_fixed_size: 6144
    .kernarg_segment_align: 8
    .kernarg_segment_size: 32
    .language:       OpenCL C
    .language_version:
      - 2
      - 0
    .max_flat_workgroup_size: 256
    .name:           _ZN7rocprim17ROCPRIM_400000_NS6detail17trampoline_kernelINS0_14default_configENS1_20scan_config_selectorIhEEZZNS1_9scan_implILNS1_25lookback_scan_determinismE0ELb0ELb0ES3_N6thrust23THRUST_200600_302600_NS6detail15normal_iteratorINS9_7pointerIhNS9_11hip_rocprim5par_tENS9_11use_defaultESF_EEEENSB_INSC_IjSE_SF_SF_EEEEhNS9_4plusIvEEhEEDaPvRmT3_T4_T5_mT6_P12ihipStream_tbENKUlT_T0_E_clISt17integral_constantIbLb0EESY_IbLb1EEEEDaSU_SV_EUlSU_E0_NS1_11comp_targetILNS1_3genE9ELNS1_11target_archE1100ELNS1_3gpuE3ELNS1_3repE0EEENS1_30default_config_static_selectorELNS0_4arch9wavefront6targetE0EEEvT1_
    .private_segment_fixed_size: 0
    .sgpr_count:     34
    .sgpr_spill_count: 0
    .symbol:         _ZN7rocprim17ROCPRIM_400000_NS6detail17trampoline_kernelINS0_14default_configENS1_20scan_config_selectorIhEEZZNS1_9scan_implILNS1_25lookback_scan_determinismE0ELb0ELb0ES3_N6thrust23THRUST_200600_302600_NS6detail15normal_iteratorINS9_7pointerIhNS9_11hip_rocprim5par_tENS9_11use_defaultESF_EEEENSB_INSC_IjSE_SF_SF_EEEEhNS9_4plusIvEEhEEDaPvRmT3_T4_T5_mT6_P12ihipStream_tbENKUlT_T0_E_clISt17integral_constantIbLb0EESY_IbLb1EEEEDaSU_SV_EUlSU_E0_NS1_11comp_targetILNS1_3genE9ELNS1_11target_archE1100ELNS1_3gpuE3ELNS1_3repE0EEENS1_30default_config_static_selectorELNS0_4arch9wavefront6targetE0EEEvT1_.kd
    .uniform_work_group_size: 1
    .uses_dynamic_stack: false
    .vgpr_count:     54
    .vgpr_spill_count: 0
    .wavefront_size: 32
    .workgroup_processor_mode: 1
  - .args:
      - .offset:         0
        .size:           32
        .value_kind:     by_value
    .group_segment_fixed_size: 0
    .kernarg_segment_align: 8
    .kernarg_segment_size: 32
    .language:       OpenCL C
    .language_version:
      - 2
      - 0
    .max_flat_workgroup_size: 256
    .name:           _ZN7rocprim17ROCPRIM_400000_NS6detail17trampoline_kernelINS0_14default_configENS1_20scan_config_selectorIhEEZZNS1_9scan_implILNS1_25lookback_scan_determinismE0ELb0ELb0ES3_N6thrust23THRUST_200600_302600_NS6detail15normal_iteratorINS9_7pointerIhNS9_11hip_rocprim5par_tENS9_11use_defaultESF_EEEENSB_INSC_IjSE_SF_SF_EEEEhNS9_4plusIvEEhEEDaPvRmT3_T4_T5_mT6_P12ihipStream_tbENKUlT_T0_E_clISt17integral_constantIbLb0EESY_IbLb1EEEEDaSU_SV_EUlSU_E0_NS1_11comp_targetILNS1_3genE8ELNS1_11target_archE1030ELNS1_3gpuE2ELNS1_3repE0EEENS1_30default_config_static_selectorELNS0_4arch9wavefront6targetE0EEEvT1_
    .private_segment_fixed_size: 0
    .sgpr_count:     0
    .sgpr_spill_count: 0
    .symbol:         _ZN7rocprim17ROCPRIM_400000_NS6detail17trampoline_kernelINS0_14default_configENS1_20scan_config_selectorIhEEZZNS1_9scan_implILNS1_25lookback_scan_determinismE0ELb0ELb0ES3_N6thrust23THRUST_200600_302600_NS6detail15normal_iteratorINS9_7pointerIhNS9_11hip_rocprim5par_tENS9_11use_defaultESF_EEEENSB_INSC_IjSE_SF_SF_EEEEhNS9_4plusIvEEhEEDaPvRmT3_T4_T5_mT6_P12ihipStream_tbENKUlT_T0_E_clISt17integral_constantIbLb0EESY_IbLb1EEEEDaSU_SV_EUlSU_E0_NS1_11comp_targetILNS1_3genE8ELNS1_11target_archE1030ELNS1_3gpuE2ELNS1_3repE0EEENS1_30default_config_static_selectorELNS0_4arch9wavefront6targetE0EEEvT1_.kd
    .uniform_work_group_size: 1
    .uses_dynamic_stack: false
    .vgpr_count:     0
    .vgpr_spill_count: 0
    .wavefront_size: 32
    .workgroup_processor_mode: 1
  - .args:
      - .address_space:  global
        .offset:         0
        .size:           8
        .value_kind:     global_buffer
      - .address_space:  global
        .offset:         8
        .size:           8
        .value_kind:     global_buffer
      - .address_space:  global
        .offset:         16
        .size:           8
        .value_kind:     global_buffer
      - .offset:         24
        .size:           8
        .value_kind:     by_value
      - .address_space:  global
        .offset:         32
        .size:           8
        .value_kind:     global_buffer
      - .offset:         40
        .size:           4
        .value_kind:     hidden_block_count_x
      - .offset:         44
        .size:           4
        .value_kind:     hidden_block_count_y
      - .offset:         48
        .size:           4
        .value_kind:     hidden_block_count_z
      - .offset:         52
        .size:           2
        .value_kind:     hidden_group_size_x
      - .offset:         54
        .size:           2
        .value_kind:     hidden_group_size_y
      - .offset:         56
        .size:           2
        .value_kind:     hidden_group_size_z
      - .offset:         58
        .size:           2
        .value_kind:     hidden_remainder_x
      - .offset:         60
        .size:           2
        .value_kind:     hidden_remainder_y
      - .offset:         62
        .size:           2
        .value_kind:     hidden_remainder_z
      - .offset:         80
        .size:           8
        .value_kind:     hidden_global_offset_x
      - .offset:         88
        .size:           8
        .value_kind:     hidden_global_offset_y
      - .offset:         96
        .size:           8
        .value_kind:     hidden_global_offset_z
      - .offset:         104
        .size:           2
        .value_kind:     hidden_grid_dims
    .group_segment_fixed_size: 0
    .kernarg_segment_align: 8
    .kernarg_segment_size: 296
    .language:       OpenCL C
    .language_version:
      - 2
      - 0
    .max_flat_workgroup_size: 1024
    .name:           _ZN6thrust23THRUST_200600_302600_NS11hip_rocprim9__copy_if14copy_if_kernelILj16ENS0_6detail15normal_iteratorINS0_10device_ptrI10large_dataEEEENS5_INS0_7pointerIhNS1_5par_tENS0_11use_defaultESC_EEEENS5_INSA_IjSB_SC_SC_EEEES9_EEvT0_T1_T2_mT3_
    .private_segment_fixed_size: 0
    .sgpr_count:     18
    .sgpr_spill_count: 0
    .symbol:         _ZN6thrust23THRUST_200600_302600_NS11hip_rocprim9__copy_if14copy_if_kernelILj16ENS0_6detail15normal_iteratorINS0_10device_ptrI10large_dataEEEENS5_INS0_7pointerIhNS1_5par_tENS0_11use_defaultESC_EEEENS5_INSA_IjSB_SC_SC_EEEES9_EEvT0_T1_T2_mT3_.kd
    .uniform_work_group_size: 1
    .uses_dynamic_stack: false
    .vgpr_count:     6
    .vgpr_spill_count: 0
    .wavefront_size: 32
    .workgroup_processor_mode: 1
  - .args:
      - .address_space:  global
        .offset:         0
        .size:           8
        .value_kind:     global_buffer
      - .offset:         8
        .size:           4
        .value_kind:     by_value
      - .offset:         12
        .size:           1
        .value_kind:     by_value
      - .offset:         16
        .size:           4
        .value_kind:     by_value
      - .address_space:  global
        .offset:         24
        .size:           8
        .value_kind:     global_buffer
      - .offset:         32
        .size:           4
        .value_kind:     hidden_block_count_x
      - .offset:         36
        .size:           4
        .value_kind:     hidden_block_count_y
      - .offset:         40
        .size:           4
        .value_kind:     hidden_block_count_z
      - .offset:         44
        .size:           2
        .value_kind:     hidden_group_size_x
      - .offset:         46
        .size:           2
        .value_kind:     hidden_group_size_y
      - .offset:         48
        .size:           2
        .value_kind:     hidden_group_size_z
      - .offset:         50
        .size:           2
        .value_kind:     hidden_remainder_x
      - .offset:         52
        .size:           2
        .value_kind:     hidden_remainder_y
      - .offset:         54
        .size:           2
        .value_kind:     hidden_remainder_z
      - .offset:         72
        .size:           8
        .value_kind:     hidden_global_offset_x
      - .offset:         80
        .size:           8
        .value_kind:     hidden_global_offset_y
      - .offset:         88
        .size:           8
        .value_kind:     hidden_global_offset_z
      - .offset:         96
        .size:           2
        .value_kind:     hidden_grid_dims
    .group_segment_fixed_size: 0
    .kernarg_segment_align: 8
    .kernarg_segment_size: 288
    .language:       OpenCL C
    .language_version:
      - 2
      - 0
    .max_flat_workgroup_size: 256
    .name:           _ZN7rocprim17ROCPRIM_400000_NS6detail31init_lookback_scan_state_kernelINS1_19lookback_scan_stateImLb0ELb1EEENS1_16block_id_wrapperIjLb0EEEEEvT_jT0_jPNS7_10value_typeE
    .private_segment_fixed_size: 0
    .sgpr_count:     18
    .sgpr_spill_count: 0
    .symbol:         _ZN7rocprim17ROCPRIM_400000_NS6detail31init_lookback_scan_state_kernelINS1_19lookback_scan_stateImLb0ELb1EEENS1_16block_id_wrapperIjLb0EEEEEvT_jT0_jPNS7_10value_typeE.kd
    .uniform_work_group_size: 1
    .uses_dynamic_stack: false
    .vgpr_count:     9
    .vgpr_spill_count: 0
    .wavefront_size: 32
    .workgroup_processor_mode: 1
  - .args:
      - .offset:         0
        .size:           112
        .value_kind:     by_value
    .group_segment_fixed_size: 0
    .kernarg_segment_align: 8
    .kernarg_segment_size: 112
    .language:       OpenCL C
    .language_version:
      - 2
      - 0
    .max_flat_workgroup_size: 128
    .name:           _ZN7rocprim17ROCPRIM_400000_NS6detail17trampoline_kernelINS0_14default_configENS1_25partition_config_selectorILNS1_17partition_subalgoE6EdNS0_10empty_typeEbEEZZNS1_14partition_implILS5_6ELb0ES3_mN6thrust23THRUST_200600_302600_NS6detail15normal_iteratorINSA_10device_ptrIdEEEEPS6_SG_NS0_5tupleIJSF_S6_EEENSH_IJSG_SG_EEES6_PlJ7is_evenIdEEEE10hipError_tPvRmT3_T4_T5_T6_T7_T9_mT8_P12ihipStream_tbDpT10_ENKUlT_T0_E_clISt17integral_constantIbLb0EES16_EEDaS11_S12_EUlS11_E_NS1_11comp_targetILNS1_3genE0ELNS1_11target_archE4294967295ELNS1_3gpuE0ELNS1_3repE0EEENS1_30default_config_static_selectorELNS0_4arch9wavefront6targetE0EEEvT1_
    .private_segment_fixed_size: 0
    .sgpr_count:     0
    .sgpr_spill_count: 0
    .symbol:         _ZN7rocprim17ROCPRIM_400000_NS6detail17trampoline_kernelINS0_14default_configENS1_25partition_config_selectorILNS1_17partition_subalgoE6EdNS0_10empty_typeEbEEZZNS1_14partition_implILS5_6ELb0ES3_mN6thrust23THRUST_200600_302600_NS6detail15normal_iteratorINSA_10device_ptrIdEEEEPS6_SG_NS0_5tupleIJSF_S6_EEENSH_IJSG_SG_EEES6_PlJ7is_evenIdEEEE10hipError_tPvRmT3_T4_T5_T6_T7_T9_mT8_P12ihipStream_tbDpT10_ENKUlT_T0_E_clISt17integral_constantIbLb0EES16_EEDaS11_S12_EUlS11_E_NS1_11comp_targetILNS1_3genE0ELNS1_11target_archE4294967295ELNS1_3gpuE0ELNS1_3repE0EEENS1_30default_config_static_selectorELNS0_4arch9wavefront6targetE0EEEvT1_.kd
    .uniform_work_group_size: 1
    .uses_dynamic_stack: false
    .vgpr_count:     0
    .vgpr_spill_count: 0
    .wavefront_size: 32
    .workgroup_processor_mode: 1
  - .args:
      - .offset:         0
        .size:           112
        .value_kind:     by_value
    .group_segment_fixed_size: 0
    .kernarg_segment_align: 8
    .kernarg_segment_size: 112
    .language:       OpenCL C
    .language_version:
      - 2
      - 0
    .max_flat_workgroup_size: 512
    .name:           _ZN7rocprim17ROCPRIM_400000_NS6detail17trampoline_kernelINS0_14default_configENS1_25partition_config_selectorILNS1_17partition_subalgoE6EdNS0_10empty_typeEbEEZZNS1_14partition_implILS5_6ELb0ES3_mN6thrust23THRUST_200600_302600_NS6detail15normal_iteratorINSA_10device_ptrIdEEEEPS6_SG_NS0_5tupleIJSF_S6_EEENSH_IJSG_SG_EEES6_PlJ7is_evenIdEEEE10hipError_tPvRmT3_T4_T5_T6_T7_T9_mT8_P12ihipStream_tbDpT10_ENKUlT_T0_E_clISt17integral_constantIbLb0EES16_EEDaS11_S12_EUlS11_E_NS1_11comp_targetILNS1_3genE5ELNS1_11target_archE942ELNS1_3gpuE9ELNS1_3repE0EEENS1_30default_config_static_selectorELNS0_4arch9wavefront6targetE0EEEvT1_
    .private_segment_fixed_size: 0
    .sgpr_count:     0
    .sgpr_spill_count: 0
    .symbol:         _ZN7rocprim17ROCPRIM_400000_NS6detail17trampoline_kernelINS0_14default_configENS1_25partition_config_selectorILNS1_17partition_subalgoE6EdNS0_10empty_typeEbEEZZNS1_14partition_implILS5_6ELb0ES3_mN6thrust23THRUST_200600_302600_NS6detail15normal_iteratorINSA_10device_ptrIdEEEEPS6_SG_NS0_5tupleIJSF_S6_EEENSH_IJSG_SG_EEES6_PlJ7is_evenIdEEEE10hipError_tPvRmT3_T4_T5_T6_T7_T9_mT8_P12ihipStream_tbDpT10_ENKUlT_T0_E_clISt17integral_constantIbLb0EES16_EEDaS11_S12_EUlS11_E_NS1_11comp_targetILNS1_3genE5ELNS1_11target_archE942ELNS1_3gpuE9ELNS1_3repE0EEENS1_30default_config_static_selectorELNS0_4arch9wavefront6targetE0EEEvT1_.kd
    .uniform_work_group_size: 1
    .uses_dynamic_stack: false
    .vgpr_count:     0
    .vgpr_spill_count: 0
    .wavefront_size: 32
    .workgroup_processor_mode: 1
  - .args:
      - .offset:         0
        .size:           112
        .value_kind:     by_value
    .group_segment_fixed_size: 0
    .kernarg_segment_align: 8
    .kernarg_segment_size: 112
    .language:       OpenCL C
    .language_version:
      - 2
      - 0
    .max_flat_workgroup_size: 128
    .name:           _ZN7rocprim17ROCPRIM_400000_NS6detail17trampoline_kernelINS0_14default_configENS1_25partition_config_selectorILNS1_17partition_subalgoE6EdNS0_10empty_typeEbEEZZNS1_14partition_implILS5_6ELb0ES3_mN6thrust23THRUST_200600_302600_NS6detail15normal_iteratorINSA_10device_ptrIdEEEEPS6_SG_NS0_5tupleIJSF_S6_EEENSH_IJSG_SG_EEES6_PlJ7is_evenIdEEEE10hipError_tPvRmT3_T4_T5_T6_T7_T9_mT8_P12ihipStream_tbDpT10_ENKUlT_T0_E_clISt17integral_constantIbLb0EES16_EEDaS11_S12_EUlS11_E_NS1_11comp_targetILNS1_3genE4ELNS1_11target_archE910ELNS1_3gpuE8ELNS1_3repE0EEENS1_30default_config_static_selectorELNS0_4arch9wavefront6targetE0EEEvT1_
    .private_segment_fixed_size: 0
    .sgpr_count:     0
    .sgpr_spill_count: 0
    .symbol:         _ZN7rocprim17ROCPRIM_400000_NS6detail17trampoline_kernelINS0_14default_configENS1_25partition_config_selectorILNS1_17partition_subalgoE6EdNS0_10empty_typeEbEEZZNS1_14partition_implILS5_6ELb0ES3_mN6thrust23THRUST_200600_302600_NS6detail15normal_iteratorINSA_10device_ptrIdEEEEPS6_SG_NS0_5tupleIJSF_S6_EEENSH_IJSG_SG_EEES6_PlJ7is_evenIdEEEE10hipError_tPvRmT3_T4_T5_T6_T7_T9_mT8_P12ihipStream_tbDpT10_ENKUlT_T0_E_clISt17integral_constantIbLb0EES16_EEDaS11_S12_EUlS11_E_NS1_11comp_targetILNS1_3genE4ELNS1_11target_archE910ELNS1_3gpuE8ELNS1_3repE0EEENS1_30default_config_static_selectorELNS0_4arch9wavefront6targetE0EEEvT1_.kd
    .uniform_work_group_size: 1
    .uses_dynamic_stack: false
    .vgpr_count:     0
    .vgpr_spill_count: 0
    .wavefront_size: 32
    .workgroup_processor_mode: 1
  - .args:
      - .offset:         0
        .size:           112
        .value_kind:     by_value
    .group_segment_fixed_size: 0
    .kernarg_segment_align: 8
    .kernarg_segment_size: 112
    .language:       OpenCL C
    .language_version:
      - 2
      - 0
    .max_flat_workgroup_size: 128
    .name:           _ZN7rocprim17ROCPRIM_400000_NS6detail17trampoline_kernelINS0_14default_configENS1_25partition_config_selectorILNS1_17partition_subalgoE6EdNS0_10empty_typeEbEEZZNS1_14partition_implILS5_6ELb0ES3_mN6thrust23THRUST_200600_302600_NS6detail15normal_iteratorINSA_10device_ptrIdEEEEPS6_SG_NS0_5tupleIJSF_S6_EEENSH_IJSG_SG_EEES6_PlJ7is_evenIdEEEE10hipError_tPvRmT3_T4_T5_T6_T7_T9_mT8_P12ihipStream_tbDpT10_ENKUlT_T0_E_clISt17integral_constantIbLb0EES16_EEDaS11_S12_EUlS11_E_NS1_11comp_targetILNS1_3genE3ELNS1_11target_archE908ELNS1_3gpuE7ELNS1_3repE0EEENS1_30default_config_static_selectorELNS0_4arch9wavefront6targetE0EEEvT1_
    .private_segment_fixed_size: 0
    .sgpr_count:     0
    .sgpr_spill_count: 0
    .symbol:         _ZN7rocprim17ROCPRIM_400000_NS6detail17trampoline_kernelINS0_14default_configENS1_25partition_config_selectorILNS1_17partition_subalgoE6EdNS0_10empty_typeEbEEZZNS1_14partition_implILS5_6ELb0ES3_mN6thrust23THRUST_200600_302600_NS6detail15normal_iteratorINSA_10device_ptrIdEEEEPS6_SG_NS0_5tupleIJSF_S6_EEENSH_IJSG_SG_EEES6_PlJ7is_evenIdEEEE10hipError_tPvRmT3_T4_T5_T6_T7_T9_mT8_P12ihipStream_tbDpT10_ENKUlT_T0_E_clISt17integral_constantIbLb0EES16_EEDaS11_S12_EUlS11_E_NS1_11comp_targetILNS1_3genE3ELNS1_11target_archE908ELNS1_3gpuE7ELNS1_3repE0EEENS1_30default_config_static_selectorELNS0_4arch9wavefront6targetE0EEEvT1_.kd
    .uniform_work_group_size: 1
    .uses_dynamic_stack: false
    .vgpr_count:     0
    .vgpr_spill_count: 0
    .wavefront_size: 32
    .workgroup_processor_mode: 1
  - .args:
      - .offset:         0
        .size:           112
        .value_kind:     by_value
    .group_segment_fixed_size: 0
    .kernarg_segment_align: 8
    .kernarg_segment_size: 112
    .language:       OpenCL C
    .language_version:
      - 2
      - 0
    .max_flat_workgroup_size: 256
    .name:           _ZN7rocprim17ROCPRIM_400000_NS6detail17trampoline_kernelINS0_14default_configENS1_25partition_config_selectorILNS1_17partition_subalgoE6EdNS0_10empty_typeEbEEZZNS1_14partition_implILS5_6ELb0ES3_mN6thrust23THRUST_200600_302600_NS6detail15normal_iteratorINSA_10device_ptrIdEEEEPS6_SG_NS0_5tupleIJSF_S6_EEENSH_IJSG_SG_EEES6_PlJ7is_evenIdEEEE10hipError_tPvRmT3_T4_T5_T6_T7_T9_mT8_P12ihipStream_tbDpT10_ENKUlT_T0_E_clISt17integral_constantIbLb0EES16_EEDaS11_S12_EUlS11_E_NS1_11comp_targetILNS1_3genE2ELNS1_11target_archE906ELNS1_3gpuE6ELNS1_3repE0EEENS1_30default_config_static_selectorELNS0_4arch9wavefront6targetE0EEEvT1_
    .private_segment_fixed_size: 0
    .sgpr_count:     0
    .sgpr_spill_count: 0
    .symbol:         _ZN7rocprim17ROCPRIM_400000_NS6detail17trampoline_kernelINS0_14default_configENS1_25partition_config_selectorILNS1_17partition_subalgoE6EdNS0_10empty_typeEbEEZZNS1_14partition_implILS5_6ELb0ES3_mN6thrust23THRUST_200600_302600_NS6detail15normal_iteratorINSA_10device_ptrIdEEEEPS6_SG_NS0_5tupleIJSF_S6_EEENSH_IJSG_SG_EEES6_PlJ7is_evenIdEEEE10hipError_tPvRmT3_T4_T5_T6_T7_T9_mT8_P12ihipStream_tbDpT10_ENKUlT_T0_E_clISt17integral_constantIbLb0EES16_EEDaS11_S12_EUlS11_E_NS1_11comp_targetILNS1_3genE2ELNS1_11target_archE906ELNS1_3gpuE6ELNS1_3repE0EEENS1_30default_config_static_selectorELNS0_4arch9wavefront6targetE0EEEvT1_.kd
    .uniform_work_group_size: 1
    .uses_dynamic_stack: false
    .vgpr_count:     0
    .vgpr_spill_count: 0
    .wavefront_size: 32
    .workgroup_processor_mode: 1
  - .args:
      - .offset:         0
        .size:           112
        .value_kind:     by_value
    .group_segment_fixed_size: 0
    .kernarg_segment_align: 8
    .kernarg_segment_size: 112
    .language:       OpenCL C
    .language_version:
      - 2
      - 0
    .max_flat_workgroup_size: 256
    .name:           _ZN7rocprim17ROCPRIM_400000_NS6detail17trampoline_kernelINS0_14default_configENS1_25partition_config_selectorILNS1_17partition_subalgoE6EdNS0_10empty_typeEbEEZZNS1_14partition_implILS5_6ELb0ES3_mN6thrust23THRUST_200600_302600_NS6detail15normal_iteratorINSA_10device_ptrIdEEEEPS6_SG_NS0_5tupleIJSF_S6_EEENSH_IJSG_SG_EEES6_PlJ7is_evenIdEEEE10hipError_tPvRmT3_T4_T5_T6_T7_T9_mT8_P12ihipStream_tbDpT10_ENKUlT_T0_E_clISt17integral_constantIbLb0EES16_EEDaS11_S12_EUlS11_E_NS1_11comp_targetILNS1_3genE10ELNS1_11target_archE1200ELNS1_3gpuE4ELNS1_3repE0EEENS1_30default_config_static_selectorELNS0_4arch9wavefront6targetE0EEEvT1_
    .private_segment_fixed_size: 0
    .sgpr_count:     0
    .sgpr_spill_count: 0
    .symbol:         _ZN7rocprim17ROCPRIM_400000_NS6detail17trampoline_kernelINS0_14default_configENS1_25partition_config_selectorILNS1_17partition_subalgoE6EdNS0_10empty_typeEbEEZZNS1_14partition_implILS5_6ELb0ES3_mN6thrust23THRUST_200600_302600_NS6detail15normal_iteratorINSA_10device_ptrIdEEEEPS6_SG_NS0_5tupleIJSF_S6_EEENSH_IJSG_SG_EEES6_PlJ7is_evenIdEEEE10hipError_tPvRmT3_T4_T5_T6_T7_T9_mT8_P12ihipStream_tbDpT10_ENKUlT_T0_E_clISt17integral_constantIbLb0EES16_EEDaS11_S12_EUlS11_E_NS1_11comp_targetILNS1_3genE10ELNS1_11target_archE1200ELNS1_3gpuE4ELNS1_3repE0EEENS1_30default_config_static_selectorELNS0_4arch9wavefront6targetE0EEEvT1_.kd
    .uniform_work_group_size: 1
    .uses_dynamic_stack: false
    .vgpr_count:     0
    .vgpr_spill_count: 0
    .wavefront_size: 32
    .workgroup_processor_mode: 1
  - .args:
      - .offset:         0
        .size:           112
        .value_kind:     by_value
    .group_segment_fixed_size: 18448
    .kernarg_segment_align: 8
    .kernarg_segment_size: 112
    .language:       OpenCL C
    .language_version:
      - 2
      - 0
    .max_flat_workgroup_size: 384
    .name:           _ZN7rocprim17ROCPRIM_400000_NS6detail17trampoline_kernelINS0_14default_configENS1_25partition_config_selectorILNS1_17partition_subalgoE6EdNS0_10empty_typeEbEEZZNS1_14partition_implILS5_6ELb0ES3_mN6thrust23THRUST_200600_302600_NS6detail15normal_iteratorINSA_10device_ptrIdEEEEPS6_SG_NS0_5tupleIJSF_S6_EEENSH_IJSG_SG_EEES6_PlJ7is_evenIdEEEE10hipError_tPvRmT3_T4_T5_T6_T7_T9_mT8_P12ihipStream_tbDpT10_ENKUlT_T0_E_clISt17integral_constantIbLb0EES16_EEDaS11_S12_EUlS11_E_NS1_11comp_targetILNS1_3genE9ELNS1_11target_archE1100ELNS1_3gpuE3ELNS1_3repE0EEENS1_30default_config_static_selectorELNS0_4arch9wavefront6targetE0EEEvT1_
    .private_segment_fixed_size: 0
    .sgpr_count:     22
    .sgpr_spill_count: 0
    .symbol:         _ZN7rocprim17ROCPRIM_400000_NS6detail17trampoline_kernelINS0_14default_configENS1_25partition_config_selectorILNS1_17partition_subalgoE6EdNS0_10empty_typeEbEEZZNS1_14partition_implILS5_6ELb0ES3_mN6thrust23THRUST_200600_302600_NS6detail15normal_iteratorINSA_10device_ptrIdEEEEPS6_SG_NS0_5tupleIJSF_S6_EEENSH_IJSG_SG_EEES6_PlJ7is_evenIdEEEE10hipError_tPvRmT3_T4_T5_T6_T7_T9_mT8_P12ihipStream_tbDpT10_ENKUlT_T0_E_clISt17integral_constantIbLb0EES16_EEDaS11_S12_EUlS11_E_NS1_11comp_targetILNS1_3genE9ELNS1_11target_archE1100ELNS1_3gpuE3ELNS1_3repE0EEENS1_30default_config_static_selectorELNS0_4arch9wavefront6targetE0EEEvT1_.kd
    .uniform_work_group_size: 1
    .uses_dynamic_stack: false
    .vgpr_count:     54
    .vgpr_spill_count: 0
    .wavefront_size: 32
    .workgroup_processor_mode: 1
  - .args:
      - .offset:         0
        .size:           112
        .value_kind:     by_value
    .group_segment_fixed_size: 0
    .kernarg_segment_align: 8
    .kernarg_segment_size: 112
    .language:       OpenCL C
    .language_version:
      - 2
      - 0
    .max_flat_workgroup_size: 512
    .name:           _ZN7rocprim17ROCPRIM_400000_NS6detail17trampoline_kernelINS0_14default_configENS1_25partition_config_selectorILNS1_17partition_subalgoE6EdNS0_10empty_typeEbEEZZNS1_14partition_implILS5_6ELb0ES3_mN6thrust23THRUST_200600_302600_NS6detail15normal_iteratorINSA_10device_ptrIdEEEEPS6_SG_NS0_5tupleIJSF_S6_EEENSH_IJSG_SG_EEES6_PlJ7is_evenIdEEEE10hipError_tPvRmT3_T4_T5_T6_T7_T9_mT8_P12ihipStream_tbDpT10_ENKUlT_T0_E_clISt17integral_constantIbLb0EES16_EEDaS11_S12_EUlS11_E_NS1_11comp_targetILNS1_3genE8ELNS1_11target_archE1030ELNS1_3gpuE2ELNS1_3repE0EEENS1_30default_config_static_selectorELNS0_4arch9wavefront6targetE0EEEvT1_
    .private_segment_fixed_size: 0
    .sgpr_count:     0
    .sgpr_spill_count: 0
    .symbol:         _ZN7rocprim17ROCPRIM_400000_NS6detail17trampoline_kernelINS0_14default_configENS1_25partition_config_selectorILNS1_17partition_subalgoE6EdNS0_10empty_typeEbEEZZNS1_14partition_implILS5_6ELb0ES3_mN6thrust23THRUST_200600_302600_NS6detail15normal_iteratorINSA_10device_ptrIdEEEEPS6_SG_NS0_5tupleIJSF_S6_EEENSH_IJSG_SG_EEES6_PlJ7is_evenIdEEEE10hipError_tPvRmT3_T4_T5_T6_T7_T9_mT8_P12ihipStream_tbDpT10_ENKUlT_T0_E_clISt17integral_constantIbLb0EES16_EEDaS11_S12_EUlS11_E_NS1_11comp_targetILNS1_3genE8ELNS1_11target_archE1030ELNS1_3gpuE2ELNS1_3repE0EEENS1_30default_config_static_selectorELNS0_4arch9wavefront6targetE0EEEvT1_.kd
    .uniform_work_group_size: 1
    .uses_dynamic_stack: false
    .vgpr_count:     0
    .vgpr_spill_count: 0
    .wavefront_size: 32
    .workgroup_processor_mode: 1
  - .args:
      - .offset:         0
        .size:           40
        .value_kind:     by_value
    .group_segment_fixed_size: 0
    .kernarg_segment_align: 8
    .kernarg_segment_size: 40
    .language:       OpenCL C
    .language_version:
      - 2
      - 0
    .max_flat_workgroup_size: 128
    .name:           _ZN7rocprim17ROCPRIM_400000_NS6detail17trampoline_kernelINS0_14default_configENS1_25transform_config_selectorImLb1EEEZNS1_14transform_implILb1ES3_S5_PmPlNS0_8identityIvEEEE10hipError_tT2_T3_mT4_P12ihipStream_tbEUlT_E_NS1_11comp_targetILNS1_3genE0ELNS1_11target_archE4294967295ELNS1_3gpuE0ELNS1_3repE0EEENS1_30default_config_static_selectorELNS0_4arch9wavefront6targetE0EEEvT1_
    .private_segment_fixed_size: 0
    .sgpr_count:     0
    .sgpr_spill_count: 0
    .symbol:         _ZN7rocprim17ROCPRIM_400000_NS6detail17trampoline_kernelINS0_14default_configENS1_25transform_config_selectorImLb1EEEZNS1_14transform_implILb1ES3_S5_PmPlNS0_8identityIvEEEE10hipError_tT2_T3_mT4_P12ihipStream_tbEUlT_E_NS1_11comp_targetILNS1_3genE0ELNS1_11target_archE4294967295ELNS1_3gpuE0ELNS1_3repE0EEENS1_30default_config_static_selectorELNS0_4arch9wavefront6targetE0EEEvT1_.kd
    .uniform_work_group_size: 1
    .uses_dynamic_stack: false
    .vgpr_count:     0
    .vgpr_spill_count: 0
    .wavefront_size: 32
    .workgroup_processor_mode: 1
  - .args:
      - .offset:         0
        .size:           40
        .value_kind:     by_value
    .group_segment_fixed_size: 0
    .kernarg_segment_align: 8
    .kernarg_segment_size: 40
    .language:       OpenCL C
    .language_version:
      - 2
      - 0
    .max_flat_workgroup_size: 1024
    .name:           _ZN7rocprim17ROCPRIM_400000_NS6detail17trampoline_kernelINS0_14default_configENS1_25transform_config_selectorImLb1EEEZNS1_14transform_implILb1ES3_S5_PmPlNS0_8identityIvEEEE10hipError_tT2_T3_mT4_P12ihipStream_tbEUlT_E_NS1_11comp_targetILNS1_3genE10ELNS1_11target_archE1201ELNS1_3gpuE5ELNS1_3repE0EEENS1_30default_config_static_selectorELNS0_4arch9wavefront6targetE0EEEvT1_
    .private_segment_fixed_size: 0
    .sgpr_count:     0
    .sgpr_spill_count: 0
    .symbol:         _ZN7rocprim17ROCPRIM_400000_NS6detail17trampoline_kernelINS0_14default_configENS1_25transform_config_selectorImLb1EEEZNS1_14transform_implILb1ES3_S5_PmPlNS0_8identityIvEEEE10hipError_tT2_T3_mT4_P12ihipStream_tbEUlT_E_NS1_11comp_targetILNS1_3genE10ELNS1_11target_archE1201ELNS1_3gpuE5ELNS1_3repE0EEENS1_30default_config_static_selectorELNS0_4arch9wavefront6targetE0EEEvT1_.kd
    .uniform_work_group_size: 1
    .uses_dynamic_stack: false
    .vgpr_count:     0
    .vgpr_spill_count: 0
    .wavefront_size: 32
    .workgroup_processor_mode: 1
  - .args:
      - .offset:         0
        .size:           40
        .value_kind:     by_value
    .group_segment_fixed_size: 0
    .kernarg_segment_align: 8
    .kernarg_segment_size: 40
    .language:       OpenCL C
    .language_version:
      - 2
      - 0
    .max_flat_workgroup_size: 512
    .name:           _ZN7rocprim17ROCPRIM_400000_NS6detail17trampoline_kernelINS0_14default_configENS1_25transform_config_selectorImLb1EEEZNS1_14transform_implILb1ES3_S5_PmPlNS0_8identityIvEEEE10hipError_tT2_T3_mT4_P12ihipStream_tbEUlT_E_NS1_11comp_targetILNS1_3genE5ELNS1_11target_archE942ELNS1_3gpuE9ELNS1_3repE0EEENS1_30default_config_static_selectorELNS0_4arch9wavefront6targetE0EEEvT1_
    .private_segment_fixed_size: 0
    .sgpr_count:     0
    .sgpr_spill_count: 0
    .symbol:         _ZN7rocprim17ROCPRIM_400000_NS6detail17trampoline_kernelINS0_14default_configENS1_25transform_config_selectorImLb1EEEZNS1_14transform_implILb1ES3_S5_PmPlNS0_8identityIvEEEE10hipError_tT2_T3_mT4_P12ihipStream_tbEUlT_E_NS1_11comp_targetILNS1_3genE5ELNS1_11target_archE942ELNS1_3gpuE9ELNS1_3repE0EEENS1_30default_config_static_selectorELNS0_4arch9wavefront6targetE0EEEvT1_.kd
    .uniform_work_group_size: 1
    .uses_dynamic_stack: false
    .vgpr_count:     0
    .vgpr_spill_count: 0
    .wavefront_size: 32
    .workgroup_processor_mode: 1
  - .args:
      - .offset:         0
        .size:           40
        .value_kind:     by_value
    .group_segment_fixed_size: 0
    .kernarg_segment_align: 8
    .kernarg_segment_size: 40
    .language:       OpenCL C
    .language_version:
      - 2
      - 0
    .max_flat_workgroup_size: 1024
    .name:           _ZN7rocprim17ROCPRIM_400000_NS6detail17trampoline_kernelINS0_14default_configENS1_25transform_config_selectorImLb1EEEZNS1_14transform_implILb1ES3_S5_PmPlNS0_8identityIvEEEE10hipError_tT2_T3_mT4_P12ihipStream_tbEUlT_E_NS1_11comp_targetILNS1_3genE4ELNS1_11target_archE910ELNS1_3gpuE8ELNS1_3repE0EEENS1_30default_config_static_selectorELNS0_4arch9wavefront6targetE0EEEvT1_
    .private_segment_fixed_size: 0
    .sgpr_count:     0
    .sgpr_spill_count: 0
    .symbol:         _ZN7rocprim17ROCPRIM_400000_NS6detail17trampoline_kernelINS0_14default_configENS1_25transform_config_selectorImLb1EEEZNS1_14transform_implILb1ES3_S5_PmPlNS0_8identityIvEEEE10hipError_tT2_T3_mT4_P12ihipStream_tbEUlT_E_NS1_11comp_targetILNS1_3genE4ELNS1_11target_archE910ELNS1_3gpuE8ELNS1_3repE0EEENS1_30default_config_static_selectorELNS0_4arch9wavefront6targetE0EEEvT1_.kd
    .uniform_work_group_size: 1
    .uses_dynamic_stack: false
    .vgpr_count:     0
    .vgpr_spill_count: 0
    .wavefront_size: 32
    .workgroup_processor_mode: 1
  - .args:
      - .offset:         0
        .size:           40
        .value_kind:     by_value
    .group_segment_fixed_size: 0
    .kernarg_segment_align: 8
    .kernarg_segment_size: 40
    .language:       OpenCL C
    .language_version:
      - 2
      - 0
    .max_flat_workgroup_size: 128
    .name:           _ZN7rocprim17ROCPRIM_400000_NS6detail17trampoline_kernelINS0_14default_configENS1_25transform_config_selectorImLb1EEEZNS1_14transform_implILb1ES3_S5_PmPlNS0_8identityIvEEEE10hipError_tT2_T3_mT4_P12ihipStream_tbEUlT_E_NS1_11comp_targetILNS1_3genE3ELNS1_11target_archE908ELNS1_3gpuE7ELNS1_3repE0EEENS1_30default_config_static_selectorELNS0_4arch9wavefront6targetE0EEEvT1_
    .private_segment_fixed_size: 0
    .sgpr_count:     0
    .sgpr_spill_count: 0
    .symbol:         _ZN7rocprim17ROCPRIM_400000_NS6detail17trampoline_kernelINS0_14default_configENS1_25transform_config_selectorImLb1EEEZNS1_14transform_implILb1ES3_S5_PmPlNS0_8identityIvEEEE10hipError_tT2_T3_mT4_P12ihipStream_tbEUlT_E_NS1_11comp_targetILNS1_3genE3ELNS1_11target_archE908ELNS1_3gpuE7ELNS1_3repE0EEENS1_30default_config_static_selectorELNS0_4arch9wavefront6targetE0EEEvT1_.kd
    .uniform_work_group_size: 1
    .uses_dynamic_stack: false
    .vgpr_count:     0
    .vgpr_spill_count: 0
    .wavefront_size: 32
    .workgroup_processor_mode: 1
  - .args:
      - .offset:         0
        .size:           40
        .value_kind:     by_value
    .group_segment_fixed_size: 0
    .kernarg_segment_align: 8
    .kernarg_segment_size: 40
    .language:       OpenCL C
    .language_version:
      - 2
      - 0
    .max_flat_workgroup_size: 512
    .name:           _ZN7rocprim17ROCPRIM_400000_NS6detail17trampoline_kernelINS0_14default_configENS1_25transform_config_selectorImLb1EEEZNS1_14transform_implILb1ES3_S5_PmPlNS0_8identityIvEEEE10hipError_tT2_T3_mT4_P12ihipStream_tbEUlT_E_NS1_11comp_targetILNS1_3genE2ELNS1_11target_archE906ELNS1_3gpuE6ELNS1_3repE0EEENS1_30default_config_static_selectorELNS0_4arch9wavefront6targetE0EEEvT1_
    .private_segment_fixed_size: 0
    .sgpr_count:     0
    .sgpr_spill_count: 0
    .symbol:         _ZN7rocprim17ROCPRIM_400000_NS6detail17trampoline_kernelINS0_14default_configENS1_25transform_config_selectorImLb1EEEZNS1_14transform_implILb1ES3_S5_PmPlNS0_8identityIvEEEE10hipError_tT2_T3_mT4_P12ihipStream_tbEUlT_E_NS1_11comp_targetILNS1_3genE2ELNS1_11target_archE906ELNS1_3gpuE6ELNS1_3repE0EEENS1_30default_config_static_selectorELNS0_4arch9wavefront6targetE0EEEvT1_.kd
    .uniform_work_group_size: 1
    .uses_dynamic_stack: false
    .vgpr_count:     0
    .vgpr_spill_count: 0
    .wavefront_size: 32
    .workgroup_processor_mode: 1
  - .args:
      - .offset:         0
        .size:           40
        .value_kind:     by_value
      - .offset:         40
        .size:           4
        .value_kind:     hidden_block_count_x
      - .offset:         44
        .size:           4
        .value_kind:     hidden_block_count_y
      - .offset:         48
        .size:           4
        .value_kind:     hidden_block_count_z
      - .offset:         52
        .size:           2
        .value_kind:     hidden_group_size_x
      - .offset:         54
        .size:           2
        .value_kind:     hidden_group_size_y
      - .offset:         56
        .size:           2
        .value_kind:     hidden_group_size_z
      - .offset:         58
        .size:           2
        .value_kind:     hidden_remainder_x
      - .offset:         60
        .size:           2
        .value_kind:     hidden_remainder_y
      - .offset:         62
        .size:           2
        .value_kind:     hidden_remainder_z
      - .offset:         80
        .size:           8
        .value_kind:     hidden_global_offset_x
      - .offset:         88
        .size:           8
        .value_kind:     hidden_global_offset_y
      - .offset:         96
        .size:           8
        .value_kind:     hidden_global_offset_z
      - .offset:         104
        .size:           2
        .value_kind:     hidden_grid_dims
    .group_segment_fixed_size: 0
    .kernarg_segment_align: 8
    .kernarg_segment_size: 296
    .language:       OpenCL C
    .language_version:
      - 2
      - 0
    .max_flat_workgroup_size: 1024
    .name:           _ZN7rocprim17ROCPRIM_400000_NS6detail17trampoline_kernelINS0_14default_configENS1_25transform_config_selectorImLb1EEEZNS1_14transform_implILb1ES3_S5_PmPlNS0_8identityIvEEEE10hipError_tT2_T3_mT4_P12ihipStream_tbEUlT_E_NS1_11comp_targetILNS1_3genE9ELNS1_11target_archE1100ELNS1_3gpuE3ELNS1_3repE0EEENS1_30default_config_static_selectorELNS0_4arch9wavefront6targetE0EEEvT1_
    .private_segment_fixed_size: 0
    .sgpr_count:     18
    .sgpr_spill_count: 0
    .symbol:         _ZN7rocprim17ROCPRIM_400000_NS6detail17trampoline_kernelINS0_14default_configENS1_25transform_config_selectorImLb1EEEZNS1_14transform_implILb1ES3_S5_PmPlNS0_8identityIvEEEE10hipError_tT2_T3_mT4_P12ihipStream_tbEUlT_E_NS1_11comp_targetILNS1_3genE9ELNS1_11target_archE1100ELNS1_3gpuE3ELNS1_3repE0EEENS1_30default_config_static_selectorELNS0_4arch9wavefront6targetE0EEEvT1_.kd
    .uniform_work_group_size: 1
    .uses_dynamic_stack: false
    .vgpr_count:     7
    .vgpr_spill_count: 0
    .wavefront_size: 32
    .workgroup_processor_mode: 1
  - .args:
      - .offset:         0
        .size:           40
        .value_kind:     by_value
    .group_segment_fixed_size: 0
    .kernarg_segment_align: 8
    .kernarg_segment_size: 40
    .language:       OpenCL C
    .language_version:
      - 2
      - 0
    .max_flat_workgroup_size: 1024
    .name:           _ZN7rocprim17ROCPRIM_400000_NS6detail17trampoline_kernelINS0_14default_configENS1_25transform_config_selectorImLb1EEEZNS1_14transform_implILb1ES3_S5_PmPlNS0_8identityIvEEEE10hipError_tT2_T3_mT4_P12ihipStream_tbEUlT_E_NS1_11comp_targetILNS1_3genE8ELNS1_11target_archE1030ELNS1_3gpuE2ELNS1_3repE0EEENS1_30default_config_static_selectorELNS0_4arch9wavefront6targetE0EEEvT1_
    .private_segment_fixed_size: 0
    .sgpr_count:     0
    .sgpr_spill_count: 0
    .symbol:         _ZN7rocprim17ROCPRIM_400000_NS6detail17trampoline_kernelINS0_14default_configENS1_25transform_config_selectorImLb1EEEZNS1_14transform_implILb1ES3_S5_PmPlNS0_8identityIvEEEE10hipError_tT2_T3_mT4_P12ihipStream_tbEUlT_E_NS1_11comp_targetILNS1_3genE8ELNS1_11target_archE1030ELNS1_3gpuE2ELNS1_3repE0EEENS1_30default_config_static_selectorELNS0_4arch9wavefront6targetE0EEEvT1_.kd
    .uniform_work_group_size: 1
    .uses_dynamic_stack: false
    .vgpr_count:     0
    .vgpr_spill_count: 0
    .wavefront_size: 32
    .workgroup_processor_mode: 1
  - .args:
      - .address_space:  global
        .offset:         0
        .size:           8
        .value_kind:     global_buffer
      - .offset:         8
        .size:           4
        .value_kind:     by_value
      - .address_space:  global
        .offset:         16
        .size:           8
        .value_kind:     global_buffer
      - .offset:         24
        .size:           4
        .value_kind:     by_value
      - .address_space:  global
        .offset:         32
        .size:           8
        .value_kind:     global_buffer
      - .offset:         40
        .size:           4
        .value_kind:     hidden_block_count_x
      - .offset:         44
        .size:           4
        .value_kind:     hidden_block_count_y
      - .offset:         48
        .size:           4
        .value_kind:     hidden_block_count_z
      - .offset:         52
        .size:           2
        .value_kind:     hidden_group_size_x
      - .offset:         54
        .size:           2
        .value_kind:     hidden_group_size_y
      - .offset:         56
        .size:           2
        .value_kind:     hidden_group_size_z
      - .offset:         58
        .size:           2
        .value_kind:     hidden_remainder_x
      - .offset:         60
        .size:           2
        .value_kind:     hidden_remainder_y
      - .offset:         62
        .size:           2
        .value_kind:     hidden_remainder_z
      - .offset:         80
        .size:           8
        .value_kind:     hidden_global_offset_x
      - .offset:         88
        .size:           8
        .value_kind:     hidden_global_offset_y
      - .offset:         96
        .size:           8
        .value_kind:     hidden_global_offset_z
      - .offset:         104
        .size:           2
        .value_kind:     hidden_grid_dims
    .group_segment_fixed_size: 0
    .kernarg_segment_align: 8
    .kernarg_segment_size: 296
    .language:       OpenCL C
    .language_version:
      - 2
      - 0
    .max_flat_workgroup_size: 256
    .name:           _ZN7rocprim17ROCPRIM_400000_NS6detail31init_lookback_scan_state_kernelINS1_19lookback_scan_stateImLb1ELb1EEENS1_16block_id_wrapperIjLb1EEEEEvT_jT0_jPNS7_10value_typeE
    .private_segment_fixed_size: 0
    .sgpr_count:     18
    .sgpr_spill_count: 0
    .symbol:         _ZN7rocprim17ROCPRIM_400000_NS6detail31init_lookback_scan_state_kernelINS1_19lookback_scan_stateImLb1ELb1EEENS1_16block_id_wrapperIjLb1EEEEEvT_jT0_jPNS7_10value_typeE.kd
    .uniform_work_group_size: 1
    .uses_dynamic_stack: false
    .vgpr_count:     9
    .vgpr_spill_count: 0
    .wavefront_size: 32
    .workgroup_processor_mode: 1
  - .args:
      - .offset:         0
        .size:           128
        .value_kind:     by_value
    .group_segment_fixed_size: 0
    .kernarg_segment_align: 8
    .kernarg_segment_size: 128
    .language:       OpenCL C
    .language_version:
      - 2
      - 0
    .max_flat_workgroup_size: 128
    .name:           _ZN7rocprim17ROCPRIM_400000_NS6detail17trampoline_kernelINS0_14default_configENS1_25partition_config_selectorILNS1_17partition_subalgoE6EdNS0_10empty_typeEbEEZZNS1_14partition_implILS5_6ELb0ES3_mN6thrust23THRUST_200600_302600_NS6detail15normal_iteratorINSA_10device_ptrIdEEEEPS6_SG_NS0_5tupleIJSF_S6_EEENSH_IJSG_SG_EEES6_PlJ7is_evenIdEEEE10hipError_tPvRmT3_T4_T5_T6_T7_T9_mT8_P12ihipStream_tbDpT10_ENKUlT_T0_E_clISt17integral_constantIbLb1EES16_EEDaS11_S12_EUlS11_E_NS1_11comp_targetILNS1_3genE0ELNS1_11target_archE4294967295ELNS1_3gpuE0ELNS1_3repE0EEENS1_30default_config_static_selectorELNS0_4arch9wavefront6targetE0EEEvT1_
    .private_segment_fixed_size: 0
    .sgpr_count:     0
    .sgpr_spill_count: 0
    .symbol:         _ZN7rocprim17ROCPRIM_400000_NS6detail17trampoline_kernelINS0_14default_configENS1_25partition_config_selectorILNS1_17partition_subalgoE6EdNS0_10empty_typeEbEEZZNS1_14partition_implILS5_6ELb0ES3_mN6thrust23THRUST_200600_302600_NS6detail15normal_iteratorINSA_10device_ptrIdEEEEPS6_SG_NS0_5tupleIJSF_S6_EEENSH_IJSG_SG_EEES6_PlJ7is_evenIdEEEE10hipError_tPvRmT3_T4_T5_T6_T7_T9_mT8_P12ihipStream_tbDpT10_ENKUlT_T0_E_clISt17integral_constantIbLb1EES16_EEDaS11_S12_EUlS11_E_NS1_11comp_targetILNS1_3genE0ELNS1_11target_archE4294967295ELNS1_3gpuE0ELNS1_3repE0EEENS1_30default_config_static_selectorELNS0_4arch9wavefront6targetE0EEEvT1_.kd
    .uniform_work_group_size: 1
    .uses_dynamic_stack: false
    .vgpr_count:     0
    .vgpr_spill_count: 0
    .wavefront_size: 32
    .workgroup_processor_mode: 1
  - .args:
      - .offset:         0
        .size:           128
        .value_kind:     by_value
    .group_segment_fixed_size: 0
    .kernarg_segment_align: 8
    .kernarg_segment_size: 128
    .language:       OpenCL C
    .language_version:
      - 2
      - 0
    .max_flat_workgroup_size: 512
    .name:           _ZN7rocprim17ROCPRIM_400000_NS6detail17trampoline_kernelINS0_14default_configENS1_25partition_config_selectorILNS1_17partition_subalgoE6EdNS0_10empty_typeEbEEZZNS1_14partition_implILS5_6ELb0ES3_mN6thrust23THRUST_200600_302600_NS6detail15normal_iteratorINSA_10device_ptrIdEEEEPS6_SG_NS0_5tupleIJSF_S6_EEENSH_IJSG_SG_EEES6_PlJ7is_evenIdEEEE10hipError_tPvRmT3_T4_T5_T6_T7_T9_mT8_P12ihipStream_tbDpT10_ENKUlT_T0_E_clISt17integral_constantIbLb1EES16_EEDaS11_S12_EUlS11_E_NS1_11comp_targetILNS1_3genE5ELNS1_11target_archE942ELNS1_3gpuE9ELNS1_3repE0EEENS1_30default_config_static_selectorELNS0_4arch9wavefront6targetE0EEEvT1_
    .private_segment_fixed_size: 0
    .sgpr_count:     0
    .sgpr_spill_count: 0
    .symbol:         _ZN7rocprim17ROCPRIM_400000_NS6detail17trampoline_kernelINS0_14default_configENS1_25partition_config_selectorILNS1_17partition_subalgoE6EdNS0_10empty_typeEbEEZZNS1_14partition_implILS5_6ELb0ES3_mN6thrust23THRUST_200600_302600_NS6detail15normal_iteratorINSA_10device_ptrIdEEEEPS6_SG_NS0_5tupleIJSF_S6_EEENSH_IJSG_SG_EEES6_PlJ7is_evenIdEEEE10hipError_tPvRmT3_T4_T5_T6_T7_T9_mT8_P12ihipStream_tbDpT10_ENKUlT_T0_E_clISt17integral_constantIbLb1EES16_EEDaS11_S12_EUlS11_E_NS1_11comp_targetILNS1_3genE5ELNS1_11target_archE942ELNS1_3gpuE9ELNS1_3repE0EEENS1_30default_config_static_selectorELNS0_4arch9wavefront6targetE0EEEvT1_.kd
    .uniform_work_group_size: 1
    .uses_dynamic_stack: false
    .vgpr_count:     0
    .vgpr_spill_count: 0
    .wavefront_size: 32
    .workgroup_processor_mode: 1
  - .args:
      - .offset:         0
        .size:           128
        .value_kind:     by_value
    .group_segment_fixed_size: 0
    .kernarg_segment_align: 8
    .kernarg_segment_size: 128
    .language:       OpenCL C
    .language_version:
      - 2
      - 0
    .max_flat_workgroup_size: 128
    .name:           _ZN7rocprim17ROCPRIM_400000_NS6detail17trampoline_kernelINS0_14default_configENS1_25partition_config_selectorILNS1_17partition_subalgoE6EdNS0_10empty_typeEbEEZZNS1_14partition_implILS5_6ELb0ES3_mN6thrust23THRUST_200600_302600_NS6detail15normal_iteratorINSA_10device_ptrIdEEEEPS6_SG_NS0_5tupleIJSF_S6_EEENSH_IJSG_SG_EEES6_PlJ7is_evenIdEEEE10hipError_tPvRmT3_T4_T5_T6_T7_T9_mT8_P12ihipStream_tbDpT10_ENKUlT_T0_E_clISt17integral_constantIbLb1EES16_EEDaS11_S12_EUlS11_E_NS1_11comp_targetILNS1_3genE4ELNS1_11target_archE910ELNS1_3gpuE8ELNS1_3repE0EEENS1_30default_config_static_selectorELNS0_4arch9wavefront6targetE0EEEvT1_
    .private_segment_fixed_size: 0
    .sgpr_count:     0
    .sgpr_spill_count: 0
    .symbol:         _ZN7rocprim17ROCPRIM_400000_NS6detail17trampoline_kernelINS0_14default_configENS1_25partition_config_selectorILNS1_17partition_subalgoE6EdNS0_10empty_typeEbEEZZNS1_14partition_implILS5_6ELb0ES3_mN6thrust23THRUST_200600_302600_NS6detail15normal_iteratorINSA_10device_ptrIdEEEEPS6_SG_NS0_5tupleIJSF_S6_EEENSH_IJSG_SG_EEES6_PlJ7is_evenIdEEEE10hipError_tPvRmT3_T4_T5_T6_T7_T9_mT8_P12ihipStream_tbDpT10_ENKUlT_T0_E_clISt17integral_constantIbLb1EES16_EEDaS11_S12_EUlS11_E_NS1_11comp_targetILNS1_3genE4ELNS1_11target_archE910ELNS1_3gpuE8ELNS1_3repE0EEENS1_30default_config_static_selectorELNS0_4arch9wavefront6targetE0EEEvT1_.kd
    .uniform_work_group_size: 1
    .uses_dynamic_stack: false
    .vgpr_count:     0
    .vgpr_spill_count: 0
    .wavefront_size: 32
    .workgroup_processor_mode: 1
  - .args:
      - .offset:         0
        .size:           128
        .value_kind:     by_value
    .group_segment_fixed_size: 0
    .kernarg_segment_align: 8
    .kernarg_segment_size: 128
    .language:       OpenCL C
    .language_version:
      - 2
      - 0
    .max_flat_workgroup_size: 128
    .name:           _ZN7rocprim17ROCPRIM_400000_NS6detail17trampoline_kernelINS0_14default_configENS1_25partition_config_selectorILNS1_17partition_subalgoE6EdNS0_10empty_typeEbEEZZNS1_14partition_implILS5_6ELb0ES3_mN6thrust23THRUST_200600_302600_NS6detail15normal_iteratorINSA_10device_ptrIdEEEEPS6_SG_NS0_5tupleIJSF_S6_EEENSH_IJSG_SG_EEES6_PlJ7is_evenIdEEEE10hipError_tPvRmT3_T4_T5_T6_T7_T9_mT8_P12ihipStream_tbDpT10_ENKUlT_T0_E_clISt17integral_constantIbLb1EES16_EEDaS11_S12_EUlS11_E_NS1_11comp_targetILNS1_3genE3ELNS1_11target_archE908ELNS1_3gpuE7ELNS1_3repE0EEENS1_30default_config_static_selectorELNS0_4arch9wavefront6targetE0EEEvT1_
    .private_segment_fixed_size: 0
    .sgpr_count:     0
    .sgpr_spill_count: 0
    .symbol:         _ZN7rocprim17ROCPRIM_400000_NS6detail17trampoline_kernelINS0_14default_configENS1_25partition_config_selectorILNS1_17partition_subalgoE6EdNS0_10empty_typeEbEEZZNS1_14partition_implILS5_6ELb0ES3_mN6thrust23THRUST_200600_302600_NS6detail15normal_iteratorINSA_10device_ptrIdEEEEPS6_SG_NS0_5tupleIJSF_S6_EEENSH_IJSG_SG_EEES6_PlJ7is_evenIdEEEE10hipError_tPvRmT3_T4_T5_T6_T7_T9_mT8_P12ihipStream_tbDpT10_ENKUlT_T0_E_clISt17integral_constantIbLb1EES16_EEDaS11_S12_EUlS11_E_NS1_11comp_targetILNS1_3genE3ELNS1_11target_archE908ELNS1_3gpuE7ELNS1_3repE0EEENS1_30default_config_static_selectorELNS0_4arch9wavefront6targetE0EEEvT1_.kd
    .uniform_work_group_size: 1
    .uses_dynamic_stack: false
    .vgpr_count:     0
    .vgpr_spill_count: 0
    .wavefront_size: 32
    .workgroup_processor_mode: 1
  - .args:
      - .offset:         0
        .size:           128
        .value_kind:     by_value
    .group_segment_fixed_size: 0
    .kernarg_segment_align: 8
    .kernarg_segment_size: 128
    .language:       OpenCL C
    .language_version:
      - 2
      - 0
    .max_flat_workgroup_size: 256
    .name:           _ZN7rocprim17ROCPRIM_400000_NS6detail17trampoline_kernelINS0_14default_configENS1_25partition_config_selectorILNS1_17partition_subalgoE6EdNS0_10empty_typeEbEEZZNS1_14partition_implILS5_6ELb0ES3_mN6thrust23THRUST_200600_302600_NS6detail15normal_iteratorINSA_10device_ptrIdEEEEPS6_SG_NS0_5tupleIJSF_S6_EEENSH_IJSG_SG_EEES6_PlJ7is_evenIdEEEE10hipError_tPvRmT3_T4_T5_T6_T7_T9_mT8_P12ihipStream_tbDpT10_ENKUlT_T0_E_clISt17integral_constantIbLb1EES16_EEDaS11_S12_EUlS11_E_NS1_11comp_targetILNS1_3genE2ELNS1_11target_archE906ELNS1_3gpuE6ELNS1_3repE0EEENS1_30default_config_static_selectorELNS0_4arch9wavefront6targetE0EEEvT1_
    .private_segment_fixed_size: 0
    .sgpr_count:     0
    .sgpr_spill_count: 0
    .symbol:         _ZN7rocprim17ROCPRIM_400000_NS6detail17trampoline_kernelINS0_14default_configENS1_25partition_config_selectorILNS1_17partition_subalgoE6EdNS0_10empty_typeEbEEZZNS1_14partition_implILS5_6ELb0ES3_mN6thrust23THRUST_200600_302600_NS6detail15normal_iteratorINSA_10device_ptrIdEEEEPS6_SG_NS0_5tupleIJSF_S6_EEENSH_IJSG_SG_EEES6_PlJ7is_evenIdEEEE10hipError_tPvRmT3_T4_T5_T6_T7_T9_mT8_P12ihipStream_tbDpT10_ENKUlT_T0_E_clISt17integral_constantIbLb1EES16_EEDaS11_S12_EUlS11_E_NS1_11comp_targetILNS1_3genE2ELNS1_11target_archE906ELNS1_3gpuE6ELNS1_3repE0EEENS1_30default_config_static_selectorELNS0_4arch9wavefront6targetE0EEEvT1_.kd
    .uniform_work_group_size: 1
    .uses_dynamic_stack: false
    .vgpr_count:     0
    .vgpr_spill_count: 0
    .wavefront_size: 32
    .workgroup_processor_mode: 1
  - .args:
      - .offset:         0
        .size:           128
        .value_kind:     by_value
    .group_segment_fixed_size: 0
    .kernarg_segment_align: 8
    .kernarg_segment_size: 128
    .language:       OpenCL C
    .language_version:
      - 2
      - 0
    .max_flat_workgroup_size: 256
    .name:           _ZN7rocprim17ROCPRIM_400000_NS6detail17trampoline_kernelINS0_14default_configENS1_25partition_config_selectorILNS1_17partition_subalgoE6EdNS0_10empty_typeEbEEZZNS1_14partition_implILS5_6ELb0ES3_mN6thrust23THRUST_200600_302600_NS6detail15normal_iteratorINSA_10device_ptrIdEEEEPS6_SG_NS0_5tupleIJSF_S6_EEENSH_IJSG_SG_EEES6_PlJ7is_evenIdEEEE10hipError_tPvRmT3_T4_T5_T6_T7_T9_mT8_P12ihipStream_tbDpT10_ENKUlT_T0_E_clISt17integral_constantIbLb1EES16_EEDaS11_S12_EUlS11_E_NS1_11comp_targetILNS1_3genE10ELNS1_11target_archE1200ELNS1_3gpuE4ELNS1_3repE0EEENS1_30default_config_static_selectorELNS0_4arch9wavefront6targetE0EEEvT1_
    .private_segment_fixed_size: 0
    .sgpr_count:     0
    .sgpr_spill_count: 0
    .symbol:         _ZN7rocprim17ROCPRIM_400000_NS6detail17trampoline_kernelINS0_14default_configENS1_25partition_config_selectorILNS1_17partition_subalgoE6EdNS0_10empty_typeEbEEZZNS1_14partition_implILS5_6ELb0ES3_mN6thrust23THRUST_200600_302600_NS6detail15normal_iteratorINSA_10device_ptrIdEEEEPS6_SG_NS0_5tupleIJSF_S6_EEENSH_IJSG_SG_EEES6_PlJ7is_evenIdEEEE10hipError_tPvRmT3_T4_T5_T6_T7_T9_mT8_P12ihipStream_tbDpT10_ENKUlT_T0_E_clISt17integral_constantIbLb1EES16_EEDaS11_S12_EUlS11_E_NS1_11comp_targetILNS1_3genE10ELNS1_11target_archE1200ELNS1_3gpuE4ELNS1_3repE0EEENS1_30default_config_static_selectorELNS0_4arch9wavefront6targetE0EEEvT1_.kd
    .uniform_work_group_size: 1
    .uses_dynamic_stack: false
    .vgpr_count:     0
    .vgpr_spill_count: 0
    .wavefront_size: 32
    .workgroup_processor_mode: 1
  - .args:
      - .offset:         0
        .size:           128
        .value_kind:     by_value
    .group_segment_fixed_size: 18448
    .kernarg_segment_align: 8
    .kernarg_segment_size: 128
    .language:       OpenCL C
    .language_version:
      - 2
      - 0
    .max_flat_workgroup_size: 384
    .name:           _ZN7rocprim17ROCPRIM_400000_NS6detail17trampoline_kernelINS0_14default_configENS1_25partition_config_selectorILNS1_17partition_subalgoE6EdNS0_10empty_typeEbEEZZNS1_14partition_implILS5_6ELb0ES3_mN6thrust23THRUST_200600_302600_NS6detail15normal_iteratorINSA_10device_ptrIdEEEEPS6_SG_NS0_5tupleIJSF_S6_EEENSH_IJSG_SG_EEES6_PlJ7is_evenIdEEEE10hipError_tPvRmT3_T4_T5_T6_T7_T9_mT8_P12ihipStream_tbDpT10_ENKUlT_T0_E_clISt17integral_constantIbLb1EES16_EEDaS11_S12_EUlS11_E_NS1_11comp_targetILNS1_3genE9ELNS1_11target_archE1100ELNS1_3gpuE3ELNS1_3repE0EEENS1_30default_config_static_selectorELNS0_4arch9wavefront6targetE0EEEvT1_
    .private_segment_fixed_size: 0
    .sgpr_count:     20
    .sgpr_spill_count: 0
    .symbol:         _ZN7rocprim17ROCPRIM_400000_NS6detail17trampoline_kernelINS0_14default_configENS1_25partition_config_selectorILNS1_17partition_subalgoE6EdNS0_10empty_typeEbEEZZNS1_14partition_implILS5_6ELb0ES3_mN6thrust23THRUST_200600_302600_NS6detail15normal_iteratorINSA_10device_ptrIdEEEEPS6_SG_NS0_5tupleIJSF_S6_EEENSH_IJSG_SG_EEES6_PlJ7is_evenIdEEEE10hipError_tPvRmT3_T4_T5_T6_T7_T9_mT8_P12ihipStream_tbDpT10_ENKUlT_T0_E_clISt17integral_constantIbLb1EES16_EEDaS11_S12_EUlS11_E_NS1_11comp_targetILNS1_3genE9ELNS1_11target_archE1100ELNS1_3gpuE3ELNS1_3repE0EEENS1_30default_config_static_selectorELNS0_4arch9wavefront6targetE0EEEvT1_.kd
    .uniform_work_group_size: 1
    .uses_dynamic_stack: false
    .vgpr_count:     56
    .vgpr_spill_count: 0
    .wavefront_size: 32
    .workgroup_processor_mode: 1
  - .args:
      - .offset:         0
        .size:           128
        .value_kind:     by_value
    .group_segment_fixed_size: 0
    .kernarg_segment_align: 8
    .kernarg_segment_size: 128
    .language:       OpenCL C
    .language_version:
      - 2
      - 0
    .max_flat_workgroup_size: 512
    .name:           _ZN7rocprim17ROCPRIM_400000_NS6detail17trampoline_kernelINS0_14default_configENS1_25partition_config_selectorILNS1_17partition_subalgoE6EdNS0_10empty_typeEbEEZZNS1_14partition_implILS5_6ELb0ES3_mN6thrust23THRUST_200600_302600_NS6detail15normal_iteratorINSA_10device_ptrIdEEEEPS6_SG_NS0_5tupleIJSF_S6_EEENSH_IJSG_SG_EEES6_PlJ7is_evenIdEEEE10hipError_tPvRmT3_T4_T5_T6_T7_T9_mT8_P12ihipStream_tbDpT10_ENKUlT_T0_E_clISt17integral_constantIbLb1EES16_EEDaS11_S12_EUlS11_E_NS1_11comp_targetILNS1_3genE8ELNS1_11target_archE1030ELNS1_3gpuE2ELNS1_3repE0EEENS1_30default_config_static_selectorELNS0_4arch9wavefront6targetE0EEEvT1_
    .private_segment_fixed_size: 0
    .sgpr_count:     0
    .sgpr_spill_count: 0
    .symbol:         _ZN7rocprim17ROCPRIM_400000_NS6detail17trampoline_kernelINS0_14default_configENS1_25partition_config_selectorILNS1_17partition_subalgoE6EdNS0_10empty_typeEbEEZZNS1_14partition_implILS5_6ELb0ES3_mN6thrust23THRUST_200600_302600_NS6detail15normal_iteratorINSA_10device_ptrIdEEEEPS6_SG_NS0_5tupleIJSF_S6_EEENSH_IJSG_SG_EEES6_PlJ7is_evenIdEEEE10hipError_tPvRmT3_T4_T5_T6_T7_T9_mT8_P12ihipStream_tbDpT10_ENKUlT_T0_E_clISt17integral_constantIbLb1EES16_EEDaS11_S12_EUlS11_E_NS1_11comp_targetILNS1_3genE8ELNS1_11target_archE1030ELNS1_3gpuE2ELNS1_3repE0EEENS1_30default_config_static_selectorELNS0_4arch9wavefront6targetE0EEEvT1_.kd
    .uniform_work_group_size: 1
    .uses_dynamic_stack: false
    .vgpr_count:     0
    .vgpr_spill_count: 0
    .wavefront_size: 32
    .workgroup_processor_mode: 1
  - .args:
      - .address_space:  global
        .offset:         0
        .size:           8
        .value_kind:     global_buffer
      - .offset:         8
        .size:           4
        .value_kind:     by_value
      - .offset:         12
        .size:           1
        .value_kind:     by_value
      - .offset:         16
        .size:           4
        .value_kind:     by_value
      - .address_space:  global
        .offset:         24
        .size:           8
        .value_kind:     global_buffer
      - .offset:         32
        .size:           4
        .value_kind:     hidden_block_count_x
      - .offset:         36
        .size:           4
        .value_kind:     hidden_block_count_y
      - .offset:         40
        .size:           4
        .value_kind:     hidden_block_count_z
      - .offset:         44
        .size:           2
        .value_kind:     hidden_group_size_x
      - .offset:         46
        .size:           2
        .value_kind:     hidden_group_size_y
      - .offset:         48
        .size:           2
        .value_kind:     hidden_group_size_z
      - .offset:         50
        .size:           2
        .value_kind:     hidden_remainder_x
      - .offset:         52
        .size:           2
        .value_kind:     hidden_remainder_y
      - .offset:         54
        .size:           2
        .value_kind:     hidden_remainder_z
      - .offset:         72
        .size:           8
        .value_kind:     hidden_global_offset_x
      - .offset:         80
        .size:           8
        .value_kind:     hidden_global_offset_y
      - .offset:         88
        .size:           8
        .value_kind:     hidden_global_offset_z
      - .offset:         96
        .size:           2
        .value_kind:     hidden_grid_dims
    .group_segment_fixed_size: 0
    .kernarg_segment_align: 8
    .kernarg_segment_size: 288
    .language:       OpenCL C
    .language_version:
      - 2
      - 0
    .max_flat_workgroup_size: 256
    .name:           _ZN7rocprim17ROCPRIM_400000_NS6detail31init_lookback_scan_state_kernelINS1_19lookback_scan_stateImLb1ELb1EEENS1_16block_id_wrapperIjLb0EEEEEvT_jT0_jPNS7_10value_typeE
    .private_segment_fixed_size: 0
    .sgpr_count:     18
    .sgpr_spill_count: 0
    .symbol:         _ZN7rocprim17ROCPRIM_400000_NS6detail31init_lookback_scan_state_kernelINS1_19lookback_scan_stateImLb1ELb1EEENS1_16block_id_wrapperIjLb0EEEEEvT_jT0_jPNS7_10value_typeE.kd
    .uniform_work_group_size: 1
    .uses_dynamic_stack: false
    .vgpr_count:     9
    .vgpr_spill_count: 0
    .wavefront_size: 32
    .workgroup_processor_mode: 1
  - .args:
      - .offset:         0
        .size:           112
        .value_kind:     by_value
    .group_segment_fixed_size: 0
    .kernarg_segment_align: 8
    .kernarg_segment_size: 112
    .language:       OpenCL C
    .language_version:
      - 2
      - 0
    .max_flat_workgroup_size: 128
    .name:           _ZN7rocprim17ROCPRIM_400000_NS6detail17trampoline_kernelINS0_14default_configENS1_25partition_config_selectorILNS1_17partition_subalgoE6EdNS0_10empty_typeEbEEZZNS1_14partition_implILS5_6ELb0ES3_mN6thrust23THRUST_200600_302600_NS6detail15normal_iteratorINSA_10device_ptrIdEEEEPS6_SG_NS0_5tupleIJSF_S6_EEENSH_IJSG_SG_EEES6_PlJ7is_evenIdEEEE10hipError_tPvRmT3_T4_T5_T6_T7_T9_mT8_P12ihipStream_tbDpT10_ENKUlT_T0_E_clISt17integral_constantIbLb1EES15_IbLb0EEEEDaS11_S12_EUlS11_E_NS1_11comp_targetILNS1_3genE0ELNS1_11target_archE4294967295ELNS1_3gpuE0ELNS1_3repE0EEENS1_30default_config_static_selectorELNS0_4arch9wavefront6targetE0EEEvT1_
    .private_segment_fixed_size: 0
    .sgpr_count:     0
    .sgpr_spill_count: 0
    .symbol:         _ZN7rocprim17ROCPRIM_400000_NS6detail17trampoline_kernelINS0_14default_configENS1_25partition_config_selectorILNS1_17partition_subalgoE6EdNS0_10empty_typeEbEEZZNS1_14partition_implILS5_6ELb0ES3_mN6thrust23THRUST_200600_302600_NS6detail15normal_iteratorINSA_10device_ptrIdEEEEPS6_SG_NS0_5tupleIJSF_S6_EEENSH_IJSG_SG_EEES6_PlJ7is_evenIdEEEE10hipError_tPvRmT3_T4_T5_T6_T7_T9_mT8_P12ihipStream_tbDpT10_ENKUlT_T0_E_clISt17integral_constantIbLb1EES15_IbLb0EEEEDaS11_S12_EUlS11_E_NS1_11comp_targetILNS1_3genE0ELNS1_11target_archE4294967295ELNS1_3gpuE0ELNS1_3repE0EEENS1_30default_config_static_selectorELNS0_4arch9wavefront6targetE0EEEvT1_.kd
    .uniform_work_group_size: 1
    .uses_dynamic_stack: false
    .vgpr_count:     0
    .vgpr_spill_count: 0
    .wavefront_size: 32
    .workgroup_processor_mode: 1
  - .args:
      - .offset:         0
        .size:           112
        .value_kind:     by_value
    .group_segment_fixed_size: 0
    .kernarg_segment_align: 8
    .kernarg_segment_size: 112
    .language:       OpenCL C
    .language_version:
      - 2
      - 0
    .max_flat_workgroup_size: 512
    .name:           _ZN7rocprim17ROCPRIM_400000_NS6detail17trampoline_kernelINS0_14default_configENS1_25partition_config_selectorILNS1_17partition_subalgoE6EdNS0_10empty_typeEbEEZZNS1_14partition_implILS5_6ELb0ES3_mN6thrust23THRUST_200600_302600_NS6detail15normal_iteratorINSA_10device_ptrIdEEEEPS6_SG_NS0_5tupleIJSF_S6_EEENSH_IJSG_SG_EEES6_PlJ7is_evenIdEEEE10hipError_tPvRmT3_T4_T5_T6_T7_T9_mT8_P12ihipStream_tbDpT10_ENKUlT_T0_E_clISt17integral_constantIbLb1EES15_IbLb0EEEEDaS11_S12_EUlS11_E_NS1_11comp_targetILNS1_3genE5ELNS1_11target_archE942ELNS1_3gpuE9ELNS1_3repE0EEENS1_30default_config_static_selectorELNS0_4arch9wavefront6targetE0EEEvT1_
    .private_segment_fixed_size: 0
    .sgpr_count:     0
    .sgpr_spill_count: 0
    .symbol:         _ZN7rocprim17ROCPRIM_400000_NS6detail17trampoline_kernelINS0_14default_configENS1_25partition_config_selectorILNS1_17partition_subalgoE6EdNS0_10empty_typeEbEEZZNS1_14partition_implILS5_6ELb0ES3_mN6thrust23THRUST_200600_302600_NS6detail15normal_iteratorINSA_10device_ptrIdEEEEPS6_SG_NS0_5tupleIJSF_S6_EEENSH_IJSG_SG_EEES6_PlJ7is_evenIdEEEE10hipError_tPvRmT3_T4_T5_T6_T7_T9_mT8_P12ihipStream_tbDpT10_ENKUlT_T0_E_clISt17integral_constantIbLb1EES15_IbLb0EEEEDaS11_S12_EUlS11_E_NS1_11comp_targetILNS1_3genE5ELNS1_11target_archE942ELNS1_3gpuE9ELNS1_3repE0EEENS1_30default_config_static_selectorELNS0_4arch9wavefront6targetE0EEEvT1_.kd
    .uniform_work_group_size: 1
    .uses_dynamic_stack: false
    .vgpr_count:     0
    .vgpr_spill_count: 0
    .wavefront_size: 32
    .workgroup_processor_mode: 1
  - .args:
      - .offset:         0
        .size:           112
        .value_kind:     by_value
    .group_segment_fixed_size: 0
    .kernarg_segment_align: 8
    .kernarg_segment_size: 112
    .language:       OpenCL C
    .language_version:
      - 2
      - 0
    .max_flat_workgroup_size: 128
    .name:           _ZN7rocprim17ROCPRIM_400000_NS6detail17trampoline_kernelINS0_14default_configENS1_25partition_config_selectorILNS1_17partition_subalgoE6EdNS0_10empty_typeEbEEZZNS1_14partition_implILS5_6ELb0ES3_mN6thrust23THRUST_200600_302600_NS6detail15normal_iteratorINSA_10device_ptrIdEEEEPS6_SG_NS0_5tupleIJSF_S6_EEENSH_IJSG_SG_EEES6_PlJ7is_evenIdEEEE10hipError_tPvRmT3_T4_T5_T6_T7_T9_mT8_P12ihipStream_tbDpT10_ENKUlT_T0_E_clISt17integral_constantIbLb1EES15_IbLb0EEEEDaS11_S12_EUlS11_E_NS1_11comp_targetILNS1_3genE4ELNS1_11target_archE910ELNS1_3gpuE8ELNS1_3repE0EEENS1_30default_config_static_selectorELNS0_4arch9wavefront6targetE0EEEvT1_
    .private_segment_fixed_size: 0
    .sgpr_count:     0
    .sgpr_spill_count: 0
    .symbol:         _ZN7rocprim17ROCPRIM_400000_NS6detail17trampoline_kernelINS0_14default_configENS1_25partition_config_selectorILNS1_17partition_subalgoE6EdNS0_10empty_typeEbEEZZNS1_14partition_implILS5_6ELb0ES3_mN6thrust23THRUST_200600_302600_NS6detail15normal_iteratorINSA_10device_ptrIdEEEEPS6_SG_NS0_5tupleIJSF_S6_EEENSH_IJSG_SG_EEES6_PlJ7is_evenIdEEEE10hipError_tPvRmT3_T4_T5_T6_T7_T9_mT8_P12ihipStream_tbDpT10_ENKUlT_T0_E_clISt17integral_constantIbLb1EES15_IbLb0EEEEDaS11_S12_EUlS11_E_NS1_11comp_targetILNS1_3genE4ELNS1_11target_archE910ELNS1_3gpuE8ELNS1_3repE0EEENS1_30default_config_static_selectorELNS0_4arch9wavefront6targetE0EEEvT1_.kd
    .uniform_work_group_size: 1
    .uses_dynamic_stack: false
    .vgpr_count:     0
    .vgpr_spill_count: 0
    .wavefront_size: 32
    .workgroup_processor_mode: 1
  - .args:
      - .offset:         0
        .size:           112
        .value_kind:     by_value
    .group_segment_fixed_size: 0
    .kernarg_segment_align: 8
    .kernarg_segment_size: 112
    .language:       OpenCL C
    .language_version:
      - 2
      - 0
    .max_flat_workgroup_size: 128
    .name:           _ZN7rocprim17ROCPRIM_400000_NS6detail17trampoline_kernelINS0_14default_configENS1_25partition_config_selectorILNS1_17partition_subalgoE6EdNS0_10empty_typeEbEEZZNS1_14partition_implILS5_6ELb0ES3_mN6thrust23THRUST_200600_302600_NS6detail15normal_iteratorINSA_10device_ptrIdEEEEPS6_SG_NS0_5tupleIJSF_S6_EEENSH_IJSG_SG_EEES6_PlJ7is_evenIdEEEE10hipError_tPvRmT3_T4_T5_T6_T7_T9_mT8_P12ihipStream_tbDpT10_ENKUlT_T0_E_clISt17integral_constantIbLb1EES15_IbLb0EEEEDaS11_S12_EUlS11_E_NS1_11comp_targetILNS1_3genE3ELNS1_11target_archE908ELNS1_3gpuE7ELNS1_3repE0EEENS1_30default_config_static_selectorELNS0_4arch9wavefront6targetE0EEEvT1_
    .private_segment_fixed_size: 0
    .sgpr_count:     0
    .sgpr_spill_count: 0
    .symbol:         _ZN7rocprim17ROCPRIM_400000_NS6detail17trampoline_kernelINS0_14default_configENS1_25partition_config_selectorILNS1_17partition_subalgoE6EdNS0_10empty_typeEbEEZZNS1_14partition_implILS5_6ELb0ES3_mN6thrust23THRUST_200600_302600_NS6detail15normal_iteratorINSA_10device_ptrIdEEEEPS6_SG_NS0_5tupleIJSF_S6_EEENSH_IJSG_SG_EEES6_PlJ7is_evenIdEEEE10hipError_tPvRmT3_T4_T5_T6_T7_T9_mT8_P12ihipStream_tbDpT10_ENKUlT_T0_E_clISt17integral_constantIbLb1EES15_IbLb0EEEEDaS11_S12_EUlS11_E_NS1_11comp_targetILNS1_3genE3ELNS1_11target_archE908ELNS1_3gpuE7ELNS1_3repE0EEENS1_30default_config_static_selectorELNS0_4arch9wavefront6targetE0EEEvT1_.kd
    .uniform_work_group_size: 1
    .uses_dynamic_stack: false
    .vgpr_count:     0
    .vgpr_spill_count: 0
    .wavefront_size: 32
    .workgroup_processor_mode: 1
  - .args:
      - .offset:         0
        .size:           112
        .value_kind:     by_value
    .group_segment_fixed_size: 0
    .kernarg_segment_align: 8
    .kernarg_segment_size: 112
    .language:       OpenCL C
    .language_version:
      - 2
      - 0
    .max_flat_workgroup_size: 256
    .name:           _ZN7rocprim17ROCPRIM_400000_NS6detail17trampoline_kernelINS0_14default_configENS1_25partition_config_selectorILNS1_17partition_subalgoE6EdNS0_10empty_typeEbEEZZNS1_14partition_implILS5_6ELb0ES3_mN6thrust23THRUST_200600_302600_NS6detail15normal_iteratorINSA_10device_ptrIdEEEEPS6_SG_NS0_5tupleIJSF_S6_EEENSH_IJSG_SG_EEES6_PlJ7is_evenIdEEEE10hipError_tPvRmT3_T4_T5_T6_T7_T9_mT8_P12ihipStream_tbDpT10_ENKUlT_T0_E_clISt17integral_constantIbLb1EES15_IbLb0EEEEDaS11_S12_EUlS11_E_NS1_11comp_targetILNS1_3genE2ELNS1_11target_archE906ELNS1_3gpuE6ELNS1_3repE0EEENS1_30default_config_static_selectorELNS0_4arch9wavefront6targetE0EEEvT1_
    .private_segment_fixed_size: 0
    .sgpr_count:     0
    .sgpr_spill_count: 0
    .symbol:         _ZN7rocprim17ROCPRIM_400000_NS6detail17trampoline_kernelINS0_14default_configENS1_25partition_config_selectorILNS1_17partition_subalgoE6EdNS0_10empty_typeEbEEZZNS1_14partition_implILS5_6ELb0ES3_mN6thrust23THRUST_200600_302600_NS6detail15normal_iteratorINSA_10device_ptrIdEEEEPS6_SG_NS0_5tupleIJSF_S6_EEENSH_IJSG_SG_EEES6_PlJ7is_evenIdEEEE10hipError_tPvRmT3_T4_T5_T6_T7_T9_mT8_P12ihipStream_tbDpT10_ENKUlT_T0_E_clISt17integral_constantIbLb1EES15_IbLb0EEEEDaS11_S12_EUlS11_E_NS1_11comp_targetILNS1_3genE2ELNS1_11target_archE906ELNS1_3gpuE6ELNS1_3repE0EEENS1_30default_config_static_selectorELNS0_4arch9wavefront6targetE0EEEvT1_.kd
    .uniform_work_group_size: 1
    .uses_dynamic_stack: false
    .vgpr_count:     0
    .vgpr_spill_count: 0
    .wavefront_size: 32
    .workgroup_processor_mode: 1
  - .args:
      - .offset:         0
        .size:           112
        .value_kind:     by_value
    .group_segment_fixed_size: 0
    .kernarg_segment_align: 8
    .kernarg_segment_size: 112
    .language:       OpenCL C
    .language_version:
      - 2
      - 0
    .max_flat_workgroup_size: 256
    .name:           _ZN7rocprim17ROCPRIM_400000_NS6detail17trampoline_kernelINS0_14default_configENS1_25partition_config_selectorILNS1_17partition_subalgoE6EdNS0_10empty_typeEbEEZZNS1_14partition_implILS5_6ELb0ES3_mN6thrust23THRUST_200600_302600_NS6detail15normal_iteratorINSA_10device_ptrIdEEEEPS6_SG_NS0_5tupleIJSF_S6_EEENSH_IJSG_SG_EEES6_PlJ7is_evenIdEEEE10hipError_tPvRmT3_T4_T5_T6_T7_T9_mT8_P12ihipStream_tbDpT10_ENKUlT_T0_E_clISt17integral_constantIbLb1EES15_IbLb0EEEEDaS11_S12_EUlS11_E_NS1_11comp_targetILNS1_3genE10ELNS1_11target_archE1200ELNS1_3gpuE4ELNS1_3repE0EEENS1_30default_config_static_selectorELNS0_4arch9wavefront6targetE0EEEvT1_
    .private_segment_fixed_size: 0
    .sgpr_count:     0
    .sgpr_spill_count: 0
    .symbol:         _ZN7rocprim17ROCPRIM_400000_NS6detail17trampoline_kernelINS0_14default_configENS1_25partition_config_selectorILNS1_17partition_subalgoE6EdNS0_10empty_typeEbEEZZNS1_14partition_implILS5_6ELb0ES3_mN6thrust23THRUST_200600_302600_NS6detail15normal_iteratorINSA_10device_ptrIdEEEEPS6_SG_NS0_5tupleIJSF_S6_EEENSH_IJSG_SG_EEES6_PlJ7is_evenIdEEEE10hipError_tPvRmT3_T4_T5_T6_T7_T9_mT8_P12ihipStream_tbDpT10_ENKUlT_T0_E_clISt17integral_constantIbLb1EES15_IbLb0EEEEDaS11_S12_EUlS11_E_NS1_11comp_targetILNS1_3genE10ELNS1_11target_archE1200ELNS1_3gpuE4ELNS1_3repE0EEENS1_30default_config_static_selectorELNS0_4arch9wavefront6targetE0EEEvT1_.kd
    .uniform_work_group_size: 1
    .uses_dynamic_stack: false
    .vgpr_count:     0
    .vgpr_spill_count: 0
    .wavefront_size: 32
    .workgroup_processor_mode: 1
  - .args:
      - .offset:         0
        .size:           112
        .value_kind:     by_value
    .group_segment_fixed_size: 18448
    .kernarg_segment_align: 8
    .kernarg_segment_size: 112
    .language:       OpenCL C
    .language_version:
      - 2
      - 0
    .max_flat_workgroup_size: 384
    .name:           _ZN7rocprim17ROCPRIM_400000_NS6detail17trampoline_kernelINS0_14default_configENS1_25partition_config_selectorILNS1_17partition_subalgoE6EdNS0_10empty_typeEbEEZZNS1_14partition_implILS5_6ELb0ES3_mN6thrust23THRUST_200600_302600_NS6detail15normal_iteratorINSA_10device_ptrIdEEEEPS6_SG_NS0_5tupleIJSF_S6_EEENSH_IJSG_SG_EEES6_PlJ7is_evenIdEEEE10hipError_tPvRmT3_T4_T5_T6_T7_T9_mT8_P12ihipStream_tbDpT10_ENKUlT_T0_E_clISt17integral_constantIbLb1EES15_IbLb0EEEEDaS11_S12_EUlS11_E_NS1_11comp_targetILNS1_3genE9ELNS1_11target_archE1100ELNS1_3gpuE3ELNS1_3repE0EEENS1_30default_config_static_selectorELNS0_4arch9wavefront6targetE0EEEvT1_
    .private_segment_fixed_size: 0
    .sgpr_count:     22
    .sgpr_spill_count: 0
    .symbol:         _ZN7rocprim17ROCPRIM_400000_NS6detail17trampoline_kernelINS0_14default_configENS1_25partition_config_selectorILNS1_17partition_subalgoE6EdNS0_10empty_typeEbEEZZNS1_14partition_implILS5_6ELb0ES3_mN6thrust23THRUST_200600_302600_NS6detail15normal_iteratorINSA_10device_ptrIdEEEEPS6_SG_NS0_5tupleIJSF_S6_EEENSH_IJSG_SG_EEES6_PlJ7is_evenIdEEEE10hipError_tPvRmT3_T4_T5_T6_T7_T9_mT8_P12ihipStream_tbDpT10_ENKUlT_T0_E_clISt17integral_constantIbLb1EES15_IbLb0EEEEDaS11_S12_EUlS11_E_NS1_11comp_targetILNS1_3genE9ELNS1_11target_archE1100ELNS1_3gpuE3ELNS1_3repE0EEENS1_30default_config_static_selectorELNS0_4arch9wavefront6targetE0EEEvT1_.kd
    .uniform_work_group_size: 1
    .uses_dynamic_stack: false
    .vgpr_count:     54
    .vgpr_spill_count: 0
    .wavefront_size: 32
    .workgroup_processor_mode: 1
  - .args:
      - .offset:         0
        .size:           112
        .value_kind:     by_value
    .group_segment_fixed_size: 0
    .kernarg_segment_align: 8
    .kernarg_segment_size: 112
    .language:       OpenCL C
    .language_version:
      - 2
      - 0
    .max_flat_workgroup_size: 512
    .name:           _ZN7rocprim17ROCPRIM_400000_NS6detail17trampoline_kernelINS0_14default_configENS1_25partition_config_selectorILNS1_17partition_subalgoE6EdNS0_10empty_typeEbEEZZNS1_14partition_implILS5_6ELb0ES3_mN6thrust23THRUST_200600_302600_NS6detail15normal_iteratorINSA_10device_ptrIdEEEEPS6_SG_NS0_5tupleIJSF_S6_EEENSH_IJSG_SG_EEES6_PlJ7is_evenIdEEEE10hipError_tPvRmT3_T4_T5_T6_T7_T9_mT8_P12ihipStream_tbDpT10_ENKUlT_T0_E_clISt17integral_constantIbLb1EES15_IbLb0EEEEDaS11_S12_EUlS11_E_NS1_11comp_targetILNS1_3genE8ELNS1_11target_archE1030ELNS1_3gpuE2ELNS1_3repE0EEENS1_30default_config_static_selectorELNS0_4arch9wavefront6targetE0EEEvT1_
    .private_segment_fixed_size: 0
    .sgpr_count:     0
    .sgpr_spill_count: 0
    .symbol:         _ZN7rocprim17ROCPRIM_400000_NS6detail17trampoline_kernelINS0_14default_configENS1_25partition_config_selectorILNS1_17partition_subalgoE6EdNS0_10empty_typeEbEEZZNS1_14partition_implILS5_6ELb0ES3_mN6thrust23THRUST_200600_302600_NS6detail15normal_iteratorINSA_10device_ptrIdEEEEPS6_SG_NS0_5tupleIJSF_S6_EEENSH_IJSG_SG_EEES6_PlJ7is_evenIdEEEE10hipError_tPvRmT3_T4_T5_T6_T7_T9_mT8_P12ihipStream_tbDpT10_ENKUlT_T0_E_clISt17integral_constantIbLb1EES15_IbLb0EEEEDaS11_S12_EUlS11_E_NS1_11comp_targetILNS1_3genE8ELNS1_11target_archE1030ELNS1_3gpuE2ELNS1_3repE0EEENS1_30default_config_static_selectorELNS0_4arch9wavefront6targetE0EEEvT1_.kd
    .uniform_work_group_size: 1
    .uses_dynamic_stack: false
    .vgpr_count:     0
    .vgpr_spill_count: 0
    .wavefront_size: 32
    .workgroup_processor_mode: 1
  - .args:
      - .address_space:  global
        .offset:         0
        .size:           8
        .value_kind:     global_buffer
      - .offset:         8
        .size:           4
        .value_kind:     by_value
      - .address_space:  global
        .offset:         16
        .size:           8
        .value_kind:     global_buffer
      - .offset:         24
        .size:           4
        .value_kind:     by_value
      - .address_space:  global
        .offset:         32
        .size:           8
        .value_kind:     global_buffer
      - .offset:         40
        .size:           4
        .value_kind:     hidden_block_count_x
      - .offset:         44
        .size:           4
        .value_kind:     hidden_block_count_y
      - .offset:         48
        .size:           4
        .value_kind:     hidden_block_count_z
      - .offset:         52
        .size:           2
        .value_kind:     hidden_group_size_x
      - .offset:         54
        .size:           2
        .value_kind:     hidden_group_size_y
      - .offset:         56
        .size:           2
        .value_kind:     hidden_group_size_z
      - .offset:         58
        .size:           2
        .value_kind:     hidden_remainder_x
      - .offset:         60
        .size:           2
        .value_kind:     hidden_remainder_y
      - .offset:         62
        .size:           2
        .value_kind:     hidden_remainder_z
      - .offset:         80
        .size:           8
        .value_kind:     hidden_global_offset_x
      - .offset:         88
        .size:           8
        .value_kind:     hidden_global_offset_y
      - .offset:         96
        .size:           8
        .value_kind:     hidden_global_offset_z
      - .offset:         104
        .size:           2
        .value_kind:     hidden_grid_dims
    .group_segment_fixed_size: 0
    .kernarg_segment_align: 8
    .kernarg_segment_size: 296
    .language:       OpenCL C
    .language_version:
      - 2
      - 0
    .max_flat_workgroup_size: 256
    .name:           _ZN7rocprim17ROCPRIM_400000_NS6detail31init_lookback_scan_state_kernelINS1_19lookback_scan_stateImLb0ELb1EEENS1_16block_id_wrapperIjLb1EEEEEvT_jT0_jPNS7_10value_typeE
    .private_segment_fixed_size: 0
    .sgpr_count:     18
    .sgpr_spill_count: 0
    .symbol:         _ZN7rocprim17ROCPRIM_400000_NS6detail31init_lookback_scan_state_kernelINS1_19lookback_scan_stateImLb0ELb1EEENS1_16block_id_wrapperIjLb1EEEEEvT_jT0_jPNS7_10value_typeE.kd
    .uniform_work_group_size: 1
    .uses_dynamic_stack: false
    .vgpr_count:     9
    .vgpr_spill_count: 0
    .wavefront_size: 32
    .workgroup_processor_mode: 1
  - .args:
      - .offset:         0
        .size:           128
        .value_kind:     by_value
    .group_segment_fixed_size: 0
    .kernarg_segment_align: 8
    .kernarg_segment_size: 128
    .language:       OpenCL C
    .language_version:
      - 2
      - 0
    .max_flat_workgroup_size: 128
    .name:           _ZN7rocprim17ROCPRIM_400000_NS6detail17trampoline_kernelINS0_14default_configENS1_25partition_config_selectorILNS1_17partition_subalgoE6EdNS0_10empty_typeEbEEZZNS1_14partition_implILS5_6ELb0ES3_mN6thrust23THRUST_200600_302600_NS6detail15normal_iteratorINSA_10device_ptrIdEEEEPS6_SG_NS0_5tupleIJSF_S6_EEENSH_IJSG_SG_EEES6_PlJ7is_evenIdEEEE10hipError_tPvRmT3_T4_T5_T6_T7_T9_mT8_P12ihipStream_tbDpT10_ENKUlT_T0_E_clISt17integral_constantIbLb0EES15_IbLb1EEEEDaS11_S12_EUlS11_E_NS1_11comp_targetILNS1_3genE0ELNS1_11target_archE4294967295ELNS1_3gpuE0ELNS1_3repE0EEENS1_30default_config_static_selectorELNS0_4arch9wavefront6targetE0EEEvT1_
    .private_segment_fixed_size: 0
    .sgpr_count:     0
    .sgpr_spill_count: 0
    .symbol:         _ZN7rocprim17ROCPRIM_400000_NS6detail17trampoline_kernelINS0_14default_configENS1_25partition_config_selectorILNS1_17partition_subalgoE6EdNS0_10empty_typeEbEEZZNS1_14partition_implILS5_6ELb0ES3_mN6thrust23THRUST_200600_302600_NS6detail15normal_iteratorINSA_10device_ptrIdEEEEPS6_SG_NS0_5tupleIJSF_S6_EEENSH_IJSG_SG_EEES6_PlJ7is_evenIdEEEE10hipError_tPvRmT3_T4_T5_T6_T7_T9_mT8_P12ihipStream_tbDpT10_ENKUlT_T0_E_clISt17integral_constantIbLb0EES15_IbLb1EEEEDaS11_S12_EUlS11_E_NS1_11comp_targetILNS1_3genE0ELNS1_11target_archE4294967295ELNS1_3gpuE0ELNS1_3repE0EEENS1_30default_config_static_selectorELNS0_4arch9wavefront6targetE0EEEvT1_.kd
    .uniform_work_group_size: 1
    .uses_dynamic_stack: false
    .vgpr_count:     0
    .vgpr_spill_count: 0
    .wavefront_size: 32
    .workgroup_processor_mode: 1
  - .args:
      - .offset:         0
        .size:           128
        .value_kind:     by_value
    .group_segment_fixed_size: 0
    .kernarg_segment_align: 8
    .kernarg_segment_size: 128
    .language:       OpenCL C
    .language_version:
      - 2
      - 0
    .max_flat_workgroup_size: 512
    .name:           _ZN7rocprim17ROCPRIM_400000_NS6detail17trampoline_kernelINS0_14default_configENS1_25partition_config_selectorILNS1_17partition_subalgoE6EdNS0_10empty_typeEbEEZZNS1_14partition_implILS5_6ELb0ES3_mN6thrust23THRUST_200600_302600_NS6detail15normal_iteratorINSA_10device_ptrIdEEEEPS6_SG_NS0_5tupleIJSF_S6_EEENSH_IJSG_SG_EEES6_PlJ7is_evenIdEEEE10hipError_tPvRmT3_T4_T5_T6_T7_T9_mT8_P12ihipStream_tbDpT10_ENKUlT_T0_E_clISt17integral_constantIbLb0EES15_IbLb1EEEEDaS11_S12_EUlS11_E_NS1_11comp_targetILNS1_3genE5ELNS1_11target_archE942ELNS1_3gpuE9ELNS1_3repE0EEENS1_30default_config_static_selectorELNS0_4arch9wavefront6targetE0EEEvT1_
    .private_segment_fixed_size: 0
    .sgpr_count:     0
    .sgpr_spill_count: 0
    .symbol:         _ZN7rocprim17ROCPRIM_400000_NS6detail17trampoline_kernelINS0_14default_configENS1_25partition_config_selectorILNS1_17partition_subalgoE6EdNS0_10empty_typeEbEEZZNS1_14partition_implILS5_6ELb0ES3_mN6thrust23THRUST_200600_302600_NS6detail15normal_iteratorINSA_10device_ptrIdEEEEPS6_SG_NS0_5tupleIJSF_S6_EEENSH_IJSG_SG_EEES6_PlJ7is_evenIdEEEE10hipError_tPvRmT3_T4_T5_T6_T7_T9_mT8_P12ihipStream_tbDpT10_ENKUlT_T0_E_clISt17integral_constantIbLb0EES15_IbLb1EEEEDaS11_S12_EUlS11_E_NS1_11comp_targetILNS1_3genE5ELNS1_11target_archE942ELNS1_3gpuE9ELNS1_3repE0EEENS1_30default_config_static_selectorELNS0_4arch9wavefront6targetE0EEEvT1_.kd
    .uniform_work_group_size: 1
    .uses_dynamic_stack: false
    .vgpr_count:     0
    .vgpr_spill_count: 0
    .wavefront_size: 32
    .workgroup_processor_mode: 1
  - .args:
      - .offset:         0
        .size:           128
        .value_kind:     by_value
    .group_segment_fixed_size: 0
    .kernarg_segment_align: 8
    .kernarg_segment_size: 128
    .language:       OpenCL C
    .language_version:
      - 2
      - 0
    .max_flat_workgroup_size: 128
    .name:           _ZN7rocprim17ROCPRIM_400000_NS6detail17trampoline_kernelINS0_14default_configENS1_25partition_config_selectorILNS1_17partition_subalgoE6EdNS0_10empty_typeEbEEZZNS1_14partition_implILS5_6ELb0ES3_mN6thrust23THRUST_200600_302600_NS6detail15normal_iteratorINSA_10device_ptrIdEEEEPS6_SG_NS0_5tupleIJSF_S6_EEENSH_IJSG_SG_EEES6_PlJ7is_evenIdEEEE10hipError_tPvRmT3_T4_T5_T6_T7_T9_mT8_P12ihipStream_tbDpT10_ENKUlT_T0_E_clISt17integral_constantIbLb0EES15_IbLb1EEEEDaS11_S12_EUlS11_E_NS1_11comp_targetILNS1_3genE4ELNS1_11target_archE910ELNS1_3gpuE8ELNS1_3repE0EEENS1_30default_config_static_selectorELNS0_4arch9wavefront6targetE0EEEvT1_
    .private_segment_fixed_size: 0
    .sgpr_count:     0
    .sgpr_spill_count: 0
    .symbol:         _ZN7rocprim17ROCPRIM_400000_NS6detail17trampoline_kernelINS0_14default_configENS1_25partition_config_selectorILNS1_17partition_subalgoE6EdNS0_10empty_typeEbEEZZNS1_14partition_implILS5_6ELb0ES3_mN6thrust23THRUST_200600_302600_NS6detail15normal_iteratorINSA_10device_ptrIdEEEEPS6_SG_NS0_5tupleIJSF_S6_EEENSH_IJSG_SG_EEES6_PlJ7is_evenIdEEEE10hipError_tPvRmT3_T4_T5_T6_T7_T9_mT8_P12ihipStream_tbDpT10_ENKUlT_T0_E_clISt17integral_constantIbLb0EES15_IbLb1EEEEDaS11_S12_EUlS11_E_NS1_11comp_targetILNS1_3genE4ELNS1_11target_archE910ELNS1_3gpuE8ELNS1_3repE0EEENS1_30default_config_static_selectorELNS0_4arch9wavefront6targetE0EEEvT1_.kd
    .uniform_work_group_size: 1
    .uses_dynamic_stack: false
    .vgpr_count:     0
    .vgpr_spill_count: 0
    .wavefront_size: 32
    .workgroup_processor_mode: 1
  - .args:
      - .offset:         0
        .size:           128
        .value_kind:     by_value
    .group_segment_fixed_size: 0
    .kernarg_segment_align: 8
    .kernarg_segment_size: 128
    .language:       OpenCL C
    .language_version:
      - 2
      - 0
    .max_flat_workgroup_size: 128
    .name:           _ZN7rocprim17ROCPRIM_400000_NS6detail17trampoline_kernelINS0_14default_configENS1_25partition_config_selectorILNS1_17partition_subalgoE6EdNS0_10empty_typeEbEEZZNS1_14partition_implILS5_6ELb0ES3_mN6thrust23THRUST_200600_302600_NS6detail15normal_iteratorINSA_10device_ptrIdEEEEPS6_SG_NS0_5tupleIJSF_S6_EEENSH_IJSG_SG_EEES6_PlJ7is_evenIdEEEE10hipError_tPvRmT3_T4_T5_T6_T7_T9_mT8_P12ihipStream_tbDpT10_ENKUlT_T0_E_clISt17integral_constantIbLb0EES15_IbLb1EEEEDaS11_S12_EUlS11_E_NS1_11comp_targetILNS1_3genE3ELNS1_11target_archE908ELNS1_3gpuE7ELNS1_3repE0EEENS1_30default_config_static_selectorELNS0_4arch9wavefront6targetE0EEEvT1_
    .private_segment_fixed_size: 0
    .sgpr_count:     0
    .sgpr_spill_count: 0
    .symbol:         _ZN7rocprim17ROCPRIM_400000_NS6detail17trampoline_kernelINS0_14default_configENS1_25partition_config_selectorILNS1_17partition_subalgoE6EdNS0_10empty_typeEbEEZZNS1_14partition_implILS5_6ELb0ES3_mN6thrust23THRUST_200600_302600_NS6detail15normal_iteratorINSA_10device_ptrIdEEEEPS6_SG_NS0_5tupleIJSF_S6_EEENSH_IJSG_SG_EEES6_PlJ7is_evenIdEEEE10hipError_tPvRmT3_T4_T5_T6_T7_T9_mT8_P12ihipStream_tbDpT10_ENKUlT_T0_E_clISt17integral_constantIbLb0EES15_IbLb1EEEEDaS11_S12_EUlS11_E_NS1_11comp_targetILNS1_3genE3ELNS1_11target_archE908ELNS1_3gpuE7ELNS1_3repE0EEENS1_30default_config_static_selectorELNS0_4arch9wavefront6targetE0EEEvT1_.kd
    .uniform_work_group_size: 1
    .uses_dynamic_stack: false
    .vgpr_count:     0
    .vgpr_spill_count: 0
    .wavefront_size: 32
    .workgroup_processor_mode: 1
  - .args:
      - .offset:         0
        .size:           128
        .value_kind:     by_value
    .group_segment_fixed_size: 0
    .kernarg_segment_align: 8
    .kernarg_segment_size: 128
    .language:       OpenCL C
    .language_version:
      - 2
      - 0
    .max_flat_workgroup_size: 256
    .name:           _ZN7rocprim17ROCPRIM_400000_NS6detail17trampoline_kernelINS0_14default_configENS1_25partition_config_selectorILNS1_17partition_subalgoE6EdNS0_10empty_typeEbEEZZNS1_14partition_implILS5_6ELb0ES3_mN6thrust23THRUST_200600_302600_NS6detail15normal_iteratorINSA_10device_ptrIdEEEEPS6_SG_NS0_5tupleIJSF_S6_EEENSH_IJSG_SG_EEES6_PlJ7is_evenIdEEEE10hipError_tPvRmT3_T4_T5_T6_T7_T9_mT8_P12ihipStream_tbDpT10_ENKUlT_T0_E_clISt17integral_constantIbLb0EES15_IbLb1EEEEDaS11_S12_EUlS11_E_NS1_11comp_targetILNS1_3genE2ELNS1_11target_archE906ELNS1_3gpuE6ELNS1_3repE0EEENS1_30default_config_static_selectorELNS0_4arch9wavefront6targetE0EEEvT1_
    .private_segment_fixed_size: 0
    .sgpr_count:     0
    .sgpr_spill_count: 0
    .symbol:         _ZN7rocprim17ROCPRIM_400000_NS6detail17trampoline_kernelINS0_14default_configENS1_25partition_config_selectorILNS1_17partition_subalgoE6EdNS0_10empty_typeEbEEZZNS1_14partition_implILS5_6ELb0ES3_mN6thrust23THRUST_200600_302600_NS6detail15normal_iteratorINSA_10device_ptrIdEEEEPS6_SG_NS0_5tupleIJSF_S6_EEENSH_IJSG_SG_EEES6_PlJ7is_evenIdEEEE10hipError_tPvRmT3_T4_T5_T6_T7_T9_mT8_P12ihipStream_tbDpT10_ENKUlT_T0_E_clISt17integral_constantIbLb0EES15_IbLb1EEEEDaS11_S12_EUlS11_E_NS1_11comp_targetILNS1_3genE2ELNS1_11target_archE906ELNS1_3gpuE6ELNS1_3repE0EEENS1_30default_config_static_selectorELNS0_4arch9wavefront6targetE0EEEvT1_.kd
    .uniform_work_group_size: 1
    .uses_dynamic_stack: false
    .vgpr_count:     0
    .vgpr_spill_count: 0
    .wavefront_size: 32
    .workgroup_processor_mode: 1
  - .args:
      - .offset:         0
        .size:           128
        .value_kind:     by_value
    .group_segment_fixed_size: 0
    .kernarg_segment_align: 8
    .kernarg_segment_size: 128
    .language:       OpenCL C
    .language_version:
      - 2
      - 0
    .max_flat_workgroup_size: 256
    .name:           _ZN7rocprim17ROCPRIM_400000_NS6detail17trampoline_kernelINS0_14default_configENS1_25partition_config_selectorILNS1_17partition_subalgoE6EdNS0_10empty_typeEbEEZZNS1_14partition_implILS5_6ELb0ES3_mN6thrust23THRUST_200600_302600_NS6detail15normal_iteratorINSA_10device_ptrIdEEEEPS6_SG_NS0_5tupleIJSF_S6_EEENSH_IJSG_SG_EEES6_PlJ7is_evenIdEEEE10hipError_tPvRmT3_T4_T5_T6_T7_T9_mT8_P12ihipStream_tbDpT10_ENKUlT_T0_E_clISt17integral_constantIbLb0EES15_IbLb1EEEEDaS11_S12_EUlS11_E_NS1_11comp_targetILNS1_3genE10ELNS1_11target_archE1200ELNS1_3gpuE4ELNS1_3repE0EEENS1_30default_config_static_selectorELNS0_4arch9wavefront6targetE0EEEvT1_
    .private_segment_fixed_size: 0
    .sgpr_count:     0
    .sgpr_spill_count: 0
    .symbol:         _ZN7rocprim17ROCPRIM_400000_NS6detail17trampoline_kernelINS0_14default_configENS1_25partition_config_selectorILNS1_17partition_subalgoE6EdNS0_10empty_typeEbEEZZNS1_14partition_implILS5_6ELb0ES3_mN6thrust23THRUST_200600_302600_NS6detail15normal_iteratorINSA_10device_ptrIdEEEEPS6_SG_NS0_5tupleIJSF_S6_EEENSH_IJSG_SG_EEES6_PlJ7is_evenIdEEEE10hipError_tPvRmT3_T4_T5_T6_T7_T9_mT8_P12ihipStream_tbDpT10_ENKUlT_T0_E_clISt17integral_constantIbLb0EES15_IbLb1EEEEDaS11_S12_EUlS11_E_NS1_11comp_targetILNS1_3genE10ELNS1_11target_archE1200ELNS1_3gpuE4ELNS1_3repE0EEENS1_30default_config_static_selectorELNS0_4arch9wavefront6targetE0EEEvT1_.kd
    .uniform_work_group_size: 1
    .uses_dynamic_stack: false
    .vgpr_count:     0
    .vgpr_spill_count: 0
    .wavefront_size: 32
    .workgroup_processor_mode: 1
  - .args:
      - .offset:         0
        .size:           128
        .value_kind:     by_value
    .group_segment_fixed_size: 18448
    .kernarg_segment_align: 8
    .kernarg_segment_size: 128
    .language:       OpenCL C
    .language_version:
      - 2
      - 0
    .max_flat_workgroup_size: 384
    .name:           _ZN7rocprim17ROCPRIM_400000_NS6detail17trampoline_kernelINS0_14default_configENS1_25partition_config_selectorILNS1_17partition_subalgoE6EdNS0_10empty_typeEbEEZZNS1_14partition_implILS5_6ELb0ES3_mN6thrust23THRUST_200600_302600_NS6detail15normal_iteratorINSA_10device_ptrIdEEEEPS6_SG_NS0_5tupleIJSF_S6_EEENSH_IJSG_SG_EEES6_PlJ7is_evenIdEEEE10hipError_tPvRmT3_T4_T5_T6_T7_T9_mT8_P12ihipStream_tbDpT10_ENKUlT_T0_E_clISt17integral_constantIbLb0EES15_IbLb1EEEEDaS11_S12_EUlS11_E_NS1_11comp_targetILNS1_3genE9ELNS1_11target_archE1100ELNS1_3gpuE3ELNS1_3repE0EEENS1_30default_config_static_selectorELNS0_4arch9wavefront6targetE0EEEvT1_
    .private_segment_fixed_size: 0
    .sgpr_count:     20
    .sgpr_spill_count: 0
    .symbol:         _ZN7rocprim17ROCPRIM_400000_NS6detail17trampoline_kernelINS0_14default_configENS1_25partition_config_selectorILNS1_17partition_subalgoE6EdNS0_10empty_typeEbEEZZNS1_14partition_implILS5_6ELb0ES3_mN6thrust23THRUST_200600_302600_NS6detail15normal_iteratorINSA_10device_ptrIdEEEEPS6_SG_NS0_5tupleIJSF_S6_EEENSH_IJSG_SG_EEES6_PlJ7is_evenIdEEEE10hipError_tPvRmT3_T4_T5_T6_T7_T9_mT8_P12ihipStream_tbDpT10_ENKUlT_T0_E_clISt17integral_constantIbLb0EES15_IbLb1EEEEDaS11_S12_EUlS11_E_NS1_11comp_targetILNS1_3genE9ELNS1_11target_archE1100ELNS1_3gpuE3ELNS1_3repE0EEENS1_30default_config_static_selectorELNS0_4arch9wavefront6targetE0EEEvT1_.kd
    .uniform_work_group_size: 1
    .uses_dynamic_stack: false
    .vgpr_count:     56
    .vgpr_spill_count: 0
    .wavefront_size: 32
    .workgroup_processor_mode: 1
  - .args:
      - .offset:         0
        .size:           128
        .value_kind:     by_value
    .group_segment_fixed_size: 0
    .kernarg_segment_align: 8
    .kernarg_segment_size: 128
    .language:       OpenCL C
    .language_version:
      - 2
      - 0
    .max_flat_workgroup_size: 512
    .name:           _ZN7rocprim17ROCPRIM_400000_NS6detail17trampoline_kernelINS0_14default_configENS1_25partition_config_selectorILNS1_17partition_subalgoE6EdNS0_10empty_typeEbEEZZNS1_14partition_implILS5_6ELb0ES3_mN6thrust23THRUST_200600_302600_NS6detail15normal_iteratorINSA_10device_ptrIdEEEEPS6_SG_NS0_5tupleIJSF_S6_EEENSH_IJSG_SG_EEES6_PlJ7is_evenIdEEEE10hipError_tPvRmT3_T4_T5_T6_T7_T9_mT8_P12ihipStream_tbDpT10_ENKUlT_T0_E_clISt17integral_constantIbLb0EES15_IbLb1EEEEDaS11_S12_EUlS11_E_NS1_11comp_targetILNS1_3genE8ELNS1_11target_archE1030ELNS1_3gpuE2ELNS1_3repE0EEENS1_30default_config_static_selectorELNS0_4arch9wavefront6targetE0EEEvT1_
    .private_segment_fixed_size: 0
    .sgpr_count:     0
    .sgpr_spill_count: 0
    .symbol:         _ZN7rocprim17ROCPRIM_400000_NS6detail17trampoline_kernelINS0_14default_configENS1_25partition_config_selectorILNS1_17partition_subalgoE6EdNS0_10empty_typeEbEEZZNS1_14partition_implILS5_6ELb0ES3_mN6thrust23THRUST_200600_302600_NS6detail15normal_iteratorINSA_10device_ptrIdEEEEPS6_SG_NS0_5tupleIJSF_S6_EEENSH_IJSG_SG_EEES6_PlJ7is_evenIdEEEE10hipError_tPvRmT3_T4_T5_T6_T7_T9_mT8_P12ihipStream_tbDpT10_ENKUlT_T0_E_clISt17integral_constantIbLb0EES15_IbLb1EEEEDaS11_S12_EUlS11_E_NS1_11comp_targetILNS1_3genE8ELNS1_11target_archE1030ELNS1_3gpuE2ELNS1_3repE0EEENS1_30default_config_static_selectorELNS0_4arch9wavefront6targetE0EEEvT1_.kd
    .uniform_work_group_size: 1
    .uses_dynamic_stack: false
    .vgpr_count:     0
    .vgpr_spill_count: 0
    .wavefront_size: 32
    .workgroup_processor_mode: 1
  - .args:
      - .offset:         0
        .size:           112
        .value_kind:     by_value
    .group_segment_fixed_size: 0
    .kernarg_segment_align: 8
    .kernarg_segment_size: 112
    .language:       OpenCL C
    .language_version:
      - 2
      - 0
    .max_flat_workgroup_size: 256
    .name:           _ZN7rocprim17ROCPRIM_400000_NS6detail17trampoline_kernelINS0_14default_configENS1_25partition_config_selectorILNS1_17partition_subalgoE6EfNS0_10empty_typeEbEEZZNS1_14partition_implILS5_6ELb0ES3_mN6thrust23THRUST_200600_302600_NS6detail15normal_iteratorINSA_10device_ptrIfEEEEPS6_SG_NS0_5tupleIJSF_S6_EEENSH_IJSG_SG_EEES6_PlJ7is_evenIfEEEE10hipError_tPvRmT3_T4_T5_T6_T7_T9_mT8_P12ihipStream_tbDpT10_ENKUlT_T0_E_clISt17integral_constantIbLb0EES16_EEDaS11_S12_EUlS11_E_NS1_11comp_targetILNS1_3genE0ELNS1_11target_archE4294967295ELNS1_3gpuE0ELNS1_3repE0EEENS1_30default_config_static_selectorELNS0_4arch9wavefront6targetE0EEEvT1_
    .private_segment_fixed_size: 0
    .sgpr_count:     0
    .sgpr_spill_count: 0
    .symbol:         _ZN7rocprim17ROCPRIM_400000_NS6detail17trampoline_kernelINS0_14default_configENS1_25partition_config_selectorILNS1_17partition_subalgoE6EfNS0_10empty_typeEbEEZZNS1_14partition_implILS5_6ELb0ES3_mN6thrust23THRUST_200600_302600_NS6detail15normal_iteratorINSA_10device_ptrIfEEEEPS6_SG_NS0_5tupleIJSF_S6_EEENSH_IJSG_SG_EEES6_PlJ7is_evenIfEEEE10hipError_tPvRmT3_T4_T5_T6_T7_T9_mT8_P12ihipStream_tbDpT10_ENKUlT_T0_E_clISt17integral_constantIbLb0EES16_EEDaS11_S12_EUlS11_E_NS1_11comp_targetILNS1_3genE0ELNS1_11target_archE4294967295ELNS1_3gpuE0ELNS1_3repE0EEENS1_30default_config_static_selectorELNS0_4arch9wavefront6targetE0EEEvT1_.kd
    .uniform_work_group_size: 1
    .uses_dynamic_stack: false
    .vgpr_count:     0
    .vgpr_spill_count: 0
    .wavefront_size: 32
    .workgroup_processor_mode: 1
  - .args:
      - .offset:         0
        .size:           112
        .value_kind:     by_value
    .group_segment_fixed_size: 0
    .kernarg_segment_align: 8
    .kernarg_segment_size: 112
    .language:       OpenCL C
    .language_version:
      - 2
      - 0
    .max_flat_workgroup_size: 512
    .name:           _ZN7rocprim17ROCPRIM_400000_NS6detail17trampoline_kernelINS0_14default_configENS1_25partition_config_selectorILNS1_17partition_subalgoE6EfNS0_10empty_typeEbEEZZNS1_14partition_implILS5_6ELb0ES3_mN6thrust23THRUST_200600_302600_NS6detail15normal_iteratorINSA_10device_ptrIfEEEEPS6_SG_NS0_5tupleIJSF_S6_EEENSH_IJSG_SG_EEES6_PlJ7is_evenIfEEEE10hipError_tPvRmT3_T4_T5_T6_T7_T9_mT8_P12ihipStream_tbDpT10_ENKUlT_T0_E_clISt17integral_constantIbLb0EES16_EEDaS11_S12_EUlS11_E_NS1_11comp_targetILNS1_3genE5ELNS1_11target_archE942ELNS1_3gpuE9ELNS1_3repE0EEENS1_30default_config_static_selectorELNS0_4arch9wavefront6targetE0EEEvT1_
    .private_segment_fixed_size: 0
    .sgpr_count:     0
    .sgpr_spill_count: 0
    .symbol:         _ZN7rocprim17ROCPRIM_400000_NS6detail17trampoline_kernelINS0_14default_configENS1_25partition_config_selectorILNS1_17partition_subalgoE6EfNS0_10empty_typeEbEEZZNS1_14partition_implILS5_6ELb0ES3_mN6thrust23THRUST_200600_302600_NS6detail15normal_iteratorINSA_10device_ptrIfEEEEPS6_SG_NS0_5tupleIJSF_S6_EEENSH_IJSG_SG_EEES6_PlJ7is_evenIfEEEE10hipError_tPvRmT3_T4_T5_T6_T7_T9_mT8_P12ihipStream_tbDpT10_ENKUlT_T0_E_clISt17integral_constantIbLb0EES16_EEDaS11_S12_EUlS11_E_NS1_11comp_targetILNS1_3genE5ELNS1_11target_archE942ELNS1_3gpuE9ELNS1_3repE0EEENS1_30default_config_static_selectorELNS0_4arch9wavefront6targetE0EEEvT1_.kd
    .uniform_work_group_size: 1
    .uses_dynamic_stack: false
    .vgpr_count:     0
    .vgpr_spill_count: 0
    .wavefront_size: 32
    .workgroup_processor_mode: 1
  - .args:
      - .offset:         0
        .size:           112
        .value_kind:     by_value
    .group_segment_fixed_size: 0
    .kernarg_segment_align: 8
    .kernarg_segment_size: 112
    .language:       OpenCL C
    .language_version:
      - 2
      - 0
    .max_flat_workgroup_size: 512
    .name:           _ZN7rocprim17ROCPRIM_400000_NS6detail17trampoline_kernelINS0_14default_configENS1_25partition_config_selectorILNS1_17partition_subalgoE6EfNS0_10empty_typeEbEEZZNS1_14partition_implILS5_6ELb0ES3_mN6thrust23THRUST_200600_302600_NS6detail15normal_iteratorINSA_10device_ptrIfEEEEPS6_SG_NS0_5tupleIJSF_S6_EEENSH_IJSG_SG_EEES6_PlJ7is_evenIfEEEE10hipError_tPvRmT3_T4_T5_T6_T7_T9_mT8_P12ihipStream_tbDpT10_ENKUlT_T0_E_clISt17integral_constantIbLb0EES16_EEDaS11_S12_EUlS11_E_NS1_11comp_targetILNS1_3genE4ELNS1_11target_archE910ELNS1_3gpuE8ELNS1_3repE0EEENS1_30default_config_static_selectorELNS0_4arch9wavefront6targetE0EEEvT1_
    .private_segment_fixed_size: 0
    .sgpr_count:     0
    .sgpr_spill_count: 0
    .symbol:         _ZN7rocprim17ROCPRIM_400000_NS6detail17trampoline_kernelINS0_14default_configENS1_25partition_config_selectorILNS1_17partition_subalgoE6EfNS0_10empty_typeEbEEZZNS1_14partition_implILS5_6ELb0ES3_mN6thrust23THRUST_200600_302600_NS6detail15normal_iteratorINSA_10device_ptrIfEEEEPS6_SG_NS0_5tupleIJSF_S6_EEENSH_IJSG_SG_EEES6_PlJ7is_evenIfEEEE10hipError_tPvRmT3_T4_T5_T6_T7_T9_mT8_P12ihipStream_tbDpT10_ENKUlT_T0_E_clISt17integral_constantIbLb0EES16_EEDaS11_S12_EUlS11_E_NS1_11comp_targetILNS1_3genE4ELNS1_11target_archE910ELNS1_3gpuE8ELNS1_3repE0EEENS1_30default_config_static_selectorELNS0_4arch9wavefront6targetE0EEEvT1_.kd
    .uniform_work_group_size: 1
    .uses_dynamic_stack: false
    .vgpr_count:     0
    .vgpr_spill_count: 0
    .wavefront_size: 32
    .workgroup_processor_mode: 1
  - .args:
      - .offset:         0
        .size:           112
        .value_kind:     by_value
    .group_segment_fixed_size: 0
    .kernarg_segment_align: 8
    .kernarg_segment_size: 112
    .language:       OpenCL C
    .language_version:
      - 2
      - 0
    .max_flat_workgroup_size: 256
    .name:           _ZN7rocprim17ROCPRIM_400000_NS6detail17trampoline_kernelINS0_14default_configENS1_25partition_config_selectorILNS1_17partition_subalgoE6EfNS0_10empty_typeEbEEZZNS1_14partition_implILS5_6ELb0ES3_mN6thrust23THRUST_200600_302600_NS6detail15normal_iteratorINSA_10device_ptrIfEEEEPS6_SG_NS0_5tupleIJSF_S6_EEENSH_IJSG_SG_EEES6_PlJ7is_evenIfEEEE10hipError_tPvRmT3_T4_T5_T6_T7_T9_mT8_P12ihipStream_tbDpT10_ENKUlT_T0_E_clISt17integral_constantIbLb0EES16_EEDaS11_S12_EUlS11_E_NS1_11comp_targetILNS1_3genE3ELNS1_11target_archE908ELNS1_3gpuE7ELNS1_3repE0EEENS1_30default_config_static_selectorELNS0_4arch9wavefront6targetE0EEEvT1_
    .private_segment_fixed_size: 0
    .sgpr_count:     0
    .sgpr_spill_count: 0
    .symbol:         _ZN7rocprim17ROCPRIM_400000_NS6detail17trampoline_kernelINS0_14default_configENS1_25partition_config_selectorILNS1_17partition_subalgoE6EfNS0_10empty_typeEbEEZZNS1_14partition_implILS5_6ELb0ES3_mN6thrust23THRUST_200600_302600_NS6detail15normal_iteratorINSA_10device_ptrIfEEEEPS6_SG_NS0_5tupleIJSF_S6_EEENSH_IJSG_SG_EEES6_PlJ7is_evenIfEEEE10hipError_tPvRmT3_T4_T5_T6_T7_T9_mT8_P12ihipStream_tbDpT10_ENKUlT_T0_E_clISt17integral_constantIbLb0EES16_EEDaS11_S12_EUlS11_E_NS1_11comp_targetILNS1_3genE3ELNS1_11target_archE908ELNS1_3gpuE7ELNS1_3repE0EEENS1_30default_config_static_selectorELNS0_4arch9wavefront6targetE0EEEvT1_.kd
    .uniform_work_group_size: 1
    .uses_dynamic_stack: false
    .vgpr_count:     0
    .vgpr_spill_count: 0
    .wavefront_size: 32
    .workgroup_processor_mode: 1
  - .args:
      - .offset:         0
        .size:           112
        .value_kind:     by_value
    .group_segment_fixed_size: 0
    .kernarg_segment_align: 8
    .kernarg_segment_size: 112
    .language:       OpenCL C
    .language_version:
      - 2
      - 0
    .max_flat_workgroup_size: 256
    .name:           _ZN7rocprim17ROCPRIM_400000_NS6detail17trampoline_kernelINS0_14default_configENS1_25partition_config_selectorILNS1_17partition_subalgoE6EfNS0_10empty_typeEbEEZZNS1_14partition_implILS5_6ELb0ES3_mN6thrust23THRUST_200600_302600_NS6detail15normal_iteratorINSA_10device_ptrIfEEEEPS6_SG_NS0_5tupleIJSF_S6_EEENSH_IJSG_SG_EEES6_PlJ7is_evenIfEEEE10hipError_tPvRmT3_T4_T5_T6_T7_T9_mT8_P12ihipStream_tbDpT10_ENKUlT_T0_E_clISt17integral_constantIbLb0EES16_EEDaS11_S12_EUlS11_E_NS1_11comp_targetILNS1_3genE2ELNS1_11target_archE906ELNS1_3gpuE6ELNS1_3repE0EEENS1_30default_config_static_selectorELNS0_4arch9wavefront6targetE0EEEvT1_
    .private_segment_fixed_size: 0
    .sgpr_count:     0
    .sgpr_spill_count: 0
    .symbol:         _ZN7rocprim17ROCPRIM_400000_NS6detail17trampoline_kernelINS0_14default_configENS1_25partition_config_selectorILNS1_17partition_subalgoE6EfNS0_10empty_typeEbEEZZNS1_14partition_implILS5_6ELb0ES3_mN6thrust23THRUST_200600_302600_NS6detail15normal_iteratorINSA_10device_ptrIfEEEEPS6_SG_NS0_5tupleIJSF_S6_EEENSH_IJSG_SG_EEES6_PlJ7is_evenIfEEEE10hipError_tPvRmT3_T4_T5_T6_T7_T9_mT8_P12ihipStream_tbDpT10_ENKUlT_T0_E_clISt17integral_constantIbLb0EES16_EEDaS11_S12_EUlS11_E_NS1_11comp_targetILNS1_3genE2ELNS1_11target_archE906ELNS1_3gpuE6ELNS1_3repE0EEENS1_30default_config_static_selectorELNS0_4arch9wavefront6targetE0EEEvT1_.kd
    .uniform_work_group_size: 1
    .uses_dynamic_stack: false
    .vgpr_count:     0
    .vgpr_spill_count: 0
    .wavefront_size: 32
    .workgroup_processor_mode: 1
  - .args:
      - .offset:         0
        .size:           112
        .value_kind:     by_value
    .group_segment_fixed_size: 0
    .kernarg_segment_align: 8
    .kernarg_segment_size: 112
    .language:       OpenCL C
    .language_version:
      - 2
      - 0
    .max_flat_workgroup_size: 384
    .name:           _ZN7rocprim17ROCPRIM_400000_NS6detail17trampoline_kernelINS0_14default_configENS1_25partition_config_selectorILNS1_17partition_subalgoE6EfNS0_10empty_typeEbEEZZNS1_14partition_implILS5_6ELb0ES3_mN6thrust23THRUST_200600_302600_NS6detail15normal_iteratorINSA_10device_ptrIfEEEEPS6_SG_NS0_5tupleIJSF_S6_EEENSH_IJSG_SG_EEES6_PlJ7is_evenIfEEEE10hipError_tPvRmT3_T4_T5_T6_T7_T9_mT8_P12ihipStream_tbDpT10_ENKUlT_T0_E_clISt17integral_constantIbLb0EES16_EEDaS11_S12_EUlS11_E_NS1_11comp_targetILNS1_3genE10ELNS1_11target_archE1200ELNS1_3gpuE4ELNS1_3repE0EEENS1_30default_config_static_selectorELNS0_4arch9wavefront6targetE0EEEvT1_
    .private_segment_fixed_size: 0
    .sgpr_count:     0
    .sgpr_spill_count: 0
    .symbol:         _ZN7rocprim17ROCPRIM_400000_NS6detail17trampoline_kernelINS0_14default_configENS1_25partition_config_selectorILNS1_17partition_subalgoE6EfNS0_10empty_typeEbEEZZNS1_14partition_implILS5_6ELb0ES3_mN6thrust23THRUST_200600_302600_NS6detail15normal_iteratorINSA_10device_ptrIfEEEEPS6_SG_NS0_5tupleIJSF_S6_EEENSH_IJSG_SG_EEES6_PlJ7is_evenIfEEEE10hipError_tPvRmT3_T4_T5_T6_T7_T9_mT8_P12ihipStream_tbDpT10_ENKUlT_T0_E_clISt17integral_constantIbLb0EES16_EEDaS11_S12_EUlS11_E_NS1_11comp_targetILNS1_3genE10ELNS1_11target_archE1200ELNS1_3gpuE4ELNS1_3repE0EEENS1_30default_config_static_selectorELNS0_4arch9wavefront6targetE0EEEvT1_.kd
    .uniform_work_group_size: 1
    .uses_dynamic_stack: false
    .vgpr_count:     0
    .vgpr_spill_count: 0
    .wavefront_size: 32
    .workgroup_processor_mode: 1
  - .args:
      - .offset:         0
        .size:           112
        .value_kind:     by_value
    .group_segment_fixed_size: 7184
    .kernarg_segment_align: 8
    .kernarg_segment_size: 112
    .language:       OpenCL C
    .language_version:
      - 2
      - 0
    .max_flat_workgroup_size: 128
    .name:           _ZN7rocprim17ROCPRIM_400000_NS6detail17trampoline_kernelINS0_14default_configENS1_25partition_config_selectorILNS1_17partition_subalgoE6EfNS0_10empty_typeEbEEZZNS1_14partition_implILS5_6ELb0ES3_mN6thrust23THRUST_200600_302600_NS6detail15normal_iteratorINSA_10device_ptrIfEEEEPS6_SG_NS0_5tupleIJSF_S6_EEENSH_IJSG_SG_EEES6_PlJ7is_evenIfEEEE10hipError_tPvRmT3_T4_T5_T6_T7_T9_mT8_P12ihipStream_tbDpT10_ENKUlT_T0_E_clISt17integral_constantIbLb0EES16_EEDaS11_S12_EUlS11_E_NS1_11comp_targetILNS1_3genE9ELNS1_11target_archE1100ELNS1_3gpuE3ELNS1_3repE0EEENS1_30default_config_static_selectorELNS0_4arch9wavefront6targetE0EEEvT1_
    .private_segment_fixed_size: 0
    .sgpr_count:     21
    .sgpr_spill_count: 0
    .symbol:         _ZN7rocprim17ROCPRIM_400000_NS6detail17trampoline_kernelINS0_14default_configENS1_25partition_config_selectorILNS1_17partition_subalgoE6EfNS0_10empty_typeEbEEZZNS1_14partition_implILS5_6ELb0ES3_mN6thrust23THRUST_200600_302600_NS6detail15normal_iteratorINSA_10device_ptrIfEEEEPS6_SG_NS0_5tupleIJSF_S6_EEENSH_IJSG_SG_EEES6_PlJ7is_evenIfEEEE10hipError_tPvRmT3_T4_T5_T6_T7_T9_mT8_P12ihipStream_tbDpT10_ENKUlT_T0_E_clISt17integral_constantIbLb0EES16_EEDaS11_S12_EUlS11_E_NS1_11comp_targetILNS1_3genE9ELNS1_11target_archE1100ELNS1_3gpuE3ELNS1_3repE0EEENS1_30default_config_static_selectorELNS0_4arch9wavefront6targetE0EEEvT1_.kd
    .uniform_work_group_size: 1
    .uses_dynamic_stack: false
    .vgpr_count:     74
    .vgpr_spill_count: 0
    .wavefront_size: 32
    .workgroup_processor_mode: 1
  - .args:
      - .offset:         0
        .size:           112
        .value_kind:     by_value
    .group_segment_fixed_size: 0
    .kernarg_segment_align: 8
    .kernarg_segment_size: 112
    .language:       OpenCL C
    .language_version:
      - 2
      - 0
    .max_flat_workgroup_size: 512
    .name:           _ZN7rocprim17ROCPRIM_400000_NS6detail17trampoline_kernelINS0_14default_configENS1_25partition_config_selectorILNS1_17partition_subalgoE6EfNS0_10empty_typeEbEEZZNS1_14partition_implILS5_6ELb0ES3_mN6thrust23THRUST_200600_302600_NS6detail15normal_iteratorINSA_10device_ptrIfEEEEPS6_SG_NS0_5tupleIJSF_S6_EEENSH_IJSG_SG_EEES6_PlJ7is_evenIfEEEE10hipError_tPvRmT3_T4_T5_T6_T7_T9_mT8_P12ihipStream_tbDpT10_ENKUlT_T0_E_clISt17integral_constantIbLb0EES16_EEDaS11_S12_EUlS11_E_NS1_11comp_targetILNS1_3genE8ELNS1_11target_archE1030ELNS1_3gpuE2ELNS1_3repE0EEENS1_30default_config_static_selectorELNS0_4arch9wavefront6targetE0EEEvT1_
    .private_segment_fixed_size: 0
    .sgpr_count:     0
    .sgpr_spill_count: 0
    .symbol:         _ZN7rocprim17ROCPRIM_400000_NS6detail17trampoline_kernelINS0_14default_configENS1_25partition_config_selectorILNS1_17partition_subalgoE6EfNS0_10empty_typeEbEEZZNS1_14partition_implILS5_6ELb0ES3_mN6thrust23THRUST_200600_302600_NS6detail15normal_iteratorINSA_10device_ptrIfEEEEPS6_SG_NS0_5tupleIJSF_S6_EEENSH_IJSG_SG_EEES6_PlJ7is_evenIfEEEE10hipError_tPvRmT3_T4_T5_T6_T7_T9_mT8_P12ihipStream_tbDpT10_ENKUlT_T0_E_clISt17integral_constantIbLb0EES16_EEDaS11_S12_EUlS11_E_NS1_11comp_targetILNS1_3genE8ELNS1_11target_archE1030ELNS1_3gpuE2ELNS1_3repE0EEENS1_30default_config_static_selectorELNS0_4arch9wavefront6targetE0EEEvT1_.kd
    .uniform_work_group_size: 1
    .uses_dynamic_stack: false
    .vgpr_count:     0
    .vgpr_spill_count: 0
    .wavefront_size: 32
    .workgroup_processor_mode: 1
  - .args:
      - .offset:         0
        .size:           128
        .value_kind:     by_value
    .group_segment_fixed_size: 0
    .kernarg_segment_align: 8
    .kernarg_segment_size: 128
    .language:       OpenCL C
    .language_version:
      - 2
      - 0
    .max_flat_workgroup_size: 256
    .name:           _ZN7rocprim17ROCPRIM_400000_NS6detail17trampoline_kernelINS0_14default_configENS1_25partition_config_selectorILNS1_17partition_subalgoE6EfNS0_10empty_typeEbEEZZNS1_14partition_implILS5_6ELb0ES3_mN6thrust23THRUST_200600_302600_NS6detail15normal_iteratorINSA_10device_ptrIfEEEEPS6_SG_NS0_5tupleIJSF_S6_EEENSH_IJSG_SG_EEES6_PlJ7is_evenIfEEEE10hipError_tPvRmT3_T4_T5_T6_T7_T9_mT8_P12ihipStream_tbDpT10_ENKUlT_T0_E_clISt17integral_constantIbLb1EES16_EEDaS11_S12_EUlS11_E_NS1_11comp_targetILNS1_3genE0ELNS1_11target_archE4294967295ELNS1_3gpuE0ELNS1_3repE0EEENS1_30default_config_static_selectorELNS0_4arch9wavefront6targetE0EEEvT1_
    .private_segment_fixed_size: 0
    .sgpr_count:     0
    .sgpr_spill_count: 0
    .symbol:         _ZN7rocprim17ROCPRIM_400000_NS6detail17trampoline_kernelINS0_14default_configENS1_25partition_config_selectorILNS1_17partition_subalgoE6EfNS0_10empty_typeEbEEZZNS1_14partition_implILS5_6ELb0ES3_mN6thrust23THRUST_200600_302600_NS6detail15normal_iteratorINSA_10device_ptrIfEEEEPS6_SG_NS0_5tupleIJSF_S6_EEENSH_IJSG_SG_EEES6_PlJ7is_evenIfEEEE10hipError_tPvRmT3_T4_T5_T6_T7_T9_mT8_P12ihipStream_tbDpT10_ENKUlT_T0_E_clISt17integral_constantIbLb1EES16_EEDaS11_S12_EUlS11_E_NS1_11comp_targetILNS1_3genE0ELNS1_11target_archE4294967295ELNS1_3gpuE0ELNS1_3repE0EEENS1_30default_config_static_selectorELNS0_4arch9wavefront6targetE0EEEvT1_.kd
    .uniform_work_group_size: 1
    .uses_dynamic_stack: false
    .vgpr_count:     0
    .vgpr_spill_count: 0
    .wavefront_size: 32
    .workgroup_processor_mode: 1
  - .args:
      - .offset:         0
        .size:           128
        .value_kind:     by_value
    .group_segment_fixed_size: 0
    .kernarg_segment_align: 8
    .kernarg_segment_size: 128
    .language:       OpenCL C
    .language_version:
      - 2
      - 0
    .max_flat_workgroup_size: 512
    .name:           _ZN7rocprim17ROCPRIM_400000_NS6detail17trampoline_kernelINS0_14default_configENS1_25partition_config_selectorILNS1_17partition_subalgoE6EfNS0_10empty_typeEbEEZZNS1_14partition_implILS5_6ELb0ES3_mN6thrust23THRUST_200600_302600_NS6detail15normal_iteratorINSA_10device_ptrIfEEEEPS6_SG_NS0_5tupleIJSF_S6_EEENSH_IJSG_SG_EEES6_PlJ7is_evenIfEEEE10hipError_tPvRmT3_T4_T5_T6_T7_T9_mT8_P12ihipStream_tbDpT10_ENKUlT_T0_E_clISt17integral_constantIbLb1EES16_EEDaS11_S12_EUlS11_E_NS1_11comp_targetILNS1_3genE5ELNS1_11target_archE942ELNS1_3gpuE9ELNS1_3repE0EEENS1_30default_config_static_selectorELNS0_4arch9wavefront6targetE0EEEvT1_
    .private_segment_fixed_size: 0
    .sgpr_count:     0
    .sgpr_spill_count: 0
    .symbol:         _ZN7rocprim17ROCPRIM_400000_NS6detail17trampoline_kernelINS0_14default_configENS1_25partition_config_selectorILNS1_17partition_subalgoE6EfNS0_10empty_typeEbEEZZNS1_14partition_implILS5_6ELb0ES3_mN6thrust23THRUST_200600_302600_NS6detail15normal_iteratorINSA_10device_ptrIfEEEEPS6_SG_NS0_5tupleIJSF_S6_EEENSH_IJSG_SG_EEES6_PlJ7is_evenIfEEEE10hipError_tPvRmT3_T4_T5_T6_T7_T9_mT8_P12ihipStream_tbDpT10_ENKUlT_T0_E_clISt17integral_constantIbLb1EES16_EEDaS11_S12_EUlS11_E_NS1_11comp_targetILNS1_3genE5ELNS1_11target_archE942ELNS1_3gpuE9ELNS1_3repE0EEENS1_30default_config_static_selectorELNS0_4arch9wavefront6targetE0EEEvT1_.kd
    .uniform_work_group_size: 1
    .uses_dynamic_stack: false
    .vgpr_count:     0
    .vgpr_spill_count: 0
    .wavefront_size: 32
    .workgroup_processor_mode: 1
  - .args:
      - .offset:         0
        .size:           128
        .value_kind:     by_value
    .group_segment_fixed_size: 0
    .kernarg_segment_align: 8
    .kernarg_segment_size: 128
    .language:       OpenCL C
    .language_version:
      - 2
      - 0
    .max_flat_workgroup_size: 512
    .name:           _ZN7rocprim17ROCPRIM_400000_NS6detail17trampoline_kernelINS0_14default_configENS1_25partition_config_selectorILNS1_17partition_subalgoE6EfNS0_10empty_typeEbEEZZNS1_14partition_implILS5_6ELb0ES3_mN6thrust23THRUST_200600_302600_NS6detail15normal_iteratorINSA_10device_ptrIfEEEEPS6_SG_NS0_5tupleIJSF_S6_EEENSH_IJSG_SG_EEES6_PlJ7is_evenIfEEEE10hipError_tPvRmT3_T4_T5_T6_T7_T9_mT8_P12ihipStream_tbDpT10_ENKUlT_T0_E_clISt17integral_constantIbLb1EES16_EEDaS11_S12_EUlS11_E_NS1_11comp_targetILNS1_3genE4ELNS1_11target_archE910ELNS1_3gpuE8ELNS1_3repE0EEENS1_30default_config_static_selectorELNS0_4arch9wavefront6targetE0EEEvT1_
    .private_segment_fixed_size: 0
    .sgpr_count:     0
    .sgpr_spill_count: 0
    .symbol:         _ZN7rocprim17ROCPRIM_400000_NS6detail17trampoline_kernelINS0_14default_configENS1_25partition_config_selectorILNS1_17partition_subalgoE6EfNS0_10empty_typeEbEEZZNS1_14partition_implILS5_6ELb0ES3_mN6thrust23THRUST_200600_302600_NS6detail15normal_iteratorINSA_10device_ptrIfEEEEPS6_SG_NS0_5tupleIJSF_S6_EEENSH_IJSG_SG_EEES6_PlJ7is_evenIfEEEE10hipError_tPvRmT3_T4_T5_T6_T7_T9_mT8_P12ihipStream_tbDpT10_ENKUlT_T0_E_clISt17integral_constantIbLb1EES16_EEDaS11_S12_EUlS11_E_NS1_11comp_targetILNS1_3genE4ELNS1_11target_archE910ELNS1_3gpuE8ELNS1_3repE0EEENS1_30default_config_static_selectorELNS0_4arch9wavefront6targetE0EEEvT1_.kd
    .uniform_work_group_size: 1
    .uses_dynamic_stack: false
    .vgpr_count:     0
    .vgpr_spill_count: 0
    .wavefront_size: 32
    .workgroup_processor_mode: 1
  - .args:
      - .offset:         0
        .size:           128
        .value_kind:     by_value
    .group_segment_fixed_size: 0
    .kernarg_segment_align: 8
    .kernarg_segment_size: 128
    .language:       OpenCL C
    .language_version:
      - 2
      - 0
    .max_flat_workgroup_size: 256
    .name:           _ZN7rocprim17ROCPRIM_400000_NS6detail17trampoline_kernelINS0_14default_configENS1_25partition_config_selectorILNS1_17partition_subalgoE6EfNS0_10empty_typeEbEEZZNS1_14partition_implILS5_6ELb0ES3_mN6thrust23THRUST_200600_302600_NS6detail15normal_iteratorINSA_10device_ptrIfEEEEPS6_SG_NS0_5tupleIJSF_S6_EEENSH_IJSG_SG_EEES6_PlJ7is_evenIfEEEE10hipError_tPvRmT3_T4_T5_T6_T7_T9_mT8_P12ihipStream_tbDpT10_ENKUlT_T0_E_clISt17integral_constantIbLb1EES16_EEDaS11_S12_EUlS11_E_NS1_11comp_targetILNS1_3genE3ELNS1_11target_archE908ELNS1_3gpuE7ELNS1_3repE0EEENS1_30default_config_static_selectorELNS0_4arch9wavefront6targetE0EEEvT1_
    .private_segment_fixed_size: 0
    .sgpr_count:     0
    .sgpr_spill_count: 0
    .symbol:         _ZN7rocprim17ROCPRIM_400000_NS6detail17trampoline_kernelINS0_14default_configENS1_25partition_config_selectorILNS1_17partition_subalgoE6EfNS0_10empty_typeEbEEZZNS1_14partition_implILS5_6ELb0ES3_mN6thrust23THRUST_200600_302600_NS6detail15normal_iteratorINSA_10device_ptrIfEEEEPS6_SG_NS0_5tupleIJSF_S6_EEENSH_IJSG_SG_EEES6_PlJ7is_evenIfEEEE10hipError_tPvRmT3_T4_T5_T6_T7_T9_mT8_P12ihipStream_tbDpT10_ENKUlT_T0_E_clISt17integral_constantIbLb1EES16_EEDaS11_S12_EUlS11_E_NS1_11comp_targetILNS1_3genE3ELNS1_11target_archE908ELNS1_3gpuE7ELNS1_3repE0EEENS1_30default_config_static_selectorELNS0_4arch9wavefront6targetE0EEEvT1_.kd
    .uniform_work_group_size: 1
    .uses_dynamic_stack: false
    .vgpr_count:     0
    .vgpr_spill_count: 0
    .wavefront_size: 32
    .workgroup_processor_mode: 1
  - .args:
      - .offset:         0
        .size:           128
        .value_kind:     by_value
    .group_segment_fixed_size: 0
    .kernarg_segment_align: 8
    .kernarg_segment_size: 128
    .language:       OpenCL C
    .language_version:
      - 2
      - 0
    .max_flat_workgroup_size: 256
    .name:           _ZN7rocprim17ROCPRIM_400000_NS6detail17trampoline_kernelINS0_14default_configENS1_25partition_config_selectorILNS1_17partition_subalgoE6EfNS0_10empty_typeEbEEZZNS1_14partition_implILS5_6ELb0ES3_mN6thrust23THRUST_200600_302600_NS6detail15normal_iteratorINSA_10device_ptrIfEEEEPS6_SG_NS0_5tupleIJSF_S6_EEENSH_IJSG_SG_EEES6_PlJ7is_evenIfEEEE10hipError_tPvRmT3_T4_T5_T6_T7_T9_mT8_P12ihipStream_tbDpT10_ENKUlT_T0_E_clISt17integral_constantIbLb1EES16_EEDaS11_S12_EUlS11_E_NS1_11comp_targetILNS1_3genE2ELNS1_11target_archE906ELNS1_3gpuE6ELNS1_3repE0EEENS1_30default_config_static_selectorELNS0_4arch9wavefront6targetE0EEEvT1_
    .private_segment_fixed_size: 0
    .sgpr_count:     0
    .sgpr_spill_count: 0
    .symbol:         _ZN7rocprim17ROCPRIM_400000_NS6detail17trampoline_kernelINS0_14default_configENS1_25partition_config_selectorILNS1_17partition_subalgoE6EfNS0_10empty_typeEbEEZZNS1_14partition_implILS5_6ELb0ES3_mN6thrust23THRUST_200600_302600_NS6detail15normal_iteratorINSA_10device_ptrIfEEEEPS6_SG_NS0_5tupleIJSF_S6_EEENSH_IJSG_SG_EEES6_PlJ7is_evenIfEEEE10hipError_tPvRmT3_T4_T5_T6_T7_T9_mT8_P12ihipStream_tbDpT10_ENKUlT_T0_E_clISt17integral_constantIbLb1EES16_EEDaS11_S12_EUlS11_E_NS1_11comp_targetILNS1_3genE2ELNS1_11target_archE906ELNS1_3gpuE6ELNS1_3repE0EEENS1_30default_config_static_selectorELNS0_4arch9wavefront6targetE0EEEvT1_.kd
    .uniform_work_group_size: 1
    .uses_dynamic_stack: false
    .vgpr_count:     0
    .vgpr_spill_count: 0
    .wavefront_size: 32
    .workgroup_processor_mode: 1
  - .args:
      - .offset:         0
        .size:           128
        .value_kind:     by_value
    .group_segment_fixed_size: 0
    .kernarg_segment_align: 8
    .kernarg_segment_size: 128
    .language:       OpenCL C
    .language_version:
      - 2
      - 0
    .max_flat_workgroup_size: 384
    .name:           _ZN7rocprim17ROCPRIM_400000_NS6detail17trampoline_kernelINS0_14default_configENS1_25partition_config_selectorILNS1_17partition_subalgoE6EfNS0_10empty_typeEbEEZZNS1_14partition_implILS5_6ELb0ES3_mN6thrust23THRUST_200600_302600_NS6detail15normal_iteratorINSA_10device_ptrIfEEEEPS6_SG_NS0_5tupleIJSF_S6_EEENSH_IJSG_SG_EEES6_PlJ7is_evenIfEEEE10hipError_tPvRmT3_T4_T5_T6_T7_T9_mT8_P12ihipStream_tbDpT10_ENKUlT_T0_E_clISt17integral_constantIbLb1EES16_EEDaS11_S12_EUlS11_E_NS1_11comp_targetILNS1_3genE10ELNS1_11target_archE1200ELNS1_3gpuE4ELNS1_3repE0EEENS1_30default_config_static_selectorELNS0_4arch9wavefront6targetE0EEEvT1_
    .private_segment_fixed_size: 0
    .sgpr_count:     0
    .sgpr_spill_count: 0
    .symbol:         _ZN7rocprim17ROCPRIM_400000_NS6detail17trampoline_kernelINS0_14default_configENS1_25partition_config_selectorILNS1_17partition_subalgoE6EfNS0_10empty_typeEbEEZZNS1_14partition_implILS5_6ELb0ES3_mN6thrust23THRUST_200600_302600_NS6detail15normal_iteratorINSA_10device_ptrIfEEEEPS6_SG_NS0_5tupleIJSF_S6_EEENSH_IJSG_SG_EEES6_PlJ7is_evenIfEEEE10hipError_tPvRmT3_T4_T5_T6_T7_T9_mT8_P12ihipStream_tbDpT10_ENKUlT_T0_E_clISt17integral_constantIbLb1EES16_EEDaS11_S12_EUlS11_E_NS1_11comp_targetILNS1_3genE10ELNS1_11target_archE1200ELNS1_3gpuE4ELNS1_3repE0EEENS1_30default_config_static_selectorELNS0_4arch9wavefront6targetE0EEEvT1_.kd
    .uniform_work_group_size: 1
    .uses_dynamic_stack: false
    .vgpr_count:     0
    .vgpr_spill_count: 0
    .wavefront_size: 32
    .workgroup_processor_mode: 1
  - .args:
      - .offset:         0
        .size:           128
        .value_kind:     by_value
    .group_segment_fixed_size: 7184
    .kernarg_segment_align: 8
    .kernarg_segment_size: 128
    .language:       OpenCL C
    .language_version:
      - 2
      - 0
    .max_flat_workgroup_size: 128
    .name:           _ZN7rocprim17ROCPRIM_400000_NS6detail17trampoline_kernelINS0_14default_configENS1_25partition_config_selectorILNS1_17partition_subalgoE6EfNS0_10empty_typeEbEEZZNS1_14partition_implILS5_6ELb0ES3_mN6thrust23THRUST_200600_302600_NS6detail15normal_iteratorINSA_10device_ptrIfEEEEPS6_SG_NS0_5tupleIJSF_S6_EEENSH_IJSG_SG_EEES6_PlJ7is_evenIfEEEE10hipError_tPvRmT3_T4_T5_T6_T7_T9_mT8_P12ihipStream_tbDpT10_ENKUlT_T0_E_clISt17integral_constantIbLb1EES16_EEDaS11_S12_EUlS11_E_NS1_11comp_targetILNS1_3genE9ELNS1_11target_archE1100ELNS1_3gpuE3ELNS1_3repE0EEENS1_30default_config_static_selectorELNS0_4arch9wavefront6targetE0EEEvT1_
    .private_segment_fixed_size: 0
    .sgpr_count:     22
    .sgpr_spill_count: 0
    .symbol:         _ZN7rocprim17ROCPRIM_400000_NS6detail17trampoline_kernelINS0_14default_configENS1_25partition_config_selectorILNS1_17partition_subalgoE6EfNS0_10empty_typeEbEEZZNS1_14partition_implILS5_6ELb0ES3_mN6thrust23THRUST_200600_302600_NS6detail15normal_iteratorINSA_10device_ptrIfEEEEPS6_SG_NS0_5tupleIJSF_S6_EEENSH_IJSG_SG_EEES6_PlJ7is_evenIfEEEE10hipError_tPvRmT3_T4_T5_T6_T7_T9_mT8_P12ihipStream_tbDpT10_ENKUlT_T0_E_clISt17integral_constantIbLb1EES16_EEDaS11_S12_EUlS11_E_NS1_11comp_targetILNS1_3genE9ELNS1_11target_archE1100ELNS1_3gpuE3ELNS1_3repE0EEENS1_30default_config_static_selectorELNS0_4arch9wavefront6targetE0EEEvT1_.kd
    .uniform_work_group_size: 1
    .uses_dynamic_stack: false
    .vgpr_count:     76
    .vgpr_spill_count: 0
    .wavefront_size: 32
    .workgroup_processor_mode: 1
  - .args:
      - .offset:         0
        .size:           128
        .value_kind:     by_value
    .group_segment_fixed_size: 0
    .kernarg_segment_align: 8
    .kernarg_segment_size: 128
    .language:       OpenCL C
    .language_version:
      - 2
      - 0
    .max_flat_workgroup_size: 512
    .name:           _ZN7rocprim17ROCPRIM_400000_NS6detail17trampoline_kernelINS0_14default_configENS1_25partition_config_selectorILNS1_17partition_subalgoE6EfNS0_10empty_typeEbEEZZNS1_14partition_implILS5_6ELb0ES3_mN6thrust23THRUST_200600_302600_NS6detail15normal_iteratorINSA_10device_ptrIfEEEEPS6_SG_NS0_5tupleIJSF_S6_EEENSH_IJSG_SG_EEES6_PlJ7is_evenIfEEEE10hipError_tPvRmT3_T4_T5_T6_T7_T9_mT8_P12ihipStream_tbDpT10_ENKUlT_T0_E_clISt17integral_constantIbLb1EES16_EEDaS11_S12_EUlS11_E_NS1_11comp_targetILNS1_3genE8ELNS1_11target_archE1030ELNS1_3gpuE2ELNS1_3repE0EEENS1_30default_config_static_selectorELNS0_4arch9wavefront6targetE0EEEvT1_
    .private_segment_fixed_size: 0
    .sgpr_count:     0
    .sgpr_spill_count: 0
    .symbol:         _ZN7rocprim17ROCPRIM_400000_NS6detail17trampoline_kernelINS0_14default_configENS1_25partition_config_selectorILNS1_17partition_subalgoE6EfNS0_10empty_typeEbEEZZNS1_14partition_implILS5_6ELb0ES3_mN6thrust23THRUST_200600_302600_NS6detail15normal_iteratorINSA_10device_ptrIfEEEEPS6_SG_NS0_5tupleIJSF_S6_EEENSH_IJSG_SG_EEES6_PlJ7is_evenIfEEEE10hipError_tPvRmT3_T4_T5_T6_T7_T9_mT8_P12ihipStream_tbDpT10_ENKUlT_T0_E_clISt17integral_constantIbLb1EES16_EEDaS11_S12_EUlS11_E_NS1_11comp_targetILNS1_3genE8ELNS1_11target_archE1030ELNS1_3gpuE2ELNS1_3repE0EEENS1_30default_config_static_selectorELNS0_4arch9wavefront6targetE0EEEvT1_.kd
    .uniform_work_group_size: 1
    .uses_dynamic_stack: false
    .vgpr_count:     0
    .vgpr_spill_count: 0
    .wavefront_size: 32
    .workgroup_processor_mode: 1
  - .args:
      - .offset:         0
        .size:           112
        .value_kind:     by_value
    .group_segment_fixed_size: 0
    .kernarg_segment_align: 8
    .kernarg_segment_size: 112
    .language:       OpenCL C
    .language_version:
      - 2
      - 0
    .max_flat_workgroup_size: 256
    .name:           _ZN7rocprim17ROCPRIM_400000_NS6detail17trampoline_kernelINS0_14default_configENS1_25partition_config_selectorILNS1_17partition_subalgoE6EfNS0_10empty_typeEbEEZZNS1_14partition_implILS5_6ELb0ES3_mN6thrust23THRUST_200600_302600_NS6detail15normal_iteratorINSA_10device_ptrIfEEEEPS6_SG_NS0_5tupleIJSF_S6_EEENSH_IJSG_SG_EEES6_PlJ7is_evenIfEEEE10hipError_tPvRmT3_T4_T5_T6_T7_T9_mT8_P12ihipStream_tbDpT10_ENKUlT_T0_E_clISt17integral_constantIbLb1EES15_IbLb0EEEEDaS11_S12_EUlS11_E_NS1_11comp_targetILNS1_3genE0ELNS1_11target_archE4294967295ELNS1_3gpuE0ELNS1_3repE0EEENS1_30default_config_static_selectorELNS0_4arch9wavefront6targetE0EEEvT1_
    .private_segment_fixed_size: 0
    .sgpr_count:     0
    .sgpr_spill_count: 0
    .symbol:         _ZN7rocprim17ROCPRIM_400000_NS6detail17trampoline_kernelINS0_14default_configENS1_25partition_config_selectorILNS1_17partition_subalgoE6EfNS0_10empty_typeEbEEZZNS1_14partition_implILS5_6ELb0ES3_mN6thrust23THRUST_200600_302600_NS6detail15normal_iteratorINSA_10device_ptrIfEEEEPS6_SG_NS0_5tupleIJSF_S6_EEENSH_IJSG_SG_EEES6_PlJ7is_evenIfEEEE10hipError_tPvRmT3_T4_T5_T6_T7_T9_mT8_P12ihipStream_tbDpT10_ENKUlT_T0_E_clISt17integral_constantIbLb1EES15_IbLb0EEEEDaS11_S12_EUlS11_E_NS1_11comp_targetILNS1_3genE0ELNS1_11target_archE4294967295ELNS1_3gpuE0ELNS1_3repE0EEENS1_30default_config_static_selectorELNS0_4arch9wavefront6targetE0EEEvT1_.kd
    .uniform_work_group_size: 1
    .uses_dynamic_stack: false
    .vgpr_count:     0
    .vgpr_spill_count: 0
    .wavefront_size: 32
    .workgroup_processor_mode: 1
  - .args:
      - .offset:         0
        .size:           112
        .value_kind:     by_value
    .group_segment_fixed_size: 0
    .kernarg_segment_align: 8
    .kernarg_segment_size: 112
    .language:       OpenCL C
    .language_version:
      - 2
      - 0
    .max_flat_workgroup_size: 512
    .name:           _ZN7rocprim17ROCPRIM_400000_NS6detail17trampoline_kernelINS0_14default_configENS1_25partition_config_selectorILNS1_17partition_subalgoE6EfNS0_10empty_typeEbEEZZNS1_14partition_implILS5_6ELb0ES3_mN6thrust23THRUST_200600_302600_NS6detail15normal_iteratorINSA_10device_ptrIfEEEEPS6_SG_NS0_5tupleIJSF_S6_EEENSH_IJSG_SG_EEES6_PlJ7is_evenIfEEEE10hipError_tPvRmT3_T4_T5_T6_T7_T9_mT8_P12ihipStream_tbDpT10_ENKUlT_T0_E_clISt17integral_constantIbLb1EES15_IbLb0EEEEDaS11_S12_EUlS11_E_NS1_11comp_targetILNS1_3genE5ELNS1_11target_archE942ELNS1_3gpuE9ELNS1_3repE0EEENS1_30default_config_static_selectorELNS0_4arch9wavefront6targetE0EEEvT1_
    .private_segment_fixed_size: 0
    .sgpr_count:     0
    .sgpr_spill_count: 0
    .symbol:         _ZN7rocprim17ROCPRIM_400000_NS6detail17trampoline_kernelINS0_14default_configENS1_25partition_config_selectorILNS1_17partition_subalgoE6EfNS0_10empty_typeEbEEZZNS1_14partition_implILS5_6ELb0ES3_mN6thrust23THRUST_200600_302600_NS6detail15normal_iteratorINSA_10device_ptrIfEEEEPS6_SG_NS0_5tupleIJSF_S6_EEENSH_IJSG_SG_EEES6_PlJ7is_evenIfEEEE10hipError_tPvRmT3_T4_T5_T6_T7_T9_mT8_P12ihipStream_tbDpT10_ENKUlT_T0_E_clISt17integral_constantIbLb1EES15_IbLb0EEEEDaS11_S12_EUlS11_E_NS1_11comp_targetILNS1_3genE5ELNS1_11target_archE942ELNS1_3gpuE9ELNS1_3repE0EEENS1_30default_config_static_selectorELNS0_4arch9wavefront6targetE0EEEvT1_.kd
    .uniform_work_group_size: 1
    .uses_dynamic_stack: false
    .vgpr_count:     0
    .vgpr_spill_count: 0
    .wavefront_size: 32
    .workgroup_processor_mode: 1
  - .args:
      - .offset:         0
        .size:           112
        .value_kind:     by_value
    .group_segment_fixed_size: 0
    .kernarg_segment_align: 8
    .kernarg_segment_size: 112
    .language:       OpenCL C
    .language_version:
      - 2
      - 0
    .max_flat_workgroup_size: 512
    .name:           _ZN7rocprim17ROCPRIM_400000_NS6detail17trampoline_kernelINS0_14default_configENS1_25partition_config_selectorILNS1_17partition_subalgoE6EfNS0_10empty_typeEbEEZZNS1_14partition_implILS5_6ELb0ES3_mN6thrust23THRUST_200600_302600_NS6detail15normal_iteratorINSA_10device_ptrIfEEEEPS6_SG_NS0_5tupleIJSF_S6_EEENSH_IJSG_SG_EEES6_PlJ7is_evenIfEEEE10hipError_tPvRmT3_T4_T5_T6_T7_T9_mT8_P12ihipStream_tbDpT10_ENKUlT_T0_E_clISt17integral_constantIbLb1EES15_IbLb0EEEEDaS11_S12_EUlS11_E_NS1_11comp_targetILNS1_3genE4ELNS1_11target_archE910ELNS1_3gpuE8ELNS1_3repE0EEENS1_30default_config_static_selectorELNS0_4arch9wavefront6targetE0EEEvT1_
    .private_segment_fixed_size: 0
    .sgpr_count:     0
    .sgpr_spill_count: 0
    .symbol:         _ZN7rocprim17ROCPRIM_400000_NS6detail17trampoline_kernelINS0_14default_configENS1_25partition_config_selectorILNS1_17partition_subalgoE6EfNS0_10empty_typeEbEEZZNS1_14partition_implILS5_6ELb0ES3_mN6thrust23THRUST_200600_302600_NS6detail15normal_iteratorINSA_10device_ptrIfEEEEPS6_SG_NS0_5tupleIJSF_S6_EEENSH_IJSG_SG_EEES6_PlJ7is_evenIfEEEE10hipError_tPvRmT3_T4_T5_T6_T7_T9_mT8_P12ihipStream_tbDpT10_ENKUlT_T0_E_clISt17integral_constantIbLb1EES15_IbLb0EEEEDaS11_S12_EUlS11_E_NS1_11comp_targetILNS1_3genE4ELNS1_11target_archE910ELNS1_3gpuE8ELNS1_3repE0EEENS1_30default_config_static_selectorELNS0_4arch9wavefront6targetE0EEEvT1_.kd
    .uniform_work_group_size: 1
    .uses_dynamic_stack: false
    .vgpr_count:     0
    .vgpr_spill_count: 0
    .wavefront_size: 32
    .workgroup_processor_mode: 1
  - .args:
      - .offset:         0
        .size:           112
        .value_kind:     by_value
    .group_segment_fixed_size: 0
    .kernarg_segment_align: 8
    .kernarg_segment_size: 112
    .language:       OpenCL C
    .language_version:
      - 2
      - 0
    .max_flat_workgroup_size: 256
    .name:           _ZN7rocprim17ROCPRIM_400000_NS6detail17trampoline_kernelINS0_14default_configENS1_25partition_config_selectorILNS1_17partition_subalgoE6EfNS0_10empty_typeEbEEZZNS1_14partition_implILS5_6ELb0ES3_mN6thrust23THRUST_200600_302600_NS6detail15normal_iteratorINSA_10device_ptrIfEEEEPS6_SG_NS0_5tupleIJSF_S6_EEENSH_IJSG_SG_EEES6_PlJ7is_evenIfEEEE10hipError_tPvRmT3_T4_T5_T6_T7_T9_mT8_P12ihipStream_tbDpT10_ENKUlT_T0_E_clISt17integral_constantIbLb1EES15_IbLb0EEEEDaS11_S12_EUlS11_E_NS1_11comp_targetILNS1_3genE3ELNS1_11target_archE908ELNS1_3gpuE7ELNS1_3repE0EEENS1_30default_config_static_selectorELNS0_4arch9wavefront6targetE0EEEvT1_
    .private_segment_fixed_size: 0
    .sgpr_count:     0
    .sgpr_spill_count: 0
    .symbol:         _ZN7rocprim17ROCPRIM_400000_NS6detail17trampoline_kernelINS0_14default_configENS1_25partition_config_selectorILNS1_17partition_subalgoE6EfNS0_10empty_typeEbEEZZNS1_14partition_implILS5_6ELb0ES3_mN6thrust23THRUST_200600_302600_NS6detail15normal_iteratorINSA_10device_ptrIfEEEEPS6_SG_NS0_5tupleIJSF_S6_EEENSH_IJSG_SG_EEES6_PlJ7is_evenIfEEEE10hipError_tPvRmT3_T4_T5_T6_T7_T9_mT8_P12ihipStream_tbDpT10_ENKUlT_T0_E_clISt17integral_constantIbLb1EES15_IbLb0EEEEDaS11_S12_EUlS11_E_NS1_11comp_targetILNS1_3genE3ELNS1_11target_archE908ELNS1_3gpuE7ELNS1_3repE0EEENS1_30default_config_static_selectorELNS0_4arch9wavefront6targetE0EEEvT1_.kd
    .uniform_work_group_size: 1
    .uses_dynamic_stack: false
    .vgpr_count:     0
    .vgpr_spill_count: 0
    .wavefront_size: 32
    .workgroup_processor_mode: 1
  - .args:
      - .offset:         0
        .size:           112
        .value_kind:     by_value
    .group_segment_fixed_size: 0
    .kernarg_segment_align: 8
    .kernarg_segment_size: 112
    .language:       OpenCL C
    .language_version:
      - 2
      - 0
    .max_flat_workgroup_size: 256
    .name:           _ZN7rocprim17ROCPRIM_400000_NS6detail17trampoline_kernelINS0_14default_configENS1_25partition_config_selectorILNS1_17partition_subalgoE6EfNS0_10empty_typeEbEEZZNS1_14partition_implILS5_6ELb0ES3_mN6thrust23THRUST_200600_302600_NS6detail15normal_iteratorINSA_10device_ptrIfEEEEPS6_SG_NS0_5tupleIJSF_S6_EEENSH_IJSG_SG_EEES6_PlJ7is_evenIfEEEE10hipError_tPvRmT3_T4_T5_T6_T7_T9_mT8_P12ihipStream_tbDpT10_ENKUlT_T0_E_clISt17integral_constantIbLb1EES15_IbLb0EEEEDaS11_S12_EUlS11_E_NS1_11comp_targetILNS1_3genE2ELNS1_11target_archE906ELNS1_3gpuE6ELNS1_3repE0EEENS1_30default_config_static_selectorELNS0_4arch9wavefront6targetE0EEEvT1_
    .private_segment_fixed_size: 0
    .sgpr_count:     0
    .sgpr_spill_count: 0
    .symbol:         _ZN7rocprim17ROCPRIM_400000_NS6detail17trampoline_kernelINS0_14default_configENS1_25partition_config_selectorILNS1_17partition_subalgoE6EfNS0_10empty_typeEbEEZZNS1_14partition_implILS5_6ELb0ES3_mN6thrust23THRUST_200600_302600_NS6detail15normal_iteratorINSA_10device_ptrIfEEEEPS6_SG_NS0_5tupleIJSF_S6_EEENSH_IJSG_SG_EEES6_PlJ7is_evenIfEEEE10hipError_tPvRmT3_T4_T5_T6_T7_T9_mT8_P12ihipStream_tbDpT10_ENKUlT_T0_E_clISt17integral_constantIbLb1EES15_IbLb0EEEEDaS11_S12_EUlS11_E_NS1_11comp_targetILNS1_3genE2ELNS1_11target_archE906ELNS1_3gpuE6ELNS1_3repE0EEENS1_30default_config_static_selectorELNS0_4arch9wavefront6targetE0EEEvT1_.kd
    .uniform_work_group_size: 1
    .uses_dynamic_stack: false
    .vgpr_count:     0
    .vgpr_spill_count: 0
    .wavefront_size: 32
    .workgroup_processor_mode: 1
  - .args:
      - .offset:         0
        .size:           112
        .value_kind:     by_value
    .group_segment_fixed_size: 0
    .kernarg_segment_align: 8
    .kernarg_segment_size: 112
    .language:       OpenCL C
    .language_version:
      - 2
      - 0
    .max_flat_workgroup_size: 384
    .name:           _ZN7rocprim17ROCPRIM_400000_NS6detail17trampoline_kernelINS0_14default_configENS1_25partition_config_selectorILNS1_17partition_subalgoE6EfNS0_10empty_typeEbEEZZNS1_14partition_implILS5_6ELb0ES3_mN6thrust23THRUST_200600_302600_NS6detail15normal_iteratorINSA_10device_ptrIfEEEEPS6_SG_NS0_5tupleIJSF_S6_EEENSH_IJSG_SG_EEES6_PlJ7is_evenIfEEEE10hipError_tPvRmT3_T4_T5_T6_T7_T9_mT8_P12ihipStream_tbDpT10_ENKUlT_T0_E_clISt17integral_constantIbLb1EES15_IbLb0EEEEDaS11_S12_EUlS11_E_NS1_11comp_targetILNS1_3genE10ELNS1_11target_archE1200ELNS1_3gpuE4ELNS1_3repE0EEENS1_30default_config_static_selectorELNS0_4arch9wavefront6targetE0EEEvT1_
    .private_segment_fixed_size: 0
    .sgpr_count:     0
    .sgpr_spill_count: 0
    .symbol:         _ZN7rocprim17ROCPRIM_400000_NS6detail17trampoline_kernelINS0_14default_configENS1_25partition_config_selectorILNS1_17partition_subalgoE6EfNS0_10empty_typeEbEEZZNS1_14partition_implILS5_6ELb0ES3_mN6thrust23THRUST_200600_302600_NS6detail15normal_iteratorINSA_10device_ptrIfEEEEPS6_SG_NS0_5tupleIJSF_S6_EEENSH_IJSG_SG_EEES6_PlJ7is_evenIfEEEE10hipError_tPvRmT3_T4_T5_T6_T7_T9_mT8_P12ihipStream_tbDpT10_ENKUlT_T0_E_clISt17integral_constantIbLb1EES15_IbLb0EEEEDaS11_S12_EUlS11_E_NS1_11comp_targetILNS1_3genE10ELNS1_11target_archE1200ELNS1_3gpuE4ELNS1_3repE0EEENS1_30default_config_static_selectorELNS0_4arch9wavefront6targetE0EEEvT1_.kd
    .uniform_work_group_size: 1
    .uses_dynamic_stack: false
    .vgpr_count:     0
    .vgpr_spill_count: 0
    .wavefront_size: 32
    .workgroup_processor_mode: 1
  - .args:
      - .offset:         0
        .size:           112
        .value_kind:     by_value
    .group_segment_fixed_size: 7184
    .kernarg_segment_align: 8
    .kernarg_segment_size: 112
    .language:       OpenCL C
    .language_version:
      - 2
      - 0
    .max_flat_workgroup_size: 128
    .name:           _ZN7rocprim17ROCPRIM_400000_NS6detail17trampoline_kernelINS0_14default_configENS1_25partition_config_selectorILNS1_17partition_subalgoE6EfNS0_10empty_typeEbEEZZNS1_14partition_implILS5_6ELb0ES3_mN6thrust23THRUST_200600_302600_NS6detail15normal_iteratorINSA_10device_ptrIfEEEEPS6_SG_NS0_5tupleIJSF_S6_EEENSH_IJSG_SG_EEES6_PlJ7is_evenIfEEEE10hipError_tPvRmT3_T4_T5_T6_T7_T9_mT8_P12ihipStream_tbDpT10_ENKUlT_T0_E_clISt17integral_constantIbLb1EES15_IbLb0EEEEDaS11_S12_EUlS11_E_NS1_11comp_targetILNS1_3genE9ELNS1_11target_archE1100ELNS1_3gpuE3ELNS1_3repE0EEENS1_30default_config_static_selectorELNS0_4arch9wavefront6targetE0EEEvT1_
    .private_segment_fixed_size: 0
    .sgpr_count:     21
    .sgpr_spill_count: 0
    .symbol:         _ZN7rocprim17ROCPRIM_400000_NS6detail17trampoline_kernelINS0_14default_configENS1_25partition_config_selectorILNS1_17partition_subalgoE6EfNS0_10empty_typeEbEEZZNS1_14partition_implILS5_6ELb0ES3_mN6thrust23THRUST_200600_302600_NS6detail15normal_iteratorINSA_10device_ptrIfEEEEPS6_SG_NS0_5tupleIJSF_S6_EEENSH_IJSG_SG_EEES6_PlJ7is_evenIfEEEE10hipError_tPvRmT3_T4_T5_T6_T7_T9_mT8_P12ihipStream_tbDpT10_ENKUlT_T0_E_clISt17integral_constantIbLb1EES15_IbLb0EEEEDaS11_S12_EUlS11_E_NS1_11comp_targetILNS1_3genE9ELNS1_11target_archE1100ELNS1_3gpuE3ELNS1_3repE0EEENS1_30default_config_static_selectorELNS0_4arch9wavefront6targetE0EEEvT1_.kd
    .uniform_work_group_size: 1
    .uses_dynamic_stack: false
    .vgpr_count:     74
    .vgpr_spill_count: 0
    .wavefront_size: 32
    .workgroup_processor_mode: 1
  - .args:
      - .offset:         0
        .size:           112
        .value_kind:     by_value
    .group_segment_fixed_size: 0
    .kernarg_segment_align: 8
    .kernarg_segment_size: 112
    .language:       OpenCL C
    .language_version:
      - 2
      - 0
    .max_flat_workgroup_size: 512
    .name:           _ZN7rocprim17ROCPRIM_400000_NS6detail17trampoline_kernelINS0_14default_configENS1_25partition_config_selectorILNS1_17partition_subalgoE6EfNS0_10empty_typeEbEEZZNS1_14partition_implILS5_6ELb0ES3_mN6thrust23THRUST_200600_302600_NS6detail15normal_iteratorINSA_10device_ptrIfEEEEPS6_SG_NS0_5tupleIJSF_S6_EEENSH_IJSG_SG_EEES6_PlJ7is_evenIfEEEE10hipError_tPvRmT3_T4_T5_T6_T7_T9_mT8_P12ihipStream_tbDpT10_ENKUlT_T0_E_clISt17integral_constantIbLb1EES15_IbLb0EEEEDaS11_S12_EUlS11_E_NS1_11comp_targetILNS1_3genE8ELNS1_11target_archE1030ELNS1_3gpuE2ELNS1_3repE0EEENS1_30default_config_static_selectorELNS0_4arch9wavefront6targetE0EEEvT1_
    .private_segment_fixed_size: 0
    .sgpr_count:     0
    .sgpr_spill_count: 0
    .symbol:         _ZN7rocprim17ROCPRIM_400000_NS6detail17trampoline_kernelINS0_14default_configENS1_25partition_config_selectorILNS1_17partition_subalgoE6EfNS0_10empty_typeEbEEZZNS1_14partition_implILS5_6ELb0ES3_mN6thrust23THRUST_200600_302600_NS6detail15normal_iteratorINSA_10device_ptrIfEEEEPS6_SG_NS0_5tupleIJSF_S6_EEENSH_IJSG_SG_EEES6_PlJ7is_evenIfEEEE10hipError_tPvRmT3_T4_T5_T6_T7_T9_mT8_P12ihipStream_tbDpT10_ENKUlT_T0_E_clISt17integral_constantIbLb1EES15_IbLb0EEEEDaS11_S12_EUlS11_E_NS1_11comp_targetILNS1_3genE8ELNS1_11target_archE1030ELNS1_3gpuE2ELNS1_3repE0EEENS1_30default_config_static_selectorELNS0_4arch9wavefront6targetE0EEEvT1_.kd
    .uniform_work_group_size: 1
    .uses_dynamic_stack: false
    .vgpr_count:     0
    .vgpr_spill_count: 0
    .wavefront_size: 32
    .workgroup_processor_mode: 1
  - .args:
      - .offset:         0
        .size:           128
        .value_kind:     by_value
    .group_segment_fixed_size: 0
    .kernarg_segment_align: 8
    .kernarg_segment_size: 128
    .language:       OpenCL C
    .language_version:
      - 2
      - 0
    .max_flat_workgroup_size: 256
    .name:           _ZN7rocprim17ROCPRIM_400000_NS6detail17trampoline_kernelINS0_14default_configENS1_25partition_config_selectorILNS1_17partition_subalgoE6EfNS0_10empty_typeEbEEZZNS1_14partition_implILS5_6ELb0ES3_mN6thrust23THRUST_200600_302600_NS6detail15normal_iteratorINSA_10device_ptrIfEEEEPS6_SG_NS0_5tupleIJSF_S6_EEENSH_IJSG_SG_EEES6_PlJ7is_evenIfEEEE10hipError_tPvRmT3_T4_T5_T6_T7_T9_mT8_P12ihipStream_tbDpT10_ENKUlT_T0_E_clISt17integral_constantIbLb0EES15_IbLb1EEEEDaS11_S12_EUlS11_E_NS1_11comp_targetILNS1_3genE0ELNS1_11target_archE4294967295ELNS1_3gpuE0ELNS1_3repE0EEENS1_30default_config_static_selectorELNS0_4arch9wavefront6targetE0EEEvT1_
    .private_segment_fixed_size: 0
    .sgpr_count:     0
    .sgpr_spill_count: 0
    .symbol:         _ZN7rocprim17ROCPRIM_400000_NS6detail17trampoline_kernelINS0_14default_configENS1_25partition_config_selectorILNS1_17partition_subalgoE6EfNS0_10empty_typeEbEEZZNS1_14partition_implILS5_6ELb0ES3_mN6thrust23THRUST_200600_302600_NS6detail15normal_iteratorINSA_10device_ptrIfEEEEPS6_SG_NS0_5tupleIJSF_S6_EEENSH_IJSG_SG_EEES6_PlJ7is_evenIfEEEE10hipError_tPvRmT3_T4_T5_T6_T7_T9_mT8_P12ihipStream_tbDpT10_ENKUlT_T0_E_clISt17integral_constantIbLb0EES15_IbLb1EEEEDaS11_S12_EUlS11_E_NS1_11comp_targetILNS1_3genE0ELNS1_11target_archE4294967295ELNS1_3gpuE0ELNS1_3repE0EEENS1_30default_config_static_selectorELNS0_4arch9wavefront6targetE0EEEvT1_.kd
    .uniform_work_group_size: 1
    .uses_dynamic_stack: false
    .vgpr_count:     0
    .vgpr_spill_count: 0
    .wavefront_size: 32
    .workgroup_processor_mode: 1
  - .args:
      - .offset:         0
        .size:           128
        .value_kind:     by_value
    .group_segment_fixed_size: 0
    .kernarg_segment_align: 8
    .kernarg_segment_size: 128
    .language:       OpenCL C
    .language_version:
      - 2
      - 0
    .max_flat_workgroup_size: 512
    .name:           _ZN7rocprim17ROCPRIM_400000_NS6detail17trampoline_kernelINS0_14default_configENS1_25partition_config_selectorILNS1_17partition_subalgoE6EfNS0_10empty_typeEbEEZZNS1_14partition_implILS5_6ELb0ES3_mN6thrust23THRUST_200600_302600_NS6detail15normal_iteratorINSA_10device_ptrIfEEEEPS6_SG_NS0_5tupleIJSF_S6_EEENSH_IJSG_SG_EEES6_PlJ7is_evenIfEEEE10hipError_tPvRmT3_T4_T5_T6_T7_T9_mT8_P12ihipStream_tbDpT10_ENKUlT_T0_E_clISt17integral_constantIbLb0EES15_IbLb1EEEEDaS11_S12_EUlS11_E_NS1_11comp_targetILNS1_3genE5ELNS1_11target_archE942ELNS1_3gpuE9ELNS1_3repE0EEENS1_30default_config_static_selectorELNS0_4arch9wavefront6targetE0EEEvT1_
    .private_segment_fixed_size: 0
    .sgpr_count:     0
    .sgpr_spill_count: 0
    .symbol:         _ZN7rocprim17ROCPRIM_400000_NS6detail17trampoline_kernelINS0_14default_configENS1_25partition_config_selectorILNS1_17partition_subalgoE6EfNS0_10empty_typeEbEEZZNS1_14partition_implILS5_6ELb0ES3_mN6thrust23THRUST_200600_302600_NS6detail15normal_iteratorINSA_10device_ptrIfEEEEPS6_SG_NS0_5tupleIJSF_S6_EEENSH_IJSG_SG_EEES6_PlJ7is_evenIfEEEE10hipError_tPvRmT3_T4_T5_T6_T7_T9_mT8_P12ihipStream_tbDpT10_ENKUlT_T0_E_clISt17integral_constantIbLb0EES15_IbLb1EEEEDaS11_S12_EUlS11_E_NS1_11comp_targetILNS1_3genE5ELNS1_11target_archE942ELNS1_3gpuE9ELNS1_3repE0EEENS1_30default_config_static_selectorELNS0_4arch9wavefront6targetE0EEEvT1_.kd
    .uniform_work_group_size: 1
    .uses_dynamic_stack: false
    .vgpr_count:     0
    .vgpr_spill_count: 0
    .wavefront_size: 32
    .workgroup_processor_mode: 1
  - .args:
      - .offset:         0
        .size:           128
        .value_kind:     by_value
    .group_segment_fixed_size: 0
    .kernarg_segment_align: 8
    .kernarg_segment_size: 128
    .language:       OpenCL C
    .language_version:
      - 2
      - 0
    .max_flat_workgroup_size: 512
    .name:           _ZN7rocprim17ROCPRIM_400000_NS6detail17trampoline_kernelINS0_14default_configENS1_25partition_config_selectorILNS1_17partition_subalgoE6EfNS0_10empty_typeEbEEZZNS1_14partition_implILS5_6ELb0ES3_mN6thrust23THRUST_200600_302600_NS6detail15normal_iteratorINSA_10device_ptrIfEEEEPS6_SG_NS0_5tupleIJSF_S6_EEENSH_IJSG_SG_EEES6_PlJ7is_evenIfEEEE10hipError_tPvRmT3_T4_T5_T6_T7_T9_mT8_P12ihipStream_tbDpT10_ENKUlT_T0_E_clISt17integral_constantIbLb0EES15_IbLb1EEEEDaS11_S12_EUlS11_E_NS1_11comp_targetILNS1_3genE4ELNS1_11target_archE910ELNS1_3gpuE8ELNS1_3repE0EEENS1_30default_config_static_selectorELNS0_4arch9wavefront6targetE0EEEvT1_
    .private_segment_fixed_size: 0
    .sgpr_count:     0
    .sgpr_spill_count: 0
    .symbol:         _ZN7rocprim17ROCPRIM_400000_NS6detail17trampoline_kernelINS0_14default_configENS1_25partition_config_selectorILNS1_17partition_subalgoE6EfNS0_10empty_typeEbEEZZNS1_14partition_implILS5_6ELb0ES3_mN6thrust23THRUST_200600_302600_NS6detail15normal_iteratorINSA_10device_ptrIfEEEEPS6_SG_NS0_5tupleIJSF_S6_EEENSH_IJSG_SG_EEES6_PlJ7is_evenIfEEEE10hipError_tPvRmT3_T4_T5_T6_T7_T9_mT8_P12ihipStream_tbDpT10_ENKUlT_T0_E_clISt17integral_constantIbLb0EES15_IbLb1EEEEDaS11_S12_EUlS11_E_NS1_11comp_targetILNS1_3genE4ELNS1_11target_archE910ELNS1_3gpuE8ELNS1_3repE0EEENS1_30default_config_static_selectorELNS0_4arch9wavefront6targetE0EEEvT1_.kd
    .uniform_work_group_size: 1
    .uses_dynamic_stack: false
    .vgpr_count:     0
    .vgpr_spill_count: 0
    .wavefront_size: 32
    .workgroup_processor_mode: 1
  - .args:
      - .offset:         0
        .size:           128
        .value_kind:     by_value
    .group_segment_fixed_size: 0
    .kernarg_segment_align: 8
    .kernarg_segment_size: 128
    .language:       OpenCL C
    .language_version:
      - 2
      - 0
    .max_flat_workgroup_size: 256
    .name:           _ZN7rocprim17ROCPRIM_400000_NS6detail17trampoline_kernelINS0_14default_configENS1_25partition_config_selectorILNS1_17partition_subalgoE6EfNS0_10empty_typeEbEEZZNS1_14partition_implILS5_6ELb0ES3_mN6thrust23THRUST_200600_302600_NS6detail15normal_iteratorINSA_10device_ptrIfEEEEPS6_SG_NS0_5tupleIJSF_S6_EEENSH_IJSG_SG_EEES6_PlJ7is_evenIfEEEE10hipError_tPvRmT3_T4_T5_T6_T7_T9_mT8_P12ihipStream_tbDpT10_ENKUlT_T0_E_clISt17integral_constantIbLb0EES15_IbLb1EEEEDaS11_S12_EUlS11_E_NS1_11comp_targetILNS1_3genE3ELNS1_11target_archE908ELNS1_3gpuE7ELNS1_3repE0EEENS1_30default_config_static_selectorELNS0_4arch9wavefront6targetE0EEEvT1_
    .private_segment_fixed_size: 0
    .sgpr_count:     0
    .sgpr_spill_count: 0
    .symbol:         _ZN7rocprim17ROCPRIM_400000_NS6detail17trampoline_kernelINS0_14default_configENS1_25partition_config_selectorILNS1_17partition_subalgoE6EfNS0_10empty_typeEbEEZZNS1_14partition_implILS5_6ELb0ES3_mN6thrust23THRUST_200600_302600_NS6detail15normal_iteratorINSA_10device_ptrIfEEEEPS6_SG_NS0_5tupleIJSF_S6_EEENSH_IJSG_SG_EEES6_PlJ7is_evenIfEEEE10hipError_tPvRmT3_T4_T5_T6_T7_T9_mT8_P12ihipStream_tbDpT10_ENKUlT_T0_E_clISt17integral_constantIbLb0EES15_IbLb1EEEEDaS11_S12_EUlS11_E_NS1_11comp_targetILNS1_3genE3ELNS1_11target_archE908ELNS1_3gpuE7ELNS1_3repE0EEENS1_30default_config_static_selectorELNS0_4arch9wavefront6targetE0EEEvT1_.kd
    .uniform_work_group_size: 1
    .uses_dynamic_stack: false
    .vgpr_count:     0
    .vgpr_spill_count: 0
    .wavefront_size: 32
    .workgroup_processor_mode: 1
  - .args:
      - .offset:         0
        .size:           128
        .value_kind:     by_value
    .group_segment_fixed_size: 0
    .kernarg_segment_align: 8
    .kernarg_segment_size: 128
    .language:       OpenCL C
    .language_version:
      - 2
      - 0
    .max_flat_workgroup_size: 256
    .name:           _ZN7rocprim17ROCPRIM_400000_NS6detail17trampoline_kernelINS0_14default_configENS1_25partition_config_selectorILNS1_17partition_subalgoE6EfNS0_10empty_typeEbEEZZNS1_14partition_implILS5_6ELb0ES3_mN6thrust23THRUST_200600_302600_NS6detail15normal_iteratorINSA_10device_ptrIfEEEEPS6_SG_NS0_5tupleIJSF_S6_EEENSH_IJSG_SG_EEES6_PlJ7is_evenIfEEEE10hipError_tPvRmT3_T4_T5_T6_T7_T9_mT8_P12ihipStream_tbDpT10_ENKUlT_T0_E_clISt17integral_constantIbLb0EES15_IbLb1EEEEDaS11_S12_EUlS11_E_NS1_11comp_targetILNS1_3genE2ELNS1_11target_archE906ELNS1_3gpuE6ELNS1_3repE0EEENS1_30default_config_static_selectorELNS0_4arch9wavefront6targetE0EEEvT1_
    .private_segment_fixed_size: 0
    .sgpr_count:     0
    .sgpr_spill_count: 0
    .symbol:         _ZN7rocprim17ROCPRIM_400000_NS6detail17trampoline_kernelINS0_14default_configENS1_25partition_config_selectorILNS1_17partition_subalgoE6EfNS0_10empty_typeEbEEZZNS1_14partition_implILS5_6ELb0ES3_mN6thrust23THRUST_200600_302600_NS6detail15normal_iteratorINSA_10device_ptrIfEEEEPS6_SG_NS0_5tupleIJSF_S6_EEENSH_IJSG_SG_EEES6_PlJ7is_evenIfEEEE10hipError_tPvRmT3_T4_T5_T6_T7_T9_mT8_P12ihipStream_tbDpT10_ENKUlT_T0_E_clISt17integral_constantIbLb0EES15_IbLb1EEEEDaS11_S12_EUlS11_E_NS1_11comp_targetILNS1_3genE2ELNS1_11target_archE906ELNS1_3gpuE6ELNS1_3repE0EEENS1_30default_config_static_selectorELNS0_4arch9wavefront6targetE0EEEvT1_.kd
    .uniform_work_group_size: 1
    .uses_dynamic_stack: false
    .vgpr_count:     0
    .vgpr_spill_count: 0
    .wavefront_size: 32
    .workgroup_processor_mode: 1
  - .args:
      - .offset:         0
        .size:           128
        .value_kind:     by_value
    .group_segment_fixed_size: 0
    .kernarg_segment_align: 8
    .kernarg_segment_size: 128
    .language:       OpenCL C
    .language_version:
      - 2
      - 0
    .max_flat_workgroup_size: 384
    .name:           _ZN7rocprim17ROCPRIM_400000_NS6detail17trampoline_kernelINS0_14default_configENS1_25partition_config_selectorILNS1_17partition_subalgoE6EfNS0_10empty_typeEbEEZZNS1_14partition_implILS5_6ELb0ES3_mN6thrust23THRUST_200600_302600_NS6detail15normal_iteratorINSA_10device_ptrIfEEEEPS6_SG_NS0_5tupleIJSF_S6_EEENSH_IJSG_SG_EEES6_PlJ7is_evenIfEEEE10hipError_tPvRmT3_T4_T5_T6_T7_T9_mT8_P12ihipStream_tbDpT10_ENKUlT_T0_E_clISt17integral_constantIbLb0EES15_IbLb1EEEEDaS11_S12_EUlS11_E_NS1_11comp_targetILNS1_3genE10ELNS1_11target_archE1200ELNS1_3gpuE4ELNS1_3repE0EEENS1_30default_config_static_selectorELNS0_4arch9wavefront6targetE0EEEvT1_
    .private_segment_fixed_size: 0
    .sgpr_count:     0
    .sgpr_spill_count: 0
    .symbol:         _ZN7rocprim17ROCPRIM_400000_NS6detail17trampoline_kernelINS0_14default_configENS1_25partition_config_selectorILNS1_17partition_subalgoE6EfNS0_10empty_typeEbEEZZNS1_14partition_implILS5_6ELb0ES3_mN6thrust23THRUST_200600_302600_NS6detail15normal_iteratorINSA_10device_ptrIfEEEEPS6_SG_NS0_5tupleIJSF_S6_EEENSH_IJSG_SG_EEES6_PlJ7is_evenIfEEEE10hipError_tPvRmT3_T4_T5_T6_T7_T9_mT8_P12ihipStream_tbDpT10_ENKUlT_T0_E_clISt17integral_constantIbLb0EES15_IbLb1EEEEDaS11_S12_EUlS11_E_NS1_11comp_targetILNS1_3genE10ELNS1_11target_archE1200ELNS1_3gpuE4ELNS1_3repE0EEENS1_30default_config_static_selectorELNS0_4arch9wavefront6targetE0EEEvT1_.kd
    .uniform_work_group_size: 1
    .uses_dynamic_stack: false
    .vgpr_count:     0
    .vgpr_spill_count: 0
    .wavefront_size: 32
    .workgroup_processor_mode: 1
  - .args:
      - .offset:         0
        .size:           128
        .value_kind:     by_value
    .group_segment_fixed_size: 7184
    .kernarg_segment_align: 8
    .kernarg_segment_size: 128
    .language:       OpenCL C
    .language_version:
      - 2
      - 0
    .max_flat_workgroup_size: 128
    .name:           _ZN7rocprim17ROCPRIM_400000_NS6detail17trampoline_kernelINS0_14default_configENS1_25partition_config_selectorILNS1_17partition_subalgoE6EfNS0_10empty_typeEbEEZZNS1_14partition_implILS5_6ELb0ES3_mN6thrust23THRUST_200600_302600_NS6detail15normal_iteratorINSA_10device_ptrIfEEEEPS6_SG_NS0_5tupleIJSF_S6_EEENSH_IJSG_SG_EEES6_PlJ7is_evenIfEEEE10hipError_tPvRmT3_T4_T5_T6_T7_T9_mT8_P12ihipStream_tbDpT10_ENKUlT_T0_E_clISt17integral_constantIbLb0EES15_IbLb1EEEEDaS11_S12_EUlS11_E_NS1_11comp_targetILNS1_3genE9ELNS1_11target_archE1100ELNS1_3gpuE3ELNS1_3repE0EEENS1_30default_config_static_selectorELNS0_4arch9wavefront6targetE0EEEvT1_
    .private_segment_fixed_size: 0
    .sgpr_count:     22
    .sgpr_spill_count: 0
    .symbol:         _ZN7rocprim17ROCPRIM_400000_NS6detail17trampoline_kernelINS0_14default_configENS1_25partition_config_selectorILNS1_17partition_subalgoE6EfNS0_10empty_typeEbEEZZNS1_14partition_implILS5_6ELb0ES3_mN6thrust23THRUST_200600_302600_NS6detail15normal_iteratorINSA_10device_ptrIfEEEEPS6_SG_NS0_5tupleIJSF_S6_EEENSH_IJSG_SG_EEES6_PlJ7is_evenIfEEEE10hipError_tPvRmT3_T4_T5_T6_T7_T9_mT8_P12ihipStream_tbDpT10_ENKUlT_T0_E_clISt17integral_constantIbLb0EES15_IbLb1EEEEDaS11_S12_EUlS11_E_NS1_11comp_targetILNS1_3genE9ELNS1_11target_archE1100ELNS1_3gpuE3ELNS1_3repE0EEENS1_30default_config_static_selectorELNS0_4arch9wavefront6targetE0EEEvT1_.kd
    .uniform_work_group_size: 1
    .uses_dynamic_stack: false
    .vgpr_count:     76
    .vgpr_spill_count: 0
    .wavefront_size: 32
    .workgroup_processor_mode: 1
  - .args:
      - .offset:         0
        .size:           128
        .value_kind:     by_value
    .group_segment_fixed_size: 0
    .kernarg_segment_align: 8
    .kernarg_segment_size: 128
    .language:       OpenCL C
    .language_version:
      - 2
      - 0
    .max_flat_workgroup_size: 512
    .name:           _ZN7rocprim17ROCPRIM_400000_NS6detail17trampoline_kernelINS0_14default_configENS1_25partition_config_selectorILNS1_17partition_subalgoE6EfNS0_10empty_typeEbEEZZNS1_14partition_implILS5_6ELb0ES3_mN6thrust23THRUST_200600_302600_NS6detail15normal_iteratorINSA_10device_ptrIfEEEEPS6_SG_NS0_5tupleIJSF_S6_EEENSH_IJSG_SG_EEES6_PlJ7is_evenIfEEEE10hipError_tPvRmT3_T4_T5_T6_T7_T9_mT8_P12ihipStream_tbDpT10_ENKUlT_T0_E_clISt17integral_constantIbLb0EES15_IbLb1EEEEDaS11_S12_EUlS11_E_NS1_11comp_targetILNS1_3genE8ELNS1_11target_archE1030ELNS1_3gpuE2ELNS1_3repE0EEENS1_30default_config_static_selectorELNS0_4arch9wavefront6targetE0EEEvT1_
    .private_segment_fixed_size: 0
    .sgpr_count:     0
    .sgpr_spill_count: 0
    .symbol:         _ZN7rocprim17ROCPRIM_400000_NS6detail17trampoline_kernelINS0_14default_configENS1_25partition_config_selectorILNS1_17partition_subalgoE6EfNS0_10empty_typeEbEEZZNS1_14partition_implILS5_6ELb0ES3_mN6thrust23THRUST_200600_302600_NS6detail15normal_iteratorINSA_10device_ptrIfEEEEPS6_SG_NS0_5tupleIJSF_S6_EEENSH_IJSG_SG_EEES6_PlJ7is_evenIfEEEE10hipError_tPvRmT3_T4_T5_T6_T7_T9_mT8_P12ihipStream_tbDpT10_ENKUlT_T0_E_clISt17integral_constantIbLb0EES15_IbLb1EEEEDaS11_S12_EUlS11_E_NS1_11comp_targetILNS1_3genE8ELNS1_11target_archE1030ELNS1_3gpuE2ELNS1_3repE0EEENS1_30default_config_static_selectorELNS0_4arch9wavefront6targetE0EEEvT1_.kd
    .uniform_work_group_size: 1
    .uses_dynamic_stack: false
    .vgpr_count:     0
    .vgpr_spill_count: 0
    .wavefront_size: 32
    .workgroup_processor_mode: 1
  - .args:
      - .offset:         0
        .size:           112
        .value_kind:     by_value
    .group_segment_fixed_size: 0
    .kernarg_segment_align: 8
    .kernarg_segment_size: 112
    .language:       OpenCL C
    .language_version:
      - 2
      - 0
    .max_flat_workgroup_size: 128
    .name:           _ZN7rocprim17ROCPRIM_400000_NS6detail17trampoline_kernelINS0_14default_configENS1_25partition_config_selectorILNS1_17partition_subalgoE6EyNS0_10empty_typeEbEEZZNS1_14partition_implILS5_6ELb0ES3_mN6thrust23THRUST_200600_302600_NS6detail15normal_iteratorINSA_10device_ptrIyEEEEPS6_SG_NS0_5tupleIJSF_S6_EEENSH_IJSG_SG_EEES6_PlJ7is_evenIyEEEE10hipError_tPvRmT3_T4_T5_T6_T7_T9_mT8_P12ihipStream_tbDpT10_ENKUlT_T0_E_clISt17integral_constantIbLb0EES16_EEDaS11_S12_EUlS11_E_NS1_11comp_targetILNS1_3genE0ELNS1_11target_archE4294967295ELNS1_3gpuE0ELNS1_3repE0EEENS1_30default_config_static_selectorELNS0_4arch9wavefront6targetE0EEEvT1_
    .private_segment_fixed_size: 0
    .sgpr_count:     0
    .sgpr_spill_count: 0
    .symbol:         _ZN7rocprim17ROCPRIM_400000_NS6detail17trampoline_kernelINS0_14default_configENS1_25partition_config_selectorILNS1_17partition_subalgoE6EyNS0_10empty_typeEbEEZZNS1_14partition_implILS5_6ELb0ES3_mN6thrust23THRUST_200600_302600_NS6detail15normal_iteratorINSA_10device_ptrIyEEEEPS6_SG_NS0_5tupleIJSF_S6_EEENSH_IJSG_SG_EEES6_PlJ7is_evenIyEEEE10hipError_tPvRmT3_T4_T5_T6_T7_T9_mT8_P12ihipStream_tbDpT10_ENKUlT_T0_E_clISt17integral_constantIbLb0EES16_EEDaS11_S12_EUlS11_E_NS1_11comp_targetILNS1_3genE0ELNS1_11target_archE4294967295ELNS1_3gpuE0ELNS1_3repE0EEENS1_30default_config_static_selectorELNS0_4arch9wavefront6targetE0EEEvT1_.kd
    .uniform_work_group_size: 1
    .uses_dynamic_stack: false
    .vgpr_count:     0
    .vgpr_spill_count: 0
    .wavefront_size: 32
    .workgroup_processor_mode: 1
  - .args:
      - .offset:         0
        .size:           112
        .value_kind:     by_value
    .group_segment_fixed_size: 0
    .kernarg_segment_align: 8
    .kernarg_segment_size: 112
    .language:       OpenCL C
    .language_version:
      - 2
      - 0
    .max_flat_workgroup_size: 512
    .name:           _ZN7rocprim17ROCPRIM_400000_NS6detail17trampoline_kernelINS0_14default_configENS1_25partition_config_selectorILNS1_17partition_subalgoE6EyNS0_10empty_typeEbEEZZNS1_14partition_implILS5_6ELb0ES3_mN6thrust23THRUST_200600_302600_NS6detail15normal_iteratorINSA_10device_ptrIyEEEEPS6_SG_NS0_5tupleIJSF_S6_EEENSH_IJSG_SG_EEES6_PlJ7is_evenIyEEEE10hipError_tPvRmT3_T4_T5_T6_T7_T9_mT8_P12ihipStream_tbDpT10_ENKUlT_T0_E_clISt17integral_constantIbLb0EES16_EEDaS11_S12_EUlS11_E_NS1_11comp_targetILNS1_3genE5ELNS1_11target_archE942ELNS1_3gpuE9ELNS1_3repE0EEENS1_30default_config_static_selectorELNS0_4arch9wavefront6targetE0EEEvT1_
    .private_segment_fixed_size: 0
    .sgpr_count:     0
    .sgpr_spill_count: 0
    .symbol:         _ZN7rocprim17ROCPRIM_400000_NS6detail17trampoline_kernelINS0_14default_configENS1_25partition_config_selectorILNS1_17partition_subalgoE6EyNS0_10empty_typeEbEEZZNS1_14partition_implILS5_6ELb0ES3_mN6thrust23THRUST_200600_302600_NS6detail15normal_iteratorINSA_10device_ptrIyEEEEPS6_SG_NS0_5tupleIJSF_S6_EEENSH_IJSG_SG_EEES6_PlJ7is_evenIyEEEE10hipError_tPvRmT3_T4_T5_T6_T7_T9_mT8_P12ihipStream_tbDpT10_ENKUlT_T0_E_clISt17integral_constantIbLb0EES16_EEDaS11_S12_EUlS11_E_NS1_11comp_targetILNS1_3genE5ELNS1_11target_archE942ELNS1_3gpuE9ELNS1_3repE0EEENS1_30default_config_static_selectorELNS0_4arch9wavefront6targetE0EEEvT1_.kd
    .uniform_work_group_size: 1
    .uses_dynamic_stack: false
    .vgpr_count:     0
    .vgpr_spill_count: 0
    .wavefront_size: 32
    .workgroup_processor_mode: 1
  - .args:
      - .offset:         0
        .size:           112
        .value_kind:     by_value
    .group_segment_fixed_size: 0
    .kernarg_segment_align: 8
    .kernarg_segment_size: 112
    .language:       OpenCL C
    .language_version:
      - 2
      - 0
    .max_flat_workgroup_size: 512
    .name:           _ZN7rocprim17ROCPRIM_400000_NS6detail17trampoline_kernelINS0_14default_configENS1_25partition_config_selectorILNS1_17partition_subalgoE6EyNS0_10empty_typeEbEEZZNS1_14partition_implILS5_6ELb0ES3_mN6thrust23THRUST_200600_302600_NS6detail15normal_iteratorINSA_10device_ptrIyEEEEPS6_SG_NS0_5tupleIJSF_S6_EEENSH_IJSG_SG_EEES6_PlJ7is_evenIyEEEE10hipError_tPvRmT3_T4_T5_T6_T7_T9_mT8_P12ihipStream_tbDpT10_ENKUlT_T0_E_clISt17integral_constantIbLb0EES16_EEDaS11_S12_EUlS11_E_NS1_11comp_targetILNS1_3genE4ELNS1_11target_archE910ELNS1_3gpuE8ELNS1_3repE0EEENS1_30default_config_static_selectorELNS0_4arch9wavefront6targetE0EEEvT1_
    .private_segment_fixed_size: 0
    .sgpr_count:     0
    .sgpr_spill_count: 0
    .symbol:         _ZN7rocprim17ROCPRIM_400000_NS6detail17trampoline_kernelINS0_14default_configENS1_25partition_config_selectorILNS1_17partition_subalgoE6EyNS0_10empty_typeEbEEZZNS1_14partition_implILS5_6ELb0ES3_mN6thrust23THRUST_200600_302600_NS6detail15normal_iteratorINSA_10device_ptrIyEEEEPS6_SG_NS0_5tupleIJSF_S6_EEENSH_IJSG_SG_EEES6_PlJ7is_evenIyEEEE10hipError_tPvRmT3_T4_T5_T6_T7_T9_mT8_P12ihipStream_tbDpT10_ENKUlT_T0_E_clISt17integral_constantIbLb0EES16_EEDaS11_S12_EUlS11_E_NS1_11comp_targetILNS1_3genE4ELNS1_11target_archE910ELNS1_3gpuE8ELNS1_3repE0EEENS1_30default_config_static_selectorELNS0_4arch9wavefront6targetE0EEEvT1_.kd
    .uniform_work_group_size: 1
    .uses_dynamic_stack: false
    .vgpr_count:     0
    .vgpr_spill_count: 0
    .wavefront_size: 32
    .workgroup_processor_mode: 1
  - .args:
      - .offset:         0
        .size:           112
        .value_kind:     by_value
    .group_segment_fixed_size: 0
    .kernarg_segment_align: 8
    .kernarg_segment_size: 112
    .language:       OpenCL C
    .language_version:
      - 2
      - 0
    .max_flat_workgroup_size: 128
    .name:           _ZN7rocprim17ROCPRIM_400000_NS6detail17trampoline_kernelINS0_14default_configENS1_25partition_config_selectorILNS1_17partition_subalgoE6EyNS0_10empty_typeEbEEZZNS1_14partition_implILS5_6ELb0ES3_mN6thrust23THRUST_200600_302600_NS6detail15normal_iteratorINSA_10device_ptrIyEEEEPS6_SG_NS0_5tupleIJSF_S6_EEENSH_IJSG_SG_EEES6_PlJ7is_evenIyEEEE10hipError_tPvRmT3_T4_T5_T6_T7_T9_mT8_P12ihipStream_tbDpT10_ENKUlT_T0_E_clISt17integral_constantIbLb0EES16_EEDaS11_S12_EUlS11_E_NS1_11comp_targetILNS1_3genE3ELNS1_11target_archE908ELNS1_3gpuE7ELNS1_3repE0EEENS1_30default_config_static_selectorELNS0_4arch9wavefront6targetE0EEEvT1_
    .private_segment_fixed_size: 0
    .sgpr_count:     0
    .sgpr_spill_count: 0
    .symbol:         _ZN7rocprim17ROCPRIM_400000_NS6detail17trampoline_kernelINS0_14default_configENS1_25partition_config_selectorILNS1_17partition_subalgoE6EyNS0_10empty_typeEbEEZZNS1_14partition_implILS5_6ELb0ES3_mN6thrust23THRUST_200600_302600_NS6detail15normal_iteratorINSA_10device_ptrIyEEEEPS6_SG_NS0_5tupleIJSF_S6_EEENSH_IJSG_SG_EEES6_PlJ7is_evenIyEEEE10hipError_tPvRmT3_T4_T5_T6_T7_T9_mT8_P12ihipStream_tbDpT10_ENKUlT_T0_E_clISt17integral_constantIbLb0EES16_EEDaS11_S12_EUlS11_E_NS1_11comp_targetILNS1_3genE3ELNS1_11target_archE908ELNS1_3gpuE7ELNS1_3repE0EEENS1_30default_config_static_selectorELNS0_4arch9wavefront6targetE0EEEvT1_.kd
    .uniform_work_group_size: 1
    .uses_dynamic_stack: false
    .vgpr_count:     0
    .vgpr_spill_count: 0
    .wavefront_size: 32
    .workgroup_processor_mode: 1
  - .args:
      - .offset:         0
        .size:           112
        .value_kind:     by_value
    .group_segment_fixed_size: 0
    .kernarg_segment_align: 8
    .kernarg_segment_size: 112
    .language:       OpenCL C
    .language_version:
      - 2
      - 0
    .max_flat_workgroup_size: 256
    .name:           _ZN7rocprim17ROCPRIM_400000_NS6detail17trampoline_kernelINS0_14default_configENS1_25partition_config_selectorILNS1_17partition_subalgoE6EyNS0_10empty_typeEbEEZZNS1_14partition_implILS5_6ELb0ES3_mN6thrust23THRUST_200600_302600_NS6detail15normal_iteratorINSA_10device_ptrIyEEEEPS6_SG_NS0_5tupleIJSF_S6_EEENSH_IJSG_SG_EEES6_PlJ7is_evenIyEEEE10hipError_tPvRmT3_T4_T5_T6_T7_T9_mT8_P12ihipStream_tbDpT10_ENKUlT_T0_E_clISt17integral_constantIbLb0EES16_EEDaS11_S12_EUlS11_E_NS1_11comp_targetILNS1_3genE2ELNS1_11target_archE906ELNS1_3gpuE6ELNS1_3repE0EEENS1_30default_config_static_selectorELNS0_4arch9wavefront6targetE0EEEvT1_
    .private_segment_fixed_size: 0
    .sgpr_count:     0
    .sgpr_spill_count: 0
    .symbol:         _ZN7rocprim17ROCPRIM_400000_NS6detail17trampoline_kernelINS0_14default_configENS1_25partition_config_selectorILNS1_17partition_subalgoE6EyNS0_10empty_typeEbEEZZNS1_14partition_implILS5_6ELb0ES3_mN6thrust23THRUST_200600_302600_NS6detail15normal_iteratorINSA_10device_ptrIyEEEEPS6_SG_NS0_5tupleIJSF_S6_EEENSH_IJSG_SG_EEES6_PlJ7is_evenIyEEEE10hipError_tPvRmT3_T4_T5_T6_T7_T9_mT8_P12ihipStream_tbDpT10_ENKUlT_T0_E_clISt17integral_constantIbLb0EES16_EEDaS11_S12_EUlS11_E_NS1_11comp_targetILNS1_3genE2ELNS1_11target_archE906ELNS1_3gpuE6ELNS1_3repE0EEENS1_30default_config_static_selectorELNS0_4arch9wavefront6targetE0EEEvT1_.kd
    .uniform_work_group_size: 1
    .uses_dynamic_stack: false
    .vgpr_count:     0
    .vgpr_spill_count: 0
    .wavefront_size: 32
    .workgroup_processor_mode: 1
  - .args:
      - .offset:         0
        .size:           112
        .value_kind:     by_value
    .group_segment_fixed_size: 0
    .kernarg_segment_align: 8
    .kernarg_segment_size: 112
    .language:       OpenCL C
    .language_version:
      - 2
      - 0
    .max_flat_workgroup_size: 256
    .name:           _ZN7rocprim17ROCPRIM_400000_NS6detail17trampoline_kernelINS0_14default_configENS1_25partition_config_selectorILNS1_17partition_subalgoE6EyNS0_10empty_typeEbEEZZNS1_14partition_implILS5_6ELb0ES3_mN6thrust23THRUST_200600_302600_NS6detail15normal_iteratorINSA_10device_ptrIyEEEEPS6_SG_NS0_5tupleIJSF_S6_EEENSH_IJSG_SG_EEES6_PlJ7is_evenIyEEEE10hipError_tPvRmT3_T4_T5_T6_T7_T9_mT8_P12ihipStream_tbDpT10_ENKUlT_T0_E_clISt17integral_constantIbLb0EES16_EEDaS11_S12_EUlS11_E_NS1_11comp_targetILNS1_3genE10ELNS1_11target_archE1200ELNS1_3gpuE4ELNS1_3repE0EEENS1_30default_config_static_selectorELNS0_4arch9wavefront6targetE0EEEvT1_
    .private_segment_fixed_size: 0
    .sgpr_count:     0
    .sgpr_spill_count: 0
    .symbol:         _ZN7rocprim17ROCPRIM_400000_NS6detail17trampoline_kernelINS0_14default_configENS1_25partition_config_selectorILNS1_17partition_subalgoE6EyNS0_10empty_typeEbEEZZNS1_14partition_implILS5_6ELb0ES3_mN6thrust23THRUST_200600_302600_NS6detail15normal_iteratorINSA_10device_ptrIyEEEEPS6_SG_NS0_5tupleIJSF_S6_EEENSH_IJSG_SG_EEES6_PlJ7is_evenIyEEEE10hipError_tPvRmT3_T4_T5_T6_T7_T9_mT8_P12ihipStream_tbDpT10_ENKUlT_T0_E_clISt17integral_constantIbLb0EES16_EEDaS11_S12_EUlS11_E_NS1_11comp_targetILNS1_3genE10ELNS1_11target_archE1200ELNS1_3gpuE4ELNS1_3repE0EEENS1_30default_config_static_selectorELNS0_4arch9wavefront6targetE0EEEvT1_.kd
    .uniform_work_group_size: 1
    .uses_dynamic_stack: false
    .vgpr_count:     0
    .vgpr_spill_count: 0
    .wavefront_size: 32
    .workgroup_processor_mode: 1
  - .args:
      - .offset:         0
        .size:           112
        .value_kind:     by_value
    .group_segment_fixed_size: 18448
    .kernarg_segment_align: 8
    .kernarg_segment_size: 112
    .language:       OpenCL C
    .language_version:
      - 2
      - 0
    .max_flat_workgroup_size: 384
    .name:           _ZN7rocprim17ROCPRIM_400000_NS6detail17trampoline_kernelINS0_14default_configENS1_25partition_config_selectorILNS1_17partition_subalgoE6EyNS0_10empty_typeEbEEZZNS1_14partition_implILS5_6ELb0ES3_mN6thrust23THRUST_200600_302600_NS6detail15normal_iteratorINSA_10device_ptrIyEEEEPS6_SG_NS0_5tupleIJSF_S6_EEENSH_IJSG_SG_EEES6_PlJ7is_evenIyEEEE10hipError_tPvRmT3_T4_T5_T6_T7_T9_mT8_P12ihipStream_tbDpT10_ENKUlT_T0_E_clISt17integral_constantIbLb0EES16_EEDaS11_S12_EUlS11_E_NS1_11comp_targetILNS1_3genE9ELNS1_11target_archE1100ELNS1_3gpuE3ELNS1_3repE0EEENS1_30default_config_static_selectorELNS0_4arch9wavefront6targetE0EEEvT1_
    .private_segment_fixed_size: 0
    .sgpr_count:     22
    .sgpr_spill_count: 0
    .symbol:         _ZN7rocprim17ROCPRIM_400000_NS6detail17trampoline_kernelINS0_14default_configENS1_25partition_config_selectorILNS1_17partition_subalgoE6EyNS0_10empty_typeEbEEZZNS1_14partition_implILS5_6ELb0ES3_mN6thrust23THRUST_200600_302600_NS6detail15normal_iteratorINSA_10device_ptrIyEEEEPS6_SG_NS0_5tupleIJSF_S6_EEENSH_IJSG_SG_EEES6_PlJ7is_evenIyEEEE10hipError_tPvRmT3_T4_T5_T6_T7_T9_mT8_P12ihipStream_tbDpT10_ENKUlT_T0_E_clISt17integral_constantIbLb0EES16_EEDaS11_S12_EUlS11_E_NS1_11comp_targetILNS1_3genE9ELNS1_11target_archE1100ELNS1_3gpuE3ELNS1_3repE0EEENS1_30default_config_static_selectorELNS0_4arch9wavefront6targetE0EEEvT1_.kd
    .uniform_work_group_size: 1
    .uses_dynamic_stack: false
    .vgpr_count:     54
    .vgpr_spill_count: 0
    .wavefront_size: 32
    .workgroup_processor_mode: 1
  - .args:
      - .offset:         0
        .size:           112
        .value_kind:     by_value
    .group_segment_fixed_size: 0
    .kernarg_segment_align: 8
    .kernarg_segment_size: 112
    .language:       OpenCL C
    .language_version:
      - 2
      - 0
    .max_flat_workgroup_size: 512
    .name:           _ZN7rocprim17ROCPRIM_400000_NS6detail17trampoline_kernelINS0_14default_configENS1_25partition_config_selectorILNS1_17partition_subalgoE6EyNS0_10empty_typeEbEEZZNS1_14partition_implILS5_6ELb0ES3_mN6thrust23THRUST_200600_302600_NS6detail15normal_iteratorINSA_10device_ptrIyEEEEPS6_SG_NS0_5tupleIJSF_S6_EEENSH_IJSG_SG_EEES6_PlJ7is_evenIyEEEE10hipError_tPvRmT3_T4_T5_T6_T7_T9_mT8_P12ihipStream_tbDpT10_ENKUlT_T0_E_clISt17integral_constantIbLb0EES16_EEDaS11_S12_EUlS11_E_NS1_11comp_targetILNS1_3genE8ELNS1_11target_archE1030ELNS1_3gpuE2ELNS1_3repE0EEENS1_30default_config_static_selectorELNS0_4arch9wavefront6targetE0EEEvT1_
    .private_segment_fixed_size: 0
    .sgpr_count:     0
    .sgpr_spill_count: 0
    .symbol:         _ZN7rocprim17ROCPRIM_400000_NS6detail17trampoline_kernelINS0_14default_configENS1_25partition_config_selectorILNS1_17partition_subalgoE6EyNS0_10empty_typeEbEEZZNS1_14partition_implILS5_6ELb0ES3_mN6thrust23THRUST_200600_302600_NS6detail15normal_iteratorINSA_10device_ptrIyEEEEPS6_SG_NS0_5tupleIJSF_S6_EEENSH_IJSG_SG_EEES6_PlJ7is_evenIyEEEE10hipError_tPvRmT3_T4_T5_T6_T7_T9_mT8_P12ihipStream_tbDpT10_ENKUlT_T0_E_clISt17integral_constantIbLb0EES16_EEDaS11_S12_EUlS11_E_NS1_11comp_targetILNS1_3genE8ELNS1_11target_archE1030ELNS1_3gpuE2ELNS1_3repE0EEENS1_30default_config_static_selectorELNS0_4arch9wavefront6targetE0EEEvT1_.kd
    .uniform_work_group_size: 1
    .uses_dynamic_stack: false
    .vgpr_count:     0
    .vgpr_spill_count: 0
    .wavefront_size: 32
    .workgroup_processor_mode: 1
  - .args:
      - .offset:         0
        .size:           128
        .value_kind:     by_value
    .group_segment_fixed_size: 0
    .kernarg_segment_align: 8
    .kernarg_segment_size: 128
    .language:       OpenCL C
    .language_version:
      - 2
      - 0
    .max_flat_workgroup_size: 128
    .name:           _ZN7rocprim17ROCPRIM_400000_NS6detail17trampoline_kernelINS0_14default_configENS1_25partition_config_selectorILNS1_17partition_subalgoE6EyNS0_10empty_typeEbEEZZNS1_14partition_implILS5_6ELb0ES3_mN6thrust23THRUST_200600_302600_NS6detail15normal_iteratorINSA_10device_ptrIyEEEEPS6_SG_NS0_5tupleIJSF_S6_EEENSH_IJSG_SG_EEES6_PlJ7is_evenIyEEEE10hipError_tPvRmT3_T4_T5_T6_T7_T9_mT8_P12ihipStream_tbDpT10_ENKUlT_T0_E_clISt17integral_constantIbLb1EES16_EEDaS11_S12_EUlS11_E_NS1_11comp_targetILNS1_3genE0ELNS1_11target_archE4294967295ELNS1_3gpuE0ELNS1_3repE0EEENS1_30default_config_static_selectorELNS0_4arch9wavefront6targetE0EEEvT1_
    .private_segment_fixed_size: 0
    .sgpr_count:     0
    .sgpr_spill_count: 0
    .symbol:         _ZN7rocprim17ROCPRIM_400000_NS6detail17trampoline_kernelINS0_14default_configENS1_25partition_config_selectorILNS1_17partition_subalgoE6EyNS0_10empty_typeEbEEZZNS1_14partition_implILS5_6ELb0ES3_mN6thrust23THRUST_200600_302600_NS6detail15normal_iteratorINSA_10device_ptrIyEEEEPS6_SG_NS0_5tupleIJSF_S6_EEENSH_IJSG_SG_EEES6_PlJ7is_evenIyEEEE10hipError_tPvRmT3_T4_T5_T6_T7_T9_mT8_P12ihipStream_tbDpT10_ENKUlT_T0_E_clISt17integral_constantIbLb1EES16_EEDaS11_S12_EUlS11_E_NS1_11comp_targetILNS1_3genE0ELNS1_11target_archE4294967295ELNS1_3gpuE0ELNS1_3repE0EEENS1_30default_config_static_selectorELNS0_4arch9wavefront6targetE0EEEvT1_.kd
    .uniform_work_group_size: 1
    .uses_dynamic_stack: false
    .vgpr_count:     0
    .vgpr_spill_count: 0
    .wavefront_size: 32
    .workgroup_processor_mode: 1
  - .args:
      - .offset:         0
        .size:           128
        .value_kind:     by_value
    .group_segment_fixed_size: 0
    .kernarg_segment_align: 8
    .kernarg_segment_size: 128
    .language:       OpenCL C
    .language_version:
      - 2
      - 0
    .max_flat_workgroup_size: 512
    .name:           _ZN7rocprim17ROCPRIM_400000_NS6detail17trampoline_kernelINS0_14default_configENS1_25partition_config_selectorILNS1_17partition_subalgoE6EyNS0_10empty_typeEbEEZZNS1_14partition_implILS5_6ELb0ES3_mN6thrust23THRUST_200600_302600_NS6detail15normal_iteratorINSA_10device_ptrIyEEEEPS6_SG_NS0_5tupleIJSF_S6_EEENSH_IJSG_SG_EEES6_PlJ7is_evenIyEEEE10hipError_tPvRmT3_T4_T5_T6_T7_T9_mT8_P12ihipStream_tbDpT10_ENKUlT_T0_E_clISt17integral_constantIbLb1EES16_EEDaS11_S12_EUlS11_E_NS1_11comp_targetILNS1_3genE5ELNS1_11target_archE942ELNS1_3gpuE9ELNS1_3repE0EEENS1_30default_config_static_selectorELNS0_4arch9wavefront6targetE0EEEvT1_
    .private_segment_fixed_size: 0
    .sgpr_count:     0
    .sgpr_spill_count: 0
    .symbol:         _ZN7rocprim17ROCPRIM_400000_NS6detail17trampoline_kernelINS0_14default_configENS1_25partition_config_selectorILNS1_17partition_subalgoE6EyNS0_10empty_typeEbEEZZNS1_14partition_implILS5_6ELb0ES3_mN6thrust23THRUST_200600_302600_NS6detail15normal_iteratorINSA_10device_ptrIyEEEEPS6_SG_NS0_5tupleIJSF_S6_EEENSH_IJSG_SG_EEES6_PlJ7is_evenIyEEEE10hipError_tPvRmT3_T4_T5_T6_T7_T9_mT8_P12ihipStream_tbDpT10_ENKUlT_T0_E_clISt17integral_constantIbLb1EES16_EEDaS11_S12_EUlS11_E_NS1_11comp_targetILNS1_3genE5ELNS1_11target_archE942ELNS1_3gpuE9ELNS1_3repE0EEENS1_30default_config_static_selectorELNS0_4arch9wavefront6targetE0EEEvT1_.kd
    .uniform_work_group_size: 1
    .uses_dynamic_stack: false
    .vgpr_count:     0
    .vgpr_spill_count: 0
    .wavefront_size: 32
    .workgroup_processor_mode: 1
  - .args:
      - .offset:         0
        .size:           128
        .value_kind:     by_value
    .group_segment_fixed_size: 0
    .kernarg_segment_align: 8
    .kernarg_segment_size: 128
    .language:       OpenCL C
    .language_version:
      - 2
      - 0
    .max_flat_workgroup_size: 512
    .name:           _ZN7rocprim17ROCPRIM_400000_NS6detail17trampoline_kernelINS0_14default_configENS1_25partition_config_selectorILNS1_17partition_subalgoE6EyNS0_10empty_typeEbEEZZNS1_14partition_implILS5_6ELb0ES3_mN6thrust23THRUST_200600_302600_NS6detail15normal_iteratorINSA_10device_ptrIyEEEEPS6_SG_NS0_5tupleIJSF_S6_EEENSH_IJSG_SG_EEES6_PlJ7is_evenIyEEEE10hipError_tPvRmT3_T4_T5_T6_T7_T9_mT8_P12ihipStream_tbDpT10_ENKUlT_T0_E_clISt17integral_constantIbLb1EES16_EEDaS11_S12_EUlS11_E_NS1_11comp_targetILNS1_3genE4ELNS1_11target_archE910ELNS1_3gpuE8ELNS1_3repE0EEENS1_30default_config_static_selectorELNS0_4arch9wavefront6targetE0EEEvT1_
    .private_segment_fixed_size: 0
    .sgpr_count:     0
    .sgpr_spill_count: 0
    .symbol:         _ZN7rocprim17ROCPRIM_400000_NS6detail17trampoline_kernelINS0_14default_configENS1_25partition_config_selectorILNS1_17partition_subalgoE6EyNS0_10empty_typeEbEEZZNS1_14partition_implILS5_6ELb0ES3_mN6thrust23THRUST_200600_302600_NS6detail15normal_iteratorINSA_10device_ptrIyEEEEPS6_SG_NS0_5tupleIJSF_S6_EEENSH_IJSG_SG_EEES6_PlJ7is_evenIyEEEE10hipError_tPvRmT3_T4_T5_T6_T7_T9_mT8_P12ihipStream_tbDpT10_ENKUlT_T0_E_clISt17integral_constantIbLb1EES16_EEDaS11_S12_EUlS11_E_NS1_11comp_targetILNS1_3genE4ELNS1_11target_archE910ELNS1_3gpuE8ELNS1_3repE0EEENS1_30default_config_static_selectorELNS0_4arch9wavefront6targetE0EEEvT1_.kd
    .uniform_work_group_size: 1
    .uses_dynamic_stack: false
    .vgpr_count:     0
    .vgpr_spill_count: 0
    .wavefront_size: 32
    .workgroup_processor_mode: 1
  - .args:
      - .offset:         0
        .size:           128
        .value_kind:     by_value
    .group_segment_fixed_size: 0
    .kernarg_segment_align: 8
    .kernarg_segment_size: 128
    .language:       OpenCL C
    .language_version:
      - 2
      - 0
    .max_flat_workgroup_size: 128
    .name:           _ZN7rocprim17ROCPRIM_400000_NS6detail17trampoline_kernelINS0_14default_configENS1_25partition_config_selectorILNS1_17partition_subalgoE6EyNS0_10empty_typeEbEEZZNS1_14partition_implILS5_6ELb0ES3_mN6thrust23THRUST_200600_302600_NS6detail15normal_iteratorINSA_10device_ptrIyEEEEPS6_SG_NS0_5tupleIJSF_S6_EEENSH_IJSG_SG_EEES6_PlJ7is_evenIyEEEE10hipError_tPvRmT3_T4_T5_T6_T7_T9_mT8_P12ihipStream_tbDpT10_ENKUlT_T0_E_clISt17integral_constantIbLb1EES16_EEDaS11_S12_EUlS11_E_NS1_11comp_targetILNS1_3genE3ELNS1_11target_archE908ELNS1_3gpuE7ELNS1_3repE0EEENS1_30default_config_static_selectorELNS0_4arch9wavefront6targetE0EEEvT1_
    .private_segment_fixed_size: 0
    .sgpr_count:     0
    .sgpr_spill_count: 0
    .symbol:         _ZN7rocprim17ROCPRIM_400000_NS6detail17trampoline_kernelINS0_14default_configENS1_25partition_config_selectorILNS1_17partition_subalgoE6EyNS0_10empty_typeEbEEZZNS1_14partition_implILS5_6ELb0ES3_mN6thrust23THRUST_200600_302600_NS6detail15normal_iteratorINSA_10device_ptrIyEEEEPS6_SG_NS0_5tupleIJSF_S6_EEENSH_IJSG_SG_EEES6_PlJ7is_evenIyEEEE10hipError_tPvRmT3_T4_T5_T6_T7_T9_mT8_P12ihipStream_tbDpT10_ENKUlT_T0_E_clISt17integral_constantIbLb1EES16_EEDaS11_S12_EUlS11_E_NS1_11comp_targetILNS1_3genE3ELNS1_11target_archE908ELNS1_3gpuE7ELNS1_3repE0EEENS1_30default_config_static_selectorELNS0_4arch9wavefront6targetE0EEEvT1_.kd
    .uniform_work_group_size: 1
    .uses_dynamic_stack: false
    .vgpr_count:     0
    .vgpr_spill_count: 0
    .wavefront_size: 32
    .workgroup_processor_mode: 1
  - .args:
      - .offset:         0
        .size:           128
        .value_kind:     by_value
    .group_segment_fixed_size: 0
    .kernarg_segment_align: 8
    .kernarg_segment_size: 128
    .language:       OpenCL C
    .language_version:
      - 2
      - 0
    .max_flat_workgroup_size: 256
    .name:           _ZN7rocprim17ROCPRIM_400000_NS6detail17trampoline_kernelINS0_14default_configENS1_25partition_config_selectorILNS1_17partition_subalgoE6EyNS0_10empty_typeEbEEZZNS1_14partition_implILS5_6ELb0ES3_mN6thrust23THRUST_200600_302600_NS6detail15normal_iteratorINSA_10device_ptrIyEEEEPS6_SG_NS0_5tupleIJSF_S6_EEENSH_IJSG_SG_EEES6_PlJ7is_evenIyEEEE10hipError_tPvRmT3_T4_T5_T6_T7_T9_mT8_P12ihipStream_tbDpT10_ENKUlT_T0_E_clISt17integral_constantIbLb1EES16_EEDaS11_S12_EUlS11_E_NS1_11comp_targetILNS1_3genE2ELNS1_11target_archE906ELNS1_3gpuE6ELNS1_3repE0EEENS1_30default_config_static_selectorELNS0_4arch9wavefront6targetE0EEEvT1_
    .private_segment_fixed_size: 0
    .sgpr_count:     0
    .sgpr_spill_count: 0
    .symbol:         _ZN7rocprim17ROCPRIM_400000_NS6detail17trampoline_kernelINS0_14default_configENS1_25partition_config_selectorILNS1_17partition_subalgoE6EyNS0_10empty_typeEbEEZZNS1_14partition_implILS5_6ELb0ES3_mN6thrust23THRUST_200600_302600_NS6detail15normal_iteratorINSA_10device_ptrIyEEEEPS6_SG_NS0_5tupleIJSF_S6_EEENSH_IJSG_SG_EEES6_PlJ7is_evenIyEEEE10hipError_tPvRmT3_T4_T5_T6_T7_T9_mT8_P12ihipStream_tbDpT10_ENKUlT_T0_E_clISt17integral_constantIbLb1EES16_EEDaS11_S12_EUlS11_E_NS1_11comp_targetILNS1_3genE2ELNS1_11target_archE906ELNS1_3gpuE6ELNS1_3repE0EEENS1_30default_config_static_selectorELNS0_4arch9wavefront6targetE0EEEvT1_.kd
    .uniform_work_group_size: 1
    .uses_dynamic_stack: false
    .vgpr_count:     0
    .vgpr_spill_count: 0
    .wavefront_size: 32
    .workgroup_processor_mode: 1
  - .args:
      - .offset:         0
        .size:           128
        .value_kind:     by_value
    .group_segment_fixed_size: 0
    .kernarg_segment_align: 8
    .kernarg_segment_size: 128
    .language:       OpenCL C
    .language_version:
      - 2
      - 0
    .max_flat_workgroup_size: 256
    .name:           _ZN7rocprim17ROCPRIM_400000_NS6detail17trampoline_kernelINS0_14default_configENS1_25partition_config_selectorILNS1_17partition_subalgoE6EyNS0_10empty_typeEbEEZZNS1_14partition_implILS5_6ELb0ES3_mN6thrust23THRUST_200600_302600_NS6detail15normal_iteratorINSA_10device_ptrIyEEEEPS6_SG_NS0_5tupleIJSF_S6_EEENSH_IJSG_SG_EEES6_PlJ7is_evenIyEEEE10hipError_tPvRmT3_T4_T5_T6_T7_T9_mT8_P12ihipStream_tbDpT10_ENKUlT_T0_E_clISt17integral_constantIbLb1EES16_EEDaS11_S12_EUlS11_E_NS1_11comp_targetILNS1_3genE10ELNS1_11target_archE1200ELNS1_3gpuE4ELNS1_3repE0EEENS1_30default_config_static_selectorELNS0_4arch9wavefront6targetE0EEEvT1_
    .private_segment_fixed_size: 0
    .sgpr_count:     0
    .sgpr_spill_count: 0
    .symbol:         _ZN7rocprim17ROCPRIM_400000_NS6detail17trampoline_kernelINS0_14default_configENS1_25partition_config_selectorILNS1_17partition_subalgoE6EyNS0_10empty_typeEbEEZZNS1_14partition_implILS5_6ELb0ES3_mN6thrust23THRUST_200600_302600_NS6detail15normal_iteratorINSA_10device_ptrIyEEEEPS6_SG_NS0_5tupleIJSF_S6_EEENSH_IJSG_SG_EEES6_PlJ7is_evenIyEEEE10hipError_tPvRmT3_T4_T5_T6_T7_T9_mT8_P12ihipStream_tbDpT10_ENKUlT_T0_E_clISt17integral_constantIbLb1EES16_EEDaS11_S12_EUlS11_E_NS1_11comp_targetILNS1_3genE10ELNS1_11target_archE1200ELNS1_3gpuE4ELNS1_3repE0EEENS1_30default_config_static_selectorELNS0_4arch9wavefront6targetE0EEEvT1_.kd
    .uniform_work_group_size: 1
    .uses_dynamic_stack: false
    .vgpr_count:     0
    .vgpr_spill_count: 0
    .wavefront_size: 32
    .workgroup_processor_mode: 1
  - .args:
      - .offset:         0
        .size:           128
        .value_kind:     by_value
    .group_segment_fixed_size: 18448
    .kernarg_segment_align: 8
    .kernarg_segment_size: 128
    .language:       OpenCL C
    .language_version:
      - 2
      - 0
    .max_flat_workgroup_size: 384
    .name:           _ZN7rocprim17ROCPRIM_400000_NS6detail17trampoline_kernelINS0_14default_configENS1_25partition_config_selectorILNS1_17partition_subalgoE6EyNS0_10empty_typeEbEEZZNS1_14partition_implILS5_6ELb0ES3_mN6thrust23THRUST_200600_302600_NS6detail15normal_iteratorINSA_10device_ptrIyEEEEPS6_SG_NS0_5tupleIJSF_S6_EEENSH_IJSG_SG_EEES6_PlJ7is_evenIyEEEE10hipError_tPvRmT3_T4_T5_T6_T7_T9_mT8_P12ihipStream_tbDpT10_ENKUlT_T0_E_clISt17integral_constantIbLb1EES16_EEDaS11_S12_EUlS11_E_NS1_11comp_targetILNS1_3genE9ELNS1_11target_archE1100ELNS1_3gpuE3ELNS1_3repE0EEENS1_30default_config_static_selectorELNS0_4arch9wavefront6targetE0EEEvT1_
    .private_segment_fixed_size: 0
    .sgpr_count:     20
    .sgpr_spill_count: 0
    .symbol:         _ZN7rocprim17ROCPRIM_400000_NS6detail17trampoline_kernelINS0_14default_configENS1_25partition_config_selectorILNS1_17partition_subalgoE6EyNS0_10empty_typeEbEEZZNS1_14partition_implILS5_6ELb0ES3_mN6thrust23THRUST_200600_302600_NS6detail15normal_iteratorINSA_10device_ptrIyEEEEPS6_SG_NS0_5tupleIJSF_S6_EEENSH_IJSG_SG_EEES6_PlJ7is_evenIyEEEE10hipError_tPvRmT3_T4_T5_T6_T7_T9_mT8_P12ihipStream_tbDpT10_ENKUlT_T0_E_clISt17integral_constantIbLb1EES16_EEDaS11_S12_EUlS11_E_NS1_11comp_targetILNS1_3genE9ELNS1_11target_archE1100ELNS1_3gpuE3ELNS1_3repE0EEENS1_30default_config_static_selectorELNS0_4arch9wavefront6targetE0EEEvT1_.kd
    .uniform_work_group_size: 1
    .uses_dynamic_stack: false
    .vgpr_count:     56
    .vgpr_spill_count: 0
    .wavefront_size: 32
    .workgroup_processor_mode: 1
  - .args:
      - .offset:         0
        .size:           128
        .value_kind:     by_value
    .group_segment_fixed_size: 0
    .kernarg_segment_align: 8
    .kernarg_segment_size: 128
    .language:       OpenCL C
    .language_version:
      - 2
      - 0
    .max_flat_workgroup_size: 512
    .name:           _ZN7rocprim17ROCPRIM_400000_NS6detail17trampoline_kernelINS0_14default_configENS1_25partition_config_selectorILNS1_17partition_subalgoE6EyNS0_10empty_typeEbEEZZNS1_14partition_implILS5_6ELb0ES3_mN6thrust23THRUST_200600_302600_NS6detail15normal_iteratorINSA_10device_ptrIyEEEEPS6_SG_NS0_5tupleIJSF_S6_EEENSH_IJSG_SG_EEES6_PlJ7is_evenIyEEEE10hipError_tPvRmT3_T4_T5_T6_T7_T9_mT8_P12ihipStream_tbDpT10_ENKUlT_T0_E_clISt17integral_constantIbLb1EES16_EEDaS11_S12_EUlS11_E_NS1_11comp_targetILNS1_3genE8ELNS1_11target_archE1030ELNS1_3gpuE2ELNS1_3repE0EEENS1_30default_config_static_selectorELNS0_4arch9wavefront6targetE0EEEvT1_
    .private_segment_fixed_size: 0
    .sgpr_count:     0
    .sgpr_spill_count: 0
    .symbol:         _ZN7rocprim17ROCPRIM_400000_NS6detail17trampoline_kernelINS0_14default_configENS1_25partition_config_selectorILNS1_17partition_subalgoE6EyNS0_10empty_typeEbEEZZNS1_14partition_implILS5_6ELb0ES3_mN6thrust23THRUST_200600_302600_NS6detail15normal_iteratorINSA_10device_ptrIyEEEEPS6_SG_NS0_5tupleIJSF_S6_EEENSH_IJSG_SG_EEES6_PlJ7is_evenIyEEEE10hipError_tPvRmT3_T4_T5_T6_T7_T9_mT8_P12ihipStream_tbDpT10_ENKUlT_T0_E_clISt17integral_constantIbLb1EES16_EEDaS11_S12_EUlS11_E_NS1_11comp_targetILNS1_3genE8ELNS1_11target_archE1030ELNS1_3gpuE2ELNS1_3repE0EEENS1_30default_config_static_selectorELNS0_4arch9wavefront6targetE0EEEvT1_.kd
    .uniform_work_group_size: 1
    .uses_dynamic_stack: false
    .vgpr_count:     0
    .vgpr_spill_count: 0
    .wavefront_size: 32
    .workgroup_processor_mode: 1
  - .args:
      - .offset:         0
        .size:           112
        .value_kind:     by_value
    .group_segment_fixed_size: 0
    .kernarg_segment_align: 8
    .kernarg_segment_size: 112
    .language:       OpenCL C
    .language_version:
      - 2
      - 0
    .max_flat_workgroup_size: 128
    .name:           _ZN7rocprim17ROCPRIM_400000_NS6detail17trampoline_kernelINS0_14default_configENS1_25partition_config_selectorILNS1_17partition_subalgoE6EyNS0_10empty_typeEbEEZZNS1_14partition_implILS5_6ELb0ES3_mN6thrust23THRUST_200600_302600_NS6detail15normal_iteratorINSA_10device_ptrIyEEEEPS6_SG_NS0_5tupleIJSF_S6_EEENSH_IJSG_SG_EEES6_PlJ7is_evenIyEEEE10hipError_tPvRmT3_T4_T5_T6_T7_T9_mT8_P12ihipStream_tbDpT10_ENKUlT_T0_E_clISt17integral_constantIbLb1EES15_IbLb0EEEEDaS11_S12_EUlS11_E_NS1_11comp_targetILNS1_3genE0ELNS1_11target_archE4294967295ELNS1_3gpuE0ELNS1_3repE0EEENS1_30default_config_static_selectorELNS0_4arch9wavefront6targetE0EEEvT1_
    .private_segment_fixed_size: 0
    .sgpr_count:     0
    .sgpr_spill_count: 0
    .symbol:         _ZN7rocprim17ROCPRIM_400000_NS6detail17trampoline_kernelINS0_14default_configENS1_25partition_config_selectorILNS1_17partition_subalgoE6EyNS0_10empty_typeEbEEZZNS1_14partition_implILS5_6ELb0ES3_mN6thrust23THRUST_200600_302600_NS6detail15normal_iteratorINSA_10device_ptrIyEEEEPS6_SG_NS0_5tupleIJSF_S6_EEENSH_IJSG_SG_EEES6_PlJ7is_evenIyEEEE10hipError_tPvRmT3_T4_T5_T6_T7_T9_mT8_P12ihipStream_tbDpT10_ENKUlT_T0_E_clISt17integral_constantIbLb1EES15_IbLb0EEEEDaS11_S12_EUlS11_E_NS1_11comp_targetILNS1_3genE0ELNS1_11target_archE4294967295ELNS1_3gpuE0ELNS1_3repE0EEENS1_30default_config_static_selectorELNS0_4arch9wavefront6targetE0EEEvT1_.kd
    .uniform_work_group_size: 1
    .uses_dynamic_stack: false
    .vgpr_count:     0
    .vgpr_spill_count: 0
    .wavefront_size: 32
    .workgroup_processor_mode: 1
  - .args:
      - .offset:         0
        .size:           112
        .value_kind:     by_value
    .group_segment_fixed_size: 0
    .kernarg_segment_align: 8
    .kernarg_segment_size: 112
    .language:       OpenCL C
    .language_version:
      - 2
      - 0
    .max_flat_workgroup_size: 512
    .name:           _ZN7rocprim17ROCPRIM_400000_NS6detail17trampoline_kernelINS0_14default_configENS1_25partition_config_selectorILNS1_17partition_subalgoE6EyNS0_10empty_typeEbEEZZNS1_14partition_implILS5_6ELb0ES3_mN6thrust23THRUST_200600_302600_NS6detail15normal_iteratorINSA_10device_ptrIyEEEEPS6_SG_NS0_5tupleIJSF_S6_EEENSH_IJSG_SG_EEES6_PlJ7is_evenIyEEEE10hipError_tPvRmT3_T4_T5_T6_T7_T9_mT8_P12ihipStream_tbDpT10_ENKUlT_T0_E_clISt17integral_constantIbLb1EES15_IbLb0EEEEDaS11_S12_EUlS11_E_NS1_11comp_targetILNS1_3genE5ELNS1_11target_archE942ELNS1_3gpuE9ELNS1_3repE0EEENS1_30default_config_static_selectorELNS0_4arch9wavefront6targetE0EEEvT1_
    .private_segment_fixed_size: 0
    .sgpr_count:     0
    .sgpr_spill_count: 0
    .symbol:         _ZN7rocprim17ROCPRIM_400000_NS6detail17trampoline_kernelINS0_14default_configENS1_25partition_config_selectorILNS1_17partition_subalgoE6EyNS0_10empty_typeEbEEZZNS1_14partition_implILS5_6ELb0ES3_mN6thrust23THRUST_200600_302600_NS6detail15normal_iteratorINSA_10device_ptrIyEEEEPS6_SG_NS0_5tupleIJSF_S6_EEENSH_IJSG_SG_EEES6_PlJ7is_evenIyEEEE10hipError_tPvRmT3_T4_T5_T6_T7_T9_mT8_P12ihipStream_tbDpT10_ENKUlT_T0_E_clISt17integral_constantIbLb1EES15_IbLb0EEEEDaS11_S12_EUlS11_E_NS1_11comp_targetILNS1_3genE5ELNS1_11target_archE942ELNS1_3gpuE9ELNS1_3repE0EEENS1_30default_config_static_selectorELNS0_4arch9wavefront6targetE0EEEvT1_.kd
    .uniform_work_group_size: 1
    .uses_dynamic_stack: false
    .vgpr_count:     0
    .vgpr_spill_count: 0
    .wavefront_size: 32
    .workgroup_processor_mode: 1
  - .args:
      - .offset:         0
        .size:           112
        .value_kind:     by_value
    .group_segment_fixed_size: 0
    .kernarg_segment_align: 8
    .kernarg_segment_size: 112
    .language:       OpenCL C
    .language_version:
      - 2
      - 0
    .max_flat_workgroup_size: 512
    .name:           _ZN7rocprim17ROCPRIM_400000_NS6detail17trampoline_kernelINS0_14default_configENS1_25partition_config_selectorILNS1_17partition_subalgoE6EyNS0_10empty_typeEbEEZZNS1_14partition_implILS5_6ELb0ES3_mN6thrust23THRUST_200600_302600_NS6detail15normal_iteratorINSA_10device_ptrIyEEEEPS6_SG_NS0_5tupleIJSF_S6_EEENSH_IJSG_SG_EEES6_PlJ7is_evenIyEEEE10hipError_tPvRmT3_T4_T5_T6_T7_T9_mT8_P12ihipStream_tbDpT10_ENKUlT_T0_E_clISt17integral_constantIbLb1EES15_IbLb0EEEEDaS11_S12_EUlS11_E_NS1_11comp_targetILNS1_3genE4ELNS1_11target_archE910ELNS1_3gpuE8ELNS1_3repE0EEENS1_30default_config_static_selectorELNS0_4arch9wavefront6targetE0EEEvT1_
    .private_segment_fixed_size: 0
    .sgpr_count:     0
    .sgpr_spill_count: 0
    .symbol:         _ZN7rocprim17ROCPRIM_400000_NS6detail17trampoline_kernelINS0_14default_configENS1_25partition_config_selectorILNS1_17partition_subalgoE6EyNS0_10empty_typeEbEEZZNS1_14partition_implILS5_6ELb0ES3_mN6thrust23THRUST_200600_302600_NS6detail15normal_iteratorINSA_10device_ptrIyEEEEPS6_SG_NS0_5tupleIJSF_S6_EEENSH_IJSG_SG_EEES6_PlJ7is_evenIyEEEE10hipError_tPvRmT3_T4_T5_T6_T7_T9_mT8_P12ihipStream_tbDpT10_ENKUlT_T0_E_clISt17integral_constantIbLb1EES15_IbLb0EEEEDaS11_S12_EUlS11_E_NS1_11comp_targetILNS1_3genE4ELNS1_11target_archE910ELNS1_3gpuE8ELNS1_3repE0EEENS1_30default_config_static_selectorELNS0_4arch9wavefront6targetE0EEEvT1_.kd
    .uniform_work_group_size: 1
    .uses_dynamic_stack: false
    .vgpr_count:     0
    .vgpr_spill_count: 0
    .wavefront_size: 32
    .workgroup_processor_mode: 1
  - .args:
      - .offset:         0
        .size:           112
        .value_kind:     by_value
    .group_segment_fixed_size: 0
    .kernarg_segment_align: 8
    .kernarg_segment_size: 112
    .language:       OpenCL C
    .language_version:
      - 2
      - 0
    .max_flat_workgroup_size: 128
    .name:           _ZN7rocprim17ROCPRIM_400000_NS6detail17trampoline_kernelINS0_14default_configENS1_25partition_config_selectorILNS1_17partition_subalgoE6EyNS0_10empty_typeEbEEZZNS1_14partition_implILS5_6ELb0ES3_mN6thrust23THRUST_200600_302600_NS6detail15normal_iteratorINSA_10device_ptrIyEEEEPS6_SG_NS0_5tupleIJSF_S6_EEENSH_IJSG_SG_EEES6_PlJ7is_evenIyEEEE10hipError_tPvRmT3_T4_T5_T6_T7_T9_mT8_P12ihipStream_tbDpT10_ENKUlT_T0_E_clISt17integral_constantIbLb1EES15_IbLb0EEEEDaS11_S12_EUlS11_E_NS1_11comp_targetILNS1_3genE3ELNS1_11target_archE908ELNS1_3gpuE7ELNS1_3repE0EEENS1_30default_config_static_selectorELNS0_4arch9wavefront6targetE0EEEvT1_
    .private_segment_fixed_size: 0
    .sgpr_count:     0
    .sgpr_spill_count: 0
    .symbol:         _ZN7rocprim17ROCPRIM_400000_NS6detail17trampoline_kernelINS0_14default_configENS1_25partition_config_selectorILNS1_17partition_subalgoE6EyNS0_10empty_typeEbEEZZNS1_14partition_implILS5_6ELb0ES3_mN6thrust23THRUST_200600_302600_NS6detail15normal_iteratorINSA_10device_ptrIyEEEEPS6_SG_NS0_5tupleIJSF_S6_EEENSH_IJSG_SG_EEES6_PlJ7is_evenIyEEEE10hipError_tPvRmT3_T4_T5_T6_T7_T9_mT8_P12ihipStream_tbDpT10_ENKUlT_T0_E_clISt17integral_constantIbLb1EES15_IbLb0EEEEDaS11_S12_EUlS11_E_NS1_11comp_targetILNS1_3genE3ELNS1_11target_archE908ELNS1_3gpuE7ELNS1_3repE0EEENS1_30default_config_static_selectorELNS0_4arch9wavefront6targetE0EEEvT1_.kd
    .uniform_work_group_size: 1
    .uses_dynamic_stack: false
    .vgpr_count:     0
    .vgpr_spill_count: 0
    .wavefront_size: 32
    .workgroup_processor_mode: 1
  - .args:
      - .offset:         0
        .size:           112
        .value_kind:     by_value
    .group_segment_fixed_size: 0
    .kernarg_segment_align: 8
    .kernarg_segment_size: 112
    .language:       OpenCL C
    .language_version:
      - 2
      - 0
    .max_flat_workgroup_size: 256
    .name:           _ZN7rocprim17ROCPRIM_400000_NS6detail17trampoline_kernelINS0_14default_configENS1_25partition_config_selectorILNS1_17partition_subalgoE6EyNS0_10empty_typeEbEEZZNS1_14partition_implILS5_6ELb0ES3_mN6thrust23THRUST_200600_302600_NS6detail15normal_iteratorINSA_10device_ptrIyEEEEPS6_SG_NS0_5tupleIJSF_S6_EEENSH_IJSG_SG_EEES6_PlJ7is_evenIyEEEE10hipError_tPvRmT3_T4_T5_T6_T7_T9_mT8_P12ihipStream_tbDpT10_ENKUlT_T0_E_clISt17integral_constantIbLb1EES15_IbLb0EEEEDaS11_S12_EUlS11_E_NS1_11comp_targetILNS1_3genE2ELNS1_11target_archE906ELNS1_3gpuE6ELNS1_3repE0EEENS1_30default_config_static_selectorELNS0_4arch9wavefront6targetE0EEEvT1_
    .private_segment_fixed_size: 0
    .sgpr_count:     0
    .sgpr_spill_count: 0
    .symbol:         _ZN7rocprim17ROCPRIM_400000_NS6detail17trampoline_kernelINS0_14default_configENS1_25partition_config_selectorILNS1_17partition_subalgoE6EyNS0_10empty_typeEbEEZZNS1_14partition_implILS5_6ELb0ES3_mN6thrust23THRUST_200600_302600_NS6detail15normal_iteratorINSA_10device_ptrIyEEEEPS6_SG_NS0_5tupleIJSF_S6_EEENSH_IJSG_SG_EEES6_PlJ7is_evenIyEEEE10hipError_tPvRmT3_T4_T5_T6_T7_T9_mT8_P12ihipStream_tbDpT10_ENKUlT_T0_E_clISt17integral_constantIbLb1EES15_IbLb0EEEEDaS11_S12_EUlS11_E_NS1_11comp_targetILNS1_3genE2ELNS1_11target_archE906ELNS1_3gpuE6ELNS1_3repE0EEENS1_30default_config_static_selectorELNS0_4arch9wavefront6targetE0EEEvT1_.kd
    .uniform_work_group_size: 1
    .uses_dynamic_stack: false
    .vgpr_count:     0
    .vgpr_spill_count: 0
    .wavefront_size: 32
    .workgroup_processor_mode: 1
  - .args:
      - .offset:         0
        .size:           112
        .value_kind:     by_value
    .group_segment_fixed_size: 0
    .kernarg_segment_align: 8
    .kernarg_segment_size: 112
    .language:       OpenCL C
    .language_version:
      - 2
      - 0
    .max_flat_workgroup_size: 256
    .name:           _ZN7rocprim17ROCPRIM_400000_NS6detail17trampoline_kernelINS0_14default_configENS1_25partition_config_selectorILNS1_17partition_subalgoE6EyNS0_10empty_typeEbEEZZNS1_14partition_implILS5_6ELb0ES3_mN6thrust23THRUST_200600_302600_NS6detail15normal_iteratorINSA_10device_ptrIyEEEEPS6_SG_NS0_5tupleIJSF_S6_EEENSH_IJSG_SG_EEES6_PlJ7is_evenIyEEEE10hipError_tPvRmT3_T4_T5_T6_T7_T9_mT8_P12ihipStream_tbDpT10_ENKUlT_T0_E_clISt17integral_constantIbLb1EES15_IbLb0EEEEDaS11_S12_EUlS11_E_NS1_11comp_targetILNS1_3genE10ELNS1_11target_archE1200ELNS1_3gpuE4ELNS1_3repE0EEENS1_30default_config_static_selectorELNS0_4arch9wavefront6targetE0EEEvT1_
    .private_segment_fixed_size: 0
    .sgpr_count:     0
    .sgpr_spill_count: 0
    .symbol:         _ZN7rocprim17ROCPRIM_400000_NS6detail17trampoline_kernelINS0_14default_configENS1_25partition_config_selectorILNS1_17partition_subalgoE6EyNS0_10empty_typeEbEEZZNS1_14partition_implILS5_6ELb0ES3_mN6thrust23THRUST_200600_302600_NS6detail15normal_iteratorINSA_10device_ptrIyEEEEPS6_SG_NS0_5tupleIJSF_S6_EEENSH_IJSG_SG_EEES6_PlJ7is_evenIyEEEE10hipError_tPvRmT3_T4_T5_T6_T7_T9_mT8_P12ihipStream_tbDpT10_ENKUlT_T0_E_clISt17integral_constantIbLb1EES15_IbLb0EEEEDaS11_S12_EUlS11_E_NS1_11comp_targetILNS1_3genE10ELNS1_11target_archE1200ELNS1_3gpuE4ELNS1_3repE0EEENS1_30default_config_static_selectorELNS0_4arch9wavefront6targetE0EEEvT1_.kd
    .uniform_work_group_size: 1
    .uses_dynamic_stack: false
    .vgpr_count:     0
    .vgpr_spill_count: 0
    .wavefront_size: 32
    .workgroup_processor_mode: 1
  - .args:
      - .offset:         0
        .size:           112
        .value_kind:     by_value
    .group_segment_fixed_size: 18448
    .kernarg_segment_align: 8
    .kernarg_segment_size: 112
    .language:       OpenCL C
    .language_version:
      - 2
      - 0
    .max_flat_workgroup_size: 384
    .name:           _ZN7rocprim17ROCPRIM_400000_NS6detail17trampoline_kernelINS0_14default_configENS1_25partition_config_selectorILNS1_17partition_subalgoE6EyNS0_10empty_typeEbEEZZNS1_14partition_implILS5_6ELb0ES3_mN6thrust23THRUST_200600_302600_NS6detail15normal_iteratorINSA_10device_ptrIyEEEEPS6_SG_NS0_5tupleIJSF_S6_EEENSH_IJSG_SG_EEES6_PlJ7is_evenIyEEEE10hipError_tPvRmT3_T4_T5_T6_T7_T9_mT8_P12ihipStream_tbDpT10_ENKUlT_T0_E_clISt17integral_constantIbLb1EES15_IbLb0EEEEDaS11_S12_EUlS11_E_NS1_11comp_targetILNS1_3genE9ELNS1_11target_archE1100ELNS1_3gpuE3ELNS1_3repE0EEENS1_30default_config_static_selectorELNS0_4arch9wavefront6targetE0EEEvT1_
    .private_segment_fixed_size: 0
    .sgpr_count:     22
    .sgpr_spill_count: 0
    .symbol:         _ZN7rocprim17ROCPRIM_400000_NS6detail17trampoline_kernelINS0_14default_configENS1_25partition_config_selectorILNS1_17partition_subalgoE6EyNS0_10empty_typeEbEEZZNS1_14partition_implILS5_6ELb0ES3_mN6thrust23THRUST_200600_302600_NS6detail15normal_iteratorINSA_10device_ptrIyEEEEPS6_SG_NS0_5tupleIJSF_S6_EEENSH_IJSG_SG_EEES6_PlJ7is_evenIyEEEE10hipError_tPvRmT3_T4_T5_T6_T7_T9_mT8_P12ihipStream_tbDpT10_ENKUlT_T0_E_clISt17integral_constantIbLb1EES15_IbLb0EEEEDaS11_S12_EUlS11_E_NS1_11comp_targetILNS1_3genE9ELNS1_11target_archE1100ELNS1_3gpuE3ELNS1_3repE0EEENS1_30default_config_static_selectorELNS0_4arch9wavefront6targetE0EEEvT1_.kd
    .uniform_work_group_size: 1
    .uses_dynamic_stack: false
    .vgpr_count:     54
    .vgpr_spill_count: 0
    .wavefront_size: 32
    .workgroup_processor_mode: 1
  - .args:
      - .offset:         0
        .size:           112
        .value_kind:     by_value
    .group_segment_fixed_size: 0
    .kernarg_segment_align: 8
    .kernarg_segment_size: 112
    .language:       OpenCL C
    .language_version:
      - 2
      - 0
    .max_flat_workgroup_size: 512
    .name:           _ZN7rocprim17ROCPRIM_400000_NS6detail17trampoline_kernelINS0_14default_configENS1_25partition_config_selectorILNS1_17partition_subalgoE6EyNS0_10empty_typeEbEEZZNS1_14partition_implILS5_6ELb0ES3_mN6thrust23THRUST_200600_302600_NS6detail15normal_iteratorINSA_10device_ptrIyEEEEPS6_SG_NS0_5tupleIJSF_S6_EEENSH_IJSG_SG_EEES6_PlJ7is_evenIyEEEE10hipError_tPvRmT3_T4_T5_T6_T7_T9_mT8_P12ihipStream_tbDpT10_ENKUlT_T0_E_clISt17integral_constantIbLb1EES15_IbLb0EEEEDaS11_S12_EUlS11_E_NS1_11comp_targetILNS1_3genE8ELNS1_11target_archE1030ELNS1_3gpuE2ELNS1_3repE0EEENS1_30default_config_static_selectorELNS0_4arch9wavefront6targetE0EEEvT1_
    .private_segment_fixed_size: 0
    .sgpr_count:     0
    .sgpr_spill_count: 0
    .symbol:         _ZN7rocprim17ROCPRIM_400000_NS6detail17trampoline_kernelINS0_14default_configENS1_25partition_config_selectorILNS1_17partition_subalgoE6EyNS0_10empty_typeEbEEZZNS1_14partition_implILS5_6ELb0ES3_mN6thrust23THRUST_200600_302600_NS6detail15normal_iteratorINSA_10device_ptrIyEEEEPS6_SG_NS0_5tupleIJSF_S6_EEENSH_IJSG_SG_EEES6_PlJ7is_evenIyEEEE10hipError_tPvRmT3_T4_T5_T6_T7_T9_mT8_P12ihipStream_tbDpT10_ENKUlT_T0_E_clISt17integral_constantIbLb1EES15_IbLb0EEEEDaS11_S12_EUlS11_E_NS1_11comp_targetILNS1_3genE8ELNS1_11target_archE1030ELNS1_3gpuE2ELNS1_3repE0EEENS1_30default_config_static_selectorELNS0_4arch9wavefront6targetE0EEEvT1_.kd
    .uniform_work_group_size: 1
    .uses_dynamic_stack: false
    .vgpr_count:     0
    .vgpr_spill_count: 0
    .wavefront_size: 32
    .workgroup_processor_mode: 1
  - .args:
      - .offset:         0
        .size:           128
        .value_kind:     by_value
    .group_segment_fixed_size: 0
    .kernarg_segment_align: 8
    .kernarg_segment_size: 128
    .language:       OpenCL C
    .language_version:
      - 2
      - 0
    .max_flat_workgroup_size: 128
    .name:           _ZN7rocprim17ROCPRIM_400000_NS6detail17trampoline_kernelINS0_14default_configENS1_25partition_config_selectorILNS1_17partition_subalgoE6EyNS0_10empty_typeEbEEZZNS1_14partition_implILS5_6ELb0ES3_mN6thrust23THRUST_200600_302600_NS6detail15normal_iteratorINSA_10device_ptrIyEEEEPS6_SG_NS0_5tupleIJSF_S6_EEENSH_IJSG_SG_EEES6_PlJ7is_evenIyEEEE10hipError_tPvRmT3_T4_T5_T6_T7_T9_mT8_P12ihipStream_tbDpT10_ENKUlT_T0_E_clISt17integral_constantIbLb0EES15_IbLb1EEEEDaS11_S12_EUlS11_E_NS1_11comp_targetILNS1_3genE0ELNS1_11target_archE4294967295ELNS1_3gpuE0ELNS1_3repE0EEENS1_30default_config_static_selectorELNS0_4arch9wavefront6targetE0EEEvT1_
    .private_segment_fixed_size: 0
    .sgpr_count:     0
    .sgpr_spill_count: 0
    .symbol:         _ZN7rocprim17ROCPRIM_400000_NS6detail17trampoline_kernelINS0_14default_configENS1_25partition_config_selectorILNS1_17partition_subalgoE6EyNS0_10empty_typeEbEEZZNS1_14partition_implILS5_6ELb0ES3_mN6thrust23THRUST_200600_302600_NS6detail15normal_iteratorINSA_10device_ptrIyEEEEPS6_SG_NS0_5tupleIJSF_S6_EEENSH_IJSG_SG_EEES6_PlJ7is_evenIyEEEE10hipError_tPvRmT3_T4_T5_T6_T7_T9_mT8_P12ihipStream_tbDpT10_ENKUlT_T0_E_clISt17integral_constantIbLb0EES15_IbLb1EEEEDaS11_S12_EUlS11_E_NS1_11comp_targetILNS1_3genE0ELNS1_11target_archE4294967295ELNS1_3gpuE0ELNS1_3repE0EEENS1_30default_config_static_selectorELNS0_4arch9wavefront6targetE0EEEvT1_.kd
    .uniform_work_group_size: 1
    .uses_dynamic_stack: false
    .vgpr_count:     0
    .vgpr_spill_count: 0
    .wavefront_size: 32
    .workgroup_processor_mode: 1
  - .args:
      - .offset:         0
        .size:           128
        .value_kind:     by_value
    .group_segment_fixed_size: 0
    .kernarg_segment_align: 8
    .kernarg_segment_size: 128
    .language:       OpenCL C
    .language_version:
      - 2
      - 0
    .max_flat_workgroup_size: 512
    .name:           _ZN7rocprim17ROCPRIM_400000_NS6detail17trampoline_kernelINS0_14default_configENS1_25partition_config_selectorILNS1_17partition_subalgoE6EyNS0_10empty_typeEbEEZZNS1_14partition_implILS5_6ELb0ES3_mN6thrust23THRUST_200600_302600_NS6detail15normal_iteratorINSA_10device_ptrIyEEEEPS6_SG_NS0_5tupleIJSF_S6_EEENSH_IJSG_SG_EEES6_PlJ7is_evenIyEEEE10hipError_tPvRmT3_T4_T5_T6_T7_T9_mT8_P12ihipStream_tbDpT10_ENKUlT_T0_E_clISt17integral_constantIbLb0EES15_IbLb1EEEEDaS11_S12_EUlS11_E_NS1_11comp_targetILNS1_3genE5ELNS1_11target_archE942ELNS1_3gpuE9ELNS1_3repE0EEENS1_30default_config_static_selectorELNS0_4arch9wavefront6targetE0EEEvT1_
    .private_segment_fixed_size: 0
    .sgpr_count:     0
    .sgpr_spill_count: 0
    .symbol:         _ZN7rocprim17ROCPRIM_400000_NS6detail17trampoline_kernelINS0_14default_configENS1_25partition_config_selectorILNS1_17partition_subalgoE6EyNS0_10empty_typeEbEEZZNS1_14partition_implILS5_6ELb0ES3_mN6thrust23THRUST_200600_302600_NS6detail15normal_iteratorINSA_10device_ptrIyEEEEPS6_SG_NS0_5tupleIJSF_S6_EEENSH_IJSG_SG_EEES6_PlJ7is_evenIyEEEE10hipError_tPvRmT3_T4_T5_T6_T7_T9_mT8_P12ihipStream_tbDpT10_ENKUlT_T0_E_clISt17integral_constantIbLb0EES15_IbLb1EEEEDaS11_S12_EUlS11_E_NS1_11comp_targetILNS1_3genE5ELNS1_11target_archE942ELNS1_3gpuE9ELNS1_3repE0EEENS1_30default_config_static_selectorELNS0_4arch9wavefront6targetE0EEEvT1_.kd
    .uniform_work_group_size: 1
    .uses_dynamic_stack: false
    .vgpr_count:     0
    .vgpr_spill_count: 0
    .wavefront_size: 32
    .workgroup_processor_mode: 1
  - .args:
      - .offset:         0
        .size:           128
        .value_kind:     by_value
    .group_segment_fixed_size: 0
    .kernarg_segment_align: 8
    .kernarg_segment_size: 128
    .language:       OpenCL C
    .language_version:
      - 2
      - 0
    .max_flat_workgroup_size: 512
    .name:           _ZN7rocprim17ROCPRIM_400000_NS6detail17trampoline_kernelINS0_14default_configENS1_25partition_config_selectorILNS1_17partition_subalgoE6EyNS0_10empty_typeEbEEZZNS1_14partition_implILS5_6ELb0ES3_mN6thrust23THRUST_200600_302600_NS6detail15normal_iteratorINSA_10device_ptrIyEEEEPS6_SG_NS0_5tupleIJSF_S6_EEENSH_IJSG_SG_EEES6_PlJ7is_evenIyEEEE10hipError_tPvRmT3_T4_T5_T6_T7_T9_mT8_P12ihipStream_tbDpT10_ENKUlT_T0_E_clISt17integral_constantIbLb0EES15_IbLb1EEEEDaS11_S12_EUlS11_E_NS1_11comp_targetILNS1_3genE4ELNS1_11target_archE910ELNS1_3gpuE8ELNS1_3repE0EEENS1_30default_config_static_selectorELNS0_4arch9wavefront6targetE0EEEvT1_
    .private_segment_fixed_size: 0
    .sgpr_count:     0
    .sgpr_spill_count: 0
    .symbol:         _ZN7rocprim17ROCPRIM_400000_NS6detail17trampoline_kernelINS0_14default_configENS1_25partition_config_selectorILNS1_17partition_subalgoE6EyNS0_10empty_typeEbEEZZNS1_14partition_implILS5_6ELb0ES3_mN6thrust23THRUST_200600_302600_NS6detail15normal_iteratorINSA_10device_ptrIyEEEEPS6_SG_NS0_5tupleIJSF_S6_EEENSH_IJSG_SG_EEES6_PlJ7is_evenIyEEEE10hipError_tPvRmT3_T4_T5_T6_T7_T9_mT8_P12ihipStream_tbDpT10_ENKUlT_T0_E_clISt17integral_constantIbLb0EES15_IbLb1EEEEDaS11_S12_EUlS11_E_NS1_11comp_targetILNS1_3genE4ELNS1_11target_archE910ELNS1_3gpuE8ELNS1_3repE0EEENS1_30default_config_static_selectorELNS0_4arch9wavefront6targetE0EEEvT1_.kd
    .uniform_work_group_size: 1
    .uses_dynamic_stack: false
    .vgpr_count:     0
    .vgpr_spill_count: 0
    .wavefront_size: 32
    .workgroup_processor_mode: 1
  - .args:
      - .offset:         0
        .size:           128
        .value_kind:     by_value
    .group_segment_fixed_size: 0
    .kernarg_segment_align: 8
    .kernarg_segment_size: 128
    .language:       OpenCL C
    .language_version:
      - 2
      - 0
    .max_flat_workgroup_size: 128
    .name:           _ZN7rocprim17ROCPRIM_400000_NS6detail17trampoline_kernelINS0_14default_configENS1_25partition_config_selectorILNS1_17partition_subalgoE6EyNS0_10empty_typeEbEEZZNS1_14partition_implILS5_6ELb0ES3_mN6thrust23THRUST_200600_302600_NS6detail15normal_iteratorINSA_10device_ptrIyEEEEPS6_SG_NS0_5tupleIJSF_S6_EEENSH_IJSG_SG_EEES6_PlJ7is_evenIyEEEE10hipError_tPvRmT3_T4_T5_T6_T7_T9_mT8_P12ihipStream_tbDpT10_ENKUlT_T0_E_clISt17integral_constantIbLb0EES15_IbLb1EEEEDaS11_S12_EUlS11_E_NS1_11comp_targetILNS1_3genE3ELNS1_11target_archE908ELNS1_3gpuE7ELNS1_3repE0EEENS1_30default_config_static_selectorELNS0_4arch9wavefront6targetE0EEEvT1_
    .private_segment_fixed_size: 0
    .sgpr_count:     0
    .sgpr_spill_count: 0
    .symbol:         _ZN7rocprim17ROCPRIM_400000_NS6detail17trampoline_kernelINS0_14default_configENS1_25partition_config_selectorILNS1_17partition_subalgoE6EyNS0_10empty_typeEbEEZZNS1_14partition_implILS5_6ELb0ES3_mN6thrust23THRUST_200600_302600_NS6detail15normal_iteratorINSA_10device_ptrIyEEEEPS6_SG_NS0_5tupleIJSF_S6_EEENSH_IJSG_SG_EEES6_PlJ7is_evenIyEEEE10hipError_tPvRmT3_T4_T5_T6_T7_T9_mT8_P12ihipStream_tbDpT10_ENKUlT_T0_E_clISt17integral_constantIbLb0EES15_IbLb1EEEEDaS11_S12_EUlS11_E_NS1_11comp_targetILNS1_3genE3ELNS1_11target_archE908ELNS1_3gpuE7ELNS1_3repE0EEENS1_30default_config_static_selectorELNS0_4arch9wavefront6targetE0EEEvT1_.kd
    .uniform_work_group_size: 1
    .uses_dynamic_stack: false
    .vgpr_count:     0
    .vgpr_spill_count: 0
    .wavefront_size: 32
    .workgroup_processor_mode: 1
  - .args:
      - .offset:         0
        .size:           128
        .value_kind:     by_value
    .group_segment_fixed_size: 0
    .kernarg_segment_align: 8
    .kernarg_segment_size: 128
    .language:       OpenCL C
    .language_version:
      - 2
      - 0
    .max_flat_workgroup_size: 256
    .name:           _ZN7rocprim17ROCPRIM_400000_NS6detail17trampoline_kernelINS0_14default_configENS1_25partition_config_selectorILNS1_17partition_subalgoE6EyNS0_10empty_typeEbEEZZNS1_14partition_implILS5_6ELb0ES3_mN6thrust23THRUST_200600_302600_NS6detail15normal_iteratorINSA_10device_ptrIyEEEEPS6_SG_NS0_5tupleIJSF_S6_EEENSH_IJSG_SG_EEES6_PlJ7is_evenIyEEEE10hipError_tPvRmT3_T4_T5_T6_T7_T9_mT8_P12ihipStream_tbDpT10_ENKUlT_T0_E_clISt17integral_constantIbLb0EES15_IbLb1EEEEDaS11_S12_EUlS11_E_NS1_11comp_targetILNS1_3genE2ELNS1_11target_archE906ELNS1_3gpuE6ELNS1_3repE0EEENS1_30default_config_static_selectorELNS0_4arch9wavefront6targetE0EEEvT1_
    .private_segment_fixed_size: 0
    .sgpr_count:     0
    .sgpr_spill_count: 0
    .symbol:         _ZN7rocprim17ROCPRIM_400000_NS6detail17trampoline_kernelINS0_14default_configENS1_25partition_config_selectorILNS1_17partition_subalgoE6EyNS0_10empty_typeEbEEZZNS1_14partition_implILS5_6ELb0ES3_mN6thrust23THRUST_200600_302600_NS6detail15normal_iteratorINSA_10device_ptrIyEEEEPS6_SG_NS0_5tupleIJSF_S6_EEENSH_IJSG_SG_EEES6_PlJ7is_evenIyEEEE10hipError_tPvRmT3_T4_T5_T6_T7_T9_mT8_P12ihipStream_tbDpT10_ENKUlT_T0_E_clISt17integral_constantIbLb0EES15_IbLb1EEEEDaS11_S12_EUlS11_E_NS1_11comp_targetILNS1_3genE2ELNS1_11target_archE906ELNS1_3gpuE6ELNS1_3repE0EEENS1_30default_config_static_selectorELNS0_4arch9wavefront6targetE0EEEvT1_.kd
    .uniform_work_group_size: 1
    .uses_dynamic_stack: false
    .vgpr_count:     0
    .vgpr_spill_count: 0
    .wavefront_size: 32
    .workgroup_processor_mode: 1
  - .args:
      - .offset:         0
        .size:           128
        .value_kind:     by_value
    .group_segment_fixed_size: 0
    .kernarg_segment_align: 8
    .kernarg_segment_size: 128
    .language:       OpenCL C
    .language_version:
      - 2
      - 0
    .max_flat_workgroup_size: 256
    .name:           _ZN7rocprim17ROCPRIM_400000_NS6detail17trampoline_kernelINS0_14default_configENS1_25partition_config_selectorILNS1_17partition_subalgoE6EyNS0_10empty_typeEbEEZZNS1_14partition_implILS5_6ELb0ES3_mN6thrust23THRUST_200600_302600_NS6detail15normal_iteratorINSA_10device_ptrIyEEEEPS6_SG_NS0_5tupleIJSF_S6_EEENSH_IJSG_SG_EEES6_PlJ7is_evenIyEEEE10hipError_tPvRmT3_T4_T5_T6_T7_T9_mT8_P12ihipStream_tbDpT10_ENKUlT_T0_E_clISt17integral_constantIbLb0EES15_IbLb1EEEEDaS11_S12_EUlS11_E_NS1_11comp_targetILNS1_3genE10ELNS1_11target_archE1200ELNS1_3gpuE4ELNS1_3repE0EEENS1_30default_config_static_selectorELNS0_4arch9wavefront6targetE0EEEvT1_
    .private_segment_fixed_size: 0
    .sgpr_count:     0
    .sgpr_spill_count: 0
    .symbol:         _ZN7rocprim17ROCPRIM_400000_NS6detail17trampoline_kernelINS0_14default_configENS1_25partition_config_selectorILNS1_17partition_subalgoE6EyNS0_10empty_typeEbEEZZNS1_14partition_implILS5_6ELb0ES3_mN6thrust23THRUST_200600_302600_NS6detail15normal_iteratorINSA_10device_ptrIyEEEEPS6_SG_NS0_5tupleIJSF_S6_EEENSH_IJSG_SG_EEES6_PlJ7is_evenIyEEEE10hipError_tPvRmT3_T4_T5_T6_T7_T9_mT8_P12ihipStream_tbDpT10_ENKUlT_T0_E_clISt17integral_constantIbLb0EES15_IbLb1EEEEDaS11_S12_EUlS11_E_NS1_11comp_targetILNS1_3genE10ELNS1_11target_archE1200ELNS1_3gpuE4ELNS1_3repE0EEENS1_30default_config_static_selectorELNS0_4arch9wavefront6targetE0EEEvT1_.kd
    .uniform_work_group_size: 1
    .uses_dynamic_stack: false
    .vgpr_count:     0
    .vgpr_spill_count: 0
    .wavefront_size: 32
    .workgroup_processor_mode: 1
  - .args:
      - .offset:         0
        .size:           128
        .value_kind:     by_value
    .group_segment_fixed_size: 18448
    .kernarg_segment_align: 8
    .kernarg_segment_size: 128
    .language:       OpenCL C
    .language_version:
      - 2
      - 0
    .max_flat_workgroup_size: 384
    .name:           _ZN7rocprim17ROCPRIM_400000_NS6detail17trampoline_kernelINS0_14default_configENS1_25partition_config_selectorILNS1_17partition_subalgoE6EyNS0_10empty_typeEbEEZZNS1_14partition_implILS5_6ELb0ES3_mN6thrust23THRUST_200600_302600_NS6detail15normal_iteratorINSA_10device_ptrIyEEEEPS6_SG_NS0_5tupleIJSF_S6_EEENSH_IJSG_SG_EEES6_PlJ7is_evenIyEEEE10hipError_tPvRmT3_T4_T5_T6_T7_T9_mT8_P12ihipStream_tbDpT10_ENKUlT_T0_E_clISt17integral_constantIbLb0EES15_IbLb1EEEEDaS11_S12_EUlS11_E_NS1_11comp_targetILNS1_3genE9ELNS1_11target_archE1100ELNS1_3gpuE3ELNS1_3repE0EEENS1_30default_config_static_selectorELNS0_4arch9wavefront6targetE0EEEvT1_
    .private_segment_fixed_size: 0
    .sgpr_count:     20
    .sgpr_spill_count: 0
    .symbol:         _ZN7rocprim17ROCPRIM_400000_NS6detail17trampoline_kernelINS0_14default_configENS1_25partition_config_selectorILNS1_17partition_subalgoE6EyNS0_10empty_typeEbEEZZNS1_14partition_implILS5_6ELb0ES3_mN6thrust23THRUST_200600_302600_NS6detail15normal_iteratorINSA_10device_ptrIyEEEEPS6_SG_NS0_5tupleIJSF_S6_EEENSH_IJSG_SG_EEES6_PlJ7is_evenIyEEEE10hipError_tPvRmT3_T4_T5_T6_T7_T9_mT8_P12ihipStream_tbDpT10_ENKUlT_T0_E_clISt17integral_constantIbLb0EES15_IbLb1EEEEDaS11_S12_EUlS11_E_NS1_11comp_targetILNS1_3genE9ELNS1_11target_archE1100ELNS1_3gpuE3ELNS1_3repE0EEENS1_30default_config_static_selectorELNS0_4arch9wavefront6targetE0EEEvT1_.kd
    .uniform_work_group_size: 1
    .uses_dynamic_stack: false
    .vgpr_count:     56
    .vgpr_spill_count: 0
    .wavefront_size: 32
    .workgroup_processor_mode: 1
  - .args:
      - .offset:         0
        .size:           128
        .value_kind:     by_value
    .group_segment_fixed_size: 0
    .kernarg_segment_align: 8
    .kernarg_segment_size: 128
    .language:       OpenCL C
    .language_version:
      - 2
      - 0
    .max_flat_workgroup_size: 512
    .name:           _ZN7rocprim17ROCPRIM_400000_NS6detail17trampoline_kernelINS0_14default_configENS1_25partition_config_selectorILNS1_17partition_subalgoE6EyNS0_10empty_typeEbEEZZNS1_14partition_implILS5_6ELb0ES3_mN6thrust23THRUST_200600_302600_NS6detail15normal_iteratorINSA_10device_ptrIyEEEEPS6_SG_NS0_5tupleIJSF_S6_EEENSH_IJSG_SG_EEES6_PlJ7is_evenIyEEEE10hipError_tPvRmT3_T4_T5_T6_T7_T9_mT8_P12ihipStream_tbDpT10_ENKUlT_T0_E_clISt17integral_constantIbLb0EES15_IbLb1EEEEDaS11_S12_EUlS11_E_NS1_11comp_targetILNS1_3genE8ELNS1_11target_archE1030ELNS1_3gpuE2ELNS1_3repE0EEENS1_30default_config_static_selectorELNS0_4arch9wavefront6targetE0EEEvT1_
    .private_segment_fixed_size: 0
    .sgpr_count:     0
    .sgpr_spill_count: 0
    .symbol:         _ZN7rocprim17ROCPRIM_400000_NS6detail17trampoline_kernelINS0_14default_configENS1_25partition_config_selectorILNS1_17partition_subalgoE6EyNS0_10empty_typeEbEEZZNS1_14partition_implILS5_6ELb0ES3_mN6thrust23THRUST_200600_302600_NS6detail15normal_iteratorINSA_10device_ptrIyEEEEPS6_SG_NS0_5tupleIJSF_S6_EEENSH_IJSG_SG_EEES6_PlJ7is_evenIyEEEE10hipError_tPvRmT3_T4_T5_T6_T7_T9_mT8_P12ihipStream_tbDpT10_ENKUlT_T0_E_clISt17integral_constantIbLb0EES15_IbLb1EEEEDaS11_S12_EUlS11_E_NS1_11comp_targetILNS1_3genE8ELNS1_11target_archE1030ELNS1_3gpuE2ELNS1_3repE0EEENS1_30default_config_static_selectorELNS0_4arch9wavefront6targetE0EEEvT1_.kd
    .uniform_work_group_size: 1
    .uses_dynamic_stack: false
    .vgpr_count:     0
    .vgpr_spill_count: 0
    .wavefront_size: 32
    .workgroup_processor_mode: 1
  - .args:
      - .offset:         0
        .size:           112
        .value_kind:     by_value
    .group_segment_fixed_size: 0
    .kernarg_segment_align: 8
    .kernarg_segment_size: 112
    .language:       OpenCL C
    .language_version:
      - 2
      - 0
    .max_flat_workgroup_size: 256
    .name:           _ZN7rocprim17ROCPRIM_400000_NS6detail17trampoline_kernelINS0_14default_configENS1_25partition_config_selectorILNS1_17partition_subalgoE6EjNS0_10empty_typeEbEEZZNS1_14partition_implILS5_6ELb0ES3_mN6thrust23THRUST_200600_302600_NS6detail15normal_iteratorINSA_10device_ptrIjEEEEPS6_SG_NS0_5tupleIJSF_S6_EEENSH_IJSG_SG_EEES6_PlJ7is_evenIjEEEE10hipError_tPvRmT3_T4_T5_T6_T7_T9_mT8_P12ihipStream_tbDpT10_ENKUlT_T0_E_clISt17integral_constantIbLb0EES16_EEDaS11_S12_EUlS11_E_NS1_11comp_targetILNS1_3genE0ELNS1_11target_archE4294967295ELNS1_3gpuE0ELNS1_3repE0EEENS1_30default_config_static_selectorELNS0_4arch9wavefront6targetE0EEEvT1_
    .private_segment_fixed_size: 0
    .sgpr_count:     0
    .sgpr_spill_count: 0
    .symbol:         _ZN7rocprim17ROCPRIM_400000_NS6detail17trampoline_kernelINS0_14default_configENS1_25partition_config_selectorILNS1_17partition_subalgoE6EjNS0_10empty_typeEbEEZZNS1_14partition_implILS5_6ELb0ES3_mN6thrust23THRUST_200600_302600_NS6detail15normal_iteratorINSA_10device_ptrIjEEEEPS6_SG_NS0_5tupleIJSF_S6_EEENSH_IJSG_SG_EEES6_PlJ7is_evenIjEEEE10hipError_tPvRmT3_T4_T5_T6_T7_T9_mT8_P12ihipStream_tbDpT10_ENKUlT_T0_E_clISt17integral_constantIbLb0EES16_EEDaS11_S12_EUlS11_E_NS1_11comp_targetILNS1_3genE0ELNS1_11target_archE4294967295ELNS1_3gpuE0ELNS1_3repE0EEENS1_30default_config_static_selectorELNS0_4arch9wavefront6targetE0EEEvT1_.kd
    .uniform_work_group_size: 1
    .uses_dynamic_stack: false
    .vgpr_count:     0
    .vgpr_spill_count: 0
    .wavefront_size: 32
    .workgroup_processor_mode: 1
  - .args:
      - .offset:         0
        .size:           112
        .value_kind:     by_value
    .group_segment_fixed_size: 0
    .kernarg_segment_align: 8
    .kernarg_segment_size: 112
    .language:       OpenCL C
    .language_version:
      - 2
      - 0
    .max_flat_workgroup_size: 512
    .name:           _ZN7rocprim17ROCPRIM_400000_NS6detail17trampoline_kernelINS0_14default_configENS1_25partition_config_selectorILNS1_17partition_subalgoE6EjNS0_10empty_typeEbEEZZNS1_14partition_implILS5_6ELb0ES3_mN6thrust23THRUST_200600_302600_NS6detail15normal_iteratorINSA_10device_ptrIjEEEEPS6_SG_NS0_5tupleIJSF_S6_EEENSH_IJSG_SG_EEES6_PlJ7is_evenIjEEEE10hipError_tPvRmT3_T4_T5_T6_T7_T9_mT8_P12ihipStream_tbDpT10_ENKUlT_T0_E_clISt17integral_constantIbLb0EES16_EEDaS11_S12_EUlS11_E_NS1_11comp_targetILNS1_3genE5ELNS1_11target_archE942ELNS1_3gpuE9ELNS1_3repE0EEENS1_30default_config_static_selectorELNS0_4arch9wavefront6targetE0EEEvT1_
    .private_segment_fixed_size: 0
    .sgpr_count:     0
    .sgpr_spill_count: 0
    .symbol:         _ZN7rocprim17ROCPRIM_400000_NS6detail17trampoline_kernelINS0_14default_configENS1_25partition_config_selectorILNS1_17partition_subalgoE6EjNS0_10empty_typeEbEEZZNS1_14partition_implILS5_6ELb0ES3_mN6thrust23THRUST_200600_302600_NS6detail15normal_iteratorINSA_10device_ptrIjEEEEPS6_SG_NS0_5tupleIJSF_S6_EEENSH_IJSG_SG_EEES6_PlJ7is_evenIjEEEE10hipError_tPvRmT3_T4_T5_T6_T7_T9_mT8_P12ihipStream_tbDpT10_ENKUlT_T0_E_clISt17integral_constantIbLb0EES16_EEDaS11_S12_EUlS11_E_NS1_11comp_targetILNS1_3genE5ELNS1_11target_archE942ELNS1_3gpuE9ELNS1_3repE0EEENS1_30default_config_static_selectorELNS0_4arch9wavefront6targetE0EEEvT1_.kd
    .uniform_work_group_size: 1
    .uses_dynamic_stack: false
    .vgpr_count:     0
    .vgpr_spill_count: 0
    .wavefront_size: 32
    .workgroup_processor_mode: 1
  - .args:
      - .offset:         0
        .size:           112
        .value_kind:     by_value
    .group_segment_fixed_size: 0
    .kernarg_segment_align: 8
    .kernarg_segment_size: 112
    .language:       OpenCL C
    .language_version:
      - 2
      - 0
    .max_flat_workgroup_size: 512
    .name:           _ZN7rocprim17ROCPRIM_400000_NS6detail17trampoline_kernelINS0_14default_configENS1_25partition_config_selectorILNS1_17partition_subalgoE6EjNS0_10empty_typeEbEEZZNS1_14partition_implILS5_6ELb0ES3_mN6thrust23THRUST_200600_302600_NS6detail15normal_iteratorINSA_10device_ptrIjEEEEPS6_SG_NS0_5tupleIJSF_S6_EEENSH_IJSG_SG_EEES6_PlJ7is_evenIjEEEE10hipError_tPvRmT3_T4_T5_T6_T7_T9_mT8_P12ihipStream_tbDpT10_ENKUlT_T0_E_clISt17integral_constantIbLb0EES16_EEDaS11_S12_EUlS11_E_NS1_11comp_targetILNS1_3genE4ELNS1_11target_archE910ELNS1_3gpuE8ELNS1_3repE0EEENS1_30default_config_static_selectorELNS0_4arch9wavefront6targetE0EEEvT1_
    .private_segment_fixed_size: 0
    .sgpr_count:     0
    .sgpr_spill_count: 0
    .symbol:         _ZN7rocprim17ROCPRIM_400000_NS6detail17trampoline_kernelINS0_14default_configENS1_25partition_config_selectorILNS1_17partition_subalgoE6EjNS0_10empty_typeEbEEZZNS1_14partition_implILS5_6ELb0ES3_mN6thrust23THRUST_200600_302600_NS6detail15normal_iteratorINSA_10device_ptrIjEEEEPS6_SG_NS0_5tupleIJSF_S6_EEENSH_IJSG_SG_EEES6_PlJ7is_evenIjEEEE10hipError_tPvRmT3_T4_T5_T6_T7_T9_mT8_P12ihipStream_tbDpT10_ENKUlT_T0_E_clISt17integral_constantIbLb0EES16_EEDaS11_S12_EUlS11_E_NS1_11comp_targetILNS1_3genE4ELNS1_11target_archE910ELNS1_3gpuE8ELNS1_3repE0EEENS1_30default_config_static_selectorELNS0_4arch9wavefront6targetE0EEEvT1_.kd
    .uniform_work_group_size: 1
    .uses_dynamic_stack: false
    .vgpr_count:     0
    .vgpr_spill_count: 0
    .wavefront_size: 32
    .workgroup_processor_mode: 1
  - .args:
      - .offset:         0
        .size:           112
        .value_kind:     by_value
    .group_segment_fixed_size: 0
    .kernarg_segment_align: 8
    .kernarg_segment_size: 112
    .language:       OpenCL C
    .language_version:
      - 2
      - 0
    .max_flat_workgroup_size: 256
    .name:           _ZN7rocprim17ROCPRIM_400000_NS6detail17trampoline_kernelINS0_14default_configENS1_25partition_config_selectorILNS1_17partition_subalgoE6EjNS0_10empty_typeEbEEZZNS1_14partition_implILS5_6ELb0ES3_mN6thrust23THRUST_200600_302600_NS6detail15normal_iteratorINSA_10device_ptrIjEEEEPS6_SG_NS0_5tupleIJSF_S6_EEENSH_IJSG_SG_EEES6_PlJ7is_evenIjEEEE10hipError_tPvRmT3_T4_T5_T6_T7_T9_mT8_P12ihipStream_tbDpT10_ENKUlT_T0_E_clISt17integral_constantIbLb0EES16_EEDaS11_S12_EUlS11_E_NS1_11comp_targetILNS1_3genE3ELNS1_11target_archE908ELNS1_3gpuE7ELNS1_3repE0EEENS1_30default_config_static_selectorELNS0_4arch9wavefront6targetE0EEEvT1_
    .private_segment_fixed_size: 0
    .sgpr_count:     0
    .sgpr_spill_count: 0
    .symbol:         _ZN7rocprim17ROCPRIM_400000_NS6detail17trampoline_kernelINS0_14default_configENS1_25partition_config_selectorILNS1_17partition_subalgoE6EjNS0_10empty_typeEbEEZZNS1_14partition_implILS5_6ELb0ES3_mN6thrust23THRUST_200600_302600_NS6detail15normal_iteratorINSA_10device_ptrIjEEEEPS6_SG_NS0_5tupleIJSF_S6_EEENSH_IJSG_SG_EEES6_PlJ7is_evenIjEEEE10hipError_tPvRmT3_T4_T5_T6_T7_T9_mT8_P12ihipStream_tbDpT10_ENKUlT_T0_E_clISt17integral_constantIbLb0EES16_EEDaS11_S12_EUlS11_E_NS1_11comp_targetILNS1_3genE3ELNS1_11target_archE908ELNS1_3gpuE7ELNS1_3repE0EEENS1_30default_config_static_selectorELNS0_4arch9wavefront6targetE0EEEvT1_.kd
    .uniform_work_group_size: 1
    .uses_dynamic_stack: false
    .vgpr_count:     0
    .vgpr_spill_count: 0
    .wavefront_size: 32
    .workgroup_processor_mode: 1
  - .args:
      - .offset:         0
        .size:           112
        .value_kind:     by_value
    .group_segment_fixed_size: 0
    .kernarg_segment_align: 8
    .kernarg_segment_size: 112
    .language:       OpenCL C
    .language_version:
      - 2
      - 0
    .max_flat_workgroup_size: 192
    .name:           _ZN7rocprim17ROCPRIM_400000_NS6detail17trampoline_kernelINS0_14default_configENS1_25partition_config_selectorILNS1_17partition_subalgoE6EjNS0_10empty_typeEbEEZZNS1_14partition_implILS5_6ELb0ES3_mN6thrust23THRUST_200600_302600_NS6detail15normal_iteratorINSA_10device_ptrIjEEEEPS6_SG_NS0_5tupleIJSF_S6_EEENSH_IJSG_SG_EEES6_PlJ7is_evenIjEEEE10hipError_tPvRmT3_T4_T5_T6_T7_T9_mT8_P12ihipStream_tbDpT10_ENKUlT_T0_E_clISt17integral_constantIbLb0EES16_EEDaS11_S12_EUlS11_E_NS1_11comp_targetILNS1_3genE2ELNS1_11target_archE906ELNS1_3gpuE6ELNS1_3repE0EEENS1_30default_config_static_selectorELNS0_4arch9wavefront6targetE0EEEvT1_
    .private_segment_fixed_size: 0
    .sgpr_count:     0
    .sgpr_spill_count: 0
    .symbol:         _ZN7rocprim17ROCPRIM_400000_NS6detail17trampoline_kernelINS0_14default_configENS1_25partition_config_selectorILNS1_17partition_subalgoE6EjNS0_10empty_typeEbEEZZNS1_14partition_implILS5_6ELb0ES3_mN6thrust23THRUST_200600_302600_NS6detail15normal_iteratorINSA_10device_ptrIjEEEEPS6_SG_NS0_5tupleIJSF_S6_EEENSH_IJSG_SG_EEES6_PlJ7is_evenIjEEEE10hipError_tPvRmT3_T4_T5_T6_T7_T9_mT8_P12ihipStream_tbDpT10_ENKUlT_T0_E_clISt17integral_constantIbLb0EES16_EEDaS11_S12_EUlS11_E_NS1_11comp_targetILNS1_3genE2ELNS1_11target_archE906ELNS1_3gpuE6ELNS1_3repE0EEENS1_30default_config_static_selectorELNS0_4arch9wavefront6targetE0EEEvT1_.kd
    .uniform_work_group_size: 1
    .uses_dynamic_stack: false
    .vgpr_count:     0
    .vgpr_spill_count: 0
    .wavefront_size: 32
    .workgroup_processor_mode: 1
  - .args:
      - .offset:         0
        .size:           112
        .value_kind:     by_value
    .group_segment_fixed_size: 0
    .kernarg_segment_align: 8
    .kernarg_segment_size: 112
    .language:       OpenCL C
    .language_version:
      - 2
      - 0
    .max_flat_workgroup_size: 384
    .name:           _ZN7rocprim17ROCPRIM_400000_NS6detail17trampoline_kernelINS0_14default_configENS1_25partition_config_selectorILNS1_17partition_subalgoE6EjNS0_10empty_typeEbEEZZNS1_14partition_implILS5_6ELb0ES3_mN6thrust23THRUST_200600_302600_NS6detail15normal_iteratorINSA_10device_ptrIjEEEEPS6_SG_NS0_5tupleIJSF_S6_EEENSH_IJSG_SG_EEES6_PlJ7is_evenIjEEEE10hipError_tPvRmT3_T4_T5_T6_T7_T9_mT8_P12ihipStream_tbDpT10_ENKUlT_T0_E_clISt17integral_constantIbLb0EES16_EEDaS11_S12_EUlS11_E_NS1_11comp_targetILNS1_3genE10ELNS1_11target_archE1200ELNS1_3gpuE4ELNS1_3repE0EEENS1_30default_config_static_selectorELNS0_4arch9wavefront6targetE0EEEvT1_
    .private_segment_fixed_size: 0
    .sgpr_count:     0
    .sgpr_spill_count: 0
    .symbol:         _ZN7rocprim17ROCPRIM_400000_NS6detail17trampoline_kernelINS0_14default_configENS1_25partition_config_selectorILNS1_17partition_subalgoE6EjNS0_10empty_typeEbEEZZNS1_14partition_implILS5_6ELb0ES3_mN6thrust23THRUST_200600_302600_NS6detail15normal_iteratorINSA_10device_ptrIjEEEEPS6_SG_NS0_5tupleIJSF_S6_EEENSH_IJSG_SG_EEES6_PlJ7is_evenIjEEEE10hipError_tPvRmT3_T4_T5_T6_T7_T9_mT8_P12ihipStream_tbDpT10_ENKUlT_T0_E_clISt17integral_constantIbLb0EES16_EEDaS11_S12_EUlS11_E_NS1_11comp_targetILNS1_3genE10ELNS1_11target_archE1200ELNS1_3gpuE4ELNS1_3repE0EEENS1_30default_config_static_selectorELNS0_4arch9wavefront6targetE0EEEvT1_.kd
    .uniform_work_group_size: 1
    .uses_dynamic_stack: false
    .vgpr_count:     0
    .vgpr_spill_count: 0
    .wavefront_size: 32
    .workgroup_processor_mode: 1
  - .args:
      - .offset:         0
        .size:           112
        .value_kind:     by_value
    .group_segment_fixed_size: 7184
    .kernarg_segment_align: 8
    .kernarg_segment_size: 112
    .language:       OpenCL C
    .language_version:
      - 2
      - 0
    .max_flat_workgroup_size: 128
    .name:           _ZN7rocprim17ROCPRIM_400000_NS6detail17trampoline_kernelINS0_14default_configENS1_25partition_config_selectorILNS1_17partition_subalgoE6EjNS0_10empty_typeEbEEZZNS1_14partition_implILS5_6ELb0ES3_mN6thrust23THRUST_200600_302600_NS6detail15normal_iteratorINSA_10device_ptrIjEEEEPS6_SG_NS0_5tupleIJSF_S6_EEENSH_IJSG_SG_EEES6_PlJ7is_evenIjEEEE10hipError_tPvRmT3_T4_T5_T6_T7_T9_mT8_P12ihipStream_tbDpT10_ENKUlT_T0_E_clISt17integral_constantIbLb0EES16_EEDaS11_S12_EUlS11_E_NS1_11comp_targetILNS1_3genE9ELNS1_11target_archE1100ELNS1_3gpuE3ELNS1_3repE0EEENS1_30default_config_static_selectorELNS0_4arch9wavefront6targetE0EEEvT1_
    .private_segment_fixed_size: 0
    .sgpr_count:     20
    .sgpr_spill_count: 0
    .symbol:         _ZN7rocprim17ROCPRIM_400000_NS6detail17trampoline_kernelINS0_14default_configENS1_25partition_config_selectorILNS1_17partition_subalgoE6EjNS0_10empty_typeEbEEZZNS1_14partition_implILS5_6ELb0ES3_mN6thrust23THRUST_200600_302600_NS6detail15normal_iteratorINSA_10device_ptrIjEEEEPS6_SG_NS0_5tupleIJSF_S6_EEENSH_IJSG_SG_EEES6_PlJ7is_evenIjEEEE10hipError_tPvRmT3_T4_T5_T6_T7_T9_mT8_P12ihipStream_tbDpT10_ENKUlT_T0_E_clISt17integral_constantIbLb0EES16_EEDaS11_S12_EUlS11_E_NS1_11comp_targetILNS1_3genE9ELNS1_11target_archE1100ELNS1_3gpuE3ELNS1_3repE0EEENS1_30default_config_static_selectorELNS0_4arch9wavefront6targetE0EEEvT1_.kd
    .uniform_work_group_size: 1
    .uses_dynamic_stack: false
    .vgpr_count:     74
    .vgpr_spill_count: 0
    .wavefront_size: 32
    .workgroup_processor_mode: 1
  - .args:
      - .offset:         0
        .size:           112
        .value_kind:     by_value
    .group_segment_fixed_size: 0
    .kernarg_segment_align: 8
    .kernarg_segment_size: 112
    .language:       OpenCL C
    .language_version:
      - 2
      - 0
    .max_flat_workgroup_size: 512
    .name:           _ZN7rocprim17ROCPRIM_400000_NS6detail17trampoline_kernelINS0_14default_configENS1_25partition_config_selectorILNS1_17partition_subalgoE6EjNS0_10empty_typeEbEEZZNS1_14partition_implILS5_6ELb0ES3_mN6thrust23THRUST_200600_302600_NS6detail15normal_iteratorINSA_10device_ptrIjEEEEPS6_SG_NS0_5tupleIJSF_S6_EEENSH_IJSG_SG_EEES6_PlJ7is_evenIjEEEE10hipError_tPvRmT3_T4_T5_T6_T7_T9_mT8_P12ihipStream_tbDpT10_ENKUlT_T0_E_clISt17integral_constantIbLb0EES16_EEDaS11_S12_EUlS11_E_NS1_11comp_targetILNS1_3genE8ELNS1_11target_archE1030ELNS1_3gpuE2ELNS1_3repE0EEENS1_30default_config_static_selectorELNS0_4arch9wavefront6targetE0EEEvT1_
    .private_segment_fixed_size: 0
    .sgpr_count:     0
    .sgpr_spill_count: 0
    .symbol:         _ZN7rocprim17ROCPRIM_400000_NS6detail17trampoline_kernelINS0_14default_configENS1_25partition_config_selectorILNS1_17partition_subalgoE6EjNS0_10empty_typeEbEEZZNS1_14partition_implILS5_6ELb0ES3_mN6thrust23THRUST_200600_302600_NS6detail15normal_iteratorINSA_10device_ptrIjEEEEPS6_SG_NS0_5tupleIJSF_S6_EEENSH_IJSG_SG_EEES6_PlJ7is_evenIjEEEE10hipError_tPvRmT3_T4_T5_T6_T7_T9_mT8_P12ihipStream_tbDpT10_ENKUlT_T0_E_clISt17integral_constantIbLb0EES16_EEDaS11_S12_EUlS11_E_NS1_11comp_targetILNS1_3genE8ELNS1_11target_archE1030ELNS1_3gpuE2ELNS1_3repE0EEENS1_30default_config_static_selectorELNS0_4arch9wavefront6targetE0EEEvT1_.kd
    .uniform_work_group_size: 1
    .uses_dynamic_stack: false
    .vgpr_count:     0
    .vgpr_spill_count: 0
    .wavefront_size: 32
    .workgroup_processor_mode: 1
  - .args:
      - .offset:         0
        .size:           128
        .value_kind:     by_value
    .group_segment_fixed_size: 0
    .kernarg_segment_align: 8
    .kernarg_segment_size: 128
    .language:       OpenCL C
    .language_version:
      - 2
      - 0
    .max_flat_workgroup_size: 256
    .name:           _ZN7rocprim17ROCPRIM_400000_NS6detail17trampoline_kernelINS0_14default_configENS1_25partition_config_selectorILNS1_17partition_subalgoE6EjNS0_10empty_typeEbEEZZNS1_14partition_implILS5_6ELb0ES3_mN6thrust23THRUST_200600_302600_NS6detail15normal_iteratorINSA_10device_ptrIjEEEEPS6_SG_NS0_5tupleIJSF_S6_EEENSH_IJSG_SG_EEES6_PlJ7is_evenIjEEEE10hipError_tPvRmT3_T4_T5_T6_T7_T9_mT8_P12ihipStream_tbDpT10_ENKUlT_T0_E_clISt17integral_constantIbLb1EES16_EEDaS11_S12_EUlS11_E_NS1_11comp_targetILNS1_3genE0ELNS1_11target_archE4294967295ELNS1_3gpuE0ELNS1_3repE0EEENS1_30default_config_static_selectorELNS0_4arch9wavefront6targetE0EEEvT1_
    .private_segment_fixed_size: 0
    .sgpr_count:     0
    .sgpr_spill_count: 0
    .symbol:         _ZN7rocprim17ROCPRIM_400000_NS6detail17trampoline_kernelINS0_14default_configENS1_25partition_config_selectorILNS1_17partition_subalgoE6EjNS0_10empty_typeEbEEZZNS1_14partition_implILS5_6ELb0ES3_mN6thrust23THRUST_200600_302600_NS6detail15normal_iteratorINSA_10device_ptrIjEEEEPS6_SG_NS0_5tupleIJSF_S6_EEENSH_IJSG_SG_EEES6_PlJ7is_evenIjEEEE10hipError_tPvRmT3_T4_T5_T6_T7_T9_mT8_P12ihipStream_tbDpT10_ENKUlT_T0_E_clISt17integral_constantIbLb1EES16_EEDaS11_S12_EUlS11_E_NS1_11comp_targetILNS1_3genE0ELNS1_11target_archE4294967295ELNS1_3gpuE0ELNS1_3repE0EEENS1_30default_config_static_selectorELNS0_4arch9wavefront6targetE0EEEvT1_.kd
    .uniform_work_group_size: 1
    .uses_dynamic_stack: false
    .vgpr_count:     0
    .vgpr_spill_count: 0
    .wavefront_size: 32
    .workgroup_processor_mode: 1
  - .args:
      - .offset:         0
        .size:           128
        .value_kind:     by_value
    .group_segment_fixed_size: 0
    .kernarg_segment_align: 8
    .kernarg_segment_size: 128
    .language:       OpenCL C
    .language_version:
      - 2
      - 0
    .max_flat_workgroup_size: 512
    .name:           _ZN7rocprim17ROCPRIM_400000_NS6detail17trampoline_kernelINS0_14default_configENS1_25partition_config_selectorILNS1_17partition_subalgoE6EjNS0_10empty_typeEbEEZZNS1_14partition_implILS5_6ELb0ES3_mN6thrust23THRUST_200600_302600_NS6detail15normal_iteratorINSA_10device_ptrIjEEEEPS6_SG_NS0_5tupleIJSF_S6_EEENSH_IJSG_SG_EEES6_PlJ7is_evenIjEEEE10hipError_tPvRmT3_T4_T5_T6_T7_T9_mT8_P12ihipStream_tbDpT10_ENKUlT_T0_E_clISt17integral_constantIbLb1EES16_EEDaS11_S12_EUlS11_E_NS1_11comp_targetILNS1_3genE5ELNS1_11target_archE942ELNS1_3gpuE9ELNS1_3repE0EEENS1_30default_config_static_selectorELNS0_4arch9wavefront6targetE0EEEvT1_
    .private_segment_fixed_size: 0
    .sgpr_count:     0
    .sgpr_spill_count: 0
    .symbol:         _ZN7rocprim17ROCPRIM_400000_NS6detail17trampoline_kernelINS0_14default_configENS1_25partition_config_selectorILNS1_17partition_subalgoE6EjNS0_10empty_typeEbEEZZNS1_14partition_implILS5_6ELb0ES3_mN6thrust23THRUST_200600_302600_NS6detail15normal_iteratorINSA_10device_ptrIjEEEEPS6_SG_NS0_5tupleIJSF_S6_EEENSH_IJSG_SG_EEES6_PlJ7is_evenIjEEEE10hipError_tPvRmT3_T4_T5_T6_T7_T9_mT8_P12ihipStream_tbDpT10_ENKUlT_T0_E_clISt17integral_constantIbLb1EES16_EEDaS11_S12_EUlS11_E_NS1_11comp_targetILNS1_3genE5ELNS1_11target_archE942ELNS1_3gpuE9ELNS1_3repE0EEENS1_30default_config_static_selectorELNS0_4arch9wavefront6targetE0EEEvT1_.kd
    .uniform_work_group_size: 1
    .uses_dynamic_stack: false
    .vgpr_count:     0
    .vgpr_spill_count: 0
    .wavefront_size: 32
    .workgroup_processor_mode: 1
  - .args:
      - .offset:         0
        .size:           128
        .value_kind:     by_value
    .group_segment_fixed_size: 0
    .kernarg_segment_align: 8
    .kernarg_segment_size: 128
    .language:       OpenCL C
    .language_version:
      - 2
      - 0
    .max_flat_workgroup_size: 512
    .name:           _ZN7rocprim17ROCPRIM_400000_NS6detail17trampoline_kernelINS0_14default_configENS1_25partition_config_selectorILNS1_17partition_subalgoE6EjNS0_10empty_typeEbEEZZNS1_14partition_implILS5_6ELb0ES3_mN6thrust23THRUST_200600_302600_NS6detail15normal_iteratorINSA_10device_ptrIjEEEEPS6_SG_NS0_5tupleIJSF_S6_EEENSH_IJSG_SG_EEES6_PlJ7is_evenIjEEEE10hipError_tPvRmT3_T4_T5_T6_T7_T9_mT8_P12ihipStream_tbDpT10_ENKUlT_T0_E_clISt17integral_constantIbLb1EES16_EEDaS11_S12_EUlS11_E_NS1_11comp_targetILNS1_3genE4ELNS1_11target_archE910ELNS1_3gpuE8ELNS1_3repE0EEENS1_30default_config_static_selectorELNS0_4arch9wavefront6targetE0EEEvT1_
    .private_segment_fixed_size: 0
    .sgpr_count:     0
    .sgpr_spill_count: 0
    .symbol:         _ZN7rocprim17ROCPRIM_400000_NS6detail17trampoline_kernelINS0_14default_configENS1_25partition_config_selectorILNS1_17partition_subalgoE6EjNS0_10empty_typeEbEEZZNS1_14partition_implILS5_6ELb0ES3_mN6thrust23THRUST_200600_302600_NS6detail15normal_iteratorINSA_10device_ptrIjEEEEPS6_SG_NS0_5tupleIJSF_S6_EEENSH_IJSG_SG_EEES6_PlJ7is_evenIjEEEE10hipError_tPvRmT3_T4_T5_T6_T7_T9_mT8_P12ihipStream_tbDpT10_ENKUlT_T0_E_clISt17integral_constantIbLb1EES16_EEDaS11_S12_EUlS11_E_NS1_11comp_targetILNS1_3genE4ELNS1_11target_archE910ELNS1_3gpuE8ELNS1_3repE0EEENS1_30default_config_static_selectorELNS0_4arch9wavefront6targetE0EEEvT1_.kd
    .uniform_work_group_size: 1
    .uses_dynamic_stack: false
    .vgpr_count:     0
    .vgpr_spill_count: 0
    .wavefront_size: 32
    .workgroup_processor_mode: 1
  - .args:
      - .offset:         0
        .size:           128
        .value_kind:     by_value
    .group_segment_fixed_size: 0
    .kernarg_segment_align: 8
    .kernarg_segment_size: 128
    .language:       OpenCL C
    .language_version:
      - 2
      - 0
    .max_flat_workgroup_size: 256
    .name:           _ZN7rocprim17ROCPRIM_400000_NS6detail17trampoline_kernelINS0_14default_configENS1_25partition_config_selectorILNS1_17partition_subalgoE6EjNS0_10empty_typeEbEEZZNS1_14partition_implILS5_6ELb0ES3_mN6thrust23THRUST_200600_302600_NS6detail15normal_iteratorINSA_10device_ptrIjEEEEPS6_SG_NS0_5tupleIJSF_S6_EEENSH_IJSG_SG_EEES6_PlJ7is_evenIjEEEE10hipError_tPvRmT3_T4_T5_T6_T7_T9_mT8_P12ihipStream_tbDpT10_ENKUlT_T0_E_clISt17integral_constantIbLb1EES16_EEDaS11_S12_EUlS11_E_NS1_11comp_targetILNS1_3genE3ELNS1_11target_archE908ELNS1_3gpuE7ELNS1_3repE0EEENS1_30default_config_static_selectorELNS0_4arch9wavefront6targetE0EEEvT1_
    .private_segment_fixed_size: 0
    .sgpr_count:     0
    .sgpr_spill_count: 0
    .symbol:         _ZN7rocprim17ROCPRIM_400000_NS6detail17trampoline_kernelINS0_14default_configENS1_25partition_config_selectorILNS1_17partition_subalgoE6EjNS0_10empty_typeEbEEZZNS1_14partition_implILS5_6ELb0ES3_mN6thrust23THRUST_200600_302600_NS6detail15normal_iteratorINSA_10device_ptrIjEEEEPS6_SG_NS0_5tupleIJSF_S6_EEENSH_IJSG_SG_EEES6_PlJ7is_evenIjEEEE10hipError_tPvRmT3_T4_T5_T6_T7_T9_mT8_P12ihipStream_tbDpT10_ENKUlT_T0_E_clISt17integral_constantIbLb1EES16_EEDaS11_S12_EUlS11_E_NS1_11comp_targetILNS1_3genE3ELNS1_11target_archE908ELNS1_3gpuE7ELNS1_3repE0EEENS1_30default_config_static_selectorELNS0_4arch9wavefront6targetE0EEEvT1_.kd
    .uniform_work_group_size: 1
    .uses_dynamic_stack: false
    .vgpr_count:     0
    .vgpr_spill_count: 0
    .wavefront_size: 32
    .workgroup_processor_mode: 1
  - .args:
      - .offset:         0
        .size:           128
        .value_kind:     by_value
    .group_segment_fixed_size: 0
    .kernarg_segment_align: 8
    .kernarg_segment_size: 128
    .language:       OpenCL C
    .language_version:
      - 2
      - 0
    .max_flat_workgroup_size: 192
    .name:           _ZN7rocprim17ROCPRIM_400000_NS6detail17trampoline_kernelINS0_14default_configENS1_25partition_config_selectorILNS1_17partition_subalgoE6EjNS0_10empty_typeEbEEZZNS1_14partition_implILS5_6ELb0ES3_mN6thrust23THRUST_200600_302600_NS6detail15normal_iteratorINSA_10device_ptrIjEEEEPS6_SG_NS0_5tupleIJSF_S6_EEENSH_IJSG_SG_EEES6_PlJ7is_evenIjEEEE10hipError_tPvRmT3_T4_T5_T6_T7_T9_mT8_P12ihipStream_tbDpT10_ENKUlT_T0_E_clISt17integral_constantIbLb1EES16_EEDaS11_S12_EUlS11_E_NS1_11comp_targetILNS1_3genE2ELNS1_11target_archE906ELNS1_3gpuE6ELNS1_3repE0EEENS1_30default_config_static_selectorELNS0_4arch9wavefront6targetE0EEEvT1_
    .private_segment_fixed_size: 0
    .sgpr_count:     0
    .sgpr_spill_count: 0
    .symbol:         _ZN7rocprim17ROCPRIM_400000_NS6detail17trampoline_kernelINS0_14default_configENS1_25partition_config_selectorILNS1_17partition_subalgoE6EjNS0_10empty_typeEbEEZZNS1_14partition_implILS5_6ELb0ES3_mN6thrust23THRUST_200600_302600_NS6detail15normal_iteratorINSA_10device_ptrIjEEEEPS6_SG_NS0_5tupleIJSF_S6_EEENSH_IJSG_SG_EEES6_PlJ7is_evenIjEEEE10hipError_tPvRmT3_T4_T5_T6_T7_T9_mT8_P12ihipStream_tbDpT10_ENKUlT_T0_E_clISt17integral_constantIbLb1EES16_EEDaS11_S12_EUlS11_E_NS1_11comp_targetILNS1_3genE2ELNS1_11target_archE906ELNS1_3gpuE6ELNS1_3repE0EEENS1_30default_config_static_selectorELNS0_4arch9wavefront6targetE0EEEvT1_.kd
    .uniform_work_group_size: 1
    .uses_dynamic_stack: false
    .vgpr_count:     0
    .vgpr_spill_count: 0
    .wavefront_size: 32
    .workgroup_processor_mode: 1
  - .args:
      - .offset:         0
        .size:           128
        .value_kind:     by_value
    .group_segment_fixed_size: 0
    .kernarg_segment_align: 8
    .kernarg_segment_size: 128
    .language:       OpenCL C
    .language_version:
      - 2
      - 0
    .max_flat_workgroup_size: 384
    .name:           _ZN7rocprim17ROCPRIM_400000_NS6detail17trampoline_kernelINS0_14default_configENS1_25partition_config_selectorILNS1_17partition_subalgoE6EjNS0_10empty_typeEbEEZZNS1_14partition_implILS5_6ELb0ES3_mN6thrust23THRUST_200600_302600_NS6detail15normal_iteratorINSA_10device_ptrIjEEEEPS6_SG_NS0_5tupleIJSF_S6_EEENSH_IJSG_SG_EEES6_PlJ7is_evenIjEEEE10hipError_tPvRmT3_T4_T5_T6_T7_T9_mT8_P12ihipStream_tbDpT10_ENKUlT_T0_E_clISt17integral_constantIbLb1EES16_EEDaS11_S12_EUlS11_E_NS1_11comp_targetILNS1_3genE10ELNS1_11target_archE1200ELNS1_3gpuE4ELNS1_3repE0EEENS1_30default_config_static_selectorELNS0_4arch9wavefront6targetE0EEEvT1_
    .private_segment_fixed_size: 0
    .sgpr_count:     0
    .sgpr_spill_count: 0
    .symbol:         _ZN7rocprim17ROCPRIM_400000_NS6detail17trampoline_kernelINS0_14default_configENS1_25partition_config_selectorILNS1_17partition_subalgoE6EjNS0_10empty_typeEbEEZZNS1_14partition_implILS5_6ELb0ES3_mN6thrust23THRUST_200600_302600_NS6detail15normal_iteratorINSA_10device_ptrIjEEEEPS6_SG_NS0_5tupleIJSF_S6_EEENSH_IJSG_SG_EEES6_PlJ7is_evenIjEEEE10hipError_tPvRmT3_T4_T5_T6_T7_T9_mT8_P12ihipStream_tbDpT10_ENKUlT_T0_E_clISt17integral_constantIbLb1EES16_EEDaS11_S12_EUlS11_E_NS1_11comp_targetILNS1_3genE10ELNS1_11target_archE1200ELNS1_3gpuE4ELNS1_3repE0EEENS1_30default_config_static_selectorELNS0_4arch9wavefront6targetE0EEEvT1_.kd
    .uniform_work_group_size: 1
    .uses_dynamic_stack: false
    .vgpr_count:     0
    .vgpr_spill_count: 0
    .wavefront_size: 32
    .workgroup_processor_mode: 1
  - .args:
      - .offset:         0
        .size:           128
        .value_kind:     by_value
    .group_segment_fixed_size: 7184
    .kernarg_segment_align: 8
    .kernarg_segment_size: 128
    .language:       OpenCL C
    .language_version:
      - 2
      - 0
    .max_flat_workgroup_size: 128
    .name:           _ZN7rocprim17ROCPRIM_400000_NS6detail17trampoline_kernelINS0_14default_configENS1_25partition_config_selectorILNS1_17partition_subalgoE6EjNS0_10empty_typeEbEEZZNS1_14partition_implILS5_6ELb0ES3_mN6thrust23THRUST_200600_302600_NS6detail15normal_iteratorINSA_10device_ptrIjEEEEPS6_SG_NS0_5tupleIJSF_S6_EEENSH_IJSG_SG_EEES6_PlJ7is_evenIjEEEE10hipError_tPvRmT3_T4_T5_T6_T7_T9_mT8_P12ihipStream_tbDpT10_ENKUlT_T0_E_clISt17integral_constantIbLb1EES16_EEDaS11_S12_EUlS11_E_NS1_11comp_targetILNS1_3genE9ELNS1_11target_archE1100ELNS1_3gpuE3ELNS1_3repE0EEENS1_30default_config_static_selectorELNS0_4arch9wavefront6targetE0EEEvT1_
    .private_segment_fixed_size: 0
    .sgpr_count:     22
    .sgpr_spill_count: 0
    .symbol:         _ZN7rocprim17ROCPRIM_400000_NS6detail17trampoline_kernelINS0_14default_configENS1_25partition_config_selectorILNS1_17partition_subalgoE6EjNS0_10empty_typeEbEEZZNS1_14partition_implILS5_6ELb0ES3_mN6thrust23THRUST_200600_302600_NS6detail15normal_iteratorINSA_10device_ptrIjEEEEPS6_SG_NS0_5tupleIJSF_S6_EEENSH_IJSG_SG_EEES6_PlJ7is_evenIjEEEE10hipError_tPvRmT3_T4_T5_T6_T7_T9_mT8_P12ihipStream_tbDpT10_ENKUlT_T0_E_clISt17integral_constantIbLb1EES16_EEDaS11_S12_EUlS11_E_NS1_11comp_targetILNS1_3genE9ELNS1_11target_archE1100ELNS1_3gpuE3ELNS1_3repE0EEENS1_30default_config_static_selectorELNS0_4arch9wavefront6targetE0EEEvT1_.kd
    .uniform_work_group_size: 1
    .uses_dynamic_stack: false
    .vgpr_count:     76
    .vgpr_spill_count: 0
    .wavefront_size: 32
    .workgroup_processor_mode: 1
  - .args:
      - .offset:         0
        .size:           128
        .value_kind:     by_value
    .group_segment_fixed_size: 0
    .kernarg_segment_align: 8
    .kernarg_segment_size: 128
    .language:       OpenCL C
    .language_version:
      - 2
      - 0
    .max_flat_workgroup_size: 512
    .name:           _ZN7rocprim17ROCPRIM_400000_NS6detail17trampoline_kernelINS0_14default_configENS1_25partition_config_selectorILNS1_17partition_subalgoE6EjNS0_10empty_typeEbEEZZNS1_14partition_implILS5_6ELb0ES3_mN6thrust23THRUST_200600_302600_NS6detail15normal_iteratorINSA_10device_ptrIjEEEEPS6_SG_NS0_5tupleIJSF_S6_EEENSH_IJSG_SG_EEES6_PlJ7is_evenIjEEEE10hipError_tPvRmT3_T4_T5_T6_T7_T9_mT8_P12ihipStream_tbDpT10_ENKUlT_T0_E_clISt17integral_constantIbLb1EES16_EEDaS11_S12_EUlS11_E_NS1_11comp_targetILNS1_3genE8ELNS1_11target_archE1030ELNS1_3gpuE2ELNS1_3repE0EEENS1_30default_config_static_selectorELNS0_4arch9wavefront6targetE0EEEvT1_
    .private_segment_fixed_size: 0
    .sgpr_count:     0
    .sgpr_spill_count: 0
    .symbol:         _ZN7rocprim17ROCPRIM_400000_NS6detail17trampoline_kernelINS0_14default_configENS1_25partition_config_selectorILNS1_17partition_subalgoE6EjNS0_10empty_typeEbEEZZNS1_14partition_implILS5_6ELb0ES3_mN6thrust23THRUST_200600_302600_NS6detail15normal_iteratorINSA_10device_ptrIjEEEEPS6_SG_NS0_5tupleIJSF_S6_EEENSH_IJSG_SG_EEES6_PlJ7is_evenIjEEEE10hipError_tPvRmT3_T4_T5_T6_T7_T9_mT8_P12ihipStream_tbDpT10_ENKUlT_T0_E_clISt17integral_constantIbLb1EES16_EEDaS11_S12_EUlS11_E_NS1_11comp_targetILNS1_3genE8ELNS1_11target_archE1030ELNS1_3gpuE2ELNS1_3repE0EEENS1_30default_config_static_selectorELNS0_4arch9wavefront6targetE0EEEvT1_.kd
    .uniform_work_group_size: 1
    .uses_dynamic_stack: false
    .vgpr_count:     0
    .vgpr_spill_count: 0
    .wavefront_size: 32
    .workgroup_processor_mode: 1
  - .args:
      - .offset:         0
        .size:           112
        .value_kind:     by_value
    .group_segment_fixed_size: 0
    .kernarg_segment_align: 8
    .kernarg_segment_size: 112
    .language:       OpenCL C
    .language_version:
      - 2
      - 0
    .max_flat_workgroup_size: 256
    .name:           _ZN7rocprim17ROCPRIM_400000_NS6detail17trampoline_kernelINS0_14default_configENS1_25partition_config_selectorILNS1_17partition_subalgoE6EjNS0_10empty_typeEbEEZZNS1_14partition_implILS5_6ELb0ES3_mN6thrust23THRUST_200600_302600_NS6detail15normal_iteratorINSA_10device_ptrIjEEEEPS6_SG_NS0_5tupleIJSF_S6_EEENSH_IJSG_SG_EEES6_PlJ7is_evenIjEEEE10hipError_tPvRmT3_T4_T5_T6_T7_T9_mT8_P12ihipStream_tbDpT10_ENKUlT_T0_E_clISt17integral_constantIbLb1EES15_IbLb0EEEEDaS11_S12_EUlS11_E_NS1_11comp_targetILNS1_3genE0ELNS1_11target_archE4294967295ELNS1_3gpuE0ELNS1_3repE0EEENS1_30default_config_static_selectorELNS0_4arch9wavefront6targetE0EEEvT1_
    .private_segment_fixed_size: 0
    .sgpr_count:     0
    .sgpr_spill_count: 0
    .symbol:         _ZN7rocprim17ROCPRIM_400000_NS6detail17trampoline_kernelINS0_14default_configENS1_25partition_config_selectorILNS1_17partition_subalgoE6EjNS0_10empty_typeEbEEZZNS1_14partition_implILS5_6ELb0ES3_mN6thrust23THRUST_200600_302600_NS6detail15normal_iteratorINSA_10device_ptrIjEEEEPS6_SG_NS0_5tupleIJSF_S6_EEENSH_IJSG_SG_EEES6_PlJ7is_evenIjEEEE10hipError_tPvRmT3_T4_T5_T6_T7_T9_mT8_P12ihipStream_tbDpT10_ENKUlT_T0_E_clISt17integral_constantIbLb1EES15_IbLb0EEEEDaS11_S12_EUlS11_E_NS1_11comp_targetILNS1_3genE0ELNS1_11target_archE4294967295ELNS1_3gpuE0ELNS1_3repE0EEENS1_30default_config_static_selectorELNS0_4arch9wavefront6targetE0EEEvT1_.kd
    .uniform_work_group_size: 1
    .uses_dynamic_stack: false
    .vgpr_count:     0
    .vgpr_spill_count: 0
    .wavefront_size: 32
    .workgroup_processor_mode: 1
  - .args:
      - .offset:         0
        .size:           112
        .value_kind:     by_value
    .group_segment_fixed_size: 0
    .kernarg_segment_align: 8
    .kernarg_segment_size: 112
    .language:       OpenCL C
    .language_version:
      - 2
      - 0
    .max_flat_workgroup_size: 512
    .name:           _ZN7rocprim17ROCPRIM_400000_NS6detail17trampoline_kernelINS0_14default_configENS1_25partition_config_selectorILNS1_17partition_subalgoE6EjNS0_10empty_typeEbEEZZNS1_14partition_implILS5_6ELb0ES3_mN6thrust23THRUST_200600_302600_NS6detail15normal_iteratorINSA_10device_ptrIjEEEEPS6_SG_NS0_5tupleIJSF_S6_EEENSH_IJSG_SG_EEES6_PlJ7is_evenIjEEEE10hipError_tPvRmT3_T4_T5_T6_T7_T9_mT8_P12ihipStream_tbDpT10_ENKUlT_T0_E_clISt17integral_constantIbLb1EES15_IbLb0EEEEDaS11_S12_EUlS11_E_NS1_11comp_targetILNS1_3genE5ELNS1_11target_archE942ELNS1_3gpuE9ELNS1_3repE0EEENS1_30default_config_static_selectorELNS0_4arch9wavefront6targetE0EEEvT1_
    .private_segment_fixed_size: 0
    .sgpr_count:     0
    .sgpr_spill_count: 0
    .symbol:         _ZN7rocprim17ROCPRIM_400000_NS6detail17trampoline_kernelINS0_14default_configENS1_25partition_config_selectorILNS1_17partition_subalgoE6EjNS0_10empty_typeEbEEZZNS1_14partition_implILS5_6ELb0ES3_mN6thrust23THRUST_200600_302600_NS6detail15normal_iteratorINSA_10device_ptrIjEEEEPS6_SG_NS0_5tupleIJSF_S6_EEENSH_IJSG_SG_EEES6_PlJ7is_evenIjEEEE10hipError_tPvRmT3_T4_T5_T6_T7_T9_mT8_P12ihipStream_tbDpT10_ENKUlT_T0_E_clISt17integral_constantIbLb1EES15_IbLb0EEEEDaS11_S12_EUlS11_E_NS1_11comp_targetILNS1_3genE5ELNS1_11target_archE942ELNS1_3gpuE9ELNS1_3repE0EEENS1_30default_config_static_selectorELNS0_4arch9wavefront6targetE0EEEvT1_.kd
    .uniform_work_group_size: 1
    .uses_dynamic_stack: false
    .vgpr_count:     0
    .vgpr_spill_count: 0
    .wavefront_size: 32
    .workgroup_processor_mode: 1
  - .args:
      - .offset:         0
        .size:           112
        .value_kind:     by_value
    .group_segment_fixed_size: 0
    .kernarg_segment_align: 8
    .kernarg_segment_size: 112
    .language:       OpenCL C
    .language_version:
      - 2
      - 0
    .max_flat_workgroup_size: 512
    .name:           _ZN7rocprim17ROCPRIM_400000_NS6detail17trampoline_kernelINS0_14default_configENS1_25partition_config_selectorILNS1_17partition_subalgoE6EjNS0_10empty_typeEbEEZZNS1_14partition_implILS5_6ELb0ES3_mN6thrust23THRUST_200600_302600_NS6detail15normal_iteratorINSA_10device_ptrIjEEEEPS6_SG_NS0_5tupleIJSF_S6_EEENSH_IJSG_SG_EEES6_PlJ7is_evenIjEEEE10hipError_tPvRmT3_T4_T5_T6_T7_T9_mT8_P12ihipStream_tbDpT10_ENKUlT_T0_E_clISt17integral_constantIbLb1EES15_IbLb0EEEEDaS11_S12_EUlS11_E_NS1_11comp_targetILNS1_3genE4ELNS1_11target_archE910ELNS1_3gpuE8ELNS1_3repE0EEENS1_30default_config_static_selectorELNS0_4arch9wavefront6targetE0EEEvT1_
    .private_segment_fixed_size: 0
    .sgpr_count:     0
    .sgpr_spill_count: 0
    .symbol:         _ZN7rocprim17ROCPRIM_400000_NS6detail17trampoline_kernelINS0_14default_configENS1_25partition_config_selectorILNS1_17partition_subalgoE6EjNS0_10empty_typeEbEEZZNS1_14partition_implILS5_6ELb0ES3_mN6thrust23THRUST_200600_302600_NS6detail15normal_iteratorINSA_10device_ptrIjEEEEPS6_SG_NS0_5tupleIJSF_S6_EEENSH_IJSG_SG_EEES6_PlJ7is_evenIjEEEE10hipError_tPvRmT3_T4_T5_T6_T7_T9_mT8_P12ihipStream_tbDpT10_ENKUlT_T0_E_clISt17integral_constantIbLb1EES15_IbLb0EEEEDaS11_S12_EUlS11_E_NS1_11comp_targetILNS1_3genE4ELNS1_11target_archE910ELNS1_3gpuE8ELNS1_3repE0EEENS1_30default_config_static_selectorELNS0_4arch9wavefront6targetE0EEEvT1_.kd
    .uniform_work_group_size: 1
    .uses_dynamic_stack: false
    .vgpr_count:     0
    .vgpr_spill_count: 0
    .wavefront_size: 32
    .workgroup_processor_mode: 1
  - .args:
      - .offset:         0
        .size:           112
        .value_kind:     by_value
    .group_segment_fixed_size: 0
    .kernarg_segment_align: 8
    .kernarg_segment_size: 112
    .language:       OpenCL C
    .language_version:
      - 2
      - 0
    .max_flat_workgroup_size: 256
    .name:           _ZN7rocprim17ROCPRIM_400000_NS6detail17trampoline_kernelINS0_14default_configENS1_25partition_config_selectorILNS1_17partition_subalgoE6EjNS0_10empty_typeEbEEZZNS1_14partition_implILS5_6ELb0ES3_mN6thrust23THRUST_200600_302600_NS6detail15normal_iteratorINSA_10device_ptrIjEEEEPS6_SG_NS0_5tupleIJSF_S6_EEENSH_IJSG_SG_EEES6_PlJ7is_evenIjEEEE10hipError_tPvRmT3_T4_T5_T6_T7_T9_mT8_P12ihipStream_tbDpT10_ENKUlT_T0_E_clISt17integral_constantIbLb1EES15_IbLb0EEEEDaS11_S12_EUlS11_E_NS1_11comp_targetILNS1_3genE3ELNS1_11target_archE908ELNS1_3gpuE7ELNS1_3repE0EEENS1_30default_config_static_selectorELNS0_4arch9wavefront6targetE0EEEvT1_
    .private_segment_fixed_size: 0
    .sgpr_count:     0
    .sgpr_spill_count: 0
    .symbol:         _ZN7rocprim17ROCPRIM_400000_NS6detail17trampoline_kernelINS0_14default_configENS1_25partition_config_selectorILNS1_17partition_subalgoE6EjNS0_10empty_typeEbEEZZNS1_14partition_implILS5_6ELb0ES3_mN6thrust23THRUST_200600_302600_NS6detail15normal_iteratorINSA_10device_ptrIjEEEEPS6_SG_NS0_5tupleIJSF_S6_EEENSH_IJSG_SG_EEES6_PlJ7is_evenIjEEEE10hipError_tPvRmT3_T4_T5_T6_T7_T9_mT8_P12ihipStream_tbDpT10_ENKUlT_T0_E_clISt17integral_constantIbLb1EES15_IbLb0EEEEDaS11_S12_EUlS11_E_NS1_11comp_targetILNS1_3genE3ELNS1_11target_archE908ELNS1_3gpuE7ELNS1_3repE0EEENS1_30default_config_static_selectorELNS0_4arch9wavefront6targetE0EEEvT1_.kd
    .uniform_work_group_size: 1
    .uses_dynamic_stack: false
    .vgpr_count:     0
    .vgpr_spill_count: 0
    .wavefront_size: 32
    .workgroup_processor_mode: 1
  - .args:
      - .offset:         0
        .size:           112
        .value_kind:     by_value
    .group_segment_fixed_size: 0
    .kernarg_segment_align: 8
    .kernarg_segment_size: 112
    .language:       OpenCL C
    .language_version:
      - 2
      - 0
    .max_flat_workgroup_size: 192
    .name:           _ZN7rocprim17ROCPRIM_400000_NS6detail17trampoline_kernelINS0_14default_configENS1_25partition_config_selectorILNS1_17partition_subalgoE6EjNS0_10empty_typeEbEEZZNS1_14partition_implILS5_6ELb0ES3_mN6thrust23THRUST_200600_302600_NS6detail15normal_iteratorINSA_10device_ptrIjEEEEPS6_SG_NS0_5tupleIJSF_S6_EEENSH_IJSG_SG_EEES6_PlJ7is_evenIjEEEE10hipError_tPvRmT3_T4_T5_T6_T7_T9_mT8_P12ihipStream_tbDpT10_ENKUlT_T0_E_clISt17integral_constantIbLb1EES15_IbLb0EEEEDaS11_S12_EUlS11_E_NS1_11comp_targetILNS1_3genE2ELNS1_11target_archE906ELNS1_3gpuE6ELNS1_3repE0EEENS1_30default_config_static_selectorELNS0_4arch9wavefront6targetE0EEEvT1_
    .private_segment_fixed_size: 0
    .sgpr_count:     0
    .sgpr_spill_count: 0
    .symbol:         _ZN7rocprim17ROCPRIM_400000_NS6detail17trampoline_kernelINS0_14default_configENS1_25partition_config_selectorILNS1_17partition_subalgoE6EjNS0_10empty_typeEbEEZZNS1_14partition_implILS5_6ELb0ES3_mN6thrust23THRUST_200600_302600_NS6detail15normal_iteratorINSA_10device_ptrIjEEEEPS6_SG_NS0_5tupleIJSF_S6_EEENSH_IJSG_SG_EEES6_PlJ7is_evenIjEEEE10hipError_tPvRmT3_T4_T5_T6_T7_T9_mT8_P12ihipStream_tbDpT10_ENKUlT_T0_E_clISt17integral_constantIbLb1EES15_IbLb0EEEEDaS11_S12_EUlS11_E_NS1_11comp_targetILNS1_3genE2ELNS1_11target_archE906ELNS1_3gpuE6ELNS1_3repE0EEENS1_30default_config_static_selectorELNS0_4arch9wavefront6targetE0EEEvT1_.kd
    .uniform_work_group_size: 1
    .uses_dynamic_stack: false
    .vgpr_count:     0
    .vgpr_spill_count: 0
    .wavefront_size: 32
    .workgroup_processor_mode: 1
  - .args:
      - .offset:         0
        .size:           112
        .value_kind:     by_value
    .group_segment_fixed_size: 0
    .kernarg_segment_align: 8
    .kernarg_segment_size: 112
    .language:       OpenCL C
    .language_version:
      - 2
      - 0
    .max_flat_workgroup_size: 384
    .name:           _ZN7rocprim17ROCPRIM_400000_NS6detail17trampoline_kernelINS0_14default_configENS1_25partition_config_selectorILNS1_17partition_subalgoE6EjNS0_10empty_typeEbEEZZNS1_14partition_implILS5_6ELb0ES3_mN6thrust23THRUST_200600_302600_NS6detail15normal_iteratorINSA_10device_ptrIjEEEEPS6_SG_NS0_5tupleIJSF_S6_EEENSH_IJSG_SG_EEES6_PlJ7is_evenIjEEEE10hipError_tPvRmT3_T4_T5_T6_T7_T9_mT8_P12ihipStream_tbDpT10_ENKUlT_T0_E_clISt17integral_constantIbLb1EES15_IbLb0EEEEDaS11_S12_EUlS11_E_NS1_11comp_targetILNS1_3genE10ELNS1_11target_archE1200ELNS1_3gpuE4ELNS1_3repE0EEENS1_30default_config_static_selectorELNS0_4arch9wavefront6targetE0EEEvT1_
    .private_segment_fixed_size: 0
    .sgpr_count:     0
    .sgpr_spill_count: 0
    .symbol:         _ZN7rocprim17ROCPRIM_400000_NS6detail17trampoline_kernelINS0_14default_configENS1_25partition_config_selectorILNS1_17partition_subalgoE6EjNS0_10empty_typeEbEEZZNS1_14partition_implILS5_6ELb0ES3_mN6thrust23THRUST_200600_302600_NS6detail15normal_iteratorINSA_10device_ptrIjEEEEPS6_SG_NS0_5tupleIJSF_S6_EEENSH_IJSG_SG_EEES6_PlJ7is_evenIjEEEE10hipError_tPvRmT3_T4_T5_T6_T7_T9_mT8_P12ihipStream_tbDpT10_ENKUlT_T0_E_clISt17integral_constantIbLb1EES15_IbLb0EEEEDaS11_S12_EUlS11_E_NS1_11comp_targetILNS1_3genE10ELNS1_11target_archE1200ELNS1_3gpuE4ELNS1_3repE0EEENS1_30default_config_static_selectorELNS0_4arch9wavefront6targetE0EEEvT1_.kd
    .uniform_work_group_size: 1
    .uses_dynamic_stack: false
    .vgpr_count:     0
    .vgpr_spill_count: 0
    .wavefront_size: 32
    .workgroup_processor_mode: 1
  - .args:
      - .offset:         0
        .size:           112
        .value_kind:     by_value
    .group_segment_fixed_size: 7184
    .kernarg_segment_align: 8
    .kernarg_segment_size: 112
    .language:       OpenCL C
    .language_version:
      - 2
      - 0
    .max_flat_workgroup_size: 128
    .name:           _ZN7rocprim17ROCPRIM_400000_NS6detail17trampoline_kernelINS0_14default_configENS1_25partition_config_selectorILNS1_17partition_subalgoE6EjNS0_10empty_typeEbEEZZNS1_14partition_implILS5_6ELb0ES3_mN6thrust23THRUST_200600_302600_NS6detail15normal_iteratorINSA_10device_ptrIjEEEEPS6_SG_NS0_5tupleIJSF_S6_EEENSH_IJSG_SG_EEES6_PlJ7is_evenIjEEEE10hipError_tPvRmT3_T4_T5_T6_T7_T9_mT8_P12ihipStream_tbDpT10_ENKUlT_T0_E_clISt17integral_constantIbLb1EES15_IbLb0EEEEDaS11_S12_EUlS11_E_NS1_11comp_targetILNS1_3genE9ELNS1_11target_archE1100ELNS1_3gpuE3ELNS1_3repE0EEENS1_30default_config_static_selectorELNS0_4arch9wavefront6targetE0EEEvT1_
    .private_segment_fixed_size: 0
    .sgpr_count:     20
    .sgpr_spill_count: 0
    .symbol:         _ZN7rocprim17ROCPRIM_400000_NS6detail17trampoline_kernelINS0_14default_configENS1_25partition_config_selectorILNS1_17partition_subalgoE6EjNS0_10empty_typeEbEEZZNS1_14partition_implILS5_6ELb0ES3_mN6thrust23THRUST_200600_302600_NS6detail15normal_iteratorINSA_10device_ptrIjEEEEPS6_SG_NS0_5tupleIJSF_S6_EEENSH_IJSG_SG_EEES6_PlJ7is_evenIjEEEE10hipError_tPvRmT3_T4_T5_T6_T7_T9_mT8_P12ihipStream_tbDpT10_ENKUlT_T0_E_clISt17integral_constantIbLb1EES15_IbLb0EEEEDaS11_S12_EUlS11_E_NS1_11comp_targetILNS1_3genE9ELNS1_11target_archE1100ELNS1_3gpuE3ELNS1_3repE0EEENS1_30default_config_static_selectorELNS0_4arch9wavefront6targetE0EEEvT1_.kd
    .uniform_work_group_size: 1
    .uses_dynamic_stack: false
    .vgpr_count:     74
    .vgpr_spill_count: 0
    .wavefront_size: 32
    .workgroup_processor_mode: 1
  - .args:
      - .offset:         0
        .size:           112
        .value_kind:     by_value
    .group_segment_fixed_size: 0
    .kernarg_segment_align: 8
    .kernarg_segment_size: 112
    .language:       OpenCL C
    .language_version:
      - 2
      - 0
    .max_flat_workgroup_size: 512
    .name:           _ZN7rocprim17ROCPRIM_400000_NS6detail17trampoline_kernelINS0_14default_configENS1_25partition_config_selectorILNS1_17partition_subalgoE6EjNS0_10empty_typeEbEEZZNS1_14partition_implILS5_6ELb0ES3_mN6thrust23THRUST_200600_302600_NS6detail15normal_iteratorINSA_10device_ptrIjEEEEPS6_SG_NS0_5tupleIJSF_S6_EEENSH_IJSG_SG_EEES6_PlJ7is_evenIjEEEE10hipError_tPvRmT3_T4_T5_T6_T7_T9_mT8_P12ihipStream_tbDpT10_ENKUlT_T0_E_clISt17integral_constantIbLb1EES15_IbLb0EEEEDaS11_S12_EUlS11_E_NS1_11comp_targetILNS1_3genE8ELNS1_11target_archE1030ELNS1_3gpuE2ELNS1_3repE0EEENS1_30default_config_static_selectorELNS0_4arch9wavefront6targetE0EEEvT1_
    .private_segment_fixed_size: 0
    .sgpr_count:     0
    .sgpr_spill_count: 0
    .symbol:         _ZN7rocprim17ROCPRIM_400000_NS6detail17trampoline_kernelINS0_14default_configENS1_25partition_config_selectorILNS1_17partition_subalgoE6EjNS0_10empty_typeEbEEZZNS1_14partition_implILS5_6ELb0ES3_mN6thrust23THRUST_200600_302600_NS6detail15normal_iteratorINSA_10device_ptrIjEEEEPS6_SG_NS0_5tupleIJSF_S6_EEENSH_IJSG_SG_EEES6_PlJ7is_evenIjEEEE10hipError_tPvRmT3_T4_T5_T6_T7_T9_mT8_P12ihipStream_tbDpT10_ENKUlT_T0_E_clISt17integral_constantIbLb1EES15_IbLb0EEEEDaS11_S12_EUlS11_E_NS1_11comp_targetILNS1_3genE8ELNS1_11target_archE1030ELNS1_3gpuE2ELNS1_3repE0EEENS1_30default_config_static_selectorELNS0_4arch9wavefront6targetE0EEEvT1_.kd
    .uniform_work_group_size: 1
    .uses_dynamic_stack: false
    .vgpr_count:     0
    .vgpr_spill_count: 0
    .wavefront_size: 32
    .workgroup_processor_mode: 1
  - .args:
      - .offset:         0
        .size:           128
        .value_kind:     by_value
    .group_segment_fixed_size: 0
    .kernarg_segment_align: 8
    .kernarg_segment_size: 128
    .language:       OpenCL C
    .language_version:
      - 2
      - 0
    .max_flat_workgroup_size: 256
    .name:           _ZN7rocprim17ROCPRIM_400000_NS6detail17trampoline_kernelINS0_14default_configENS1_25partition_config_selectorILNS1_17partition_subalgoE6EjNS0_10empty_typeEbEEZZNS1_14partition_implILS5_6ELb0ES3_mN6thrust23THRUST_200600_302600_NS6detail15normal_iteratorINSA_10device_ptrIjEEEEPS6_SG_NS0_5tupleIJSF_S6_EEENSH_IJSG_SG_EEES6_PlJ7is_evenIjEEEE10hipError_tPvRmT3_T4_T5_T6_T7_T9_mT8_P12ihipStream_tbDpT10_ENKUlT_T0_E_clISt17integral_constantIbLb0EES15_IbLb1EEEEDaS11_S12_EUlS11_E_NS1_11comp_targetILNS1_3genE0ELNS1_11target_archE4294967295ELNS1_3gpuE0ELNS1_3repE0EEENS1_30default_config_static_selectorELNS0_4arch9wavefront6targetE0EEEvT1_
    .private_segment_fixed_size: 0
    .sgpr_count:     0
    .sgpr_spill_count: 0
    .symbol:         _ZN7rocprim17ROCPRIM_400000_NS6detail17trampoline_kernelINS0_14default_configENS1_25partition_config_selectorILNS1_17partition_subalgoE6EjNS0_10empty_typeEbEEZZNS1_14partition_implILS5_6ELb0ES3_mN6thrust23THRUST_200600_302600_NS6detail15normal_iteratorINSA_10device_ptrIjEEEEPS6_SG_NS0_5tupleIJSF_S6_EEENSH_IJSG_SG_EEES6_PlJ7is_evenIjEEEE10hipError_tPvRmT3_T4_T5_T6_T7_T9_mT8_P12ihipStream_tbDpT10_ENKUlT_T0_E_clISt17integral_constantIbLb0EES15_IbLb1EEEEDaS11_S12_EUlS11_E_NS1_11comp_targetILNS1_3genE0ELNS1_11target_archE4294967295ELNS1_3gpuE0ELNS1_3repE0EEENS1_30default_config_static_selectorELNS0_4arch9wavefront6targetE0EEEvT1_.kd
    .uniform_work_group_size: 1
    .uses_dynamic_stack: false
    .vgpr_count:     0
    .vgpr_spill_count: 0
    .wavefront_size: 32
    .workgroup_processor_mode: 1
  - .args:
      - .offset:         0
        .size:           128
        .value_kind:     by_value
    .group_segment_fixed_size: 0
    .kernarg_segment_align: 8
    .kernarg_segment_size: 128
    .language:       OpenCL C
    .language_version:
      - 2
      - 0
    .max_flat_workgroup_size: 512
    .name:           _ZN7rocprim17ROCPRIM_400000_NS6detail17trampoline_kernelINS0_14default_configENS1_25partition_config_selectorILNS1_17partition_subalgoE6EjNS0_10empty_typeEbEEZZNS1_14partition_implILS5_6ELb0ES3_mN6thrust23THRUST_200600_302600_NS6detail15normal_iteratorINSA_10device_ptrIjEEEEPS6_SG_NS0_5tupleIJSF_S6_EEENSH_IJSG_SG_EEES6_PlJ7is_evenIjEEEE10hipError_tPvRmT3_T4_T5_T6_T7_T9_mT8_P12ihipStream_tbDpT10_ENKUlT_T0_E_clISt17integral_constantIbLb0EES15_IbLb1EEEEDaS11_S12_EUlS11_E_NS1_11comp_targetILNS1_3genE5ELNS1_11target_archE942ELNS1_3gpuE9ELNS1_3repE0EEENS1_30default_config_static_selectorELNS0_4arch9wavefront6targetE0EEEvT1_
    .private_segment_fixed_size: 0
    .sgpr_count:     0
    .sgpr_spill_count: 0
    .symbol:         _ZN7rocprim17ROCPRIM_400000_NS6detail17trampoline_kernelINS0_14default_configENS1_25partition_config_selectorILNS1_17partition_subalgoE6EjNS0_10empty_typeEbEEZZNS1_14partition_implILS5_6ELb0ES3_mN6thrust23THRUST_200600_302600_NS6detail15normal_iteratorINSA_10device_ptrIjEEEEPS6_SG_NS0_5tupleIJSF_S6_EEENSH_IJSG_SG_EEES6_PlJ7is_evenIjEEEE10hipError_tPvRmT3_T4_T5_T6_T7_T9_mT8_P12ihipStream_tbDpT10_ENKUlT_T0_E_clISt17integral_constantIbLb0EES15_IbLb1EEEEDaS11_S12_EUlS11_E_NS1_11comp_targetILNS1_3genE5ELNS1_11target_archE942ELNS1_3gpuE9ELNS1_3repE0EEENS1_30default_config_static_selectorELNS0_4arch9wavefront6targetE0EEEvT1_.kd
    .uniform_work_group_size: 1
    .uses_dynamic_stack: false
    .vgpr_count:     0
    .vgpr_spill_count: 0
    .wavefront_size: 32
    .workgroup_processor_mode: 1
  - .args:
      - .offset:         0
        .size:           128
        .value_kind:     by_value
    .group_segment_fixed_size: 0
    .kernarg_segment_align: 8
    .kernarg_segment_size: 128
    .language:       OpenCL C
    .language_version:
      - 2
      - 0
    .max_flat_workgroup_size: 512
    .name:           _ZN7rocprim17ROCPRIM_400000_NS6detail17trampoline_kernelINS0_14default_configENS1_25partition_config_selectorILNS1_17partition_subalgoE6EjNS0_10empty_typeEbEEZZNS1_14partition_implILS5_6ELb0ES3_mN6thrust23THRUST_200600_302600_NS6detail15normal_iteratorINSA_10device_ptrIjEEEEPS6_SG_NS0_5tupleIJSF_S6_EEENSH_IJSG_SG_EEES6_PlJ7is_evenIjEEEE10hipError_tPvRmT3_T4_T5_T6_T7_T9_mT8_P12ihipStream_tbDpT10_ENKUlT_T0_E_clISt17integral_constantIbLb0EES15_IbLb1EEEEDaS11_S12_EUlS11_E_NS1_11comp_targetILNS1_3genE4ELNS1_11target_archE910ELNS1_3gpuE8ELNS1_3repE0EEENS1_30default_config_static_selectorELNS0_4arch9wavefront6targetE0EEEvT1_
    .private_segment_fixed_size: 0
    .sgpr_count:     0
    .sgpr_spill_count: 0
    .symbol:         _ZN7rocprim17ROCPRIM_400000_NS6detail17trampoline_kernelINS0_14default_configENS1_25partition_config_selectorILNS1_17partition_subalgoE6EjNS0_10empty_typeEbEEZZNS1_14partition_implILS5_6ELb0ES3_mN6thrust23THRUST_200600_302600_NS6detail15normal_iteratorINSA_10device_ptrIjEEEEPS6_SG_NS0_5tupleIJSF_S6_EEENSH_IJSG_SG_EEES6_PlJ7is_evenIjEEEE10hipError_tPvRmT3_T4_T5_T6_T7_T9_mT8_P12ihipStream_tbDpT10_ENKUlT_T0_E_clISt17integral_constantIbLb0EES15_IbLb1EEEEDaS11_S12_EUlS11_E_NS1_11comp_targetILNS1_3genE4ELNS1_11target_archE910ELNS1_3gpuE8ELNS1_3repE0EEENS1_30default_config_static_selectorELNS0_4arch9wavefront6targetE0EEEvT1_.kd
    .uniform_work_group_size: 1
    .uses_dynamic_stack: false
    .vgpr_count:     0
    .vgpr_spill_count: 0
    .wavefront_size: 32
    .workgroup_processor_mode: 1
  - .args:
      - .offset:         0
        .size:           128
        .value_kind:     by_value
    .group_segment_fixed_size: 0
    .kernarg_segment_align: 8
    .kernarg_segment_size: 128
    .language:       OpenCL C
    .language_version:
      - 2
      - 0
    .max_flat_workgroup_size: 256
    .name:           _ZN7rocprim17ROCPRIM_400000_NS6detail17trampoline_kernelINS0_14default_configENS1_25partition_config_selectorILNS1_17partition_subalgoE6EjNS0_10empty_typeEbEEZZNS1_14partition_implILS5_6ELb0ES3_mN6thrust23THRUST_200600_302600_NS6detail15normal_iteratorINSA_10device_ptrIjEEEEPS6_SG_NS0_5tupleIJSF_S6_EEENSH_IJSG_SG_EEES6_PlJ7is_evenIjEEEE10hipError_tPvRmT3_T4_T5_T6_T7_T9_mT8_P12ihipStream_tbDpT10_ENKUlT_T0_E_clISt17integral_constantIbLb0EES15_IbLb1EEEEDaS11_S12_EUlS11_E_NS1_11comp_targetILNS1_3genE3ELNS1_11target_archE908ELNS1_3gpuE7ELNS1_3repE0EEENS1_30default_config_static_selectorELNS0_4arch9wavefront6targetE0EEEvT1_
    .private_segment_fixed_size: 0
    .sgpr_count:     0
    .sgpr_spill_count: 0
    .symbol:         _ZN7rocprim17ROCPRIM_400000_NS6detail17trampoline_kernelINS0_14default_configENS1_25partition_config_selectorILNS1_17partition_subalgoE6EjNS0_10empty_typeEbEEZZNS1_14partition_implILS5_6ELb0ES3_mN6thrust23THRUST_200600_302600_NS6detail15normal_iteratorINSA_10device_ptrIjEEEEPS6_SG_NS0_5tupleIJSF_S6_EEENSH_IJSG_SG_EEES6_PlJ7is_evenIjEEEE10hipError_tPvRmT3_T4_T5_T6_T7_T9_mT8_P12ihipStream_tbDpT10_ENKUlT_T0_E_clISt17integral_constantIbLb0EES15_IbLb1EEEEDaS11_S12_EUlS11_E_NS1_11comp_targetILNS1_3genE3ELNS1_11target_archE908ELNS1_3gpuE7ELNS1_3repE0EEENS1_30default_config_static_selectorELNS0_4arch9wavefront6targetE0EEEvT1_.kd
    .uniform_work_group_size: 1
    .uses_dynamic_stack: false
    .vgpr_count:     0
    .vgpr_spill_count: 0
    .wavefront_size: 32
    .workgroup_processor_mode: 1
  - .args:
      - .offset:         0
        .size:           128
        .value_kind:     by_value
    .group_segment_fixed_size: 0
    .kernarg_segment_align: 8
    .kernarg_segment_size: 128
    .language:       OpenCL C
    .language_version:
      - 2
      - 0
    .max_flat_workgroup_size: 192
    .name:           _ZN7rocprim17ROCPRIM_400000_NS6detail17trampoline_kernelINS0_14default_configENS1_25partition_config_selectorILNS1_17partition_subalgoE6EjNS0_10empty_typeEbEEZZNS1_14partition_implILS5_6ELb0ES3_mN6thrust23THRUST_200600_302600_NS6detail15normal_iteratorINSA_10device_ptrIjEEEEPS6_SG_NS0_5tupleIJSF_S6_EEENSH_IJSG_SG_EEES6_PlJ7is_evenIjEEEE10hipError_tPvRmT3_T4_T5_T6_T7_T9_mT8_P12ihipStream_tbDpT10_ENKUlT_T0_E_clISt17integral_constantIbLb0EES15_IbLb1EEEEDaS11_S12_EUlS11_E_NS1_11comp_targetILNS1_3genE2ELNS1_11target_archE906ELNS1_3gpuE6ELNS1_3repE0EEENS1_30default_config_static_selectorELNS0_4arch9wavefront6targetE0EEEvT1_
    .private_segment_fixed_size: 0
    .sgpr_count:     0
    .sgpr_spill_count: 0
    .symbol:         _ZN7rocprim17ROCPRIM_400000_NS6detail17trampoline_kernelINS0_14default_configENS1_25partition_config_selectorILNS1_17partition_subalgoE6EjNS0_10empty_typeEbEEZZNS1_14partition_implILS5_6ELb0ES3_mN6thrust23THRUST_200600_302600_NS6detail15normal_iteratorINSA_10device_ptrIjEEEEPS6_SG_NS0_5tupleIJSF_S6_EEENSH_IJSG_SG_EEES6_PlJ7is_evenIjEEEE10hipError_tPvRmT3_T4_T5_T6_T7_T9_mT8_P12ihipStream_tbDpT10_ENKUlT_T0_E_clISt17integral_constantIbLb0EES15_IbLb1EEEEDaS11_S12_EUlS11_E_NS1_11comp_targetILNS1_3genE2ELNS1_11target_archE906ELNS1_3gpuE6ELNS1_3repE0EEENS1_30default_config_static_selectorELNS0_4arch9wavefront6targetE0EEEvT1_.kd
    .uniform_work_group_size: 1
    .uses_dynamic_stack: false
    .vgpr_count:     0
    .vgpr_spill_count: 0
    .wavefront_size: 32
    .workgroup_processor_mode: 1
  - .args:
      - .offset:         0
        .size:           128
        .value_kind:     by_value
    .group_segment_fixed_size: 0
    .kernarg_segment_align: 8
    .kernarg_segment_size: 128
    .language:       OpenCL C
    .language_version:
      - 2
      - 0
    .max_flat_workgroup_size: 384
    .name:           _ZN7rocprim17ROCPRIM_400000_NS6detail17trampoline_kernelINS0_14default_configENS1_25partition_config_selectorILNS1_17partition_subalgoE6EjNS0_10empty_typeEbEEZZNS1_14partition_implILS5_6ELb0ES3_mN6thrust23THRUST_200600_302600_NS6detail15normal_iteratorINSA_10device_ptrIjEEEEPS6_SG_NS0_5tupleIJSF_S6_EEENSH_IJSG_SG_EEES6_PlJ7is_evenIjEEEE10hipError_tPvRmT3_T4_T5_T6_T7_T9_mT8_P12ihipStream_tbDpT10_ENKUlT_T0_E_clISt17integral_constantIbLb0EES15_IbLb1EEEEDaS11_S12_EUlS11_E_NS1_11comp_targetILNS1_3genE10ELNS1_11target_archE1200ELNS1_3gpuE4ELNS1_3repE0EEENS1_30default_config_static_selectorELNS0_4arch9wavefront6targetE0EEEvT1_
    .private_segment_fixed_size: 0
    .sgpr_count:     0
    .sgpr_spill_count: 0
    .symbol:         _ZN7rocprim17ROCPRIM_400000_NS6detail17trampoline_kernelINS0_14default_configENS1_25partition_config_selectorILNS1_17partition_subalgoE6EjNS0_10empty_typeEbEEZZNS1_14partition_implILS5_6ELb0ES3_mN6thrust23THRUST_200600_302600_NS6detail15normal_iteratorINSA_10device_ptrIjEEEEPS6_SG_NS0_5tupleIJSF_S6_EEENSH_IJSG_SG_EEES6_PlJ7is_evenIjEEEE10hipError_tPvRmT3_T4_T5_T6_T7_T9_mT8_P12ihipStream_tbDpT10_ENKUlT_T0_E_clISt17integral_constantIbLb0EES15_IbLb1EEEEDaS11_S12_EUlS11_E_NS1_11comp_targetILNS1_3genE10ELNS1_11target_archE1200ELNS1_3gpuE4ELNS1_3repE0EEENS1_30default_config_static_selectorELNS0_4arch9wavefront6targetE0EEEvT1_.kd
    .uniform_work_group_size: 1
    .uses_dynamic_stack: false
    .vgpr_count:     0
    .vgpr_spill_count: 0
    .wavefront_size: 32
    .workgroup_processor_mode: 1
  - .args:
      - .offset:         0
        .size:           128
        .value_kind:     by_value
    .group_segment_fixed_size: 7184
    .kernarg_segment_align: 8
    .kernarg_segment_size: 128
    .language:       OpenCL C
    .language_version:
      - 2
      - 0
    .max_flat_workgroup_size: 128
    .name:           _ZN7rocprim17ROCPRIM_400000_NS6detail17trampoline_kernelINS0_14default_configENS1_25partition_config_selectorILNS1_17partition_subalgoE6EjNS0_10empty_typeEbEEZZNS1_14partition_implILS5_6ELb0ES3_mN6thrust23THRUST_200600_302600_NS6detail15normal_iteratorINSA_10device_ptrIjEEEEPS6_SG_NS0_5tupleIJSF_S6_EEENSH_IJSG_SG_EEES6_PlJ7is_evenIjEEEE10hipError_tPvRmT3_T4_T5_T6_T7_T9_mT8_P12ihipStream_tbDpT10_ENKUlT_T0_E_clISt17integral_constantIbLb0EES15_IbLb1EEEEDaS11_S12_EUlS11_E_NS1_11comp_targetILNS1_3genE9ELNS1_11target_archE1100ELNS1_3gpuE3ELNS1_3repE0EEENS1_30default_config_static_selectorELNS0_4arch9wavefront6targetE0EEEvT1_
    .private_segment_fixed_size: 0
    .sgpr_count:     22
    .sgpr_spill_count: 0
    .symbol:         _ZN7rocprim17ROCPRIM_400000_NS6detail17trampoline_kernelINS0_14default_configENS1_25partition_config_selectorILNS1_17partition_subalgoE6EjNS0_10empty_typeEbEEZZNS1_14partition_implILS5_6ELb0ES3_mN6thrust23THRUST_200600_302600_NS6detail15normal_iteratorINSA_10device_ptrIjEEEEPS6_SG_NS0_5tupleIJSF_S6_EEENSH_IJSG_SG_EEES6_PlJ7is_evenIjEEEE10hipError_tPvRmT3_T4_T5_T6_T7_T9_mT8_P12ihipStream_tbDpT10_ENKUlT_T0_E_clISt17integral_constantIbLb0EES15_IbLb1EEEEDaS11_S12_EUlS11_E_NS1_11comp_targetILNS1_3genE9ELNS1_11target_archE1100ELNS1_3gpuE3ELNS1_3repE0EEENS1_30default_config_static_selectorELNS0_4arch9wavefront6targetE0EEEvT1_.kd
    .uniform_work_group_size: 1
    .uses_dynamic_stack: false
    .vgpr_count:     76
    .vgpr_spill_count: 0
    .wavefront_size: 32
    .workgroup_processor_mode: 1
  - .args:
      - .offset:         0
        .size:           128
        .value_kind:     by_value
    .group_segment_fixed_size: 0
    .kernarg_segment_align: 8
    .kernarg_segment_size: 128
    .language:       OpenCL C
    .language_version:
      - 2
      - 0
    .max_flat_workgroup_size: 512
    .name:           _ZN7rocprim17ROCPRIM_400000_NS6detail17trampoline_kernelINS0_14default_configENS1_25partition_config_selectorILNS1_17partition_subalgoE6EjNS0_10empty_typeEbEEZZNS1_14partition_implILS5_6ELb0ES3_mN6thrust23THRUST_200600_302600_NS6detail15normal_iteratorINSA_10device_ptrIjEEEEPS6_SG_NS0_5tupleIJSF_S6_EEENSH_IJSG_SG_EEES6_PlJ7is_evenIjEEEE10hipError_tPvRmT3_T4_T5_T6_T7_T9_mT8_P12ihipStream_tbDpT10_ENKUlT_T0_E_clISt17integral_constantIbLb0EES15_IbLb1EEEEDaS11_S12_EUlS11_E_NS1_11comp_targetILNS1_3genE8ELNS1_11target_archE1030ELNS1_3gpuE2ELNS1_3repE0EEENS1_30default_config_static_selectorELNS0_4arch9wavefront6targetE0EEEvT1_
    .private_segment_fixed_size: 0
    .sgpr_count:     0
    .sgpr_spill_count: 0
    .symbol:         _ZN7rocprim17ROCPRIM_400000_NS6detail17trampoline_kernelINS0_14default_configENS1_25partition_config_selectorILNS1_17partition_subalgoE6EjNS0_10empty_typeEbEEZZNS1_14partition_implILS5_6ELb0ES3_mN6thrust23THRUST_200600_302600_NS6detail15normal_iteratorINSA_10device_ptrIjEEEEPS6_SG_NS0_5tupleIJSF_S6_EEENSH_IJSG_SG_EEES6_PlJ7is_evenIjEEEE10hipError_tPvRmT3_T4_T5_T6_T7_T9_mT8_P12ihipStream_tbDpT10_ENKUlT_T0_E_clISt17integral_constantIbLb0EES15_IbLb1EEEEDaS11_S12_EUlS11_E_NS1_11comp_targetILNS1_3genE8ELNS1_11target_archE1030ELNS1_3gpuE2ELNS1_3repE0EEENS1_30default_config_static_selectorELNS0_4arch9wavefront6targetE0EEEvT1_.kd
    .uniform_work_group_size: 1
    .uses_dynamic_stack: false
    .vgpr_count:     0
    .vgpr_spill_count: 0
    .wavefront_size: 32
    .workgroup_processor_mode: 1
  - .args:
      - .offset:         0
        .size:           112
        .value_kind:     by_value
    .group_segment_fixed_size: 0
    .kernarg_segment_align: 8
    .kernarg_segment_size: 112
    .language:       OpenCL C
    .language_version:
      - 2
      - 0
    .max_flat_workgroup_size: 256
    .name:           _ZN7rocprim17ROCPRIM_400000_NS6detail17trampoline_kernelINS0_14default_configENS1_25partition_config_selectorILNS1_17partition_subalgoE6EtNS0_10empty_typeEbEEZZNS1_14partition_implILS5_6ELb0ES3_mN6thrust23THRUST_200600_302600_NS6detail15normal_iteratorINSA_10device_ptrItEEEEPS6_SG_NS0_5tupleIJSF_S6_EEENSH_IJSG_SG_EEES6_PlJ7is_evenItEEEE10hipError_tPvRmT3_T4_T5_T6_T7_T9_mT8_P12ihipStream_tbDpT10_ENKUlT_T0_E_clISt17integral_constantIbLb0EES16_EEDaS11_S12_EUlS11_E_NS1_11comp_targetILNS1_3genE0ELNS1_11target_archE4294967295ELNS1_3gpuE0ELNS1_3repE0EEENS1_30default_config_static_selectorELNS0_4arch9wavefront6targetE0EEEvT1_
    .private_segment_fixed_size: 0
    .sgpr_count:     0
    .sgpr_spill_count: 0
    .symbol:         _ZN7rocprim17ROCPRIM_400000_NS6detail17trampoline_kernelINS0_14default_configENS1_25partition_config_selectorILNS1_17partition_subalgoE6EtNS0_10empty_typeEbEEZZNS1_14partition_implILS5_6ELb0ES3_mN6thrust23THRUST_200600_302600_NS6detail15normal_iteratorINSA_10device_ptrItEEEEPS6_SG_NS0_5tupleIJSF_S6_EEENSH_IJSG_SG_EEES6_PlJ7is_evenItEEEE10hipError_tPvRmT3_T4_T5_T6_T7_T9_mT8_P12ihipStream_tbDpT10_ENKUlT_T0_E_clISt17integral_constantIbLb0EES16_EEDaS11_S12_EUlS11_E_NS1_11comp_targetILNS1_3genE0ELNS1_11target_archE4294967295ELNS1_3gpuE0ELNS1_3repE0EEENS1_30default_config_static_selectorELNS0_4arch9wavefront6targetE0EEEvT1_.kd
    .uniform_work_group_size: 1
    .uses_dynamic_stack: false
    .vgpr_count:     0
    .vgpr_spill_count: 0
    .wavefront_size: 32
    .workgroup_processor_mode: 1
  - .args:
      - .offset:         0
        .size:           112
        .value_kind:     by_value
    .group_segment_fixed_size: 0
    .kernarg_segment_align: 8
    .kernarg_segment_size: 112
    .language:       OpenCL C
    .language_version:
      - 2
      - 0
    .max_flat_workgroup_size: 512
    .name:           _ZN7rocprim17ROCPRIM_400000_NS6detail17trampoline_kernelINS0_14default_configENS1_25partition_config_selectorILNS1_17partition_subalgoE6EtNS0_10empty_typeEbEEZZNS1_14partition_implILS5_6ELb0ES3_mN6thrust23THRUST_200600_302600_NS6detail15normal_iteratorINSA_10device_ptrItEEEEPS6_SG_NS0_5tupleIJSF_S6_EEENSH_IJSG_SG_EEES6_PlJ7is_evenItEEEE10hipError_tPvRmT3_T4_T5_T6_T7_T9_mT8_P12ihipStream_tbDpT10_ENKUlT_T0_E_clISt17integral_constantIbLb0EES16_EEDaS11_S12_EUlS11_E_NS1_11comp_targetILNS1_3genE5ELNS1_11target_archE942ELNS1_3gpuE9ELNS1_3repE0EEENS1_30default_config_static_selectorELNS0_4arch9wavefront6targetE0EEEvT1_
    .private_segment_fixed_size: 0
    .sgpr_count:     0
    .sgpr_spill_count: 0
    .symbol:         _ZN7rocprim17ROCPRIM_400000_NS6detail17trampoline_kernelINS0_14default_configENS1_25partition_config_selectorILNS1_17partition_subalgoE6EtNS0_10empty_typeEbEEZZNS1_14partition_implILS5_6ELb0ES3_mN6thrust23THRUST_200600_302600_NS6detail15normal_iteratorINSA_10device_ptrItEEEEPS6_SG_NS0_5tupleIJSF_S6_EEENSH_IJSG_SG_EEES6_PlJ7is_evenItEEEE10hipError_tPvRmT3_T4_T5_T6_T7_T9_mT8_P12ihipStream_tbDpT10_ENKUlT_T0_E_clISt17integral_constantIbLb0EES16_EEDaS11_S12_EUlS11_E_NS1_11comp_targetILNS1_3genE5ELNS1_11target_archE942ELNS1_3gpuE9ELNS1_3repE0EEENS1_30default_config_static_selectorELNS0_4arch9wavefront6targetE0EEEvT1_.kd
    .uniform_work_group_size: 1
    .uses_dynamic_stack: false
    .vgpr_count:     0
    .vgpr_spill_count: 0
    .wavefront_size: 32
    .workgroup_processor_mode: 1
  - .args:
      - .offset:         0
        .size:           112
        .value_kind:     by_value
    .group_segment_fixed_size: 0
    .kernarg_segment_align: 8
    .kernarg_segment_size: 112
    .language:       OpenCL C
    .language_version:
      - 2
      - 0
    .max_flat_workgroup_size: 256
    .name:           _ZN7rocprim17ROCPRIM_400000_NS6detail17trampoline_kernelINS0_14default_configENS1_25partition_config_selectorILNS1_17partition_subalgoE6EtNS0_10empty_typeEbEEZZNS1_14partition_implILS5_6ELb0ES3_mN6thrust23THRUST_200600_302600_NS6detail15normal_iteratorINSA_10device_ptrItEEEEPS6_SG_NS0_5tupleIJSF_S6_EEENSH_IJSG_SG_EEES6_PlJ7is_evenItEEEE10hipError_tPvRmT3_T4_T5_T6_T7_T9_mT8_P12ihipStream_tbDpT10_ENKUlT_T0_E_clISt17integral_constantIbLb0EES16_EEDaS11_S12_EUlS11_E_NS1_11comp_targetILNS1_3genE4ELNS1_11target_archE910ELNS1_3gpuE8ELNS1_3repE0EEENS1_30default_config_static_selectorELNS0_4arch9wavefront6targetE0EEEvT1_
    .private_segment_fixed_size: 0
    .sgpr_count:     0
    .sgpr_spill_count: 0
    .symbol:         _ZN7rocprim17ROCPRIM_400000_NS6detail17trampoline_kernelINS0_14default_configENS1_25partition_config_selectorILNS1_17partition_subalgoE6EtNS0_10empty_typeEbEEZZNS1_14partition_implILS5_6ELb0ES3_mN6thrust23THRUST_200600_302600_NS6detail15normal_iteratorINSA_10device_ptrItEEEEPS6_SG_NS0_5tupleIJSF_S6_EEENSH_IJSG_SG_EEES6_PlJ7is_evenItEEEE10hipError_tPvRmT3_T4_T5_T6_T7_T9_mT8_P12ihipStream_tbDpT10_ENKUlT_T0_E_clISt17integral_constantIbLb0EES16_EEDaS11_S12_EUlS11_E_NS1_11comp_targetILNS1_3genE4ELNS1_11target_archE910ELNS1_3gpuE8ELNS1_3repE0EEENS1_30default_config_static_selectorELNS0_4arch9wavefront6targetE0EEEvT1_.kd
    .uniform_work_group_size: 1
    .uses_dynamic_stack: false
    .vgpr_count:     0
    .vgpr_spill_count: 0
    .wavefront_size: 32
    .workgroup_processor_mode: 1
  - .args:
      - .offset:         0
        .size:           112
        .value_kind:     by_value
    .group_segment_fixed_size: 0
    .kernarg_segment_align: 8
    .kernarg_segment_size: 112
    .language:       OpenCL C
    .language_version:
      - 2
      - 0
    .max_flat_workgroup_size: 256
    .name:           _ZN7rocprim17ROCPRIM_400000_NS6detail17trampoline_kernelINS0_14default_configENS1_25partition_config_selectorILNS1_17partition_subalgoE6EtNS0_10empty_typeEbEEZZNS1_14partition_implILS5_6ELb0ES3_mN6thrust23THRUST_200600_302600_NS6detail15normal_iteratorINSA_10device_ptrItEEEEPS6_SG_NS0_5tupleIJSF_S6_EEENSH_IJSG_SG_EEES6_PlJ7is_evenItEEEE10hipError_tPvRmT3_T4_T5_T6_T7_T9_mT8_P12ihipStream_tbDpT10_ENKUlT_T0_E_clISt17integral_constantIbLb0EES16_EEDaS11_S12_EUlS11_E_NS1_11comp_targetILNS1_3genE3ELNS1_11target_archE908ELNS1_3gpuE7ELNS1_3repE0EEENS1_30default_config_static_selectorELNS0_4arch9wavefront6targetE0EEEvT1_
    .private_segment_fixed_size: 0
    .sgpr_count:     0
    .sgpr_spill_count: 0
    .symbol:         _ZN7rocprim17ROCPRIM_400000_NS6detail17trampoline_kernelINS0_14default_configENS1_25partition_config_selectorILNS1_17partition_subalgoE6EtNS0_10empty_typeEbEEZZNS1_14partition_implILS5_6ELb0ES3_mN6thrust23THRUST_200600_302600_NS6detail15normal_iteratorINSA_10device_ptrItEEEEPS6_SG_NS0_5tupleIJSF_S6_EEENSH_IJSG_SG_EEES6_PlJ7is_evenItEEEE10hipError_tPvRmT3_T4_T5_T6_T7_T9_mT8_P12ihipStream_tbDpT10_ENKUlT_T0_E_clISt17integral_constantIbLb0EES16_EEDaS11_S12_EUlS11_E_NS1_11comp_targetILNS1_3genE3ELNS1_11target_archE908ELNS1_3gpuE7ELNS1_3repE0EEENS1_30default_config_static_selectorELNS0_4arch9wavefront6targetE0EEEvT1_.kd
    .uniform_work_group_size: 1
    .uses_dynamic_stack: false
    .vgpr_count:     0
    .vgpr_spill_count: 0
    .wavefront_size: 32
    .workgroup_processor_mode: 1
  - .args:
      - .offset:         0
        .size:           112
        .value_kind:     by_value
    .group_segment_fixed_size: 0
    .kernarg_segment_align: 8
    .kernarg_segment_size: 112
    .language:       OpenCL C
    .language_version:
      - 2
      - 0
    .max_flat_workgroup_size: 256
    .name:           _ZN7rocprim17ROCPRIM_400000_NS6detail17trampoline_kernelINS0_14default_configENS1_25partition_config_selectorILNS1_17partition_subalgoE6EtNS0_10empty_typeEbEEZZNS1_14partition_implILS5_6ELb0ES3_mN6thrust23THRUST_200600_302600_NS6detail15normal_iteratorINSA_10device_ptrItEEEEPS6_SG_NS0_5tupleIJSF_S6_EEENSH_IJSG_SG_EEES6_PlJ7is_evenItEEEE10hipError_tPvRmT3_T4_T5_T6_T7_T9_mT8_P12ihipStream_tbDpT10_ENKUlT_T0_E_clISt17integral_constantIbLb0EES16_EEDaS11_S12_EUlS11_E_NS1_11comp_targetILNS1_3genE2ELNS1_11target_archE906ELNS1_3gpuE6ELNS1_3repE0EEENS1_30default_config_static_selectorELNS0_4arch9wavefront6targetE0EEEvT1_
    .private_segment_fixed_size: 0
    .sgpr_count:     0
    .sgpr_spill_count: 0
    .symbol:         _ZN7rocprim17ROCPRIM_400000_NS6detail17trampoline_kernelINS0_14default_configENS1_25partition_config_selectorILNS1_17partition_subalgoE6EtNS0_10empty_typeEbEEZZNS1_14partition_implILS5_6ELb0ES3_mN6thrust23THRUST_200600_302600_NS6detail15normal_iteratorINSA_10device_ptrItEEEEPS6_SG_NS0_5tupleIJSF_S6_EEENSH_IJSG_SG_EEES6_PlJ7is_evenItEEEE10hipError_tPvRmT3_T4_T5_T6_T7_T9_mT8_P12ihipStream_tbDpT10_ENKUlT_T0_E_clISt17integral_constantIbLb0EES16_EEDaS11_S12_EUlS11_E_NS1_11comp_targetILNS1_3genE2ELNS1_11target_archE906ELNS1_3gpuE6ELNS1_3repE0EEENS1_30default_config_static_selectorELNS0_4arch9wavefront6targetE0EEEvT1_.kd
    .uniform_work_group_size: 1
    .uses_dynamic_stack: false
    .vgpr_count:     0
    .vgpr_spill_count: 0
    .wavefront_size: 32
    .workgroup_processor_mode: 1
  - .args:
      - .offset:         0
        .size:           112
        .value_kind:     by_value
    .group_segment_fixed_size: 0
    .kernarg_segment_align: 8
    .kernarg_segment_size: 112
    .language:       OpenCL C
    .language_version:
      - 2
      - 0
    .max_flat_workgroup_size: 384
    .name:           _ZN7rocprim17ROCPRIM_400000_NS6detail17trampoline_kernelINS0_14default_configENS1_25partition_config_selectorILNS1_17partition_subalgoE6EtNS0_10empty_typeEbEEZZNS1_14partition_implILS5_6ELb0ES3_mN6thrust23THRUST_200600_302600_NS6detail15normal_iteratorINSA_10device_ptrItEEEEPS6_SG_NS0_5tupleIJSF_S6_EEENSH_IJSG_SG_EEES6_PlJ7is_evenItEEEE10hipError_tPvRmT3_T4_T5_T6_T7_T9_mT8_P12ihipStream_tbDpT10_ENKUlT_T0_E_clISt17integral_constantIbLb0EES16_EEDaS11_S12_EUlS11_E_NS1_11comp_targetILNS1_3genE10ELNS1_11target_archE1200ELNS1_3gpuE4ELNS1_3repE0EEENS1_30default_config_static_selectorELNS0_4arch9wavefront6targetE0EEEvT1_
    .private_segment_fixed_size: 0
    .sgpr_count:     0
    .sgpr_spill_count: 0
    .symbol:         _ZN7rocprim17ROCPRIM_400000_NS6detail17trampoline_kernelINS0_14default_configENS1_25partition_config_selectorILNS1_17partition_subalgoE6EtNS0_10empty_typeEbEEZZNS1_14partition_implILS5_6ELb0ES3_mN6thrust23THRUST_200600_302600_NS6detail15normal_iteratorINSA_10device_ptrItEEEEPS6_SG_NS0_5tupleIJSF_S6_EEENSH_IJSG_SG_EEES6_PlJ7is_evenItEEEE10hipError_tPvRmT3_T4_T5_T6_T7_T9_mT8_P12ihipStream_tbDpT10_ENKUlT_T0_E_clISt17integral_constantIbLb0EES16_EEDaS11_S12_EUlS11_E_NS1_11comp_targetILNS1_3genE10ELNS1_11target_archE1200ELNS1_3gpuE4ELNS1_3repE0EEENS1_30default_config_static_selectorELNS0_4arch9wavefront6targetE0EEEvT1_.kd
    .uniform_work_group_size: 1
    .uses_dynamic_stack: false
    .vgpr_count:     0
    .vgpr_spill_count: 0
    .wavefront_size: 32
    .workgroup_processor_mode: 1
  - .args:
      - .offset:         0
        .size:           112
        .value_kind:     by_value
    .group_segment_fixed_size: 7696
    .kernarg_segment_align: 8
    .kernarg_segment_size: 112
    .language:       OpenCL C
    .language_version:
      - 2
      - 0
    .max_flat_workgroup_size: 128
    .name:           _ZN7rocprim17ROCPRIM_400000_NS6detail17trampoline_kernelINS0_14default_configENS1_25partition_config_selectorILNS1_17partition_subalgoE6EtNS0_10empty_typeEbEEZZNS1_14partition_implILS5_6ELb0ES3_mN6thrust23THRUST_200600_302600_NS6detail15normal_iteratorINSA_10device_ptrItEEEEPS6_SG_NS0_5tupleIJSF_S6_EEENSH_IJSG_SG_EEES6_PlJ7is_evenItEEEE10hipError_tPvRmT3_T4_T5_T6_T7_T9_mT8_P12ihipStream_tbDpT10_ENKUlT_T0_E_clISt17integral_constantIbLb0EES16_EEDaS11_S12_EUlS11_E_NS1_11comp_targetILNS1_3genE9ELNS1_11target_archE1100ELNS1_3gpuE3ELNS1_3repE0EEENS1_30default_config_static_selectorELNS0_4arch9wavefront6targetE0EEEvT1_
    .private_segment_fixed_size: 0
    .sgpr_count:     21
    .sgpr_spill_count: 0
    .symbol:         _ZN7rocprim17ROCPRIM_400000_NS6detail17trampoline_kernelINS0_14default_configENS1_25partition_config_selectorILNS1_17partition_subalgoE6EtNS0_10empty_typeEbEEZZNS1_14partition_implILS5_6ELb0ES3_mN6thrust23THRUST_200600_302600_NS6detail15normal_iteratorINSA_10device_ptrItEEEEPS6_SG_NS0_5tupleIJSF_S6_EEENSH_IJSG_SG_EEES6_PlJ7is_evenItEEEE10hipError_tPvRmT3_T4_T5_T6_T7_T9_mT8_P12ihipStream_tbDpT10_ENKUlT_T0_E_clISt17integral_constantIbLb0EES16_EEDaS11_S12_EUlS11_E_NS1_11comp_targetILNS1_3genE9ELNS1_11target_archE1100ELNS1_3gpuE3ELNS1_3repE0EEENS1_30default_config_static_selectorELNS0_4arch9wavefront6targetE0EEEvT1_.kd
    .uniform_work_group_size: 1
    .uses_dynamic_stack: false
    .vgpr_count:     131
    .vgpr_spill_count: 0
    .wavefront_size: 32
    .workgroup_processor_mode: 1
  - .args:
      - .offset:         0
        .size:           112
        .value_kind:     by_value
    .group_segment_fixed_size: 0
    .kernarg_segment_align: 8
    .kernarg_segment_size: 112
    .language:       OpenCL C
    .language_version:
      - 2
      - 0
    .max_flat_workgroup_size: 256
    .name:           _ZN7rocprim17ROCPRIM_400000_NS6detail17trampoline_kernelINS0_14default_configENS1_25partition_config_selectorILNS1_17partition_subalgoE6EtNS0_10empty_typeEbEEZZNS1_14partition_implILS5_6ELb0ES3_mN6thrust23THRUST_200600_302600_NS6detail15normal_iteratorINSA_10device_ptrItEEEEPS6_SG_NS0_5tupleIJSF_S6_EEENSH_IJSG_SG_EEES6_PlJ7is_evenItEEEE10hipError_tPvRmT3_T4_T5_T6_T7_T9_mT8_P12ihipStream_tbDpT10_ENKUlT_T0_E_clISt17integral_constantIbLb0EES16_EEDaS11_S12_EUlS11_E_NS1_11comp_targetILNS1_3genE8ELNS1_11target_archE1030ELNS1_3gpuE2ELNS1_3repE0EEENS1_30default_config_static_selectorELNS0_4arch9wavefront6targetE0EEEvT1_
    .private_segment_fixed_size: 0
    .sgpr_count:     0
    .sgpr_spill_count: 0
    .symbol:         _ZN7rocprim17ROCPRIM_400000_NS6detail17trampoline_kernelINS0_14default_configENS1_25partition_config_selectorILNS1_17partition_subalgoE6EtNS0_10empty_typeEbEEZZNS1_14partition_implILS5_6ELb0ES3_mN6thrust23THRUST_200600_302600_NS6detail15normal_iteratorINSA_10device_ptrItEEEEPS6_SG_NS0_5tupleIJSF_S6_EEENSH_IJSG_SG_EEES6_PlJ7is_evenItEEEE10hipError_tPvRmT3_T4_T5_T6_T7_T9_mT8_P12ihipStream_tbDpT10_ENKUlT_T0_E_clISt17integral_constantIbLb0EES16_EEDaS11_S12_EUlS11_E_NS1_11comp_targetILNS1_3genE8ELNS1_11target_archE1030ELNS1_3gpuE2ELNS1_3repE0EEENS1_30default_config_static_selectorELNS0_4arch9wavefront6targetE0EEEvT1_.kd
    .uniform_work_group_size: 1
    .uses_dynamic_stack: false
    .vgpr_count:     0
    .vgpr_spill_count: 0
    .wavefront_size: 32
    .workgroup_processor_mode: 1
  - .args:
      - .offset:         0
        .size:           128
        .value_kind:     by_value
    .group_segment_fixed_size: 0
    .kernarg_segment_align: 8
    .kernarg_segment_size: 128
    .language:       OpenCL C
    .language_version:
      - 2
      - 0
    .max_flat_workgroup_size: 256
    .name:           _ZN7rocprim17ROCPRIM_400000_NS6detail17trampoline_kernelINS0_14default_configENS1_25partition_config_selectorILNS1_17partition_subalgoE6EtNS0_10empty_typeEbEEZZNS1_14partition_implILS5_6ELb0ES3_mN6thrust23THRUST_200600_302600_NS6detail15normal_iteratorINSA_10device_ptrItEEEEPS6_SG_NS0_5tupleIJSF_S6_EEENSH_IJSG_SG_EEES6_PlJ7is_evenItEEEE10hipError_tPvRmT3_T4_T5_T6_T7_T9_mT8_P12ihipStream_tbDpT10_ENKUlT_T0_E_clISt17integral_constantIbLb1EES16_EEDaS11_S12_EUlS11_E_NS1_11comp_targetILNS1_3genE0ELNS1_11target_archE4294967295ELNS1_3gpuE0ELNS1_3repE0EEENS1_30default_config_static_selectorELNS0_4arch9wavefront6targetE0EEEvT1_
    .private_segment_fixed_size: 0
    .sgpr_count:     0
    .sgpr_spill_count: 0
    .symbol:         _ZN7rocprim17ROCPRIM_400000_NS6detail17trampoline_kernelINS0_14default_configENS1_25partition_config_selectorILNS1_17partition_subalgoE6EtNS0_10empty_typeEbEEZZNS1_14partition_implILS5_6ELb0ES3_mN6thrust23THRUST_200600_302600_NS6detail15normal_iteratorINSA_10device_ptrItEEEEPS6_SG_NS0_5tupleIJSF_S6_EEENSH_IJSG_SG_EEES6_PlJ7is_evenItEEEE10hipError_tPvRmT3_T4_T5_T6_T7_T9_mT8_P12ihipStream_tbDpT10_ENKUlT_T0_E_clISt17integral_constantIbLb1EES16_EEDaS11_S12_EUlS11_E_NS1_11comp_targetILNS1_3genE0ELNS1_11target_archE4294967295ELNS1_3gpuE0ELNS1_3repE0EEENS1_30default_config_static_selectorELNS0_4arch9wavefront6targetE0EEEvT1_.kd
    .uniform_work_group_size: 1
    .uses_dynamic_stack: false
    .vgpr_count:     0
    .vgpr_spill_count: 0
    .wavefront_size: 32
    .workgroup_processor_mode: 1
  - .args:
      - .offset:         0
        .size:           128
        .value_kind:     by_value
    .group_segment_fixed_size: 0
    .kernarg_segment_align: 8
    .kernarg_segment_size: 128
    .language:       OpenCL C
    .language_version:
      - 2
      - 0
    .max_flat_workgroup_size: 512
    .name:           _ZN7rocprim17ROCPRIM_400000_NS6detail17trampoline_kernelINS0_14default_configENS1_25partition_config_selectorILNS1_17partition_subalgoE6EtNS0_10empty_typeEbEEZZNS1_14partition_implILS5_6ELb0ES3_mN6thrust23THRUST_200600_302600_NS6detail15normal_iteratorINSA_10device_ptrItEEEEPS6_SG_NS0_5tupleIJSF_S6_EEENSH_IJSG_SG_EEES6_PlJ7is_evenItEEEE10hipError_tPvRmT3_T4_T5_T6_T7_T9_mT8_P12ihipStream_tbDpT10_ENKUlT_T0_E_clISt17integral_constantIbLb1EES16_EEDaS11_S12_EUlS11_E_NS1_11comp_targetILNS1_3genE5ELNS1_11target_archE942ELNS1_3gpuE9ELNS1_3repE0EEENS1_30default_config_static_selectorELNS0_4arch9wavefront6targetE0EEEvT1_
    .private_segment_fixed_size: 0
    .sgpr_count:     0
    .sgpr_spill_count: 0
    .symbol:         _ZN7rocprim17ROCPRIM_400000_NS6detail17trampoline_kernelINS0_14default_configENS1_25partition_config_selectorILNS1_17partition_subalgoE6EtNS0_10empty_typeEbEEZZNS1_14partition_implILS5_6ELb0ES3_mN6thrust23THRUST_200600_302600_NS6detail15normal_iteratorINSA_10device_ptrItEEEEPS6_SG_NS0_5tupleIJSF_S6_EEENSH_IJSG_SG_EEES6_PlJ7is_evenItEEEE10hipError_tPvRmT3_T4_T5_T6_T7_T9_mT8_P12ihipStream_tbDpT10_ENKUlT_T0_E_clISt17integral_constantIbLb1EES16_EEDaS11_S12_EUlS11_E_NS1_11comp_targetILNS1_3genE5ELNS1_11target_archE942ELNS1_3gpuE9ELNS1_3repE0EEENS1_30default_config_static_selectorELNS0_4arch9wavefront6targetE0EEEvT1_.kd
    .uniform_work_group_size: 1
    .uses_dynamic_stack: false
    .vgpr_count:     0
    .vgpr_spill_count: 0
    .wavefront_size: 32
    .workgroup_processor_mode: 1
  - .args:
      - .offset:         0
        .size:           128
        .value_kind:     by_value
    .group_segment_fixed_size: 0
    .kernarg_segment_align: 8
    .kernarg_segment_size: 128
    .language:       OpenCL C
    .language_version:
      - 2
      - 0
    .max_flat_workgroup_size: 256
    .name:           _ZN7rocprim17ROCPRIM_400000_NS6detail17trampoline_kernelINS0_14default_configENS1_25partition_config_selectorILNS1_17partition_subalgoE6EtNS0_10empty_typeEbEEZZNS1_14partition_implILS5_6ELb0ES3_mN6thrust23THRUST_200600_302600_NS6detail15normal_iteratorINSA_10device_ptrItEEEEPS6_SG_NS0_5tupleIJSF_S6_EEENSH_IJSG_SG_EEES6_PlJ7is_evenItEEEE10hipError_tPvRmT3_T4_T5_T6_T7_T9_mT8_P12ihipStream_tbDpT10_ENKUlT_T0_E_clISt17integral_constantIbLb1EES16_EEDaS11_S12_EUlS11_E_NS1_11comp_targetILNS1_3genE4ELNS1_11target_archE910ELNS1_3gpuE8ELNS1_3repE0EEENS1_30default_config_static_selectorELNS0_4arch9wavefront6targetE0EEEvT1_
    .private_segment_fixed_size: 0
    .sgpr_count:     0
    .sgpr_spill_count: 0
    .symbol:         _ZN7rocprim17ROCPRIM_400000_NS6detail17trampoline_kernelINS0_14default_configENS1_25partition_config_selectorILNS1_17partition_subalgoE6EtNS0_10empty_typeEbEEZZNS1_14partition_implILS5_6ELb0ES3_mN6thrust23THRUST_200600_302600_NS6detail15normal_iteratorINSA_10device_ptrItEEEEPS6_SG_NS0_5tupleIJSF_S6_EEENSH_IJSG_SG_EEES6_PlJ7is_evenItEEEE10hipError_tPvRmT3_T4_T5_T6_T7_T9_mT8_P12ihipStream_tbDpT10_ENKUlT_T0_E_clISt17integral_constantIbLb1EES16_EEDaS11_S12_EUlS11_E_NS1_11comp_targetILNS1_3genE4ELNS1_11target_archE910ELNS1_3gpuE8ELNS1_3repE0EEENS1_30default_config_static_selectorELNS0_4arch9wavefront6targetE0EEEvT1_.kd
    .uniform_work_group_size: 1
    .uses_dynamic_stack: false
    .vgpr_count:     0
    .vgpr_spill_count: 0
    .wavefront_size: 32
    .workgroup_processor_mode: 1
  - .args:
      - .offset:         0
        .size:           128
        .value_kind:     by_value
    .group_segment_fixed_size: 0
    .kernarg_segment_align: 8
    .kernarg_segment_size: 128
    .language:       OpenCL C
    .language_version:
      - 2
      - 0
    .max_flat_workgroup_size: 256
    .name:           _ZN7rocprim17ROCPRIM_400000_NS6detail17trampoline_kernelINS0_14default_configENS1_25partition_config_selectorILNS1_17partition_subalgoE6EtNS0_10empty_typeEbEEZZNS1_14partition_implILS5_6ELb0ES3_mN6thrust23THRUST_200600_302600_NS6detail15normal_iteratorINSA_10device_ptrItEEEEPS6_SG_NS0_5tupleIJSF_S6_EEENSH_IJSG_SG_EEES6_PlJ7is_evenItEEEE10hipError_tPvRmT3_T4_T5_T6_T7_T9_mT8_P12ihipStream_tbDpT10_ENKUlT_T0_E_clISt17integral_constantIbLb1EES16_EEDaS11_S12_EUlS11_E_NS1_11comp_targetILNS1_3genE3ELNS1_11target_archE908ELNS1_3gpuE7ELNS1_3repE0EEENS1_30default_config_static_selectorELNS0_4arch9wavefront6targetE0EEEvT1_
    .private_segment_fixed_size: 0
    .sgpr_count:     0
    .sgpr_spill_count: 0
    .symbol:         _ZN7rocprim17ROCPRIM_400000_NS6detail17trampoline_kernelINS0_14default_configENS1_25partition_config_selectorILNS1_17partition_subalgoE6EtNS0_10empty_typeEbEEZZNS1_14partition_implILS5_6ELb0ES3_mN6thrust23THRUST_200600_302600_NS6detail15normal_iteratorINSA_10device_ptrItEEEEPS6_SG_NS0_5tupleIJSF_S6_EEENSH_IJSG_SG_EEES6_PlJ7is_evenItEEEE10hipError_tPvRmT3_T4_T5_T6_T7_T9_mT8_P12ihipStream_tbDpT10_ENKUlT_T0_E_clISt17integral_constantIbLb1EES16_EEDaS11_S12_EUlS11_E_NS1_11comp_targetILNS1_3genE3ELNS1_11target_archE908ELNS1_3gpuE7ELNS1_3repE0EEENS1_30default_config_static_selectorELNS0_4arch9wavefront6targetE0EEEvT1_.kd
    .uniform_work_group_size: 1
    .uses_dynamic_stack: false
    .vgpr_count:     0
    .vgpr_spill_count: 0
    .wavefront_size: 32
    .workgroup_processor_mode: 1
  - .args:
      - .offset:         0
        .size:           128
        .value_kind:     by_value
    .group_segment_fixed_size: 0
    .kernarg_segment_align: 8
    .kernarg_segment_size: 128
    .language:       OpenCL C
    .language_version:
      - 2
      - 0
    .max_flat_workgroup_size: 256
    .name:           _ZN7rocprim17ROCPRIM_400000_NS6detail17trampoline_kernelINS0_14default_configENS1_25partition_config_selectorILNS1_17partition_subalgoE6EtNS0_10empty_typeEbEEZZNS1_14partition_implILS5_6ELb0ES3_mN6thrust23THRUST_200600_302600_NS6detail15normal_iteratorINSA_10device_ptrItEEEEPS6_SG_NS0_5tupleIJSF_S6_EEENSH_IJSG_SG_EEES6_PlJ7is_evenItEEEE10hipError_tPvRmT3_T4_T5_T6_T7_T9_mT8_P12ihipStream_tbDpT10_ENKUlT_T0_E_clISt17integral_constantIbLb1EES16_EEDaS11_S12_EUlS11_E_NS1_11comp_targetILNS1_3genE2ELNS1_11target_archE906ELNS1_3gpuE6ELNS1_3repE0EEENS1_30default_config_static_selectorELNS0_4arch9wavefront6targetE0EEEvT1_
    .private_segment_fixed_size: 0
    .sgpr_count:     0
    .sgpr_spill_count: 0
    .symbol:         _ZN7rocprim17ROCPRIM_400000_NS6detail17trampoline_kernelINS0_14default_configENS1_25partition_config_selectorILNS1_17partition_subalgoE6EtNS0_10empty_typeEbEEZZNS1_14partition_implILS5_6ELb0ES3_mN6thrust23THRUST_200600_302600_NS6detail15normal_iteratorINSA_10device_ptrItEEEEPS6_SG_NS0_5tupleIJSF_S6_EEENSH_IJSG_SG_EEES6_PlJ7is_evenItEEEE10hipError_tPvRmT3_T4_T5_T6_T7_T9_mT8_P12ihipStream_tbDpT10_ENKUlT_T0_E_clISt17integral_constantIbLb1EES16_EEDaS11_S12_EUlS11_E_NS1_11comp_targetILNS1_3genE2ELNS1_11target_archE906ELNS1_3gpuE6ELNS1_3repE0EEENS1_30default_config_static_selectorELNS0_4arch9wavefront6targetE0EEEvT1_.kd
    .uniform_work_group_size: 1
    .uses_dynamic_stack: false
    .vgpr_count:     0
    .vgpr_spill_count: 0
    .wavefront_size: 32
    .workgroup_processor_mode: 1
  - .args:
      - .offset:         0
        .size:           128
        .value_kind:     by_value
    .group_segment_fixed_size: 0
    .kernarg_segment_align: 8
    .kernarg_segment_size: 128
    .language:       OpenCL C
    .language_version:
      - 2
      - 0
    .max_flat_workgroup_size: 384
    .name:           _ZN7rocprim17ROCPRIM_400000_NS6detail17trampoline_kernelINS0_14default_configENS1_25partition_config_selectorILNS1_17partition_subalgoE6EtNS0_10empty_typeEbEEZZNS1_14partition_implILS5_6ELb0ES3_mN6thrust23THRUST_200600_302600_NS6detail15normal_iteratorINSA_10device_ptrItEEEEPS6_SG_NS0_5tupleIJSF_S6_EEENSH_IJSG_SG_EEES6_PlJ7is_evenItEEEE10hipError_tPvRmT3_T4_T5_T6_T7_T9_mT8_P12ihipStream_tbDpT10_ENKUlT_T0_E_clISt17integral_constantIbLb1EES16_EEDaS11_S12_EUlS11_E_NS1_11comp_targetILNS1_3genE10ELNS1_11target_archE1200ELNS1_3gpuE4ELNS1_3repE0EEENS1_30default_config_static_selectorELNS0_4arch9wavefront6targetE0EEEvT1_
    .private_segment_fixed_size: 0
    .sgpr_count:     0
    .sgpr_spill_count: 0
    .symbol:         _ZN7rocprim17ROCPRIM_400000_NS6detail17trampoline_kernelINS0_14default_configENS1_25partition_config_selectorILNS1_17partition_subalgoE6EtNS0_10empty_typeEbEEZZNS1_14partition_implILS5_6ELb0ES3_mN6thrust23THRUST_200600_302600_NS6detail15normal_iteratorINSA_10device_ptrItEEEEPS6_SG_NS0_5tupleIJSF_S6_EEENSH_IJSG_SG_EEES6_PlJ7is_evenItEEEE10hipError_tPvRmT3_T4_T5_T6_T7_T9_mT8_P12ihipStream_tbDpT10_ENKUlT_T0_E_clISt17integral_constantIbLb1EES16_EEDaS11_S12_EUlS11_E_NS1_11comp_targetILNS1_3genE10ELNS1_11target_archE1200ELNS1_3gpuE4ELNS1_3repE0EEENS1_30default_config_static_selectorELNS0_4arch9wavefront6targetE0EEEvT1_.kd
    .uniform_work_group_size: 1
    .uses_dynamic_stack: false
    .vgpr_count:     0
    .vgpr_spill_count: 0
    .wavefront_size: 32
    .workgroup_processor_mode: 1
  - .args:
      - .offset:         0
        .size:           128
        .value_kind:     by_value
    .group_segment_fixed_size: 7696
    .kernarg_segment_align: 8
    .kernarg_segment_size: 128
    .language:       OpenCL C
    .language_version:
      - 2
      - 0
    .max_flat_workgroup_size: 128
    .name:           _ZN7rocprim17ROCPRIM_400000_NS6detail17trampoline_kernelINS0_14default_configENS1_25partition_config_selectorILNS1_17partition_subalgoE6EtNS0_10empty_typeEbEEZZNS1_14partition_implILS5_6ELb0ES3_mN6thrust23THRUST_200600_302600_NS6detail15normal_iteratorINSA_10device_ptrItEEEEPS6_SG_NS0_5tupleIJSF_S6_EEENSH_IJSG_SG_EEES6_PlJ7is_evenItEEEE10hipError_tPvRmT3_T4_T5_T6_T7_T9_mT8_P12ihipStream_tbDpT10_ENKUlT_T0_E_clISt17integral_constantIbLb1EES16_EEDaS11_S12_EUlS11_E_NS1_11comp_targetILNS1_3genE9ELNS1_11target_archE1100ELNS1_3gpuE3ELNS1_3repE0EEENS1_30default_config_static_selectorELNS0_4arch9wavefront6targetE0EEEvT1_
    .private_segment_fixed_size: 0
    .sgpr_count:     20
    .sgpr_spill_count: 0
    .symbol:         _ZN7rocprim17ROCPRIM_400000_NS6detail17trampoline_kernelINS0_14default_configENS1_25partition_config_selectorILNS1_17partition_subalgoE6EtNS0_10empty_typeEbEEZZNS1_14partition_implILS5_6ELb0ES3_mN6thrust23THRUST_200600_302600_NS6detail15normal_iteratorINSA_10device_ptrItEEEEPS6_SG_NS0_5tupleIJSF_S6_EEENSH_IJSG_SG_EEES6_PlJ7is_evenItEEEE10hipError_tPvRmT3_T4_T5_T6_T7_T9_mT8_P12ihipStream_tbDpT10_ENKUlT_T0_E_clISt17integral_constantIbLb1EES16_EEDaS11_S12_EUlS11_E_NS1_11comp_targetILNS1_3genE9ELNS1_11target_archE1100ELNS1_3gpuE3ELNS1_3repE0EEENS1_30default_config_static_selectorELNS0_4arch9wavefront6targetE0EEEvT1_.kd
    .uniform_work_group_size: 1
    .uses_dynamic_stack: false
    .vgpr_count:     134
    .vgpr_spill_count: 0
    .wavefront_size: 32
    .workgroup_processor_mode: 1
  - .args:
      - .offset:         0
        .size:           128
        .value_kind:     by_value
    .group_segment_fixed_size: 0
    .kernarg_segment_align: 8
    .kernarg_segment_size: 128
    .language:       OpenCL C
    .language_version:
      - 2
      - 0
    .max_flat_workgroup_size: 256
    .name:           _ZN7rocprim17ROCPRIM_400000_NS6detail17trampoline_kernelINS0_14default_configENS1_25partition_config_selectorILNS1_17partition_subalgoE6EtNS0_10empty_typeEbEEZZNS1_14partition_implILS5_6ELb0ES3_mN6thrust23THRUST_200600_302600_NS6detail15normal_iteratorINSA_10device_ptrItEEEEPS6_SG_NS0_5tupleIJSF_S6_EEENSH_IJSG_SG_EEES6_PlJ7is_evenItEEEE10hipError_tPvRmT3_T4_T5_T6_T7_T9_mT8_P12ihipStream_tbDpT10_ENKUlT_T0_E_clISt17integral_constantIbLb1EES16_EEDaS11_S12_EUlS11_E_NS1_11comp_targetILNS1_3genE8ELNS1_11target_archE1030ELNS1_3gpuE2ELNS1_3repE0EEENS1_30default_config_static_selectorELNS0_4arch9wavefront6targetE0EEEvT1_
    .private_segment_fixed_size: 0
    .sgpr_count:     0
    .sgpr_spill_count: 0
    .symbol:         _ZN7rocprim17ROCPRIM_400000_NS6detail17trampoline_kernelINS0_14default_configENS1_25partition_config_selectorILNS1_17partition_subalgoE6EtNS0_10empty_typeEbEEZZNS1_14partition_implILS5_6ELb0ES3_mN6thrust23THRUST_200600_302600_NS6detail15normal_iteratorINSA_10device_ptrItEEEEPS6_SG_NS0_5tupleIJSF_S6_EEENSH_IJSG_SG_EEES6_PlJ7is_evenItEEEE10hipError_tPvRmT3_T4_T5_T6_T7_T9_mT8_P12ihipStream_tbDpT10_ENKUlT_T0_E_clISt17integral_constantIbLb1EES16_EEDaS11_S12_EUlS11_E_NS1_11comp_targetILNS1_3genE8ELNS1_11target_archE1030ELNS1_3gpuE2ELNS1_3repE0EEENS1_30default_config_static_selectorELNS0_4arch9wavefront6targetE0EEEvT1_.kd
    .uniform_work_group_size: 1
    .uses_dynamic_stack: false
    .vgpr_count:     0
    .vgpr_spill_count: 0
    .wavefront_size: 32
    .workgroup_processor_mode: 1
  - .args:
      - .offset:         0
        .size:           112
        .value_kind:     by_value
    .group_segment_fixed_size: 0
    .kernarg_segment_align: 8
    .kernarg_segment_size: 112
    .language:       OpenCL C
    .language_version:
      - 2
      - 0
    .max_flat_workgroup_size: 256
    .name:           _ZN7rocprim17ROCPRIM_400000_NS6detail17trampoline_kernelINS0_14default_configENS1_25partition_config_selectorILNS1_17partition_subalgoE6EtNS0_10empty_typeEbEEZZNS1_14partition_implILS5_6ELb0ES3_mN6thrust23THRUST_200600_302600_NS6detail15normal_iteratorINSA_10device_ptrItEEEEPS6_SG_NS0_5tupleIJSF_S6_EEENSH_IJSG_SG_EEES6_PlJ7is_evenItEEEE10hipError_tPvRmT3_T4_T5_T6_T7_T9_mT8_P12ihipStream_tbDpT10_ENKUlT_T0_E_clISt17integral_constantIbLb1EES15_IbLb0EEEEDaS11_S12_EUlS11_E_NS1_11comp_targetILNS1_3genE0ELNS1_11target_archE4294967295ELNS1_3gpuE0ELNS1_3repE0EEENS1_30default_config_static_selectorELNS0_4arch9wavefront6targetE0EEEvT1_
    .private_segment_fixed_size: 0
    .sgpr_count:     0
    .sgpr_spill_count: 0
    .symbol:         _ZN7rocprim17ROCPRIM_400000_NS6detail17trampoline_kernelINS0_14default_configENS1_25partition_config_selectorILNS1_17partition_subalgoE6EtNS0_10empty_typeEbEEZZNS1_14partition_implILS5_6ELb0ES3_mN6thrust23THRUST_200600_302600_NS6detail15normal_iteratorINSA_10device_ptrItEEEEPS6_SG_NS0_5tupleIJSF_S6_EEENSH_IJSG_SG_EEES6_PlJ7is_evenItEEEE10hipError_tPvRmT3_T4_T5_T6_T7_T9_mT8_P12ihipStream_tbDpT10_ENKUlT_T0_E_clISt17integral_constantIbLb1EES15_IbLb0EEEEDaS11_S12_EUlS11_E_NS1_11comp_targetILNS1_3genE0ELNS1_11target_archE4294967295ELNS1_3gpuE0ELNS1_3repE0EEENS1_30default_config_static_selectorELNS0_4arch9wavefront6targetE0EEEvT1_.kd
    .uniform_work_group_size: 1
    .uses_dynamic_stack: false
    .vgpr_count:     0
    .vgpr_spill_count: 0
    .wavefront_size: 32
    .workgroup_processor_mode: 1
  - .args:
      - .offset:         0
        .size:           112
        .value_kind:     by_value
    .group_segment_fixed_size: 0
    .kernarg_segment_align: 8
    .kernarg_segment_size: 112
    .language:       OpenCL C
    .language_version:
      - 2
      - 0
    .max_flat_workgroup_size: 512
    .name:           _ZN7rocprim17ROCPRIM_400000_NS6detail17trampoline_kernelINS0_14default_configENS1_25partition_config_selectorILNS1_17partition_subalgoE6EtNS0_10empty_typeEbEEZZNS1_14partition_implILS5_6ELb0ES3_mN6thrust23THRUST_200600_302600_NS6detail15normal_iteratorINSA_10device_ptrItEEEEPS6_SG_NS0_5tupleIJSF_S6_EEENSH_IJSG_SG_EEES6_PlJ7is_evenItEEEE10hipError_tPvRmT3_T4_T5_T6_T7_T9_mT8_P12ihipStream_tbDpT10_ENKUlT_T0_E_clISt17integral_constantIbLb1EES15_IbLb0EEEEDaS11_S12_EUlS11_E_NS1_11comp_targetILNS1_3genE5ELNS1_11target_archE942ELNS1_3gpuE9ELNS1_3repE0EEENS1_30default_config_static_selectorELNS0_4arch9wavefront6targetE0EEEvT1_
    .private_segment_fixed_size: 0
    .sgpr_count:     0
    .sgpr_spill_count: 0
    .symbol:         _ZN7rocprim17ROCPRIM_400000_NS6detail17trampoline_kernelINS0_14default_configENS1_25partition_config_selectorILNS1_17partition_subalgoE6EtNS0_10empty_typeEbEEZZNS1_14partition_implILS5_6ELb0ES3_mN6thrust23THRUST_200600_302600_NS6detail15normal_iteratorINSA_10device_ptrItEEEEPS6_SG_NS0_5tupleIJSF_S6_EEENSH_IJSG_SG_EEES6_PlJ7is_evenItEEEE10hipError_tPvRmT3_T4_T5_T6_T7_T9_mT8_P12ihipStream_tbDpT10_ENKUlT_T0_E_clISt17integral_constantIbLb1EES15_IbLb0EEEEDaS11_S12_EUlS11_E_NS1_11comp_targetILNS1_3genE5ELNS1_11target_archE942ELNS1_3gpuE9ELNS1_3repE0EEENS1_30default_config_static_selectorELNS0_4arch9wavefront6targetE0EEEvT1_.kd
    .uniform_work_group_size: 1
    .uses_dynamic_stack: false
    .vgpr_count:     0
    .vgpr_spill_count: 0
    .wavefront_size: 32
    .workgroup_processor_mode: 1
  - .args:
      - .offset:         0
        .size:           112
        .value_kind:     by_value
    .group_segment_fixed_size: 0
    .kernarg_segment_align: 8
    .kernarg_segment_size: 112
    .language:       OpenCL C
    .language_version:
      - 2
      - 0
    .max_flat_workgroup_size: 256
    .name:           _ZN7rocprim17ROCPRIM_400000_NS6detail17trampoline_kernelINS0_14default_configENS1_25partition_config_selectorILNS1_17partition_subalgoE6EtNS0_10empty_typeEbEEZZNS1_14partition_implILS5_6ELb0ES3_mN6thrust23THRUST_200600_302600_NS6detail15normal_iteratorINSA_10device_ptrItEEEEPS6_SG_NS0_5tupleIJSF_S6_EEENSH_IJSG_SG_EEES6_PlJ7is_evenItEEEE10hipError_tPvRmT3_T4_T5_T6_T7_T9_mT8_P12ihipStream_tbDpT10_ENKUlT_T0_E_clISt17integral_constantIbLb1EES15_IbLb0EEEEDaS11_S12_EUlS11_E_NS1_11comp_targetILNS1_3genE4ELNS1_11target_archE910ELNS1_3gpuE8ELNS1_3repE0EEENS1_30default_config_static_selectorELNS0_4arch9wavefront6targetE0EEEvT1_
    .private_segment_fixed_size: 0
    .sgpr_count:     0
    .sgpr_spill_count: 0
    .symbol:         _ZN7rocprim17ROCPRIM_400000_NS6detail17trampoline_kernelINS0_14default_configENS1_25partition_config_selectorILNS1_17partition_subalgoE6EtNS0_10empty_typeEbEEZZNS1_14partition_implILS5_6ELb0ES3_mN6thrust23THRUST_200600_302600_NS6detail15normal_iteratorINSA_10device_ptrItEEEEPS6_SG_NS0_5tupleIJSF_S6_EEENSH_IJSG_SG_EEES6_PlJ7is_evenItEEEE10hipError_tPvRmT3_T4_T5_T6_T7_T9_mT8_P12ihipStream_tbDpT10_ENKUlT_T0_E_clISt17integral_constantIbLb1EES15_IbLb0EEEEDaS11_S12_EUlS11_E_NS1_11comp_targetILNS1_3genE4ELNS1_11target_archE910ELNS1_3gpuE8ELNS1_3repE0EEENS1_30default_config_static_selectorELNS0_4arch9wavefront6targetE0EEEvT1_.kd
    .uniform_work_group_size: 1
    .uses_dynamic_stack: false
    .vgpr_count:     0
    .vgpr_spill_count: 0
    .wavefront_size: 32
    .workgroup_processor_mode: 1
  - .args:
      - .offset:         0
        .size:           112
        .value_kind:     by_value
    .group_segment_fixed_size: 0
    .kernarg_segment_align: 8
    .kernarg_segment_size: 112
    .language:       OpenCL C
    .language_version:
      - 2
      - 0
    .max_flat_workgroup_size: 256
    .name:           _ZN7rocprim17ROCPRIM_400000_NS6detail17trampoline_kernelINS0_14default_configENS1_25partition_config_selectorILNS1_17partition_subalgoE6EtNS0_10empty_typeEbEEZZNS1_14partition_implILS5_6ELb0ES3_mN6thrust23THRUST_200600_302600_NS6detail15normal_iteratorINSA_10device_ptrItEEEEPS6_SG_NS0_5tupleIJSF_S6_EEENSH_IJSG_SG_EEES6_PlJ7is_evenItEEEE10hipError_tPvRmT3_T4_T5_T6_T7_T9_mT8_P12ihipStream_tbDpT10_ENKUlT_T0_E_clISt17integral_constantIbLb1EES15_IbLb0EEEEDaS11_S12_EUlS11_E_NS1_11comp_targetILNS1_3genE3ELNS1_11target_archE908ELNS1_3gpuE7ELNS1_3repE0EEENS1_30default_config_static_selectorELNS0_4arch9wavefront6targetE0EEEvT1_
    .private_segment_fixed_size: 0
    .sgpr_count:     0
    .sgpr_spill_count: 0
    .symbol:         _ZN7rocprim17ROCPRIM_400000_NS6detail17trampoline_kernelINS0_14default_configENS1_25partition_config_selectorILNS1_17partition_subalgoE6EtNS0_10empty_typeEbEEZZNS1_14partition_implILS5_6ELb0ES3_mN6thrust23THRUST_200600_302600_NS6detail15normal_iteratorINSA_10device_ptrItEEEEPS6_SG_NS0_5tupleIJSF_S6_EEENSH_IJSG_SG_EEES6_PlJ7is_evenItEEEE10hipError_tPvRmT3_T4_T5_T6_T7_T9_mT8_P12ihipStream_tbDpT10_ENKUlT_T0_E_clISt17integral_constantIbLb1EES15_IbLb0EEEEDaS11_S12_EUlS11_E_NS1_11comp_targetILNS1_3genE3ELNS1_11target_archE908ELNS1_3gpuE7ELNS1_3repE0EEENS1_30default_config_static_selectorELNS0_4arch9wavefront6targetE0EEEvT1_.kd
    .uniform_work_group_size: 1
    .uses_dynamic_stack: false
    .vgpr_count:     0
    .vgpr_spill_count: 0
    .wavefront_size: 32
    .workgroup_processor_mode: 1
  - .args:
      - .offset:         0
        .size:           112
        .value_kind:     by_value
    .group_segment_fixed_size: 0
    .kernarg_segment_align: 8
    .kernarg_segment_size: 112
    .language:       OpenCL C
    .language_version:
      - 2
      - 0
    .max_flat_workgroup_size: 256
    .name:           _ZN7rocprim17ROCPRIM_400000_NS6detail17trampoline_kernelINS0_14default_configENS1_25partition_config_selectorILNS1_17partition_subalgoE6EtNS0_10empty_typeEbEEZZNS1_14partition_implILS5_6ELb0ES3_mN6thrust23THRUST_200600_302600_NS6detail15normal_iteratorINSA_10device_ptrItEEEEPS6_SG_NS0_5tupleIJSF_S6_EEENSH_IJSG_SG_EEES6_PlJ7is_evenItEEEE10hipError_tPvRmT3_T4_T5_T6_T7_T9_mT8_P12ihipStream_tbDpT10_ENKUlT_T0_E_clISt17integral_constantIbLb1EES15_IbLb0EEEEDaS11_S12_EUlS11_E_NS1_11comp_targetILNS1_3genE2ELNS1_11target_archE906ELNS1_3gpuE6ELNS1_3repE0EEENS1_30default_config_static_selectorELNS0_4arch9wavefront6targetE0EEEvT1_
    .private_segment_fixed_size: 0
    .sgpr_count:     0
    .sgpr_spill_count: 0
    .symbol:         _ZN7rocprim17ROCPRIM_400000_NS6detail17trampoline_kernelINS0_14default_configENS1_25partition_config_selectorILNS1_17partition_subalgoE6EtNS0_10empty_typeEbEEZZNS1_14partition_implILS5_6ELb0ES3_mN6thrust23THRUST_200600_302600_NS6detail15normal_iteratorINSA_10device_ptrItEEEEPS6_SG_NS0_5tupleIJSF_S6_EEENSH_IJSG_SG_EEES6_PlJ7is_evenItEEEE10hipError_tPvRmT3_T4_T5_T6_T7_T9_mT8_P12ihipStream_tbDpT10_ENKUlT_T0_E_clISt17integral_constantIbLb1EES15_IbLb0EEEEDaS11_S12_EUlS11_E_NS1_11comp_targetILNS1_3genE2ELNS1_11target_archE906ELNS1_3gpuE6ELNS1_3repE0EEENS1_30default_config_static_selectorELNS0_4arch9wavefront6targetE0EEEvT1_.kd
    .uniform_work_group_size: 1
    .uses_dynamic_stack: false
    .vgpr_count:     0
    .vgpr_spill_count: 0
    .wavefront_size: 32
    .workgroup_processor_mode: 1
  - .args:
      - .offset:         0
        .size:           112
        .value_kind:     by_value
    .group_segment_fixed_size: 0
    .kernarg_segment_align: 8
    .kernarg_segment_size: 112
    .language:       OpenCL C
    .language_version:
      - 2
      - 0
    .max_flat_workgroup_size: 384
    .name:           _ZN7rocprim17ROCPRIM_400000_NS6detail17trampoline_kernelINS0_14default_configENS1_25partition_config_selectorILNS1_17partition_subalgoE6EtNS0_10empty_typeEbEEZZNS1_14partition_implILS5_6ELb0ES3_mN6thrust23THRUST_200600_302600_NS6detail15normal_iteratorINSA_10device_ptrItEEEEPS6_SG_NS0_5tupleIJSF_S6_EEENSH_IJSG_SG_EEES6_PlJ7is_evenItEEEE10hipError_tPvRmT3_T4_T5_T6_T7_T9_mT8_P12ihipStream_tbDpT10_ENKUlT_T0_E_clISt17integral_constantIbLb1EES15_IbLb0EEEEDaS11_S12_EUlS11_E_NS1_11comp_targetILNS1_3genE10ELNS1_11target_archE1200ELNS1_3gpuE4ELNS1_3repE0EEENS1_30default_config_static_selectorELNS0_4arch9wavefront6targetE0EEEvT1_
    .private_segment_fixed_size: 0
    .sgpr_count:     0
    .sgpr_spill_count: 0
    .symbol:         _ZN7rocprim17ROCPRIM_400000_NS6detail17trampoline_kernelINS0_14default_configENS1_25partition_config_selectorILNS1_17partition_subalgoE6EtNS0_10empty_typeEbEEZZNS1_14partition_implILS5_6ELb0ES3_mN6thrust23THRUST_200600_302600_NS6detail15normal_iteratorINSA_10device_ptrItEEEEPS6_SG_NS0_5tupleIJSF_S6_EEENSH_IJSG_SG_EEES6_PlJ7is_evenItEEEE10hipError_tPvRmT3_T4_T5_T6_T7_T9_mT8_P12ihipStream_tbDpT10_ENKUlT_T0_E_clISt17integral_constantIbLb1EES15_IbLb0EEEEDaS11_S12_EUlS11_E_NS1_11comp_targetILNS1_3genE10ELNS1_11target_archE1200ELNS1_3gpuE4ELNS1_3repE0EEENS1_30default_config_static_selectorELNS0_4arch9wavefront6targetE0EEEvT1_.kd
    .uniform_work_group_size: 1
    .uses_dynamic_stack: false
    .vgpr_count:     0
    .vgpr_spill_count: 0
    .wavefront_size: 32
    .workgroup_processor_mode: 1
  - .args:
      - .offset:         0
        .size:           112
        .value_kind:     by_value
    .group_segment_fixed_size: 7696
    .kernarg_segment_align: 8
    .kernarg_segment_size: 112
    .language:       OpenCL C
    .language_version:
      - 2
      - 0
    .max_flat_workgroup_size: 128
    .name:           _ZN7rocprim17ROCPRIM_400000_NS6detail17trampoline_kernelINS0_14default_configENS1_25partition_config_selectorILNS1_17partition_subalgoE6EtNS0_10empty_typeEbEEZZNS1_14partition_implILS5_6ELb0ES3_mN6thrust23THRUST_200600_302600_NS6detail15normal_iteratorINSA_10device_ptrItEEEEPS6_SG_NS0_5tupleIJSF_S6_EEENSH_IJSG_SG_EEES6_PlJ7is_evenItEEEE10hipError_tPvRmT3_T4_T5_T6_T7_T9_mT8_P12ihipStream_tbDpT10_ENKUlT_T0_E_clISt17integral_constantIbLb1EES15_IbLb0EEEEDaS11_S12_EUlS11_E_NS1_11comp_targetILNS1_3genE9ELNS1_11target_archE1100ELNS1_3gpuE3ELNS1_3repE0EEENS1_30default_config_static_selectorELNS0_4arch9wavefront6targetE0EEEvT1_
    .private_segment_fixed_size: 0
    .sgpr_count:     21
    .sgpr_spill_count: 0
    .symbol:         _ZN7rocprim17ROCPRIM_400000_NS6detail17trampoline_kernelINS0_14default_configENS1_25partition_config_selectorILNS1_17partition_subalgoE6EtNS0_10empty_typeEbEEZZNS1_14partition_implILS5_6ELb0ES3_mN6thrust23THRUST_200600_302600_NS6detail15normal_iteratorINSA_10device_ptrItEEEEPS6_SG_NS0_5tupleIJSF_S6_EEENSH_IJSG_SG_EEES6_PlJ7is_evenItEEEE10hipError_tPvRmT3_T4_T5_T6_T7_T9_mT8_P12ihipStream_tbDpT10_ENKUlT_T0_E_clISt17integral_constantIbLb1EES15_IbLb0EEEEDaS11_S12_EUlS11_E_NS1_11comp_targetILNS1_3genE9ELNS1_11target_archE1100ELNS1_3gpuE3ELNS1_3repE0EEENS1_30default_config_static_selectorELNS0_4arch9wavefront6targetE0EEEvT1_.kd
    .uniform_work_group_size: 1
    .uses_dynamic_stack: false
    .vgpr_count:     131
    .vgpr_spill_count: 0
    .wavefront_size: 32
    .workgroup_processor_mode: 1
  - .args:
      - .offset:         0
        .size:           112
        .value_kind:     by_value
    .group_segment_fixed_size: 0
    .kernarg_segment_align: 8
    .kernarg_segment_size: 112
    .language:       OpenCL C
    .language_version:
      - 2
      - 0
    .max_flat_workgroup_size: 256
    .name:           _ZN7rocprim17ROCPRIM_400000_NS6detail17trampoline_kernelINS0_14default_configENS1_25partition_config_selectorILNS1_17partition_subalgoE6EtNS0_10empty_typeEbEEZZNS1_14partition_implILS5_6ELb0ES3_mN6thrust23THRUST_200600_302600_NS6detail15normal_iteratorINSA_10device_ptrItEEEEPS6_SG_NS0_5tupleIJSF_S6_EEENSH_IJSG_SG_EEES6_PlJ7is_evenItEEEE10hipError_tPvRmT3_T4_T5_T6_T7_T9_mT8_P12ihipStream_tbDpT10_ENKUlT_T0_E_clISt17integral_constantIbLb1EES15_IbLb0EEEEDaS11_S12_EUlS11_E_NS1_11comp_targetILNS1_3genE8ELNS1_11target_archE1030ELNS1_3gpuE2ELNS1_3repE0EEENS1_30default_config_static_selectorELNS0_4arch9wavefront6targetE0EEEvT1_
    .private_segment_fixed_size: 0
    .sgpr_count:     0
    .sgpr_spill_count: 0
    .symbol:         _ZN7rocprim17ROCPRIM_400000_NS6detail17trampoline_kernelINS0_14default_configENS1_25partition_config_selectorILNS1_17partition_subalgoE6EtNS0_10empty_typeEbEEZZNS1_14partition_implILS5_6ELb0ES3_mN6thrust23THRUST_200600_302600_NS6detail15normal_iteratorINSA_10device_ptrItEEEEPS6_SG_NS0_5tupleIJSF_S6_EEENSH_IJSG_SG_EEES6_PlJ7is_evenItEEEE10hipError_tPvRmT3_T4_T5_T6_T7_T9_mT8_P12ihipStream_tbDpT10_ENKUlT_T0_E_clISt17integral_constantIbLb1EES15_IbLb0EEEEDaS11_S12_EUlS11_E_NS1_11comp_targetILNS1_3genE8ELNS1_11target_archE1030ELNS1_3gpuE2ELNS1_3repE0EEENS1_30default_config_static_selectorELNS0_4arch9wavefront6targetE0EEEvT1_.kd
    .uniform_work_group_size: 1
    .uses_dynamic_stack: false
    .vgpr_count:     0
    .vgpr_spill_count: 0
    .wavefront_size: 32
    .workgroup_processor_mode: 1
  - .args:
      - .offset:         0
        .size:           128
        .value_kind:     by_value
    .group_segment_fixed_size: 0
    .kernarg_segment_align: 8
    .kernarg_segment_size: 128
    .language:       OpenCL C
    .language_version:
      - 2
      - 0
    .max_flat_workgroup_size: 256
    .name:           _ZN7rocprim17ROCPRIM_400000_NS6detail17trampoline_kernelINS0_14default_configENS1_25partition_config_selectorILNS1_17partition_subalgoE6EtNS0_10empty_typeEbEEZZNS1_14partition_implILS5_6ELb0ES3_mN6thrust23THRUST_200600_302600_NS6detail15normal_iteratorINSA_10device_ptrItEEEEPS6_SG_NS0_5tupleIJSF_S6_EEENSH_IJSG_SG_EEES6_PlJ7is_evenItEEEE10hipError_tPvRmT3_T4_T5_T6_T7_T9_mT8_P12ihipStream_tbDpT10_ENKUlT_T0_E_clISt17integral_constantIbLb0EES15_IbLb1EEEEDaS11_S12_EUlS11_E_NS1_11comp_targetILNS1_3genE0ELNS1_11target_archE4294967295ELNS1_3gpuE0ELNS1_3repE0EEENS1_30default_config_static_selectorELNS0_4arch9wavefront6targetE0EEEvT1_
    .private_segment_fixed_size: 0
    .sgpr_count:     0
    .sgpr_spill_count: 0
    .symbol:         _ZN7rocprim17ROCPRIM_400000_NS6detail17trampoline_kernelINS0_14default_configENS1_25partition_config_selectorILNS1_17partition_subalgoE6EtNS0_10empty_typeEbEEZZNS1_14partition_implILS5_6ELb0ES3_mN6thrust23THRUST_200600_302600_NS6detail15normal_iteratorINSA_10device_ptrItEEEEPS6_SG_NS0_5tupleIJSF_S6_EEENSH_IJSG_SG_EEES6_PlJ7is_evenItEEEE10hipError_tPvRmT3_T4_T5_T6_T7_T9_mT8_P12ihipStream_tbDpT10_ENKUlT_T0_E_clISt17integral_constantIbLb0EES15_IbLb1EEEEDaS11_S12_EUlS11_E_NS1_11comp_targetILNS1_3genE0ELNS1_11target_archE4294967295ELNS1_3gpuE0ELNS1_3repE0EEENS1_30default_config_static_selectorELNS0_4arch9wavefront6targetE0EEEvT1_.kd
    .uniform_work_group_size: 1
    .uses_dynamic_stack: false
    .vgpr_count:     0
    .vgpr_spill_count: 0
    .wavefront_size: 32
    .workgroup_processor_mode: 1
  - .args:
      - .offset:         0
        .size:           128
        .value_kind:     by_value
    .group_segment_fixed_size: 0
    .kernarg_segment_align: 8
    .kernarg_segment_size: 128
    .language:       OpenCL C
    .language_version:
      - 2
      - 0
    .max_flat_workgroup_size: 512
    .name:           _ZN7rocprim17ROCPRIM_400000_NS6detail17trampoline_kernelINS0_14default_configENS1_25partition_config_selectorILNS1_17partition_subalgoE6EtNS0_10empty_typeEbEEZZNS1_14partition_implILS5_6ELb0ES3_mN6thrust23THRUST_200600_302600_NS6detail15normal_iteratorINSA_10device_ptrItEEEEPS6_SG_NS0_5tupleIJSF_S6_EEENSH_IJSG_SG_EEES6_PlJ7is_evenItEEEE10hipError_tPvRmT3_T4_T5_T6_T7_T9_mT8_P12ihipStream_tbDpT10_ENKUlT_T0_E_clISt17integral_constantIbLb0EES15_IbLb1EEEEDaS11_S12_EUlS11_E_NS1_11comp_targetILNS1_3genE5ELNS1_11target_archE942ELNS1_3gpuE9ELNS1_3repE0EEENS1_30default_config_static_selectorELNS0_4arch9wavefront6targetE0EEEvT1_
    .private_segment_fixed_size: 0
    .sgpr_count:     0
    .sgpr_spill_count: 0
    .symbol:         _ZN7rocprim17ROCPRIM_400000_NS6detail17trampoline_kernelINS0_14default_configENS1_25partition_config_selectorILNS1_17partition_subalgoE6EtNS0_10empty_typeEbEEZZNS1_14partition_implILS5_6ELb0ES3_mN6thrust23THRUST_200600_302600_NS6detail15normal_iteratorINSA_10device_ptrItEEEEPS6_SG_NS0_5tupleIJSF_S6_EEENSH_IJSG_SG_EEES6_PlJ7is_evenItEEEE10hipError_tPvRmT3_T4_T5_T6_T7_T9_mT8_P12ihipStream_tbDpT10_ENKUlT_T0_E_clISt17integral_constantIbLb0EES15_IbLb1EEEEDaS11_S12_EUlS11_E_NS1_11comp_targetILNS1_3genE5ELNS1_11target_archE942ELNS1_3gpuE9ELNS1_3repE0EEENS1_30default_config_static_selectorELNS0_4arch9wavefront6targetE0EEEvT1_.kd
    .uniform_work_group_size: 1
    .uses_dynamic_stack: false
    .vgpr_count:     0
    .vgpr_spill_count: 0
    .wavefront_size: 32
    .workgroup_processor_mode: 1
  - .args:
      - .offset:         0
        .size:           128
        .value_kind:     by_value
    .group_segment_fixed_size: 0
    .kernarg_segment_align: 8
    .kernarg_segment_size: 128
    .language:       OpenCL C
    .language_version:
      - 2
      - 0
    .max_flat_workgroup_size: 256
    .name:           _ZN7rocprim17ROCPRIM_400000_NS6detail17trampoline_kernelINS0_14default_configENS1_25partition_config_selectorILNS1_17partition_subalgoE6EtNS0_10empty_typeEbEEZZNS1_14partition_implILS5_6ELb0ES3_mN6thrust23THRUST_200600_302600_NS6detail15normal_iteratorINSA_10device_ptrItEEEEPS6_SG_NS0_5tupleIJSF_S6_EEENSH_IJSG_SG_EEES6_PlJ7is_evenItEEEE10hipError_tPvRmT3_T4_T5_T6_T7_T9_mT8_P12ihipStream_tbDpT10_ENKUlT_T0_E_clISt17integral_constantIbLb0EES15_IbLb1EEEEDaS11_S12_EUlS11_E_NS1_11comp_targetILNS1_3genE4ELNS1_11target_archE910ELNS1_3gpuE8ELNS1_3repE0EEENS1_30default_config_static_selectorELNS0_4arch9wavefront6targetE0EEEvT1_
    .private_segment_fixed_size: 0
    .sgpr_count:     0
    .sgpr_spill_count: 0
    .symbol:         _ZN7rocprim17ROCPRIM_400000_NS6detail17trampoline_kernelINS0_14default_configENS1_25partition_config_selectorILNS1_17partition_subalgoE6EtNS0_10empty_typeEbEEZZNS1_14partition_implILS5_6ELb0ES3_mN6thrust23THRUST_200600_302600_NS6detail15normal_iteratorINSA_10device_ptrItEEEEPS6_SG_NS0_5tupleIJSF_S6_EEENSH_IJSG_SG_EEES6_PlJ7is_evenItEEEE10hipError_tPvRmT3_T4_T5_T6_T7_T9_mT8_P12ihipStream_tbDpT10_ENKUlT_T0_E_clISt17integral_constantIbLb0EES15_IbLb1EEEEDaS11_S12_EUlS11_E_NS1_11comp_targetILNS1_3genE4ELNS1_11target_archE910ELNS1_3gpuE8ELNS1_3repE0EEENS1_30default_config_static_selectorELNS0_4arch9wavefront6targetE0EEEvT1_.kd
    .uniform_work_group_size: 1
    .uses_dynamic_stack: false
    .vgpr_count:     0
    .vgpr_spill_count: 0
    .wavefront_size: 32
    .workgroup_processor_mode: 1
  - .args:
      - .offset:         0
        .size:           128
        .value_kind:     by_value
    .group_segment_fixed_size: 0
    .kernarg_segment_align: 8
    .kernarg_segment_size: 128
    .language:       OpenCL C
    .language_version:
      - 2
      - 0
    .max_flat_workgroup_size: 256
    .name:           _ZN7rocprim17ROCPRIM_400000_NS6detail17trampoline_kernelINS0_14default_configENS1_25partition_config_selectorILNS1_17partition_subalgoE6EtNS0_10empty_typeEbEEZZNS1_14partition_implILS5_6ELb0ES3_mN6thrust23THRUST_200600_302600_NS6detail15normal_iteratorINSA_10device_ptrItEEEEPS6_SG_NS0_5tupleIJSF_S6_EEENSH_IJSG_SG_EEES6_PlJ7is_evenItEEEE10hipError_tPvRmT3_T4_T5_T6_T7_T9_mT8_P12ihipStream_tbDpT10_ENKUlT_T0_E_clISt17integral_constantIbLb0EES15_IbLb1EEEEDaS11_S12_EUlS11_E_NS1_11comp_targetILNS1_3genE3ELNS1_11target_archE908ELNS1_3gpuE7ELNS1_3repE0EEENS1_30default_config_static_selectorELNS0_4arch9wavefront6targetE0EEEvT1_
    .private_segment_fixed_size: 0
    .sgpr_count:     0
    .sgpr_spill_count: 0
    .symbol:         _ZN7rocprim17ROCPRIM_400000_NS6detail17trampoline_kernelINS0_14default_configENS1_25partition_config_selectorILNS1_17partition_subalgoE6EtNS0_10empty_typeEbEEZZNS1_14partition_implILS5_6ELb0ES3_mN6thrust23THRUST_200600_302600_NS6detail15normal_iteratorINSA_10device_ptrItEEEEPS6_SG_NS0_5tupleIJSF_S6_EEENSH_IJSG_SG_EEES6_PlJ7is_evenItEEEE10hipError_tPvRmT3_T4_T5_T6_T7_T9_mT8_P12ihipStream_tbDpT10_ENKUlT_T0_E_clISt17integral_constantIbLb0EES15_IbLb1EEEEDaS11_S12_EUlS11_E_NS1_11comp_targetILNS1_3genE3ELNS1_11target_archE908ELNS1_3gpuE7ELNS1_3repE0EEENS1_30default_config_static_selectorELNS0_4arch9wavefront6targetE0EEEvT1_.kd
    .uniform_work_group_size: 1
    .uses_dynamic_stack: false
    .vgpr_count:     0
    .vgpr_spill_count: 0
    .wavefront_size: 32
    .workgroup_processor_mode: 1
  - .args:
      - .offset:         0
        .size:           128
        .value_kind:     by_value
    .group_segment_fixed_size: 0
    .kernarg_segment_align: 8
    .kernarg_segment_size: 128
    .language:       OpenCL C
    .language_version:
      - 2
      - 0
    .max_flat_workgroup_size: 256
    .name:           _ZN7rocprim17ROCPRIM_400000_NS6detail17trampoline_kernelINS0_14default_configENS1_25partition_config_selectorILNS1_17partition_subalgoE6EtNS0_10empty_typeEbEEZZNS1_14partition_implILS5_6ELb0ES3_mN6thrust23THRUST_200600_302600_NS6detail15normal_iteratorINSA_10device_ptrItEEEEPS6_SG_NS0_5tupleIJSF_S6_EEENSH_IJSG_SG_EEES6_PlJ7is_evenItEEEE10hipError_tPvRmT3_T4_T5_T6_T7_T9_mT8_P12ihipStream_tbDpT10_ENKUlT_T0_E_clISt17integral_constantIbLb0EES15_IbLb1EEEEDaS11_S12_EUlS11_E_NS1_11comp_targetILNS1_3genE2ELNS1_11target_archE906ELNS1_3gpuE6ELNS1_3repE0EEENS1_30default_config_static_selectorELNS0_4arch9wavefront6targetE0EEEvT1_
    .private_segment_fixed_size: 0
    .sgpr_count:     0
    .sgpr_spill_count: 0
    .symbol:         _ZN7rocprim17ROCPRIM_400000_NS6detail17trampoline_kernelINS0_14default_configENS1_25partition_config_selectorILNS1_17partition_subalgoE6EtNS0_10empty_typeEbEEZZNS1_14partition_implILS5_6ELb0ES3_mN6thrust23THRUST_200600_302600_NS6detail15normal_iteratorINSA_10device_ptrItEEEEPS6_SG_NS0_5tupleIJSF_S6_EEENSH_IJSG_SG_EEES6_PlJ7is_evenItEEEE10hipError_tPvRmT3_T4_T5_T6_T7_T9_mT8_P12ihipStream_tbDpT10_ENKUlT_T0_E_clISt17integral_constantIbLb0EES15_IbLb1EEEEDaS11_S12_EUlS11_E_NS1_11comp_targetILNS1_3genE2ELNS1_11target_archE906ELNS1_3gpuE6ELNS1_3repE0EEENS1_30default_config_static_selectorELNS0_4arch9wavefront6targetE0EEEvT1_.kd
    .uniform_work_group_size: 1
    .uses_dynamic_stack: false
    .vgpr_count:     0
    .vgpr_spill_count: 0
    .wavefront_size: 32
    .workgroup_processor_mode: 1
  - .args:
      - .offset:         0
        .size:           128
        .value_kind:     by_value
    .group_segment_fixed_size: 0
    .kernarg_segment_align: 8
    .kernarg_segment_size: 128
    .language:       OpenCL C
    .language_version:
      - 2
      - 0
    .max_flat_workgroup_size: 384
    .name:           _ZN7rocprim17ROCPRIM_400000_NS6detail17trampoline_kernelINS0_14default_configENS1_25partition_config_selectorILNS1_17partition_subalgoE6EtNS0_10empty_typeEbEEZZNS1_14partition_implILS5_6ELb0ES3_mN6thrust23THRUST_200600_302600_NS6detail15normal_iteratorINSA_10device_ptrItEEEEPS6_SG_NS0_5tupleIJSF_S6_EEENSH_IJSG_SG_EEES6_PlJ7is_evenItEEEE10hipError_tPvRmT3_T4_T5_T6_T7_T9_mT8_P12ihipStream_tbDpT10_ENKUlT_T0_E_clISt17integral_constantIbLb0EES15_IbLb1EEEEDaS11_S12_EUlS11_E_NS1_11comp_targetILNS1_3genE10ELNS1_11target_archE1200ELNS1_3gpuE4ELNS1_3repE0EEENS1_30default_config_static_selectorELNS0_4arch9wavefront6targetE0EEEvT1_
    .private_segment_fixed_size: 0
    .sgpr_count:     0
    .sgpr_spill_count: 0
    .symbol:         _ZN7rocprim17ROCPRIM_400000_NS6detail17trampoline_kernelINS0_14default_configENS1_25partition_config_selectorILNS1_17partition_subalgoE6EtNS0_10empty_typeEbEEZZNS1_14partition_implILS5_6ELb0ES3_mN6thrust23THRUST_200600_302600_NS6detail15normal_iteratorINSA_10device_ptrItEEEEPS6_SG_NS0_5tupleIJSF_S6_EEENSH_IJSG_SG_EEES6_PlJ7is_evenItEEEE10hipError_tPvRmT3_T4_T5_T6_T7_T9_mT8_P12ihipStream_tbDpT10_ENKUlT_T0_E_clISt17integral_constantIbLb0EES15_IbLb1EEEEDaS11_S12_EUlS11_E_NS1_11comp_targetILNS1_3genE10ELNS1_11target_archE1200ELNS1_3gpuE4ELNS1_3repE0EEENS1_30default_config_static_selectorELNS0_4arch9wavefront6targetE0EEEvT1_.kd
    .uniform_work_group_size: 1
    .uses_dynamic_stack: false
    .vgpr_count:     0
    .vgpr_spill_count: 0
    .wavefront_size: 32
    .workgroup_processor_mode: 1
  - .args:
      - .offset:         0
        .size:           128
        .value_kind:     by_value
    .group_segment_fixed_size: 7696
    .kernarg_segment_align: 8
    .kernarg_segment_size: 128
    .language:       OpenCL C
    .language_version:
      - 2
      - 0
    .max_flat_workgroup_size: 128
    .name:           _ZN7rocprim17ROCPRIM_400000_NS6detail17trampoline_kernelINS0_14default_configENS1_25partition_config_selectorILNS1_17partition_subalgoE6EtNS0_10empty_typeEbEEZZNS1_14partition_implILS5_6ELb0ES3_mN6thrust23THRUST_200600_302600_NS6detail15normal_iteratorINSA_10device_ptrItEEEEPS6_SG_NS0_5tupleIJSF_S6_EEENSH_IJSG_SG_EEES6_PlJ7is_evenItEEEE10hipError_tPvRmT3_T4_T5_T6_T7_T9_mT8_P12ihipStream_tbDpT10_ENKUlT_T0_E_clISt17integral_constantIbLb0EES15_IbLb1EEEEDaS11_S12_EUlS11_E_NS1_11comp_targetILNS1_3genE9ELNS1_11target_archE1100ELNS1_3gpuE3ELNS1_3repE0EEENS1_30default_config_static_selectorELNS0_4arch9wavefront6targetE0EEEvT1_
    .private_segment_fixed_size: 0
    .sgpr_count:     20
    .sgpr_spill_count: 0
    .symbol:         _ZN7rocprim17ROCPRIM_400000_NS6detail17trampoline_kernelINS0_14default_configENS1_25partition_config_selectorILNS1_17partition_subalgoE6EtNS0_10empty_typeEbEEZZNS1_14partition_implILS5_6ELb0ES3_mN6thrust23THRUST_200600_302600_NS6detail15normal_iteratorINSA_10device_ptrItEEEEPS6_SG_NS0_5tupleIJSF_S6_EEENSH_IJSG_SG_EEES6_PlJ7is_evenItEEEE10hipError_tPvRmT3_T4_T5_T6_T7_T9_mT8_P12ihipStream_tbDpT10_ENKUlT_T0_E_clISt17integral_constantIbLb0EES15_IbLb1EEEEDaS11_S12_EUlS11_E_NS1_11comp_targetILNS1_3genE9ELNS1_11target_archE1100ELNS1_3gpuE3ELNS1_3repE0EEENS1_30default_config_static_selectorELNS0_4arch9wavefront6targetE0EEEvT1_.kd
    .uniform_work_group_size: 1
    .uses_dynamic_stack: false
    .vgpr_count:     134
    .vgpr_spill_count: 0
    .wavefront_size: 32
    .workgroup_processor_mode: 1
  - .args:
      - .offset:         0
        .size:           128
        .value_kind:     by_value
    .group_segment_fixed_size: 0
    .kernarg_segment_align: 8
    .kernarg_segment_size: 128
    .language:       OpenCL C
    .language_version:
      - 2
      - 0
    .max_flat_workgroup_size: 256
    .name:           _ZN7rocprim17ROCPRIM_400000_NS6detail17trampoline_kernelINS0_14default_configENS1_25partition_config_selectorILNS1_17partition_subalgoE6EtNS0_10empty_typeEbEEZZNS1_14partition_implILS5_6ELb0ES3_mN6thrust23THRUST_200600_302600_NS6detail15normal_iteratorINSA_10device_ptrItEEEEPS6_SG_NS0_5tupleIJSF_S6_EEENSH_IJSG_SG_EEES6_PlJ7is_evenItEEEE10hipError_tPvRmT3_T4_T5_T6_T7_T9_mT8_P12ihipStream_tbDpT10_ENKUlT_T0_E_clISt17integral_constantIbLb0EES15_IbLb1EEEEDaS11_S12_EUlS11_E_NS1_11comp_targetILNS1_3genE8ELNS1_11target_archE1030ELNS1_3gpuE2ELNS1_3repE0EEENS1_30default_config_static_selectorELNS0_4arch9wavefront6targetE0EEEvT1_
    .private_segment_fixed_size: 0
    .sgpr_count:     0
    .sgpr_spill_count: 0
    .symbol:         _ZN7rocprim17ROCPRIM_400000_NS6detail17trampoline_kernelINS0_14default_configENS1_25partition_config_selectorILNS1_17partition_subalgoE6EtNS0_10empty_typeEbEEZZNS1_14partition_implILS5_6ELb0ES3_mN6thrust23THRUST_200600_302600_NS6detail15normal_iteratorINSA_10device_ptrItEEEEPS6_SG_NS0_5tupleIJSF_S6_EEENSH_IJSG_SG_EEES6_PlJ7is_evenItEEEE10hipError_tPvRmT3_T4_T5_T6_T7_T9_mT8_P12ihipStream_tbDpT10_ENKUlT_T0_E_clISt17integral_constantIbLb0EES15_IbLb1EEEEDaS11_S12_EUlS11_E_NS1_11comp_targetILNS1_3genE8ELNS1_11target_archE1030ELNS1_3gpuE2ELNS1_3repE0EEENS1_30default_config_static_selectorELNS0_4arch9wavefront6targetE0EEEvT1_.kd
    .uniform_work_group_size: 1
    .uses_dynamic_stack: false
    .vgpr_count:     0
    .vgpr_spill_count: 0
    .wavefront_size: 32
    .workgroup_processor_mode: 1
  - .args:
      - .offset:         0
        .size:           112
        .value_kind:     by_value
    .group_segment_fixed_size: 0
    .kernarg_segment_align: 8
    .kernarg_segment_size: 112
    .language:       OpenCL C
    .language_version:
      - 2
      - 0
    .max_flat_workgroup_size: 128
    .name:           _ZN7rocprim17ROCPRIM_400000_NS6detail17trampoline_kernelINS0_14default_configENS1_25partition_config_selectorILNS1_17partition_subalgoE6ExNS0_10empty_typeEbEEZZNS1_14partition_implILS5_6ELb0ES3_mN6thrust23THRUST_200600_302600_NS6detail15normal_iteratorINSA_10device_ptrIxEEEEPS6_SG_NS0_5tupleIJSF_S6_EEENSH_IJSG_SG_EEES6_PlJ7is_evenIxEEEE10hipError_tPvRmT3_T4_T5_T6_T7_T9_mT8_P12ihipStream_tbDpT10_ENKUlT_T0_E_clISt17integral_constantIbLb0EES16_EEDaS11_S12_EUlS11_E_NS1_11comp_targetILNS1_3genE0ELNS1_11target_archE4294967295ELNS1_3gpuE0ELNS1_3repE0EEENS1_30default_config_static_selectorELNS0_4arch9wavefront6targetE0EEEvT1_
    .private_segment_fixed_size: 0
    .sgpr_count:     0
    .sgpr_spill_count: 0
    .symbol:         _ZN7rocprim17ROCPRIM_400000_NS6detail17trampoline_kernelINS0_14default_configENS1_25partition_config_selectorILNS1_17partition_subalgoE6ExNS0_10empty_typeEbEEZZNS1_14partition_implILS5_6ELb0ES3_mN6thrust23THRUST_200600_302600_NS6detail15normal_iteratorINSA_10device_ptrIxEEEEPS6_SG_NS0_5tupleIJSF_S6_EEENSH_IJSG_SG_EEES6_PlJ7is_evenIxEEEE10hipError_tPvRmT3_T4_T5_T6_T7_T9_mT8_P12ihipStream_tbDpT10_ENKUlT_T0_E_clISt17integral_constantIbLb0EES16_EEDaS11_S12_EUlS11_E_NS1_11comp_targetILNS1_3genE0ELNS1_11target_archE4294967295ELNS1_3gpuE0ELNS1_3repE0EEENS1_30default_config_static_selectorELNS0_4arch9wavefront6targetE0EEEvT1_.kd
    .uniform_work_group_size: 1
    .uses_dynamic_stack: false
    .vgpr_count:     0
    .vgpr_spill_count: 0
    .wavefront_size: 32
    .workgroup_processor_mode: 1
  - .args:
      - .offset:         0
        .size:           112
        .value_kind:     by_value
    .group_segment_fixed_size: 0
    .kernarg_segment_align: 8
    .kernarg_segment_size: 112
    .language:       OpenCL C
    .language_version:
      - 2
      - 0
    .max_flat_workgroup_size: 512
    .name:           _ZN7rocprim17ROCPRIM_400000_NS6detail17trampoline_kernelINS0_14default_configENS1_25partition_config_selectorILNS1_17partition_subalgoE6ExNS0_10empty_typeEbEEZZNS1_14partition_implILS5_6ELb0ES3_mN6thrust23THRUST_200600_302600_NS6detail15normal_iteratorINSA_10device_ptrIxEEEEPS6_SG_NS0_5tupleIJSF_S6_EEENSH_IJSG_SG_EEES6_PlJ7is_evenIxEEEE10hipError_tPvRmT3_T4_T5_T6_T7_T9_mT8_P12ihipStream_tbDpT10_ENKUlT_T0_E_clISt17integral_constantIbLb0EES16_EEDaS11_S12_EUlS11_E_NS1_11comp_targetILNS1_3genE5ELNS1_11target_archE942ELNS1_3gpuE9ELNS1_3repE0EEENS1_30default_config_static_selectorELNS0_4arch9wavefront6targetE0EEEvT1_
    .private_segment_fixed_size: 0
    .sgpr_count:     0
    .sgpr_spill_count: 0
    .symbol:         _ZN7rocprim17ROCPRIM_400000_NS6detail17trampoline_kernelINS0_14default_configENS1_25partition_config_selectorILNS1_17partition_subalgoE6ExNS0_10empty_typeEbEEZZNS1_14partition_implILS5_6ELb0ES3_mN6thrust23THRUST_200600_302600_NS6detail15normal_iteratorINSA_10device_ptrIxEEEEPS6_SG_NS0_5tupleIJSF_S6_EEENSH_IJSG_SG_EEES6_PlJ7is_evenIxEEEE10hipError_tPvRmT3_T4_T5_T6_T7_T9_mT8_P12ihipStream_tbDpT10_ENKUlT_T0_E_clISt17integral_constantIbLb0EES16_EEDaS11_S12_EUlS11_E_NS1_11comp_targetILNS1_3genE5ELNS1_11target_archE942ELNS1_3gpuE9ELNS1_3repE0EEENS1_30default_config_static_selectorELNS0_4arch9wavefront6targetE0EEEvT1_.kd
    .uniform_work_group_size: 1
    .uses_dynamic_stack: false
    .vgpr_count:     0
    .vgpr_spill_count: 0
    .wavefront_size: 32
    .workgroup_processor_mode: 1
  - .args:
      - .offset:         0
        .size:           112
        .value_kind:     by_value
    .group_segment_fixed_size: 0
    .kernarg_segment_align: 8
    .kernarg_segment_size: 112
    .language:       OpenCL C
    .language_version:
      - 2
      - 0
    .max_flat_workgroup_size: 512
    .name:           _ZN7rocprim17ROCPRIM_400000_NS6detail17trampoline_kernelINS0_14default_configENS1_25partition_config_selectorILNS1_17partition_subalgoE6ExNS0_10empty_typeEbEEZZNS1_14partition_implILS5_6ELb0ES3_mN6thrust23THRUST_200600_302600_NS6detail15normal_iteratorINSA_10device_ptrIxEEEEPS6_SG_NS0_5tupleIJSF_S6_EEENSH_IJSG_SG_EEES6_PlJ7is_evenIxEEEE10hipError_tPvRmT3_T4_T5_T6_T7_T9_mT8_P12ihipStream_tbDpT10_ENKUlT_T0_E_clISt17integral_constantIbLb0EES16_EEDaS11_S12_EUlS11_E_NS1_11comp_targetILNS1_3genE4ELNS1_11target_archE910ELNS1_3gpuE8ELNS1_3repE0EEENS1_30default_config_static_selectorELNS0_4arch9wavefront6targetE0EEEvT1_
    .private_segment_fixed_size: 0
    .sgpr_count:     0
    .sgpr_spill_count: 0
    .symbol:         _ZN7rocprim17ROCPRIM_400000_NS6detail17trampoline_kernelINS0_14default_configENS1_25partition_config_selectorILNS1_17partition_subalgoE6ExNS0_10empty_typeEbEEZZNS1_14partition_implILS5_6ELb0ES3_mN6thrust23THRUST_200600_302600_NS6detail15normal_iteratorINSA_10device_ptrIxEEEEPS6_SG_NS0_5tupleIJSF_S6_EEENSH_IJSG_SG_EEES6_PlJ7is_evenIxEEEE10hipError_tPvRmT3_T4_T5_T6_T7_T9_mT8_P12ihipStream_tbDpT10_ENKUlT_T0_E_clISt17integral_constantIbLb0EES16_EEDaS11_S12_EUlS11_E_NS1_11comp_targetILNS1_3genE4ELNS1_11target_archE910ELNS1_3gpuE8ELNS1_3repE0EEENS1_30default_config_static_selectorELNS0_4arch9wavefront6targetE0EEEvT1_.kd
    .uniform_work_group_size: 1
    .uses_dynamic_stack: false
    .vgpr_count:     0
    .vgpr_spill_count: 0
    .wavefront_size: 32
    .workgroup_processor_mode: 1
  - .args:
      - .offset:         0
        .size:           112
        .value_kind:     by_value
    .group_segment_fixed_size: 0
    .kernarg_segment_align: 8
    .kernarg_segment_size: 112
    .language:       OpenCL C
    .language_version:
      - 2
      - 0
    .max_flat_workgroup_size: 128
    .name:           _ZN7rocprim17ROCPRIM_400000_NS6detail17trampoline_kernelINS0_14default_configENS1_25partition_config_selectorILNS1_17partition_subalgoE6ExNS0_10empty_typeEbEEZZNS1_14partition_implILS5_6ELb0ES3_mN6thrust23THRUST_200600_302600_NS6detail15normal_iteratorINSA_10device_ptrIxEEEEPS6_SG_NS0_5tupleIJSF_S6_EEENSH_IJSG_SG_EEES6_PlJ7is_evenIxEEEE10hipError_tPvRmT3_T4_T5_T6_T7_T9_mT8_P12ihipStream_tbDpT10_ENKUlT_T0_E_clISt17integral_constantIbLb0EES16_EEDaS11_S12_EUlS11_E_NS1_11comp_targetILNS1_3genE3ELNS1_11target_archE908ELNS1_3gpuE7ELNS1_3repE0EEENS1_30default_config_static_selectorELNS0_4arch9wavefront6targetE0EEEvT1_
    .private_segment_fixed_size: 0
    .sgpr_count:     0
    .sgpr_spill_count: 0
    .symbol:         _ZN7rocprim17ROCPRIM_400000_NS6detail17trampoline_kernelINS0_14default_configENS1_25partition_config_selectorILNS1_17partition_subalgoE6ExNS0_10empty_typeEbEEZZNS1_14partition_implILS5_6ELb0ES3_mN6thrust23THRUST_200600_302600_NS6detail15normal_iteratorINSA_10device_ptrIxEEEEPS6_SG_NS0_5tupleIJSF_S6_EEENSH_IJSG_SG_EEES6_PlJ7is_evenIxEEEE10hipError_tPvRmT3_T4_T5_T6_T7_T9_mT8_P12ihipStream_tbDpT10_ENKUlT_T0_E_clISt17integral_constantIbLb0EES16_EEDaS11_S12_EUlS11_E_NS1_11comp_targetILNS1_3genE3ELNS1_11target_archE908ELNS1_3gpuE7ELNS1_3repE0EEENS1_30default_config_static_selectorELNS0_4arch9wavefront6targetE0EEEvT1_.kd
    .uniform_work_group_size: 1
    .uses_dynamic_stack: false
    .vgpr_count:     0
    .vgpr_spill_count: 0
    .wavefront_size: 32
    .workgroup_processor_mode: 1
  - .args:
      - .offset:         0
        .size:           112
        .value_kind:     by_value
    .group_segment_fixed_size: 0
    .kernarg_segment_align: 8
    .kernarg_segment_size: 112
    .language:       OpenCL C
    .language_version:
      - 2
      - 0
    .max_flat_workgroup_size: 256
    .name:           _ZN7rocprim17ROCPRIM_400000_NS6detail17trampoline_kernelINS0_14default_configENS1_25partition_config_selectorILNS1_17partition_subalgoE6ExNS0_10empty_typeEbEEZZNS1_14partition_implILS5_6ELb0ES3_mN6thrust23THRUST_200600_302600_NS6detail15normal_iteratorINSA_10device_ptrIxEEEEPS6_SG_NS0_5tupleIJSF_S6_EEENSH_IJSG_SG_EEES6_PlJ7is_evenIxEEEE10hipError_tPvRmT3_T4_T5_T6_T7_T9_mT8_P12ihipStream_tbDpT10_ENKUlT_T0_E_clISt17integral_constantIbLb0EES16_EEDaS11_S12_EUlS11_E_NS1_11comp_targetILNS1_3genE2ELNS1_11target_archE906ELNS1_3gpuE6ELNS1_3repE0EEENS1_30default_config_static_selectorELNS0_4arch9wavefront6targetE0EEEvT1_
    .private_segment_fixed_size: 0
    .sgpr_count:     0
    .sgpr_spill_count: 0
    .symbol:         _ZN7rocprim17ROCPRIM_400000_NS6detail17trampoline_kernelINS0_14default_configENS1_25partition_config_selectorILNS1_17partition_subalgoE6ExNS0_10empty_typeEbEEZZNS1_14partition_implILS5_6ELb0ES3_mN6thrust23THRUST_200600_302600_NS6detail15normal_iteratorINSA_10device_ptrIxEEEEPS6_SG_NS0_5tupleIJSF_S6_EEENSH_IJSG_SG_EEES6_PlJ7is_evenIxEEEE10hipError_tPvRmT3_T4_T5_T6_T7_T9_mT8_P12ihipStream_tbDpT10_ENKUlT_T0_E_clISt17integral_constantIbLb0EES16_EEDaS11_S12_EUlS11_E_NS1_11comp_targetILNS1_3genE2ELNS1_11target_archE906ELNS1_3gpuE6ELNS1_3repE0EEENS1_30default_config_static_selectorELNS0_4arch9wavefront6targetE0EEEvT1_.kd
    .uniform_work_group_size: 1
    .uses_dynamic_stack: false
    .vgpr_count:     0
    .vgpr_spill_count: 0
    .wavefront_size: 32
    .workgroup_processor_mode: 1
  - .args:
      - .offset:         0
        .size:           112
        .value_kind:     by_value
    .group_segment_fixed_size: 0
    .kernarg_segment_align: 8
    .kernarg_segment_size: 112
    .language:       OpenCL C
    .language_version:
      - 2
      - 0
    .max_flat_workgroup_size: 256
    .name:           _ZN7rocprim17ROCPRIM_400000_NS6detail17trampoline_kernelINS0_14default_configENS1_25partition_config_selectorILNS1_17partition_subalgoE6ExNS0_10empty_typeEbEEZZNS1_14partition_implILS5_6ELb0ES3_mN6thrust23THRUST_200600_302600_NS6detail15normal_iteratorINSA_10device_ptrIxEEEEPS6_SG_NS0_5tupleIJSF_S6_EEENSH_IJSG_SG_EEES6_PlJ7is_evenIxEEEE10hipError_tPvRmT3_T4_T5_T6_T7_T9_mT8_P12ihipStream_tbDpT10_ENKUlT_T0_E_clISt17integral_constantIbLb0EES16_EEDaS11_S12_EUlS11_E_NS1_11comp_targetILNS1_3genE10ELNS1_11target_archE1200ELNS1_3gpuE4ELNS1_3repE0EEENS1_30default_config_static_selectorELNS0_4arch9wavefront6targetE0EEEvT1_
    .private_segment_fixed_size: 0
    .sgpr_count:     0
    .sgpr_spill_count: 0
    .symbol:         _ZN7rocprim17ROCPRIM_400000_NS6detail17trampoline_kernelINS0_14default_configENS1_25partition_config_selectorILNS1_17partition_subalgoE6ExNS0_10empty_typeEbEEZZNS1_14partition_implILS5_6ELb0ES3_mN6thrust23THRUST_200600_302600_NS6detail15normal_iteratorINSA_10device_ptrIxEEEEPS6_SG_NS0_5tupleIJSF_S6_EEENSH_IJSG_SG_EEES6_PlJ7is_evenIxEEEE10hipError_tPvRmT3_T4_T5_T6_T7_T9_mT8_P12ihipStream_tbDpT10_ENKUlT_T0_E_clISt17integral_constantIbLb0EES16_EEDaS11_S12_EUlS11_E_NS1_11comp_targetILNS1_3genE10ELNS1_11target_archE1200ELNS1_3gpuE4ELNS1_3repE0EEENS1_30default_config_static_selectorELNS0_4arch9wavefront6targetE0EEEvT1_.kd
    .uniform_work_group_size: 1
    .uses_dynamic_stack: false
    .vgpr_count:     0
    .vgpr_spill_count: 0
    .wavefront_size: 32
    .workgroup_processor_mode: 1
  - .args:
      - .offset:         0
        .size:           112
        .value_kind:     by_value
    .group_segment_fixed_size: 18448
    .kernarg_segment_align: 8
    .kernarg_segment_size: 112
    .language:       OpenCL C
    .language_version:
      - 2
      - 0
    .max_flat_workgroup_size: 384
    .name:           _ZN7rocprim17ROCPRIM_400000_NS6detail17trampoline_kernelINS0_14default_configENS1_25partition_config_selectorILNS1_17partition_subalgoE6ExNS0_10empty_typeEbEEZZNS1_14partition_implILS5_6ELb0ES3_mN6thrust23THRUST_200600_302600_NS6detail15normal_iteratorINSA_10device_ptrIxEEEEPS6_SG_NS0_5tupleIJSF_S6_EEENSH_IJSG_SG_EEES6_PlJ7is_evenIxEEEE10hipError_tPvRmT3_T4_T5_T6_T7_T9_mT8_P12ihipStream_tbDpT10_ENKUlT_T0_E_clISt17integral_constantIbLb0EES16_EEDaS11_S12_EUlS11_E_NS1_11comp_targetILNS1_3genE9ELNS1_11target_archE1100ELNS1_3gpuE3ELNS1_3repE0EEENS1_30default_config_static_selectorELNS0_4arch9wavefront6targetE0EEEvT1_
    .private_segment_fixed_size: 0
    .sgpr_count:     22
    .sgpr_spill_count: 0
    .symbol:         _ZN7rocprim17ROCPRIM_400000_NS6detail17trampoline_kernelINS0_14default_configENS1_25partition_config_selectorILNS1_17partition_subalgoE6ExNS0_10empty_typeEbEEZZNS1_14partition_implILS5_6ELb0ES3_mN6thrust23THRUST_200600_302600_NS6detail15normal_iteratorINSA_10device_ptrIxEEEEPS6_SG_NS0_5tupleIJSF_S6_EEENSH_IJSG_SG_EEES6_PlJ7is_evenIxEEEE10hipError_tPvRmT3_T4_T5_T6_T7_T9_mT8_P12ihipStream_tbDpT10_ENKUlT_T0_E_clISt17integral_constantIbLb0EES16_EEDaS11_S12_EUlS11_E_NS1_11comp_targetILNS1_3genE9ELNS1_11target_archE1100ELNS1_3gpuE3ELNS1_3repE0EEENS1_30default_config_static_selectorELNS0_4arch9wavefront6targetE0EEEvT1_.kd
    .uniform_work_group_size: 1
    .uses_dynamic_stack: false
    .vgpr_count:     54
    .vgpr_spill_count: 0
    .wavefront_size: 32
    .workgroup_processor_mode: 1
  - .args:
      - .offset:         0
        .size:           112
        .value_kind:     by_value
    .group_segment_fixed_size: 0
    .kernarg_segment_align: 8
    .kernarg_segment_size: 112
    .language:       OpenCL C
    .language_version:
      - 2
      - 0
    .max_flat_workgroup_size: 512
    .name:           _ZN7rocprim17ROCPRIM_400000_NS6detail17trampoline_kernelINS0_14default_configENS1_25partition_config_selectorILNS1_17partition_subalgoE6ExNS0_10empty_typeEbEEZZNS1_14partition_implILS5_6ELb0ES3_mN6thrust23THRUST_200600_302600_NS6detail15normal_iteratorINSA_10device_ptrIxEEEEPS6_SG_NS0_5tupleIJSF_S6_EEENSH_IJSG_SG_EEES6_PlJ7is_evenIxEEEE10hipError_tPvRmT3_T4_T5_T6_T7_T9_mT8_P12ihipStream_tbDpT10_ENKUlT_T0_E_clISt17integral_constantIbLb0EES16_EEDaS11_S12_EUlS11_E_NS1_11comp_targetILNS1_3genE8ELNS1_11target_archE1030ELNS1_3gpuE2ELNS1_3repE0EEENS1_30default_config_static_selectorELNS0_4arch9wavefront6targetE0EEEvT1_
    .private_segment_fixed_size: 0
    .sgpr_count:     0
    .sgpr_spill_count: 0
    .symbol:         _ZN7rocprim17ROCPRIM_400000_NS6detail17trampoline_kernelINS0_14default_configENS1_25partition_config_selectorILNS1_17partition_subalgoE6ExNS0_10empty_typeEbEEZZNS1_14partition_implILS5_6ELb0ES3_mN6thrust23THRUST_200600_302600_NS6detail15normal_iteratorINSA_10device_ptrIxEEEEPS6_SG_NS0_5tupleIJSF_S6_EEENSH_IJSG_SG_EEES6_PlJ7is_evenIxEEEE10hipError_tPvRmT3_T4_T5_T6_T7_T9_mT8_P12ihipStream_tbDpT10_ENKUlT_T0_E_clISt17integral_constantIbLb0EES16_EEDaS11_S12_EUlS11_E_NS1_11comp_targetILNS1_3genE8ELNS1_11target_archE1030ELNS1_3gpuE2ELNS1_3repE0EEENS1_30default_config_static_selectorELNS0_4arch9wavefront6targetE0EEEvT1_.kd
    .uniform_work_group_size: 1
    .uses_dynamic_stack: false
    .vgpr_count:     0
    .vgpr_spill_count: 0
    .wavefront_size: 32
    .workgroup_processor_mode: 1
  - .args:
      - .offset:         0
        .size:           128
        .value_kind:     by_value
    .group_segment_fixed_size: 0
    .kernarg_segment_align: 8
    .kernarg_segment_size: 128
    .language:       OpenCL C
    .language_version:
      - 2
      - 0
    .max_flat_workgroup_size: 128
    .name:           _ZN7rocprim17ROCPRIM_400000_NS6detail17trampoline_kernelINS0_14default_configENS1_25partition_config_selectorILNS1_17partition_subalgoE6ExNS0_10empty_typeEbEEZZNS1_14partition_implILS5_6ELb0ES3_mN6thrust23THRUST_200600_302600_NS6detail15normal_iteratorINSA_10device_ptrIxEEEEPS6_SG_NS0_5tupleIJSF_S6_EEENSH_IJSG_SG_EEES6_PlJ7is_evenIxEEEE10hipError_tPvRmT3_T4_T5_T6_T7_T9_mT8_P12ihipStream_tbDpT10_ENKUlT_T0_E_clISt17integral_constantIbLb1EES16_EEDaS11_S12_EUlS11_E_NS1_11comp_targetILNS1_3genE0ELNS1_11target_archE4294967295ELNS1_3gpuE0ELNS1_3repE0EEENS1_30default_config_static_selectorELNS0_4arch9wavefront6targetE0EEEvT1_
    .private_segment_fixed_size: 0
    .sgpr_count:     0
    .sgpr_spill_count: 0
    .symbol:         _ZN7rocprim17ROCPRIM_400000_NS6detail17trampoline_kernelINS0_14default_configENS1_25partition_config_selectorILNS1_17partition_subalgoE6ExNS0_10empty_typeEbEEZZNS1_14partition_implILS5_6ELb0ES3_mN6thrust23THRUST_200600_302600_NS6detail15normal_iteratorINSA_10device_ptrIxEEEEPS6_SG_NS0_5tupleIJSF_S6_EEENSH_IJSG_SG_EEES6_PlJ7is_evenIxEEEE10hipError_tPvRmT3_T4_T5_T6_T7_T9_mT8_P12ihipStream_tbDpT10_ENKUlT_T0_E_clISt17integral_constantIbLb1EES16_EEDaS11_S12_EUlS11_E_NS1_11comp_targetILNS1_3genE0ELNS1_11target_archE4294967295ELNS1_3gpuE0ELNS1_3repE0EEENS1_30default_config_static_selectorELNS0_4arch9wavefront6targetE0EEEvT1_.kd
    .uniform_work_group_size: 1
    .uses_dynamic_stack: false
    .vgpr_count:     0
    .vgpr_spill_count: 0
    .wavefront_size: 32
    .workgroup_processor_mode: 1
  - .args:
      - .offset:         0
        .size:           128
        .value_kind:     by_value
    .group_segment_fixed_size: 0
    .kernarg_segment_align: 8
    .kernarg_segment_size: 128
    .language:       OpenCL C
    .language_version:
      - 2
      - 0
    .max_flat_workgroup_size: 512
    .name:           _ZN7rocprim17ROCPRIM_400000_NS6detail17trampoline_kernelINS0_14default_configENS1_25partition_config_selectorILNS1_17partition_subalgoE6ExNS0_10empty_typeEbEEZZNS1_14partition_implILS5_6ELb0ES3_mN6thrust23THRUST_200600_302600_NS6detail15normal_iteratorINSA_10device_ptrIxEEEEPS6_SG_NS0_5tupleIJSF_S6_EEENSH_IJSG_SG_EEES6_PlJ7is_evenIxEEEE10hipError_tPvRmT3_T4_T5_T6_T7_T9_mT8_P12ihipStream_tbDpT10_ENKUlT_T0_E_clISt17integral_constantIbLb1EES16_EEDaS11_S12_EUlS11_E_NS1_11comp_targetILNS1_3genE5ELNS1_11target_archE942ELNS1_3gpuE9ELNS1_3repE0EEENS1_30default_config_static_selectorELNS0_4arch9wavefront6targetE0EEEvT1_
    .private_segment_fixed_size: 0
    .sgpr_count:     0
    .sgpr_spill_count: 0
    .symbol:         _ZN7rocprim17ROCPRIM_400000_NS6detail17trampoline_kernelINS0_14default_configENS1_25partition_config_selectorILNS1_17partition_subalgoE6ExNS0_10empty_typeEbEEZZNS1_14partition_implILS5_6ELb0ES3_mN6thrust23THRUST_200600_302600_NS6detail15normal_iteratorINSA_10device_ptrIxEEEEPS6_SG_NS0_5tupleIJSF_S6_EEENSH_IJSG_SG_EEES6_PlJ7is_evenIxEEEE10hipError_tPvRmT3_T4_T5_T6_T7_T9_mT8_P12ihipStream_tbDpT10_ENKUlT_T0_E_clISt17integral_constantIbLb1EES16_EEDaS11_S12_EUlS11_E_NS1_11comp_targetILNS1_3genE5ELNS1_11target_archE942ELNS1_3gpuE9ELNS1_3repE0EEENS1_30default_config_static_selectorELNS0_4arch9wavefront6targetE0EEEvT1_.kd
    .uniform_work_group_size: 1
    .uses_dynamic_stack: false
    .vgpr_count:     0
    .vgpr_spill_count: 0
    .wavefront_size: 32
    .workgroup_processor_mode: 1
  - .args:
      - .offset:         0
        .size:           128
        .value_kind:     by_value
    .group_segment_fixed_size: 0
    .kernarg_segment_align: 8
    .kernarg_segment_size: 128
    .language:       OpenCL C
    .language_version:
      - 2
      - 0
    .max_flat_workgroup_size: 512
    .name:           _ZN7rocprim17ROCPRIM_400000_NS6detail17trampoline_kernelINS0_14default_configENS1_25partition_config_selectorILNS1_17partition_subalgoE6ExNS0_10empty_typeEbEEZZNS1_14partition_implILS5_6ELb0ES3_mN6thrust23THRUST_200600_302600_NS6detail15normal_iteratorINSA_10device_ptrIxEEEEPS6_SG_NS0_5tupleIJSF_S6_EEENSH_IJSG_SG_EEES6_PlJ7is_evenIxEEEE10hipError_tPvRmT3_T4_T5_T6_T7_T9_mT8_P12ihipStream_tbDpT10_ENKUlT_T0_E_clISt17integral_constantIbLb1EES16_EEDaS11_S12_EUlS11_E_NS1_11comp_targetILNS1_3genE4ELNS1_11target_archE910ELNS1_3gpuE8ELNS1_3repE0EEENS1_30default_config_static_selectorELNS0_4arch9wavefront6targetE0EEEvT1_
    .private_segment_fixed_size: 0
    .sgpr_count:     0
    .sgpr_spill_count: 0
    .symbol:         _ZN7rocprim17ROCPRIM_400000_NS6detail17trampoline_kernelINS0_14default_configENS1_25partition_config_selectorILNS1_17partition_subalgoE6ExNS0_10empty_typeEbEEZZNS1_14partition_implILS5_6ELb0ES3_mN6thrust23THRUST_200600_302600_NS6detail15normal_iteratorINSA_10device_ptrIxEEEEPS6_SG_NS0_5tupleIJSF_S6_EEENSH_IJSG_SG_EEES6_PlJ7is_evenIxEEEE10hipError_tPvRmT3_T4_T5_T6_T7_T9_mT8_P12ihipStream_tbDpT10_ENKUlT_T0_E_clISt17integral_constantIbLb1EES16_EEDaS11_S12_EUlS11_E_NS1_11comp_targetILNS1_3genE4ELNS1_11target_archE910ELNS1_3gpuE8ELNS1_3repE0EEENS1_30default_config_static_selectorELNS0_4arch9wavefront6targetE0EEEvT1_.kd
    .uniform_work_group_size: 1
    .uses_dynamic_stack: false
    .vgpr_count:     0
    .vgpr_spill_count: 0
    .wavefront_size: 32
    .workgroup_processor_mode: 1
  - .args:
      - .offset:         0
        .size:           128
        .value_kind:     by_value
    .group_segment_fixed_size: 0
    .kernarg_segment_align: 8
    .kernarg_segment_size: 128
    .language:       OpenCL C
    .language_version:
      - 2
      - 0
    .max_flat_workgroup_size: 128
    .name:           _ZN7rocprim17ROCPRIM_400000_NS6detail17trampoline_kernelINS0_14default_configENS1_25partition_config_selectorILNS1_17partition_subalgoE6ExNS0_10empty_typeEbEEZZNS1_14partition_implILS5_6ELb0ES3_mN6thrust23THRUST_200600_302600_NS6detail15normal_iteratorINSA_10device_ptrIxEEEEPS6_SG_NS0_5tupleIJSF_S6_EEENSH_IJSG_SG_EEES6_PlJ7is_evenIxEEEE10hipError_tPvRmT3_T4_T5_T6_T7_T9_mT8_P12ihipStream_tbDpT10_ENKUlT_T0_E_clISt17integral_constantIbLb1EES16_EEDaS11_S12_EUlS11_E_NS1_11comp_targetILNS1_3genE3ELNS1_11target_archE908ELNS1_3gpuE7ELNS1_3repE0EEENS1_30default_config_static_selectorELNS0_4arch9wavefront6targetE0EEEvT1_
    .private_segment_fixed_size: 0
    .sgpr_count:     0
    .sgpr_spill_count: 0
    .symbol:         _ZN7rocprim17ROCPRIM_400000_NS6detail17trampoline_kernelINS0_14default_configENS1_25partition_config_selectorILNS1_17partition_subalgoE6ExNS0_10empty_typeEbEEZZNS1_14partition_implILS5_6ELb0ES3_mN6thrust23THRUST_200600_302600_NS6detail15normal_iteratorINSA_10device_ptrIxEEEEPS6_SG_NS0_5tupleIJSF_S6_EEENSH_IJSG_SG_EEES6_PlJ7is_evenIxEEEE10hipError_tPvRmT3_T4_T5_T6_T7_T9_mT8_P12ihipStream_tbDpT10_ENKUlT_T0_E_clISt17integral_constantIbLb1EES16_EEDaS11_S12_EUlS11_E_NS1_11comp_targetILNS1_3genE3ELNS1_11target_archE908ELNS1_3gpuE7ELNS1_3repE0EEENS1_30default_config_static_selectorELNS0_4arch9wavefront6targetE0EEEvT1_.kd
    .uniform_work_group_size: 1
    .uses_dynamic_stack: false
    .vgpr_count:     0
    .vgpr_spill_count: 0
    .wavefront_size: 32
    .workgroup_processor_mode: 1
  - .args:
      - .offset:         0
        .size:           128
        .value_kind:     by_value
    .group_segment_fixed_size: 0
    .kernarg_segment_align: 8
    .kernarg_segment_size: 128
    .language:       OpenCL C
    .language_version:
      - 2
      - 0
    .max_flat_workgroup_size: 256
    .name:           _ZN7rocprim17ROCPRIM_400000_NS6detail17trampoline_kernelINS0_14default_configENS1_25partition_config_selectorILNS1_17partition_subalgoE6ExNS0_10empty_typeEbEEZZNS1_14partition_implILS5_6ELb0ES3_mN6thrust23THRUST_200600_302600_NS6detail15normal_iteratorINSA_10device_ptrIxEEEEPS6_SG_NS0_5tupleIJSF_S6_EEENSH_IJSG_SG_EEES6_PlJ7is_evenIxEEEE10hipError_tPvRmT3_T4_T5_T6_T7_T9_mT8_P12ihipStream_tbDpT10_ENKUlT_T0_E_clISt17integral_constantIbLb1EES16_EEDaS11_S12_EUlS11_E_NS1_11comp_targetILNS1_3genE2ELNS1_11target_archE906ELNS1_3gpuE6ELNS1_3repE0EEENS1_30default_config_static_selectorELNS0_4arch9wavefront6targetE0EEEvT1_
    .private_segment_fixed_size: 0
    .sgpr_count:     0
    .sgpr_spill_count: 0
    .symbol:         _ZN7rocprim17ROCPRIM_400000_NS6detail17trampoline_kernelINS0_14default_configENS1_25partition_config_selectorILNS1_17partition_subalgoE6ExNS0_10empty_typeEbEEZZNS1_14partition_implILS5_6ELb0ES3_mN6thrust23THRUST_200600_302600_NS6detail15normal_iteratorINSA_10device_ptrIxEEEEPS6_SG_NS0_5tupleIJSF_S6_EEENSH_IJSG_SG_EEES6_PlJ7is_evenIxEEEE10hipError_tPvRmT3_T4_T5_T6_T7_T9_mT8_P12ihipStream_tbDpT10_ENKUlT_T0_E_clISt17integral_constantIbLb1EES16_EEDaS11_S12_EUlS11_E_NS1_11comp_targetILNS1_3genE2ELNS1_11target_archE906ELNS1_3gpuE6ELNS1_3repE0EEENS1_30default_config_static_selectorELNS0_4arch9wavefront6targetE0EEEvT1_.kd
    .uniform_work_group_size: 1
    .uses_dynamic_stack: false
    .vgpr_count:     0
    .vgpr_spill_count: 0
    .wavefront_size: 32
    .workgroup_processor_mode: 1
  - .args:
      - .offset:         0
        .size:           128
        .value_kind:     by_value
    .group_segment_fixed_size: 0
    .kernarg_segment_align: 8
    .kernarg_segment_size: 128
    .language:       OpenCL C
    .language_version:
      - 2
      - 0
    .max_flat_workgroup_size: 256
    .name:           _ZN7rocprim17ROCPRIM_400000_NS6detail17trampoline_kernelINS0_14default_configENS1_25partition_config_selectorILNS1_17partition_subalgoE6ExNS0_10empty_typeEbEEZZNS1_14partition_implILS5_6ELb0ES3_mN6thrust23THRUST_200600_302600_NS6detail15normal_iteratorINSA_10device_ptrIxEEEEPS6_SG_NS0_5tupleIJSF_S6_EEENSH_IJSG_SG_EEES6_PlJ7is_evenIxEEEE10hipError_tPvRmT3_T4_T5_T6_T7_T9_mT8_P12ihipStream_tbDpT10_ENKUlT_T0_E_clISt17integral_constantIbLb1EES16_EEDaS11_S12_EUlS11_E_NS1_11comp_targetILNS1_3genE10ELNS1_11target_archE1200ELNS1_3gpuE4ELNS1_3repE0EEENS1_30default_config_static_selectorELNS0_4arch9wavefront6targetE0EEEvT1_
    .private_segment_fixed_size: 0
    .sgpr_count:     0
    .sgpr_spill_count: 0
    .symbol:         _ZN7rocprim17ROCPRIM_400000_NS6detail17trampoline_kernelINS0_14default_configENS1_25partition_config_selectorILNS1_17partition_subalgoE6ExNS0_10empty_typeEbEEZZNS1_14partition_implILS5_6ELb0ES3_mN6thrust23THRUST_200600_302600_NS6detail15normal_iteratorINSA_10device_ptrIxEEEEPS6_SG_NS0_5tupleIJSF_S6_EEENSH_IJSG_SG_EEES6_PlJ7is_evenIxEEEE10hipError_tPvRmT3_T4_T5_T6_T7_T9_mT8_P12ihipStream_tbDpT10_ENKUlT_T0_E_clISt17integral_constantIbLb1EES16_EEDaS11_S12_EUlS11_E_NS1_11comp_targetILNS1_3genE10ELNS1_11target_archE1200ELNS1_3gpuE4ELNS1_3repE0EEENS1_30default_config_static_selectorELNS0_4arch9wavefront6targetE0EEEvT1_.kd
    .uniform_work_group_size: 1
    .uses_dynamic_stack: false
    .vgpr_count:     0
    .vgpr_spill_count: 0
    .wavefront_size: 32
    .workgroup_processor_mode: 1
  - .args:
      - .offset:         0
        .size:           128
        .value_kind:     by_value
    .group_segment_fixed_size: 18448
    .kernarg_segment_align: 8
    .kernarg_segment_size: 128
    .language:       OpenCL C
    .language_version:
      - 2
      - 0
    .max_flat_workgroup_size: 384
    .name:           _ZN7rocprim17ROCPRIM_400000_NS6detail17trampoline_kernelINS0_14default_configENS1_25partition_config_selectorILNS1_17partition_subalgoE6ExNS0_10empty_typeEbEEZZNS1_14partition_implILS5_6ELb0ES3_mN6thrust23THRUST_200600_302600_NS6detail15normal_iteratorINSA_10device_ptrIxEEEEPS6_SG_NS0_5tupleIJSF_S6_EEENSH_IJSG_SG_EEES6_PlJ7is_evenIxEEEE10hipError_tPvRmT3_T4_T5_T6_T7_T9_mT8_P12ihipStream_tbDpT10_ENKUlT_T0_E_clISt17integral_constantIbLb1EES16_EEDaS11_S12_EUlS11_E_NS1_11comp_targetILNS1_3genE9ELNS1_11target_archE1100ELNS1_3gpuE3ELNS1_3repE0EEENS1_30default_config_static_selectorELNS0_4arch9wavefront6targetE0EEEvT1_
    .private_segment_fixed_size: 0
    .sgpr_count:     20
    .sgpr_spill_count: 0
    .symbol:         _ZN7rocprim17ROCPRIM_400000_NS6detail17trampoline_kernelINS0_14default_configENS1_25partition_config_selectorILNS1_17partition_subalgoE6ExNS0_10empty_typeEbEEZZNS1_14partition_implILS5_6ELb0ES3_mN6thrust23THRUST_200600_302600_NS6detail15normal_iteratorINSA_10device_ptrIxEEEEPS6_SG_NS0_5tupleIJSF_S6_EEENSH_IJSG_SG_EEES6_PlJ7is_evenIxEEEE10hipError_tPvRmT3_T4_T5_T6_T7_T9_mT8_P12ihipStream_tbDpT10_ENKUlT_T0_E_clISt17integral_constantIbLb1EES16_EEDaS11_S12_EUlS11_E_NS1_11comp_targetILNS1_3genE9ELNS1_11target_archE1100ELNS1_3gpuE3ELNS1_3repE0EEENS1_30default_config_static_selectorELNS0_4arch9wavefront6targetE0EEEvT1_.kd
    .uniform_work_group_size: 1
    .uses_dynamic_stack: false
    .vgpr_count:     56
    .vgpr_spill_count: 0
    .wavefront_size: 32
    .workgroup_processor_mode: 1
  - .args:
      - .offset:         0
        .size:           128
        .value_kind:     by_value
    .group_segment_fixed_size: 0
    .kernarg_segment_align: 8
    .kernarg_segment_size: 128
    .language:       OpenCL C
    .language_version:
      - 2
      - 0
    .max_flat_workgroup_size: 512
    .name:           _ZN7rocprim17ROCPRIM_400000_NS6detail17trampoline_kernelINS0_14default_configENS1_25partition_config_selectorILNS1_17partition_subalgoE6ExNS0_10empty_typeEbEEZZNS1_14partition_implILS5_6ELb0ES3_mN6thrust23THRUST_200600_302600_NS6detail15normal_iteratorINSA_10device_ptrIxEEEEPS6_SG_NS0_5tupleIJSF_S6_EEENSH_IJSG_SG_EEES6_PlJ7is_evenIxEEEE10hipError_tPvRmT3_T4_T5_T6_T7_T9_mT8_P12ihipStream_tbDpT10_ENKUlT_T0_E_clISt17integral_constantIbLb1EES16_EEDaS11_S12_EUlS11_E_NS1_11comp_targetILNS1_3genE8ELNS1_11target_archE1030ELNS1_3gpuE2ELNS1_3repE0EEENS1_30default_config_static_selectorELNS0_4arch9wavefront6targetE0EEEvT1_
    .private_segment_fixed_size: 0
    .sgpr_count:     0
    .sgpr_spill_count: 0
    .symbol:         _ZN7rocprim17ROCPRIM_400000_NS6detail17trampoline_kernelINS0_14default_configENS1_25partition_config_selectorILNS1_17partition_subalgoE6ExNS0_10empty_typeEbEEZZNS1_14partition_implILS5_6ELb0ES3_mN6thrust23THRUST_200600_302600_NS6detail15normal_iteratorINSA_10device_ptrIxEEEEPS6_SG_NS0_5tupleIJSF_S6_EEENSH_IJSG_SG_EEES6_PlJ7is_evenIxEEEE10hipError_tPvRmT3_T4_T5_T6_T7_T9_mT8_P12ihipStream_tbDpT10_ENKUlT_T0_E_clISt17integral_constantIbLb1EES16_EEDaS11_S12_EUlS11_E_NS1_11comp_targetILNS1_3genE8ELNS1_11target_archE1030ELNS1_3gpuE2ELNS1_3repE0EEENS1_30default_config_static_selectorELNS0_4arch9wavefront6targetE0EEEvT1_.kd
    .uniform_work_group_size: 1
    .uses_dynamic_stack: false
    .vgpr_count:     0
    .vgpr_spill_count: 0
    .wavefront_size: 32
    .workgroup_processor_mode: 1
  - .args:
      - .offset:         0
        .size:           112
        .value_kind:     by_value
    .group_segment_fixed_size: 0
    .kernarg_segment_align: 8
    .kernarg_segment_size: 112
    .language:       OpenCL C
    .language_version:
      - 2
      - 0
    .max_flat_workgroup_size: 128
    .name:           _ZN7rocprim17ROCPRIM_400000_NS6detail17trampoline_kernelINS0_14default_configENS1_25partition_config_selectorILNS1_17partition_subalgoE6ExNS0_10empty_typeEbEEZZNS1_14partition_implILS5_6ELb0ES3_mN6thrust23THRUST_200600_302600_NS6detail15normal_iteratorINSA_10device_ptrIxEEEEPS6_SG_NS0_5tupleIJSF_S6_EEENSH_IJSG_SG_EEES6_PlJ7is_evenIxEEEE10hipError_tPvRmT3_T4_T5_T6_T7_T9_mT8_P12ihipStream_tbDpT10_ENKUlT_T0_E_clISt17integral_constantIbLb1EES15_IbLb0EEEEDaS11_S12_EUlS11_E_NS1_11comp_targetILNS1_3genE0ELNS1_11target_archE4294967295ELNS1_3gpuE0ELNS1_3repE0EEENS1_30default_config_static_selectorELNS0_4arch9wavefront6targetE0EEEvT1_
    .private_segment_fixed_size: 0
    .sgpr_count:     0
    .sgpr_spill_count: 0
    .symbol:         _ZN7rocprim17ROCPRIM_400000_NS6detail17trampoline_kernelINS0_14default_configENS1_25partition_config_selectorILNS1_17partition_subalgoE6ExNS0_10empty_typeEbEEZZNS1_14partition_implILS5_6ELb0ES3_mN6thrust23THRUST_200600_302600_NS6detail15normal_iteratorINSA_10device_ptrIxEEEEPS6_SG_NS0_5tupleIJSF_S6_EEENSH_IJSG_SG_EEES6_PlJ7is_evenIxEEEE10hipError_tPvRmT3_T4_T5_T6_T7_T9_mT8_P12ihipStream_tbDpT10_ENKUlT_T0_E_clISt17integral_constantIbLb1EES15_IbLb0EEEEDaS11_S12_EUlS11_E_NS1_11comp_targetILNS1_3genE0ELNS1_11target_archE4294967295ELNS1_3gpuE0ELNS1_3repE0EEENS1_30default_config_static_selectorELNS0_4arch9wavefront6targetE0EEEvT1_.kd
    .uniform_work_group_size: 1
    .uses_dynamic_stack: false
    .vgpr_count:     0
    .vgpr_spill_count: 0
    .wavefront_size: 32
    .workgroup_processor_mode: 1
  - .args:
      - .offset:         0
        .size:           112
        .value_kind:     by_value
    .group_segment_fixed_size: 0
    .kernarg_segment_align: 8
    .kernarg_segment_size: 112
    .language:       OpenCL C
    .language_version:
      - 2
      - 0
    .max_flat_workgroup_size: 512
    .name:           _ZN7rocprim17ROCPRIM_400000_NS6detail17trampoline_kernelINS0_14default_configENS1_25partition_config_selectorILNS1_17partition_subalgoE6ExNS0_10empty_typeEbEEZZNS1_14partition_implILS5_6ELb0ES3_mN6thrust23THRUST_200600_302600_NS6detail15normal_iteratorINSA_10device_ptrIxEEEEPS6_SG_NS0_5tupleIJSF_S6_EEENSH_IJSG_SG_EEES6_PlJ7is_evenIxEEEE10hipError_tPvRmT3_T4_T5_T6_T7_T9_mT8_P12ihipStream_tbDpT10_ENKUlT_T0_E_clISt17integral_constantIbLb1EES15_IbLb0EEEEDaS11_S12_EUlS11_E_NS1_11comp_targetILNS1_3genE5ELNS1_11target_archE942ELNS1_3gpuE9ELNS1_3repE0EEENS1_30default_config_static_selectorELNS0_4arch9wavefront6targetE0EEEvT1_
    .private_segment_fixed_size: 0
    .sgpr_count:     0
    .sgpr_spill_count: 0
    .symbol:         _ZN7rocprim17ROCPRIM_400000_NS6detail17trampoline_kernelINS0_14default_configENS1_25partition_config_selectorILNS1_17partition_subalgoE6ExNS0_10empty_typeEbEEZZNS1_14partition_implILS5_6ELb0ES3_mN6thrust23THRUST_200600_302600_NS6detail15normal_iteratorINSA_10device_ptrIxEEEEPS6_SG_NS0_5tupleIJSF_S6_EEENSH_IJSG_SG_EEES6_PlJ7is_evenIxEEEE10hipError_tPvRmT3_T4_T5_T6_T7_T9_mT8_P12ihipStream_tbDpT10_ENKUlT_T0_E_clISt17integral_constantIbLb1EES15_IbLb0EEEEDaS11_S12_EUlS11_E_NS1_11comp_targetILNS1_3genE5ELNS1_11target_archE942ELNS1_3gpuE9ELNS1_3repE0EEENS1_30default_config_static_selectorELNS0_4arch9wavefront6targetE0EEEvT1_.kd
    .uniform_work_group_size: 1
    .uses_dynamic_stack: false
    .vgpr_count:     0
    .vgpr_spill_count: 0
    .wavefront_size: 32
    .workgroup_processor_mode: 1
  - .args:
      - .offset:         0
        .size:           112
        .value_kind:     by_value
    .group_segment_fixed_size: 0
    .kernarg_segment_align: 8
    .kernarg_segment_size: 112
    .language:       OpenCL C
    .language_version:
      - 2
      - 0
    .max_flat_workgroup_size: 512
    .name:           _ZN7rocprim17ROCPRIM_400000_NS6detail17trampoline_kernelINS0_14default_configENS1_25partition_config_selectorILNS1_17partition_subalgoE6ExNS0_10empty_typeEbEEZZNS1_14partition_implILS5_6ELb0ES3_mN6thrust23THRUST_200600_302600_NS6detail15normal_iteratorINSA_10device_ptrIxEEEEPS6_SG_NS0_5tupleIJSF_S6_EEENSH_IJSG_SG_EEES6_PlJ7is_evenIxEEEE10hipError_tPvRmT3_T4_T5_T6_T7_T9_mT8_P12ihipStream_tbDpT10_ENKUlT_T0_E_clISt17integral_constantIbLb1EES15_IbLb0EEEEDaS11_S12_EUlS11_E_NS1_11comp_targetILNS1_3genE4ELNS1_11target_archE910ELNS1_3gpuE8ELNS1_3repE0EEENS1_30default_config_static_selectorELNS0_4arch9wavefront6targetE0EEEvT1_
    .private_segment_fixed_size: 0
    .sgpr_count:     0
    .sgpr_spill_count: 0
    .symbol:         _ZN7rocprim17ROCPRIM_400000_NS6detail17trampoline_kernelINS0_14default_configENS1_25partition_config_selectorILNS1_17partition_subalgoE6ExNS0_10empty_typeEbEEZZNS1_14partition_implILS5_6ELb0ES3_mN6thrust23THRUST_200600_302600_NS6detail15normal_iteratorINSA_10device_ptrIxEEEEPS6_SG_NS0_5tupleIJSF_S6_EEENSH_IJSG_SG_EEES6_PlJ7is_evenIxEEEE10hipError_tPvRmT3_T4_T5_T6_T7_T9_mT8_P12ihipStream_tbDpT10_ENKUlT_T0_E_clISt17integral_constantIbLb1EES15_IbLb0EEEEDaS11_S12_EUlS11_E_NS1_11comp_targetILNS1_3genE4ELNS1_11target_archE910ELNS1_3gpuE8ELNS1_3repE0EEENS1_30default_config_static_selectorELNS0_4arch9wavefront6targetE0EEEvT1_.kd
    .uniform_work_group_size: 1
    .uses_dynamic_stack: false
    .vgpr_count:     0
    .vgpr_spill_count: 0
    .wavefront_size: 32
    .workgroup_processor_mode: 1
  - .args:
      - .offset:         0
        .size:           112
        .value_kind:     by_value
    .group_segment_fixed_size: 0
    .kernarg_segment_align: 8
    .kernarg_segment_size: 112
    .language:       OpenCL C
    .language_version:
      - 2
      - 0
    .max_flat_workgroup_size: 128
    .name:           _ZN7rocprim17ROCPRIM_400000_NS6detail17trampoline_kernelINS0_14default_configENS1_25partition_config_selectorILNS1_17partition_subalgoE6ExNS0_10empty_typeEbEEZZNS1_14partition_implILS5_6ELb0ES3_mN6thrust23THRUST_200600_302600_NS6detail15normal_iteratorINSA_10device_ptrIxEEEEPS6_SG_NS0_5tupleIJSF_S6_EEENSH_IJSG_SG_EEES6_PlJ7is_evenIxEEEE10hipError_tPvRmT3_T4_T5_T6_T7_T9_mT8_P12ihipStream_tbDpT10_ENKUlT_T0_E_clISt17integral_constantIbLb1EES15_IbLb0EEEEDaS11_S12_EUlS11_E_NS1_11comp_targetILNS1_3genE3ELNS1_11target_archE908ELNS1_3gpuE7ELNS1_3repE0EEENS1_30default_config_static_selectorELNS0_4arch9wavefront6targetE0EEEvT1_
    .private_segment_fixed_size: 0
    .sgpr_count:     0
    .sgpr_spill_count: 0
    .symbol:         _ZN7rocprim17ROCPRIM_400000_NS6detail17trampoline_kernelINS0_14default_configENS1_25partition_config_selectorILNS1_17partition_subalgoE6ExNS0_10empty_typeEbEEZZNS1_14partition_implILS5_6ELb0ES3_mN6thrust23THRUST_200600_302600_NS6detail15normal_iteratorINSA_10device_ptrIxEEEEPS6_SG_NS0_5tupleIJSF_S6_EEENSH_IJSG_SG_EEES6_PlJ7is_evenIxEEEE10hipError_tPvRmT3_T4_T5_T6_T7_T9_mT8_P12ihipStream_tbDpT10_ENKUlT_T0_E_clISt17integral_constantIbLb1EES15_IbLb0EEEEDaS11_S12_EUlS11_E_NS1_11comp_targetILNS1_3genE3ELNS1_11target_archE908ELNS1_3gpuE7ELNS1_3repE0EEENS1_30default_config_static_selectorELNS0_4arch9wavefront6targetE0EEEvT1_.kd
    .uniform_work_group_size: 1
    .uses_dynamic_stack: false
    .vgpr_count:     0
    .vgpr_spill_count: 0
    .wavefront_size: 32
    .workgroup_processor_mode: 1
  - .args:
      - .offset:         0
        .size:           112
        .value_kind:     by_value
    .group_segment_fixed_size: 0
    .kernarg_segment_align: 8
    .kernarg_segment_size: 112
    .language:       OpenCL C
    .language_version:
      - 2
      - 0
    .max_flat_workgroup_size: 256
    .name:           _ZN7rocprim17ROCPRIM_400000_NS6detail17trampoline_kernelINS0_14default_configENS1_25partition_config_selectorILNS1_17partition_subalgoE6ExNS0_10empty_typeEbEEZZNS1_14partition_implILS5_6ELb0ES3_mN6thrust23THRUST_200600_302600_NS6detail15normal_iteratorINSA_10device_ptrIxEEEEPS6_SG_NS0_5tupleIJSF_S6_EEENSH_IJSG_SG_EEES6_PlJ7is_evenIxEEEE10hipError_tPvRmT3_T4_T5_T6_T7_T9_mT8_P12ihipStream_tbDpT10_ENKUlT_T0_E_clISt17integral_constantIbLb1EES15_IbLb0EEEEDaS11_S12_EUlS11_E_NS1_11comp_targetILNS1_3genE2ELNS1_11target_archE906ELNS1_3gpuE6ELNS1_3repE0EEENS1_30default_config_static_selectorELNS0_4arch9wavefront6targetE0EEEvT1_
    .private_segment_fixed_size: 0
    .sgpr_count:     0
    .sgpr_spill_count: 0
    .symbol:         _ZN7rocprim17ROCPRIM_400000_NS6detail17trampoline_kernelINS0_14default_configENS1_25partition_config_selectorILNS1_17partition_subalgoE6ExNS0_10empty_typeEbEEZZNS1_14partition_implILS5_6ELb0ES3_mN6thrust23THRUST_200600_302600_NS6detail15normal_iteratorINSA_10device_ptrIxEEEEPS6_SG_NS0_5tupleIJSF_S6_EEENSH_IJSG_SG_EEES6_PlJ7is_evenIxEEEE10hipError_tPvRmT3_T4_T5_T6_T7_T9_mT8_P12ihipStream_tbDpT10_ENKUlT_T0_E_clISt17integral_constantIbLb1EES15_IbLb0EEEEDaS11_S12_EUlS11_E_NS1_11comp_targetILNS1_3genE2ELNS1_11target_archE906ELNS1_3gpuE6ELNS1_3repE0EEENS1_30default_config_static_selectorELNS0_4arch9wavefront6targetE0EEEvT1_.kd
    .uniform_work_group_size: 1
    .uses_dynamic_stack: false
    .vgpr_count:     0
    .vgpr_spill_count: 0
    .wavefront_size: 32
    .workgroup_processor_mode: 1
  - .args:
      - .offset:         0
        .size:           112
        .value_kind:     by_value
    .group_segment_fixed_size: 0
    .kernarg_segment_align: 8
    .kernarg_segment_size: 112
    .language:       OpenCL C
    .language_version:
      - 2
      - 0
    .max_flat_workgroup_size: 256
    .name:           _ZN7rocprim17ROCPRIM_400000_NS6detail17trampoline_kernelINS0_14default_configENS1_25partition_config_selectorILNS1_17partition_subalgoE6ExNS0_10empty_typeEbEEZZNS1_14partition_implILS5_6ELb0ES3_mN6thrust23THRUST_200600_302600_NS6detail15normal_iteratorINSA_10device_ptrIxEEEEPS6_SG_NS0_5tupleIJSF_S6_EEENSH_IJSG_SG_EEES6_PlJ7is_evenIxEEEE10hipError_tPvRmT3_T4_T5_T6_T7_T9_mT8_P12ihipStream_tbDpT10_ENKUlT_T0_E_clISt17integral_constantIbLb1EES15_IbLb0EEEEDaS11_S12_EUlS11_E_NS1_11comp_targetILNS1_3genE10ELNS1_11target_archE1200ELNS1_3gpuE4ELNS1_3repE0EEENS1_30default_config_static_selectorELNS0_4arch9wavefront6targetE0EEEvT1_
    .private_segment_fixed_size: 0
    .sgpr_count:     0
    .sgpr_spill_count: 0
    .symbol:         _ZN7rocprim17ROCPRIM_400000_NS6detail17trampoline_kernelINS0_14default_configENS1_25partition_config_selectorILNS1_17partition_subalgoE6ExNS0_10empty_typeEbEEZZNS1_14partition_implILS5_6ELb0ES3_mN6thrust23THRUST_200600_302600_NS6detail15normal_iteratorINSA_10device_ptrIxEEEEPS6_SG_NS0_5tupleIJSF_S6_EEENSH_IJSG_SG_EEES6_PlJ7is_evenIxEEEE10hipError_tPvRmT3_T4_T5_T6_T7_T9_mT8_P12ihipStream_tbDpT10_ENKUlT_T0_E_clISt17integral_constantIbLb1EES15_IbLb0EEEEDaS11_S12_EUlS11_E_NS1_11comp_targetILNS1_3genE10ELNS1_11target_archE1200ELNS1_3gpuE4ELNS1_3repE0EEENS1_30default_config_static_selectorELNS0_4arch9wavefront6targetE0EEEvT1_.kd
    .uniform_work_group_size: 1
    .uses_dynamic_stack: false
    .vgpr_count:     0
    .vgpr_spill_count: 0
    .wavefront_size: 32
    .workgroup_processor_mode: 1
  - .args:
      - .offset:         0
        .size:           112
        .value_kind:     by_value
    .group_segment_fixed_size: 18448
    .kernarg_segment_align: 8
    .kernarg_segment_size: 112
    .language:       OpenCL C
    .language_version:
      - 2
      - 0
    .max_flat_workgroup_size: 384
    .name:           _ZN7rocprim17ROCPRIM_400000_NS6detail17trampoline_kernelINS0_14default_configENS1_25partition_config_selectorILNS1_17partition_subalgoE6ExNS0_10empty_typeEbEEZZNS1_14partition_implILS5_6ELb0ES3_mN6thrust23THRUST_200600_302600_NS6detail15normal_iteratorINSA_10device_ptrIxEEEEPS6_SG_NS0_5tupleIJSF_S6_EEENSH_IJSG_SG_EEES6_PlJ7is_evenIxEEEE10hipError_tPvRmT3_T4_T5_T6_T7_T9_mT8_P12ihipStream_tbDpT10_ENKUlT_T0_E_clISt17integral_constantIbLb1EES15_IbLb0EEEEDaS11_S12_EUlS11_E_NS1_11comp_targetILNS1_3genE9ELNS1_11target_archE1100ELNS1_3gpuE3ELNS1_3repE0EEENS1_30default_config_static_selectorELNS0_4arch9wavefront6targetE0EEEvT1_
    .private_segment_fixed_size: 0
    .sgpr_count:     22
    .sgpr_spill_count: 0
    .symbol:         _ZN7rocprim17ROCPRIM_400000_NS6detail17trampoline_kernelINS0_14default_configENS1_25partition_config_selectorILNS1_17partition_subalgoE6ExNS0_10empty_typeEbEEZZNS1_14partition_implILS5_6ELb0ES3_mN6thrust23THRUST_200600_302600_NS6detail15normal_iteratorINSA_10device_ptrIxEEEEPS6_SG_NS0_5tupleIJSF_S6_EEENSH_IJSG_SG_EEES6_PlJ7is_evenIxEEEE10hipError_tPvRmT3_T4_T5_T6_T7_T9_mT8_P12ihipStream_tbDpT10_ENKUlT_T0_E_clISt17integral_constantIbLb1EES15_IbLb0EEEEDaS11_S12_EUlS11_E_NS1_11comp_targetILNS1_3genE9ELNS1_11target_archE1100ELNS1_3gpuE3ELNS1_3repE0EEENS1_30default_config_static_selectorELNS0_4arch9wavefront6targetE0EEEvT1_.kd
    .uniform_work_group_size: 1
    .uses_dynamic_stack: false
    .vgpr_count:     54
    .vgpr_spill_count: 0
    .wavefront_size: 32
    .workgroup_processor_mode: 1
  - .args:
      - .offset:         0
        .size:           112
        .value_kind:     by_value
    .group_segment_fixed_size: 0
    .kernarg_segment_align: 8
    .kernarg_segment_size: 112
    .language:       OpenCL C
    .language_version:
      - 2
      - 0
    .max_flat_workgroup_size: 512
    .name:           _ZN7rocprim17ROCPRIM_400000_NS6detail17trampoline_kernelINS0_14default_configENS1_25partition_config_selectorILNS1_17partition_subalgoE6ExNS0_10empty_typeEbEEZZNS1_14partition_implILS5_6ELb0ES3_mN6thrust23THRUST_200600_302600_NS6detail15normal_iteratorINSA_10device_ptrIxEEEEPS6_SG_NS0_5tupleIJSF_S6_EEENSH_IJSG_SG_EEES6_PlJ7is_evenIxEEEE10hipError_tPvRmT3_T4_T5_T6_T7_T9_mT8_P12ihipStream_tbDpT10_ENKUlT_T0_E_clISt17integral_constantIbLb1EES15_IbLb0EEEEDaS11_S12_EUlS11_E_NS1_11comp_targetILNS1_3genE8ELNS1_11target_archE1030ELNS1_3gpuE2ELNS1_3repE0EEENS1_30default_config_static_selectorELNS0_4arch9wavefront6targetE0EEEvT1_
    .private_segment_fixed_size: 0
    .sgpr_count:     0
    .sgpr_spill_count: 0
    .symbol:         _ZN7rocprim17ROCPRIM_400000_NS6detail17trampoline_kernelINS0_14default_configENS1_25partition_config_selectorILNS1_17partition_subalgoE6ExNS0_10empty_typeEbEEZZNS1_14partition_implILS5_6ELb0ES3_mN6thrust23THRUST_200600_302600_NS6detail15normal_iteratorINSA_10device_ptrIxEEEEPS6_SG_NS0_5tupleIJSF_S6_EEENSH_IJSG_SG_EEES6_PlJ7is_evenIxEEEE10hipError_tPvRmT3_T4_T5_T6_T7_T9_mT8_P12ihipStream_tbDpT10_ENKUlT_T0_E_clISt17integral_constantIbLb1EES15_IbLb0EEEEDaS11_S12_EUlS11_E_NS1_11comp_targetILNS1_3genE8ELNS1_11target_archE1030ELNS1_3gpuE2ELNS1_3repE0EEENS1_30default_config_static_selectorELNS0_4arch9wavefront6targetE0EEEvT1_.kd
    .uniform_work_group_size: 1
    .uses_dynamic_stack: false
    .vgpr_count:     0
    .vgpr_spill_count: 0
    .wavefront_size: 32
    .workgroup_processor_mode: 1
  - .args:
      - .offset:         0
        .size:           128
        .value_kind:     by_value
    .group_segment_fixed_size: 0
    .kernarg_segment_align: 8
    .kernarg_segment_size: 128
    .language:       OpenCL C
    .language_version:
      - 2
      - 0
    .max_flat_workgroup_size: 128
    .name:           _ZN7rocprim17ROCPRIM_400000_NS6detail17trampoline_kernelINS0_14default_configENS1_25partition_config_selectorILNS1_17partition_subalgoE6ExNS0_10empty_typeEbEEZZNS1_14partition_implILS5_6ELb0ES3_mN6thrust23THRUST_200600_302600_NS6detail15normal_iteratorINSA_10device_ptrIxEEEEPS6_SG_NS0_5tupleIJSF_S6_EEENSH_IJSG_SG_EEES6_PlJ7is_evenIxEEEE10hipError_tPvRmT3_T4_T5_T6_T7_T9_mT8_P12ihipStream_tbDpT10_ENKUlT_T0_E_clISt17integral_constantIbLb0EES15_IbLb1EEEEDaS11_S12_EUlS11_E_NS1_11comp_targetILNS1_3genE0ELNS1_11target_archE4294967295ELNS1_3gpuE0ELNS1_3repE0EEENS1_30default_config_static_selectorELNS0_4arch9wavefront6targetE0EEEvT1_
    .private_segment_fixed_size: 0
    .sgpr_count:     0
    .sgpr_spill_count: 0
    .symbol:         _ZN7rocprim17ROCPRIM_400000_NS6detail17trampoline_kernelINS0_14default_configENS1_25partition_config_selectorILNS1_17partition_subalgoE6ExNS0_10empty_typeEbEEZZNS1_14partition_implILS5_6ELb0ES3_mN6thrust23THRUST_200600_302600_NS6detail15normal_iteratorINSA_10device_ptrIxEEEEPS6_SG_NS0_5tupleIJSF_S6_EEENSH_IJSG_SG_EEES6_PlJ7is_evenIxEEEE10hipError_tPvRmT3_T4_T5_T6_T7_T9_mT8_P12ihipStream_tbDpT10_ENKUlT_T0_E_clISt17integral_constantIbLb0EES15_IbLb1EEEEDaS11_S12_EUlS11_E_NS1_11comp_targetILNS1_3genE0ELNS1_11target_archE4294967295ELNS1_3gpuE0ELNS1_3repE0EEENS1_30default_config_static_selectorELNS0_4arch9wavefront6targetE0EEEvT1_.kd
    .uniform_work_group_size: 1
    .uses_dynamic_stack: false
    .vgpr_count:     0
    .vgpr_spill_count: 0
    .wavefront_size: 32
    .workgroup_processor_mode: 1
  - .args:
      - .offset:         0
        .size:           128
        .value_kind:     by_value
    .group_segment_fixed_size: 0
    .kernarg_segment_align: 8
    .kernarg_segment_size: 128
    .language:       OpenCL C
    .language_version:
      - 2
      - 0
    .max_flat_workgroup_size: 512
    .name:           _ZN7rocprim17ROCPRIM_400000_NS6detail17trampoline_kernelINS0_14default_configENS1_25partition_config_selectorILNS1_17partition_subalgoE6ExNS0_10empty_typeEbEEZZNS1_14partition_implILS5_6ELb0ES3_mN6thrust23THRUST_200600_302600_NS6detail15normal_iteratorINSA_10device_ptrIxEEEEPS6_SG_NS0_5tupleIJSF_S6_EEENSH_IJSG_SG_EEES6_PlJ7is_evenIxEEEE10hipError_tPvRmT3_T4_T5_T6_T7_T9_mT8_P12ihipStream_tbDpT10_ENKUlT_T0_E_clISt17integral_constantIbLb0EES15_IbLb1EEEEDaS11_S12_EUlS11_E_NS1_11comp_targetILNS1_3genE5ELNS1_11target_archE942ELNS1_3gpuE9ELNS1_3repE0EEENS1_30default_config_static_selectorELNS0_4arch9wavefront6targetE0EEEvT1_
    .private_segment_fixed_size: 0
    .sgpr_count:     0
    .sgpr_spill_count: 0
    .symbol:         _ZN7rocprim17ROCPRIM_400000_NS6detail17trampoline_kernelINS0_14default_configENS1_25partition_config_selectorILNS1_17partition_subalgoE6ExNS0_10empty_typeEbEEZZNS1_14partition_implILS5_6ELb0ES3_mN6thrust23THRUST_200600_302600_NS6detail15normal_iteratorINSA_10device_ptrIxEEEEPS6_SG_NS0_5tupleIJSF_S6_EEENSH_IJSG_SG_EEES6_PlJ7is_evenIxEEEE10hipError_tPvRmT3_T4_T5_T6_T7_T9_mT8_P12ihipStream_tbDpT10_ENKUlT_T0_E_clISt17integral_constantIbLb0EES15_IbLb1EEEEDaS11_S12_EUlS11_E_NS1_11comp_targetILNS1_3genE5ELNS1_11target_archE942ELNS1_3gpuE9ELNS1_3repE0EEENS1_30default_config_static_selectorELNS0_4arch9wavefront6targetE0EEEvT1_.kd
    .uniform_work_group_size: 1
    .uses_dynamic_stack: false
    .vgpr_count:     0
    .vgpr_spill_count: 0
    .wavefront_size: 32
    .workgroup_processor_mode: 1
  - .args:
      - .offset:         0
        .size:           128
        .value_kind:     by_value
    .group_segment_fixed_size: 0
    .kernarg_segment_align: 8
    .kernarg_segment_size: 128
    .language:       OpenCL C
    .language_version:
      - 2
      - 0
    .max_flat_workgroup_size: 512
    .name:           _ZN7rocprim17ROCPRIM_400000_NS6detail17trampoline_kernelINS0_14default_configENS1_25partition_config_selectorILNS1_17partition_subalgoE6ExNS0_10empty_typeEbEEZZNS1_14partition_implILS5_6ELb0ES3_mN6thrust23THRUST_200600_302600_NS6detail15normal_iteratorINSA_10device_ptrIxEEEEPS6_SG_NS0_5tupleIJSF_S6_EEENSH_IJSG_SG_EEES6_PlJ7is_evenIxEEEE10hipError_tPvRmT3_T4_T5_T6_T7_T9_mT8_P12ihipStream_tbDpT10_ENKUlT_T0_E_clISt17integral_constantIbLb0EES15_IbLb1EEEEDaS11_S12_EUlS11_E_NS1_11comp_targetILNS1_3genE4ELNS1_11target_archE910ELNS1_3gpuE8ELNS1_3repE0EEENS1_30default_config_static_selectorELNS0_4arch9wavefront6targetE0EEEvT1_
    .private_segment_fixed_size: 0
    .sgpr_count:     0
    .sgpr_spill_count: 0
    .symbol:         _ZN7rocprim17ROCPRIM_400000_NS6detail17trampoline_kernelINS0_14default_configENS1_25partition_config_selectorILNS1_17partition_subalgoE6ExNS0_10empty_typeEbEEZZNS1_14partition_implILS5_6ELb0ES3_mN6thrust23THRUST_200600_302600_NS6detail15normal_iteratorINSA_10device_ptrIxEEEEPS6_SG_NS0_5tupleIJSF_S6_EEENSH_IJSG_SG_EEES6_PlJ7is_evenIxEEEE10hipError_tPvRmT3_T4_T5_T6_T7_T9_mT8_P12ihipStream_tbDpT10_ENKUlT_T0_E_clISt17integral_constantIbLb0EES15_IbLb1EEEEDaS11_S12_EUlS11_E_NS1_11comp_targetILNS1_3genE4ELNS1_11target_archE910ELNS1_3gpuE8ELNS1_3repE0EEENS1_30default_config_static_selectorELNS0_4arch9wavefront6targetE0EEEvT1_.kd
    .uniform_work_group_size: 1
    .uses_dynamic_stack: false
    .vgpr_count:     0
    .vgpr_spill_count: 0
    .wavefront_size: 32
    .workgroup_processor_mode: 1
  - .args:
      - .offset:         0
        .size:           128
        .value_kind:     by_value
    .group_segment_fixed_size: 0
    .kernarg_segment_align: 8
    .kernarg_segment_size: 128
    .language:       OpenCL C
    .language_version:
      - 2
      - 0
    .max_flat_workgroup_size: 128
    .name:           _ZN7rocprim17ROCPRIM_400000_NS6detail17trampoline_kernelINS0_14default_configENS1_25partition_config_selectorILNS1_17partition_subalgoE6ExNS0_10empty_typeEbEEZZNS1_14partition_implILS5_6ELb0ES3_mN6thrust23THRUST_200600_302600_NS6detail15normal_iteratorINSA_10device_ptrIxEEEEPS6_SG_NS0_5tupleIJSF_S6_EEENSH_IJSG_SG_EEES6_PlJ7is_evenIxEEEE10hipError_tPvRmT3_T4_T5_T6_T7_T9_mT8_P12ihipStream_tbDpT10_ENKUlT_T0_E_clISt17integral_constantIbLb0EES15_IbLb1EEEEDaS11_S12_EUlS11_E_NS1_11comp_targetILNS1_3genE3ELNS1_11target_archE908ELNS1_3gpuE7ELNS1_3repE0EEENS1_30default_config_static_selectorELNS0_4arch9wavefront6targetE0EEEvT1_
    .private_segment_fixed_size: 0
    .sgpr_count:     0
    .sgpr_spill_count: 0
    .symbol:         _ZN7rocprim17ROCPRIM_400000_NS6detail17trampoline_kernelINS0_14default_configENS1_25partition_config_selectorILNS1_17partition_subalgoE6ExNS0_10empty_typeEbEEZZNS1_14partition_implILS5_6ELb0ES3_mN6thrust23THRUST_200600_302600_NS6detail15normal_iteratorINSA_10device_ptrIxEEEEPS6_SG_NS0_5tupleIJSF_S6_EEENSH_IJSG_SG_EEES6_PlJ7is_evenIxEEEE10hipError_tPvRmT3_T4_T5_T6_T7_T9_mT8_P12ihipStream_tbDpT10_ENKUlT_T0_E_clISt17integral_constantIbLb0EES15_IbLb1EEEEDaS11_S12_EUlS11_E_NS1_11comp_targetILNS1_3genE3ELNS1_11target_archE908ELNS1_3gpuE7ELNS1_3repE0EEENS1_30default_config_static_selectorELNS0_4arch9wavefront6targetE0EEEvT1_.kd
    .uniform_work_group_size: 1
    .uses_dynamic_stack: false
    .vgpr_count:     0
    .vgpr_spill_count: 0
    .wavefront_size: 32
    .workgroup_processor_mode: 1
  - .args:
      - .offset:         0
        .size:           128
        .value_kind:     by_value
    .group_segment_fixed_size: 0
    .kernarg_segment_align: 8
    .kernarg_segment_size: 128
    .language:       OpenCL C
    .language_version:
      - 2
      - 0
    .max_flat_workgroup_size: 256
    .name:           _ZN7rocprim17ROCPRIM_400000_NS6detail17trampoline_kernelINS0_14default_configENS1_25partition_config_selectorILNS1_17partition_subalgoE6ExNS0_10empty_typeEbEEZZNS1_14partition_implILS5_6ELb0ES3_mN6thrust23THRUST_200600_302600_NS6detail15normal_iteratorINSA_10device_ptrIxEEEEPS6_SG_NS0_5tupleIJSF_S6_EEENSH_IJSG_SG_EEES6_PlJ7is_evenIxEEEE10hipError_tPvRmT3_T4_T5_T6_T7_T9_mT8_P12ihipStream_tbDpT10_ENKUlT_T0_E_clISt17integral_constantIbLb0EES15_IbLb1EEEEDaS11_S12_EUlS11_E_NS1_11comp_targetILNS1_3genE2ELNS1_11target_archE906ELNS1_3gpuE6ELNS1_3repE0EEENS1_30default_config_static_selectorELNS0_4arch9wavefront6targetE0EEEvT1_
    .private_segment_fixed_size: 0
    .sgpr_count:     0
    .sgpr_spill_count: 0
    .symbol:         _ZN7rocprim17ROCPRIM_400000_NS6detail17trampoline_kernelINS0_14default_configENS1_25partition_config_selectorILNS1_17partition_subalgoE6ExNS0_10empty_typeEbEEZZNS1_14partition_implILS5_6ELb0ES3_mN6thrust23THRUST_200600_302600_NS6detail15normal_iteratorINSA_10device_ptrIxEEEEPS6_SG_NS0_5tupleIJSF_S6_EEENSH_IJSG_SG_EEES6_PlJ7is_evenIxEEEE10hipError_tPvRmT3_T4_T5_T6_T7_T9_mT8_P12ihipStream_tbDpT10_ENKUlT_T0_E_clISt17integral_constantIbLb0EES15_IbLb1EEEEDaS11_S12_EUlS11_E_NS1_11comp_targetILNS1_3genE2ELNS1_11target_archE906ELNS1_3gpuE6ELNS1_3repE0EEENS1_30default_config_static_selectorELNS0_4arch9wavefront6targetE0EEEvT1_.kd
    .uniform_work_group_size: 1
    .uses_dynamic_stack: false
    .vgpr_count:     0
    .vgpr_spill_count: 0
    .wavefront_size: 32
    .workgroup_processor_mode: 1
  - .args:
      - .offset:         0
        .size:           128
        .value_kind:     by_value
    .group_segment_fixed_size: 0
    .kernarg_segment_align: 8
    .kernarg_segment_size: 128
    .language:       OpenCL C
    .language_version:
      - 2
      - 0
    .max_flat_workgroup_size: 256
    .name:           _ZN7rocprim17ROCPRIM_400000_NS6detail17trampoline_kernelINS0_14default_configENS1_25partition_config_selectorILNS1_17partition_subalgoE6ExNS0_10empty_typeEbEEZZNS1_14partition_implILS5_6ELb0ES3_mN6thrust23THRUST_200600_302600_NS6detail15normal_iteratorINSA_10device_ptrIxEEEEPS6_SG_NS0_5tupleIJSF_S6_EEENSH_IJSG_SG_EEES6_PlJ7is_evenIxEEEE10hipError_tPvRmT3_T4_T5_T6_T7_T9_mT8_P12ihipStream_tbDpT10_ENKUlT_T0_E_clISt17integral_constantIbLb0EES15_IbLb1EEEEDaS11_S12_EUlS11_E_NS1_11comp_targetILNS1_3genE10ELNS1_11target_archE1200ELNS1_3gpuE4ELNS1_3repE0EEENS1_30default_config_static_selectorELNS0_4arch9wavefront6targetE0EEEvT1_
    .private_segment_fixed_size: 0
    .sgpr_count:     0
    .sgpr_spill_count: 0
    .symbol:         _ZN7rocprim17ROCPRIM_400000_NS6detail17trampoline_kernelINS0_14default_configENS1_25partition_config_selectorILNS1_17partition_subalgoE6ExNS0_10empty_typeEbEEZZNS1_14partition_implILS5_6ELb0ES3_mN6thrust23THRUST_200600_302600_NS6detail15normal_iteratorINSA_10device_ptrIxEEEEPS6_SG_NS0_5tupleIJSF_S6_EEENSH_IJSG_SG_EEES6_PlJ7is_evenIxEEEE10hipError_tPvRmT3_T4_T5_T6_T7_T9_mT8_P12ihipStream_tbDpT10_ENKUlT_T0_E_clISt17integral_constantIbLb0EES15_IbLb1EEEEDaS11_S12_EUlS11_E_NS1_11comp_targetILNS1_3genE10ELNS1_11target_archE1200ELNS1_3gpuE4ELNS1_3repE0EEENS1_30default_config_static_selectorELNS0_4arch9wavefront6targetE0EEEvT1_.kd
    .uniform_work_group_size: 1
    .uses_dynamic_stack: false
    .vgpr_count:     0
    .vgpr_spill_count: 0
    .wavefront_size: 32
    .workgroup_processor_mode: 1
  - .args:
      - .offset:         0
        .size:           128
        .value_kind:     by_value
    .group_segment_fixed_size: 18448
    .kernarg_segment_align: 8
    .kernarg_segment_size: 128
    .language:       OpenCL C
    .language_version:
      - 2
      - 0
    .max_flat_workgroup_size: 384
    .name:           _ZN7rocprim17ROCPRIM_400000_NS6detail17trampoline_kernelINS0_14default_configENS1_25partition_config_selectorILNS1_17partition_subalgoE6ExNS0_10empty_typeEbEEZZNS1_14partition_implILS5_6ELb0ES3_mN6thrust23THRUST_200600_302600_NS6detail15normal_iteratorINSA_10device_ptrIxEEEEPS6_SG_NS0_5tupleIJSF_S6_EEENSH_IJSG_SG_EEES6_PlJ7is_evenIxEEEE10hipError_tPvRmT3_T4_T5_T6_T7_T9_mT8_P12ihipStream_tbDpT10_ENKUlT_T0_E_clISt17integral_constantIbLb0EES15_IbLb1EEEEDaS11_S12_EUlS11_E_NS1_11comp_targetILNS1_3genE9ELNS1_11target_archE1100ELNS1_3gpuE3ELNS1_3repE0EEENS1_30default_config_static_selectorELNS0_4arch9wavefront6targetE0EEEvT1_
    .private_segment_fixed_size: 0
    .sgpr_count:     20
    .sgpr_spill_count: 0
    .symbol:         _ZN7rocprim17ROCPRIM_400000_NS6detail17trampoline_kernelINS0_14default_configENS1_25partition_config_selectorILNS1_17partition_subalgoE6ExNS0_10empty_typeEbEEZZNS1_14partition_implILS5_6ELb0ES3_mN6thrust23THRUST_200600_302600_NS6detail15normal_iteratorINSA_10device_ptrIxEEEEPS6_SG_NS0_5tupleIJSF_S6_EEENSH_IJSG_SG_EEES6_PlJ7is_evenIxEEEE10hipError_tPvRmT3_T4_T5_T6_T7_T9_mT8_P12ihipStream_tbDpT10_ENKUlT_T0_E_clISt17integral_constantIbLb0EES15_IbLb1EEEEDaS11_S12_EUlS11_E_NS1_11comp_targetILNS1_3genE9ELNS1_11target_archE1100ELNS1_3gpuE3ELNS1_3repE0EEENS1_30default_config_static_selectorELNS0_4arch9wavefront6targetE0EEEvT1_.kd
    .uniform_work_group_size: 1
    .uses_dynamic_stack: false
    .vgpr_count:     56
    .vgpr_spill_count: 0
    .wavefront_size: 32
    .workgroup_processor_mode: 1
  - .args:
      - .offset:         0
        .size:           128
        .value_kind:     by_value
    .group_segment_fixed_size: 0
    .kernarg_segment_align: 8
    .kernarg_segment_size: 128
    .language:       OpenCL C
    .language_version:
      - 2
      - 0
    .max_flat_workgroup_size: 512
    .name:           _ZN7rocprim17ROCPRIM_400000_NS6detail17trampoline_kernelINS0_14default_configENS1_25partition_config_selectorILNS1_17partition_subalgoE6ExNS0_10empty_typeEbEEZZNS1_14partition_implILS5_6ELb0ES3_mN6thrust23THRUST_200600_302600_NS6detail15normal_iteratorINSA_10device_ptrIxEEEEPS6_SG_NS0_5tupleIJSF_S6_EEENSH_IJSG_SG_EEES6_PlJ7is_evenIxEEEE10hipError_tPvRmT3_T4_T5_T6_T7_T9_mT8_P12ihipStream_tbDpT10_ENKUlT_T0_E_clISt17integral_constantIbLb0EES15_IbLb1EEEEDaS11_S12_EUlS11_E_NS1_11comp_targetILNS1_3genE8ELNS1_11target_archE1030ELNS1_3gpuE2ELNS1_3repE0EEENS1_30default_config_static_selectorELNS0_4arch9wavefront6targetE0EEEvT1_
    .private_segment_fixed_size: 0
    .sgpr_count:     0
    .sgpr_spill_count: 0
    .symbol:         _ZN7rocprim17ROCPRIM_400000_NS6detail17trampoline_kernelINS0_14default_configENS1_25partition_config_selectorILNS1_17partition_subalgoE6ExNS0_10empty_typeEbEEZZNS1_14partition_implILS5_6ELb0ES3_mN6thrust23THRUST_200600_302600_NS6detail15normal_iteratorINSA_10device_ptrIxEEEEPS6_SG_NS0_5tupleIJSF_S6_EEENSH_IJSG_SG_EEES6_PlJ7is_evenIxEEEE10hipError_tPvRmT3_T4_T5_T6_T7_T9_mT8_P12ihipStream_tbDpT10_ENKUlT_T0_E_clISt17integral_constantIbLb0EES15_IbLb1EEEEDaS11_S12_EUlS11_E_NS1_11comp_targetILNS1_3genE8ELNS1_11target_archE1030ELNS1_3gpuE2ELNS1_3repE0EEENS1_30default_config_static_selectorELNS0_4arch9wavefront6targetE0EEEvT1_.kd
    .uniform_work_group_size: 1
    .uses_dynamic_stack: false
    .vgpr_count:     0
    .vgpr_spill_count: 0
    .wavefront_size: 32
    .workgroup_processor_mode: 1
  - .args:
      - .offset:         0
        .size:           112
        .value_kind:     by_value
    .group_segment_fixed_size: 0
    .kernarg_segment_align: 8
    .kernarg_segment_size: 112
    .language:       OpenCL C
    .language_version:
      - 2
      - 0
    .max_flat_workgroup_size: 256
    .name:           _ZN7rocprim17ROCPRIM_400000_NS6detail17trampoline_kernelINS0_14default_configENS1_25partition_config_selectorILNS1_17partition_subalgoE6EiNS0_10empty_typeEbEEZZNS1_14partition_implILS5_6ELb0ES3_mN6thrust23THRUST_200600_302600_NS6detail15normal_iteratorINSA_10device_ptrIiEEEEPS6_SG_NS0_5tupleIJSF_S6_EEENSH_IJSG_SG_EEES6_PlJ7is_evenIiEEEE10hipError_tPvRmT3_T4_T5_T6_T7_T9_mT8_P12ihipStream_tbDpT10_ENKUlT_T0_E_clISt17integral_constantIbLb0EES16_EEDaS11_S12_EUlS11_E_NS1_11comp_targetILNS1_3genE0ELNS1_11target_archE4294967295ELNS1_3gpuE0ELNS1_3repE0EEENS1_30default_config_static_selectorELNS0_4arch9wavefront6targetE0EEEvT1_
    .private_segment_fixed_size: 0
    .sgpr_count:     0
    .sgpr_spill_count: 0
    .symbol:         _ZN7rocprim17ROCPRIM_400000_NS6detail17trampoline_kernelINS0_14default_configENS1_25partition_config_selectorILNS1_17partition_subalgoE6EiNS0_10empty_typeEbEEZZNS1_14partition_implILS5_6ELb0ES3_mN6thrust23THRUST_200600_302600_NS6detail15normal_iteratorINSA_10device_ptrIiEEEEPS6_SG_NS0_5tupleIJSF_S6_EEENSH_IJSG_SG_EEES6_PlJ7is_evenIiEEEE10hipError_tPvRmT3_T4_T5_T6_T7_T9_mT8_P12ihipStream_tbDpT10_ENKUlT_T0_E_clISt17integral_constantIbLb0EES16_EEDaS11_S12_EUlS11_E_NS1_11comp_targetILNS1_3genE0ELNS1_11target_archE4294967295ELNS1_3gpuE0ELNS1_3repE0EEENS1_30default_config_static_selectorELNS0_4arch9wavefront6targetE0EEEvT1_.kd
    .uniform_work_group_size: 1
    .uses_dynamic_stack: false
    .vgpr_count:     0
    .vgpr_spill_count: 0
    .wavefront_size: 32
    .workgroup_processor_mode: 1
  - .args:
      - .offset:         0
        .size:           112
        .value_kind:     by_value
    .group_segment_fixed_size: 0
    .kernarg_segment_align: 8
    .kernarg_segment_size: 112
    .language:       OpenCL C
    .language_version:
      - 2
      - 0
    .max_flat_workgroup_size: 512
    .name:           _ZN7rocprim17ROCPRIM_400000_NS6detail17trampoline_kernelINS0_14default_configENS1_25partition_config_selectorILNS1_17partition_subalgoE6EiNS0_10empty_typeEbEEZZNS1_14partition_implILS5_6ELb0ES3_mN6thrust23THRUST_200600_302600_NS6detail15normal_iteratorINSA_10device_ptrIiEEEEPS6_SG_NS0_5tupleIJSF_S6_EEENSH_IJSG_SG_EEES6_PlJ7is_evenIiEEEE10hipError_tPvRmT3_T4_T5_T6_T7_T9_mT8_P12ihipStream_tbDpT10_ENKUlT_T0_E_clISt17integral_constantIbLb0EES16_EEDaS11_S12_EUlS11_E_NS1_11comp_targetILNS1_3genE5ELNS1_11target_archE942ELNS1_3gpuE9ELNS1_3repE0EEENS1_30default_config_static_selectorELNS0_4arch9wavefront6targetE0EEEvT1_
    .private_segment_fixed_size: 0
    .sgpr_count:     0
    .sgpr_spill_count: 0
    .symbol:         _ZN7rocprim17ROCPRIM_400000_NS6detail17trampoline_kernelINS0_14default_configENS1_25partition_config_selectorILNS1_17partition_subalgoE6EiNS0_10empty_typeEbEEZZNS1_14partition_implILS5_6ELb0ES3_mN6thrust23THRUST_200600_302600_NS6detail15normal_iteratorINSA_10device_ptrIiEEEEPS6_SG_NS0_5tupleIJSF_S6_EEENSH_IJSG_SG_EEES6_PlJ7is_evenIiEEEE10hipError_tPvRmT3_T4_T5_T6_T7_T9_mT8_P12ihipStream_tbDpT10_ENKUlT_T0_E_clISt17integral_constantIbLb0EES16_EEDaS11_S12_EUlS11_E_NS1_11comp_targetILNS1_3genE5ELNS1_11target_archE942ELNS1_3gpuE9ELNS1_3repE0EEENS1_30default_config_static_selectorELNS0_4arch9wavefront6targetE0EEEvT1_.kd
    .uniform_work_group_size: 1
    .uses_dynamic_stack: false
    .vgpr_count:     0
    .vgpr_spill_count: 0
    .wavefront_size: 32
    .workgroup_processor_mode: 1
  - .args:
      - .offset:         0
        .size:           112
        .value_kind:     by_value
    .group_segment_fixed_size: 0
    .kernarg_segment_align: 8
    .kernarg_segment_size: 112
    .language:       OpenCL C
    .language_version:
      - 2
      - 0
    .max_flat_workgroup_size: 512
    .name:           _ZN7rocprim17ROCPRIM_400000_NS6detail17trampoline_kernelINS0_14default_configENS1_25partition_config_selectorILNS1_17partition_subalgoE6EiNS0_10empty_typeEbEEZZNS1_14partition_implILS5_6ELb0ES3_mN6thrust23THRUST_200600_302600_NS6detail15normal_iteratorINSA_10device_ptrIiEEEEPS6_SG_NS0_5tupleIJSF_S6_EEENSH_IJSG_SG_EEES6_PlJ7is_evenIiEEEE10hipError_tPvRmT3_T4_T5_T6_T7_T9_mT8_P12ihipStream_tbDpT10_ENKUlT_T0_E_clISt17integral_constantIbLb0EES16_EEDaS11_S12_EUlS11_E_NS1_11comp_targetILNS1_3genE4ELNS1_11target_archE910ELNS1_3gpuE8ELNS1_3repE0EEENS1_30default_config_static_selectorELNS0_4arch9wavefront6targetE0EEEvT1_
    .private_segment_fixed_size: 0
    .sgpr_count:     0
    .sgpr_spill_count: 0
    .symbol:         _ZN7rocprim17ROCPRIM_400000_NS6detail17trampoline_kernelINS0_14default_configENS1_25partition_config_selectorILNS1_17partition_subalgoE6EiNS0_10empty_typeEbEEZZNS1_14partition_implILS5_6ELb0ES3_mN6thrust23THRUST_200600_302600_NS6detail15normal_iteratorINSA_10device_ptrIiEEEEPS6_SG_NS0_5tupleIJSF_S6_EEENSH_IJSG_SG_EEES6_PlJ7is_evenIiEEEE10hipError_tPvRmT3_T4_T5_T6_T7_T9_mT8_P12ihipStream_tbDpT10_ENKUlT_T0_E_clISt17integral_constantIbLb0EES16_EEDaS11_S12_EUlS11_E_NS1_11comp_targetILNS1_3genE4ELNS1_11target_archE910ELNS1_3gpuE8ELNS1_3repE0EEENS1_30default_config_static_selectorELNS0_4arch9wavefront6targetE0EEEvT1_.kd
    .uniform_work_group_size: 1
    .uses_dynamic_stack: false
    .vgpr_count:     0
    .vgpr_spill_count: 0
    .wavefront_size: 32
    .workgroup_processor_mode: 1
  - .args:
      - .offset:         0
        .size:           112
        .value_kind:     by_value
    .group_segment_fixed_size: 0
    .kernarg_segment_align: 8
    .kernarg_segment_size: 112
    .language:       OpenCL C
    .language_version:
      - 2
      - 0
    .max_flat_workgroup_size: 256
    .name:           _ZN7rocprim17ROCPRIM_400000_NS6detail17trampoline_kernelINS0_14default_configENS1_25partition_config_selectorILNS1_17partition_subalgoE6EiNS0_10empty_typeEbEEZZNS1_14partition_implILS5_6ELb0ES3_mN6thrust23THRUST_200600_302600_NS6detail15normal_iteratorINSA_10device_ptrIiEEEEPS6_SG_NS0_5tupleIJSF_S6_EEENSH_IJSG_SG_EEES6_PlJ7is_evenIiEEEE10hipError_tPvRmT3_T4_T5_T6_T7_T9_mT8_P12ihipStream_tbDpT10_ENKUlT_T0_E_clISt17integral_constantIbLb0EES16_EEDaS11_S12_EUlS11_E_NS1_11comp_targetILNS1_3genE3ELNS1_11target_archE908ELNS1_3gpuE7ELNS1_3repE0EEENS1_30default_config_static_selectorELNS0_4arch9wavefront6targetE0EEEvT1_
    .private_segment_fixed_size: 0
    .sgpr_count:     0
    .sgpr_spill_count: 0
    .symbol:         _ZN7rocprim17ROCPRIM_400000_NS6detail17trampoline_kernelINS0_14default_configENS1_25partition_config_selectorILNS1_17partition_subalgoE6EiNS0_10empty_typeEbEEZZNS1_14partition_implILS5_6ELb0ES3_mN6thrust23THRUST_200600_302600_NS6detail15normal_iteratorINSA_10device_ptrIiEEEEPS6_SG_NS0_5tupleIJSF_S6_EEENSH_IJSG_SG_EEES6_PlJ7is_evenIiEEEE10hipError_tPvRmT3_T4_T5_T6_T7_T9_mT8_P12ihipStream_tbDpT10_ENKUlT_T0_E_clISt17integral_constantIbLb0EES16_EEDaS11_S12_EUlS11_E_NS1_11comp_targetILNS1_3genE3ELNS1_11target_archE908ELNS1_3gpuE7ELNS1_3repE0EEENS1_30default_config_static_selectorELNS0_4arch9wavefront6targetE0EEEvT1_.kd
    .uniform_work_group_size: 1
    .uses_dynamic_stack: false
    .vgpr_count:     0
    .vgpr_spill_count: 0
    .wavefront_size: 32
    .workgroup_processor_mode: 1
  - .args:
      - .offset:         0
        .size:           112
        .value_kind:     by_value
    .group_segment_fixed_size: 0
    .kernarg_segment_align: 8
    .kernarg_segment_size: 112
    .language:       OpenCL C
    .language_version:
      - 2
      - 0
    .max_flat_workgroup_size: 192
    .name:           _ZN7rocprim17ROCPRIM_400000_NS6detail17trampoline_kernelINS0_14default_configENS1_25partition_config_selectorILNS1_17partition_subalgoE6EiNS0_10empty_typeEbEEZZNS1_14partition_implILS5_6ELb0ES3_mN6thrust23THRUST_200600_302600_NS6detail15normal_iteratorINSA_10device_ptrIiEEEEPS6_SG_NS0_5tupleIJSF_S6_EEENSH_IJSG_SG_EEES6_PlJ7is_evenIiEEEE10hipError_tPvRmT3_T4_T5_T6_T7_T9_mT8_P12ihipStream_tbDpT10_ENKUlT_T0_E_clISt17integral_constantIbLb0EES16_EEDaS11_S12_EUlS11_E_NS1_11comp_targetILNS1_3genE2ELNS1_11target_archE906ELNS1_3gpuE6ELNS1_3repE0EEENS1_30default_config_static_selectorELNS0_4arch9wavefront6targetE0EEEvT1_
    .private_segment_fixed_size: 0
    .sgpr_count:     0
    .sgpr_spill_count: 0
    .symbol:         _ZN7rocprim17ROCPRIM_400000_NS6detail17trampoline_kernelINS0_14default_configENS1_25partition_config_selectorILNS1_17partition_subalgoE6EiNS0_10empty_typeEbEEZZNS1_14partition_implILS5_6ELb0ES3_mN6thrust23THRUST_200600_302600_NS6detail15normal_iteratorINSA_10device_ptrIiEEEEPS6_SG_NS0_5tupleIJSF_S6_EEENSH_IJSG_SG_EEES6_PlJ7is_evenIiEEEE10hipError_tPvRmT3_T4_T5_T6_T7_T9_mT8_P12ihipStream_tbDpT10_ENKUlT_T0_E_clISt17integral_constantIbLb0EES16_EEDaS11_S12_EUlS11_E_NS1_11comp_targetILNS1_3genE2ELNS1_11target_archE906ELNS1_3gpuE6ELNS1_3repE0EEENS1_30default_config_static_selectorELNS0_4arch9wavefront6targetE0EEEvT1_.kd
    .uniform_work_group_size: 1
    .uses_dynamic_stack: false
    .vgpr_count:     0
    .vgpr_spill_count: 0
    .wavefront_size: 32
    .workgroup_processor_mode: 1
  - .args:
      - .offset:         0
        .size:           112
        .value_kind:     by_value
    .group_segment_fixed_size: 0
    .kernarg_segment_align: 8
    .kernarg_segment_size: 112
    .language:       OpenCL C
    .language_version:
      - 2
      - 0
    .max_flat_workgroup_size: 384
    .name:           _ZN7rocprim17ROCPRIM_400000_NS6detail17trampoline_kernelINS0_14default_configENS1_25partition_config_selectorILNS1_17partition_subalgoE6EiNS0_10empty_typeEbEEZZNS1_14partition_implILS5_6ELb0ES3_mN6thrust23THRUST_200600_302600_NS6detail15normal_iteratorINSA_10device_ptrIiEEEEPS6_SG_NS0_5tupleIJSF_S6_EEENSH_IJSG_SG_EEES6_PlJ7is_evenIiEEEE10hipError_tPvRmT3_T4_T5_T6_T7_T9_mT8_P12ihipStream_tbDpT10_ENKUlT_T0_E_clISt17integral_constantIbLb0EES16_EEDaS11_S12_EUlS11_E_NS1_11comp_targetILNS1_3genE10ELNS1_11target_archE1200ELNS1_3gpuE4ELNS1_3repE0EEENS1_30default_config_static_selectorELNS0_4arch9wavefront6targetE0EEEvT1_
    .private_segment_fixed_size: 0
    .sgpr_count:     0
    .sgpr_spill_count: 0
    .symbol:         _ZN7rocprim17ROCPRIM_400000_NS6detail17trampoline_kernelINS0_14default_configENS1_25partition_config_selectorILNS1_17partition_subalgoE6EiNS0_10empty_typeEbEEZZNS1_14partition_implILS5_6ELb0ES3_mN6thrust23THRUST_200600_302600_NS6detail15normal_iteratorINSA_10device_ptrIiEEEEPS6_SG_NS0_5tupleIJSF_S6_EEENSH_IJSG_SG_EEES6_PlJ7is_evenIiEEEE10hipError_tPvRmT3_T4_T5_T6_T7_T9_mT8_P12ihipStream_tbDpT10_ENKUlT_T0_E_clISt17integral_constantIbLb0EES16_EEDaS11_S12_EUlS11_E_NS1_11comp_targetILNS1_3genE10ELNS1_11target_archE1200ELNS1_3gpuE4ELNS1_3repE0EEENS1_30default_config_static_selectorELNS0_4arch9wavefront6targetE0EEEvT1_.kd
    .uniform_work_group_size: 1
    .uses_dynamic_stack: false
    .vgpr_count:     0
    .vgpr_spill_count: 0
    .wavefront_size: 32
    .workgroup_processor_mode: 1
  - .args:
      - .offset:         0
        .size:           112
        .value_kind:     by_value
    .group_segment_fixed_size: 7184
    .kernarg_segment_align: 8
    .kernarg_segment_size: 112
    .language:       OpenCL C
    .language_version:
      - 2
      - 0
    .max_flat_workgroup_size: 128
    .name:           _ZN7rocprim17ROCPRIM_400000_NS6detail17trampoline_kernelINS0_14default_configENS1_25partition_config_selectorILNS1_17partition_subalgoE6EiNS0_10empty_typeEbEEZZNS1_14partition_implILS5_6ELb0ES3_mN6thrust23THRUST_200600_302600_NS6detail15normal_iteratorINSA_10device_ptrIiEEEEPS6_SG_NS0_5tupleIJSF_S6_EEENSH_IJSG_SG_EEES6_PlJ7is_evenIiEEEE10hipError_tPvRmT3_T4_T5_T6_T7_T9_mT8_P12ihipStream_tbDpT10_ENKUlT_T0_E_clISt17integral_constantIbLb0EES16_EEDaS11_S12_EUlS11_E_NS1_11comp_targetILNS1_3genE9ELNS1_11target_archE1100ELNS1_3gpuE3ELNS1_3repE0EEENS1_30default_config_static_selectorELNS0_4arch9wavefront6targetE0EEEvT1_
    .private_segment_fixed_size: 0
    .sgpr_count:     20
    .sgpr_spill_count: 0
    .symbol:         _ZN7rocprim17ROCPRIM_400000_NS6detail17trampoline_kernelINS0_14default_configENS1_25partition_config_selectorILNS1_17partition_subalgoE6EiNS0_10empty_typeEbEEZZNS1_14partition_implILS5_6ELb0ES3_mN6thrust23THRUST_200600_302600_NS6detail15normal_iteratorINSA_10device_ptrIiEEEEPS6_SG_NS0_5tupleIJSF_S6_EEENSH_IJSG_SG_EEES6_PlJ7is_evenIiEEEE10hipError_tPvRmT3_T4_T5_T6_T7_T9_mT8_P12ihipStream_tbDpT10_ENKUlT_T0_E_clISt17integral_constantIbLb0EES16_EEDaS11_S12_EUlS11_E_NS1_11comp_targetILNS1_3genE9ELNS1_11target_archE1100ELNS1_3gpuE3ELNS1_3repE0EEENS1_30default_config_static_selectorELNS0_4arch9wavefront6targetE0EEEvT1_.kd
    .uniform_work_group_size: 1
    .uses_dynamic_stack: false
    .vgpr_count:     74
    .vgpr_spill_count: 0
    .wavefront_size: 32
    .workgroup_processor_mode: 1
  - .args:
      - .offset:         0
        .size:           112
        .value_kind:     by_value
    .group_segment_fixed_size: 0
    .kernarg_segment_align: 8
    .kernarg_segment_size: 112
    .language:       OpenCL C
    .language_version:
      - 2
      - 0
    .max_flat_workgroup_size: 512
    .name:           _ZN7rocprim17ROCPRIM_400000_NS6detail17trampoline_kernelINS0_14default_configENS1_25partition_config_selectorILNS1_17partition_subalgoE6EiNS0_10empty_typeEbEEZZNS1_14partition_implILS5_6ELb0ES3_mN6thrust23THRUST_200600_302600_NS6detail15normal_iteratorINSA_10device_ptrIiEEEEPS6_SG_NS0_5tupleIJSF_S6_EEENSH_IJSG_SG_EEES6_PlJ7is_evenIiEEEE10hipError_tPvRmT3_T4_T5_T6_T7_T9_mT8_P12ihipStream_tbDpT10_ENKUlT_T0_E_clISt17integral_constantIbLb0EES16_EEDaS11_S12_EUlS11_E_NS1_11comp_targetILNS1_3genE8ELNS1_11target_archE1030ELNS1_3gpuE2ELNS1_3repE0EEENS1_30default_config_static_selectorELNS0_4arch9wavefront6targetE0EEEvT1_
    .private_segment_fixed_size: 0
    .sgpr_count:     0
    .sgpr_spill_count: 0
    .symbol:         _ZN7rocprim17ROCPRIM_400000_NS6detail17trampoline_kernelINS0_14default_configENS1_25partition_config_selectorILNS1_17partition_subalgoE6EiNS0_10empty_typeEbEEZZNS1_14partition_implILS5_6ELb0ES3_mN6thrust23THRUST_200600_302600_NS6detail15normal_iteratorINSA_10device_ptrIiEEEEPS6_SG_NS0_5tupleIJSF_S6_EEENSH_IJSG_SG_EEES6_PlJ7is_evenIiEEEE10hipError_tPvRmT3_T4_T5_T6_T7_T9_mT8_P12ihipStream_tbDpT10_ENKUlT_T0_E_clISt17integral_constantIbLb0EES16_EEDaS11_S12_EUlS11_E_NS1_11comp_targetILNS1_3genE8ELNS1_11target_archE1030ELNS1_3gpuE2ELNS1_3repE0EEENS1_30default_config_static_selectorELNS0_4arch9wavefront6targetE0EEEvT1_.kd
    .uniform_work_group_size: 1
    .uses_dynamic_stack: false
    .vgpr_count:     0
    .vgpr_spill_count: 0
    .wavefront_size: 32
    .workgroup_processor_mode: 1
  - .args:
      - .offset:         0
        .size:           128
        .value_kind:     by_value
    .group_segment_fixed_size: 0
    .kernarg_segment_align: 8
    .kernarg_segment_size: 128
    .language:       OpenCL C
    .language_version:
      - 2
      - 0
    .max_flat_workgroup_size: 256
    .name:           _ZN7rocprim17ROCPRIM_400000_NS6detail17trampoline_kernelINS0_14default_configENS1_25partition_config_selectorILNS1_17partition_subalgoE6EiNS0_10empty_typeEbEEZZNS1_14partition_implILS5_6ELb0ES3_mN6thrust23THRUST_200600_302600_NS6detail15normal_iteratorINSA_10device_ptrIiEEEEPS6_SG_NS0_5tupleIJSF_S6_EEENSH_IJSG_SG_EEES6_PlJ7is_evenIiEEEE10hipError_tPvRmT3_T4_T5_T6_T7_T9_mT8_P12ihipStream_tbDpT10_ENKUlT_T0_E_clISt17integral_constantIbLb1EES16_EEDaS11_S12_EUlS11_E_NS1_11comp_targetILNS1_3genE0ELNS1_11target_archE4294967295ELNS1_3gpuE0ELNS1_3repE0EEENS1_30default_config_static_selectorELNS0_4arch9wavefront6targetE0EEEvT1_
    .private_segment_fixed_size: 0
    .sgpr_count:     0
    .sgpr_spill_count: 0
    .symbol:         _ZN7rocprim17ROCPRIM_400000_NS6detail17trampoline_kernelINS0_14default_configENS1_25partition_config_selectorILNS1_17partition_subalgoE6EiNS0_10empty_typeEbEEZZNS1_14partition_implILS5_6ELb0ES3_mN6thrust23THRUST_200600_302600_NS6detail15normal_iteratorINSA_10device_ptrIiEEEEPS6_SG_NS0_5tupleIJSF_S6_EEENSH_IJSG_SG_EEES6_PlJ7is_evenIiEEEE10hipError_tPvRmT3_T4_T5_T6_T7_T9_mT8_P12ihipStream_tbDpT10_ENKUlT_T0_E_clISt17integral_constantIbLb1EES16_EEDaS11_S12_EUlS11_E_NS1_11comp_targetILNS1_3genE0ELNS1_11target_archE4294967295ELNS1_3gpuE0ELNS1_3repE0EEENS1_30default_config_static_selectorELNS0_4arch9wavefront6targetE0EEEvT1_.kd
    .uniform_work_group_size: 1
    .uses_dynamic_stack: false
    .vgpr_count:     0
    .vgpr_spill_count: 0
    .wavefront_size: 32
    .workgroup_processor_mode: 1
  - .args:
      - .offset:         0
        .size:           128
        .value_kind:     by_value
    .group_segment_fixed_size: 0
    .kernarg_segment_align: 8
    .kernarg_segment_size: 128
    .language:       OpenCL C
    .language_version:
      - 2
      - 0
    .max_flat_workgroup_size: 512
    .name:           _ZN7rocprim17ROCPRIM_400000_NS6detail17trampoline_kernelINS0_14default_configENS1_25partition_config_selectorILNS1_17partition_subalgoE6EiNS0_10empty_typeEbEEZZNS1_14partition_implILS5_6ELb0ES3_mN6thrust23THRUST_200600_302600_NS6detail15normal_iteratorINSA_10device_ptrIiEEEEPS6_SG_NS0_5tupleIJSF_S6_EEENSH_IJSG_SG_EEES6_PlJ7is_evenIiEEEE10hipError_tPvRmT3_T4_T5_T6_T7_T9_mT8_P12ihipStream_tbDpT10_ENKUlT_T0_E_clISt17integral_constantIbLb1EES16_EEDaS11_S12_EUlS11_E_NS1_11comp_targetILNS1_3genE5ELNS1_11target_archE942ELNS1_3gpuE9ELNS1_3repE0EEENS1_30default_config_static_selectorELNS0_4arch9wavefront6targetE0EEEvT1_
    .private_segment_fixed_size: 0
    .sgpr_count:     0
    .sgpr_spill_count: 0
    .symbol:         _ZN7rocprim17ROCPRIM_400000_NS6detail17trampoline_kernelINS0_14default_configENS1_25partition_config_selectorILNS1_17partition_subalgoE6EiNS0_10empty_typeEbEEZZNS1_14partition_implILS5_6ELb0ES3_mN6thrust23THRUST_200600_302600_NS6detail15normal_iteratorINSA_10device_ptrIiEEEEPS6_SG_NS0_5tupleIJSF_S6_EEENSH_IJSG_SG_EEES6_PlJ7is_evenIiEEEE10hipError_tPvRmT3_T4_T5_T6_T7_T9_mT8_P12ihipStream_tbDpT10_ENKUlT_T0_E_clISt17integral_constantIbLb1EES16_EEDaS11_S12_EUlS11_E_NS1_11comp_targetILNS1_3genE5ELNS1_11target_archE942ELNS1_3gpuE9ELNS1_3repE0EEENS1_30default_config_static_selectorELNS0_4arch9wavefront6targetE0EEEvT1_.kd
    .uniform_work_group_size: 1
    .uses_dynamic_stack: false
    .vgpr_count:     0
    .vgpr_spill_count: 0
    .wavefront_size: 32
    .workgroup_processor_mode: 1
  - .args:
      - .offset:         0
        .size:           128
        .value_kind:     by_value
    .group_segment_fixed_size: 0
    .kernarg_segment_align: 8
    .kernarg_segment_size: 128
    .language:       OpenCL C
    .language_version:
      - 2
      - 0
    .max_flat_workgroup_size: 512
    .name:           _ZN7rocprim17ROCPRIM_400000_NS6detail17trampoline_kernelINS0_14default_configENS1_25partition_config_selectorILNS1_17partition_subalgoE6EiNS0_10empty_typeEbEEZZNS1_14partition_implILS5_6ELb0ES3_mN6thrust23THRUST_200600_302600_NS6detail15normal_iteratorINSA_10device_ptrIiEEEEPS6_SG_NS0_5tupleIJSF_S6_EEENSH_IJSG_SG_EEES6_PlJ7is_evenIiEEEE10hipError_tPvRmT3_T4_T5_T6_T7_T9_mT8_P12ihipStream_tbDpT10_ENKUlT_T0_E_clISt17integral_constantIbLb1EES16_EEDaS11_S12_EUlS11_E_NS1_11comp_targetILNS1_3genE4ELNS1_11target_archE910ELNS1_3gpuE8ELNS1_3repE0EEENS1_30default_config_static_selectorELNS0_4arch9wavefront6targetE0EEEvT1_
    .private_segment_fixed_size: 0
    .sgpr_count:     0
    .sgpr_spill_count: 0
    .symbol:         _ZN7rocprim17ROCPRIM_400000_NS6detail17trampoline_kernelINS0_14default_configENS1_25partition_config_selectorILNS1_17partition_subalgoE6EiNS0_10empty_typeEbEEZZNS1_14partition_implILS5_6ELb0ES3_mN6thrust23THRUST_200600_302600_NS6detail15normal_iteratorINSA_10device_ptrIiEEEEPS6_SG_NS0_5tupleIJSF_S6_EEENSH_IJSG_SG_EEES6_PlJ7is_evenIiEEEE10hipError_tPvRmT3_T4_T5_T6_T7_T9_mT8_P12ihipStream_tbDpT10_ENKUlT_T0_E_clISt17integral_constantIbLb1EES16_EEDaS11_S12_EUlS11_E_NS1_11comp_targetILNS1_3genE4ELNS1_11target_archE910ELNS1_3gpuE8ELNS1_3repE0EEENS1_30default_config_static_selectorELNS0_4arch9wavefront6targetE0EEEvT1_.kd
    .uniform_work_group_size: 1
    .uses_dynamic_stack: false
    .vgpr_count:     0
    .vgpr_spill_count: 0
    .wavefront_size: 32
    .workgroup_processor_mode: 1
  - .args:
      - .offset:         0
        .size:           128
        .value_kind:     by_value
    .group_segment_fixed_size: 0
    .kernarg_segment_align: 8
    .kernarg_segment_size: 128
    .language:       OpenCL C
    .language_version:
      - 2
      - 0
    .max_flat_workgroup_size: 256
    .name:           _ZN7rocprim17ROCPRIM_400000_NS6detail17trampoline_kernelINS0_14default_configENS1_25partition_config_selectorILNS1_17partition_subalgoE6EiNS0_10empty_typeEbEEZZNS1_14partition_implILS5_6ELb0ES3_mN6thrust23THRUST_200600_302600_NS6detail15normal_iteratorINSA_10device_ptrIiEEEEPS6_SG_NS0_5tupleIJSF_S6_EEENSH_IJSG_SG_EEES6_PlJ7is_evenIiEEEE10hipError_tPvRmT3_T4_T5_T6_T7_T9_mT8_P12ihipStream_tbDpT10_ENKUlT_T0_E_clISt17integral_constantIbLb1EES16_EEDaS11_S12_EUlS11_E_NS1_11comp_targetILNS1_3genE3ELNS1_11target_archE908ELNS1_3gpuE7ELNS1_3repE0EEENS1_30default_config_static_selectorELNS0_4arch9wavefront6targetE0EEEvT1_
    .private_segment_fixed_size: 0
    .sgpr_count:     0
    .sgpr_spill_count: 0
    .symbol:         _ZN7rocprim17ROCPRIM_400000_NS6detail17trampoline_kernelINS0_14default_configENS1_25partition_config_selectorILNS1_17partition_subalgoE6EiNS0_10empty_typeEbEEZZNS1_14partition_implILS5_6ELb0ES3_mN6thrust23THRUST_200600_302600_NS6detail15normal_iteratorINSA_10device_ptrIiEEEEPS6_SG_NS0_5tupleIJSF_S6_EEENSH_IJSG_SG_EEES6_PlJ7is_evenIiEEEE10hipError_tPvRmT3_T4_T5_T6_T7_T9_mT8_P12ihipStream_tbDpT10_ENKUlT_T0_E_clISt17integral_constantIbLb1EES16_EEDaS11_S12_EUlS11_E_NS1_11comp_targetILNS1_3genE3ELNS1_11target_archE908ELNS1_3gpuE7ELNS1_3repE0EEENS1_30default_config_static_selectorELNS0_4arch9wavefront6targetE0EEEvT1_.kd
    .uniform_work_group_size: 1
    .uses_dynamic_stack: false
    .vgpr_count:     0
    .vgpr_spill_count: 0
    .wavefront_size: 32
    .workgroup_processor_mode: 1
  - .args:
      - .offset:         0
        .size:           128
        .value_kind:     by_value
    .group_segment_fixed_size: 0
    .kernarg_segment_align: 8
    .kernarg_segment_size: 128
    .language:       OpenCL C
    .language_version:
      - 2
      - 0
    .max_flat_workgroup_size: 192
    .name:           _ZN7rocprim17ROCPRIM_400000_NS6detail17trampoline_kernelINS0_14default_configENS1_25partition_config_selectorILNS1_17partition_subalgoE6EiNS0_10empty_typeEbEEZZNS1_14partition_implILS5_6ELb0ES3_mN6thrust23THRUST_200600_302600_NS6detail15normal_iteratorINSA_10device_ptrIiEEEEPS6_SG_NS0_5tupleIJSF_S6_EEENSH_IJSG_SG_EEES6_PlJ7is_evenIiEEEE10hipError_tPvRmT3_T4_T5_T6_T7_T9_mT8_P12ihipStream_tbDpT10_ENKUlT_T0_E_clISt17integral_constantIbLb1EES16_EEDaS11_S12_EUlS11_E_NS1_11comp_targetILNS1_3genE2ELNS1_11target_archE906ELNS1_3gpuE6ELNS1_3repE0EEENS1_30default_config_static_selectorELNS0_4arch9wavefront6targetE0EEEvT1_
    .private_segment_fixed_size: 0
    .sgpr_count:     0
    .sgpr_spill_count: 0
    .symbol:         _ZN7rocprim17ROCPRIM_400000_NS6detail17trampoline_kernelINS0_14default_configENS1_25partition_config_selectorILNS1_17partition_subalgoE6EiNS0_10empty_typeEbEEZZNS1_14partition_implILS5_6ELb0ES3_mN6thrust23THRUST_200600_302600_NS6detail15normal_iteratorINSA_10device_ptrIiEEEEPS6_SG_NS0_5tupleIJSF_S6_EEENSH_IJSG_SG_EEES6_PlJ7is_evenIiEEEE10hipError_tPvRmT3_T4_T5_T6_T7_T9_mT8_P12ihipStream_tbDpT10_ENKUlT_T0_E_clISt17integral_constantIbLb1EES16_EEDaS11_S12_EUlS11_E_NS1_11comp_targetILNS1_3genE2ELNS1_11target_archE906ELNS1_3gpuE6ELNS1_3repE0EEENS1_30default_config_static_selectorELNS0_4arch9wavefront6targetE0EEEvT1_.kd
    .uniform_work_group_size: 1
    .uses_dynamic_stack: false
    .vgpr_count:     0
    .vgpr_spill_count: 0
    .wavefront_size: 32
    .workgroup_processor_mode: 1
  - .args:
      - .offset:         0
        .size:           128
        .value_kind:     by_value
    .group_segment_fixed_size: 0
    .kernarg_segment_align: 8
    .kernarg_segment_size: 128
    .language:       OpenCL C
    .language_version:
      - 2
      - 0
    .max_flat_workgroup_size: 384
    .name:           _ZN7rocprim17ROCPRIM_400000_NS6detail17trampoline_kernelINS0_14default_configENS1_25partition_config_selectorILNS1_17partition_subalgoE6EiNS0_10empty_typeEbEEZZNS1_14partition_implILS5_6ELb0ES3_mN6thrust23THRUST_200600_302600_NS6detail15normal_iteratorINSA_10device_ptrIiEEEEPS6_SG_NS0_5tupleIJSF_S6_EEENSH_IJSG_SG_EEES6_PlJ7is_evenIiEEEE10hipError_tPvRmT3_T4_T5_T6_T7_T9_mT8_P12ihipStream_tbDpT10_ENKUlT_T0_E_clISt17integral_constantIbLb1EES16_EEDaS11_S12_EUlS11_E_NS1_11comp_targetILNS1_3genE10ELNS1_11target_archE1200ELNS1_3gpuE4ELNS1_3repE0EEENS1_30default_config_static_selectorELNS0_4arch9wavefront6targetE0EEEvT1_
    .private_segment_fixed_size: 0
    .sgpr_count:     0
    .sgpr_spill_count: 0
    .symbol:         _ZN7rocprim17ROCPRIM_400000_NS6detail17trampoline_kernelINS0_14default_configENS1_25partition_config_selectorILNS1_17partition_subalgoE6EiNS0_10empty_typeEbEEZZNS1_14partition_implILS5_6ELb0ES3_mN6thrust23THRUST_200600_302600_NS6detail15normal_iteratorINSA_10device_ptrIiEEEEPS6_SG_NS0_5tupleIJSF_S6_EEENSH_IJSG_SG_EEES6_PlJ7is_evenIiEEEE10hipError_tPvRmT3_T4_T5_T6_T7_T9_mT8_P12ihipStream_tbDpT10_ENKUlT_T0_E_clISt17integral_constantIbLb1EES16_EEDaS11_S12_EUlS11_E_NS1_11comp_targetILNS1_3genE10ELNS1_11target_archE1200ELNS1_3gpuE4ELNS1_3repE0EEENS1_30default_config_static_selectorELNS0_4arch9wavefront6targetE0EEEvT1_.kd
    .uniform_work_group_size: 1
    .uses_dynamic_stack: false
    .vgpr_count:     0
    .vgpr_spill_count: 0
    .wavefront_size: 32
    .workgroup_processor_mode: 1
  - .args:
      - .offset:         0
        .size:           128
        .value_kind:     by_value
    .group_segment_fixed_size: 7184
    .kernarg_segment_align: 8
    .kernarg_segment_size: 128
    .language:       OpenCL C
    .language_version:
      - 2
      - 0
    .max_flat_workgroup_size: 128
    .name:           _ZN7rocprim17ROCPRIM_400000_NS6detail17trampoline_kernelINS0_14default_configENS1_25partition_config_selectorILNS1_17partition_subalgoE6EiNS0_10empty_typeEbEEZZNS1_14partition_implILS5_6ELb0ES3_mN6thrust23THRUST_200600_302600_NS6detail15normal_iteratorINSA_10device_ptrIiEEEEPS6_SG_NS0_5tupleIJSF_S6_EEENSH_IJSG_SG_EEES6_PlJ7is_evenIiEEEE10hipError_tPvRmT3_T4_T5_T6_T7_T9_mT8_P12ihipStream_tbDpT10_ENKUlT_T0_E_clISt17integral_constantIbLb1EES16_EEDaS11_S12_EUlS11_E_NS1_11comp_targetILNS1_3genE9ELNS1_11target_archE1100ELNS1_3gpuE3ELNS1_3repE0EEENS1_30default_config_static_selectorELNS0_4arch9wavefront6targetE0EEEvT1_
    .private_segment_fixed_size: 0
    .sgpr_count:     22
    .sgpr_spill_count: 0
    .symbol:         _ZN7rocprim17ROCPRIM_400000_NS6detail17trampoline_kernelINS0_14default_configENS1_25partition_config_selectorILNS1_17partition_subalgoE6EiNS0_10empty_typeEbEEZZNS1_14partition_implILS5_6ELb0ES3_mN6thrust23THRUST_200600_302600_NS6detail15normal_iteratorINSA_10device_ptrIiEEEEPS6_SG_NS0_5tupleIJSF_S6_EEENSH_IJSG_SG_EEES6_PlJ7is_evenIiEEEE10hipError_tPvRmT3_T4_T5_T6_T7_T9_mT8_P12ihipStream_tbDpT10_ENKUlT_T0_E_clISt17integral_constantIbLb1EES16_EEDaS11_S12_EUlS11_E_NS1_11comp_targetILNS1_3genE9ELNS1_11target_archE1100ELNS1_3gpuE3ELNS1_3repE0EEENS1_30default_config_static_selectorELNS0_4arch9wavefront6targetE0EEEvT1_.kd
    .uniform_work_group_size: 1
    .uses_dynamic_stack: false
    .vgpr_count:     76
    .vgpr_spill_count: 0
    .wavefront_size: 32
    .workgroup_processor_mode: 1
  - .args:
      - .offset:         0
        .size:           128
        .value_kind:     by_value
    .group_segment_fixed_size: 0
    .kernarg_segment_align: 8
    .kernarg_segment_size: 128
    .language:       OpenCL C
    .language_version:
      - 2
      - 0
    .max_flat_workgroup_size: 512
    .name:           _ZN7rocprim17ROCPRIM_400000_NS6detail17trampoline_kernelINS0_14default_configENS1_25partition_config_selectorILNS1_17partition_subalgoE6EiNS0_10empty_typeEbEEZZNS1_14partition_implILS5_6ELb0ES3_mN6thrust23THRUST_200600_302600_NS6detail15normal_iteratorINSA_10device_ptrIiEEEEPS6_SG_NS0_5tupleIJSF_S6_EEENSH_IJSG_SG_EEES6_PlJ7is_evenIiEEEE10hipError_tPvRmT3_T4_T5_T6_T7_T9_mT8_P12ihipStream_tbDpT10_ENKUlT_T0_E_clISt17integral_constantIbLb1EES16_EEDaS11_S12_EUlS11_E_NS1_11comp_targetILNS1_3genE8ELNS1_11target_archE1030ELNS1_3gpuE2ELNS1_3repE0EEENS1_30default_config_static_selectorELNS0_4arch9wavefront6targetE0EEEvT1_
    .private_segment_fixed_size: 0
    .sgpr_count:     0
    .sgpr_spill_count: 0
    .symbol:         _ZN7rocprim17ROCPRIM_400000_NS6detail17trampoline_kernelINS0_14default_configENS1_25partition_config_selectorILNS1_17partition_subalgoE6EiNS0_10empty_typeEbEEZZNS1_14partition_implILS5_6ELb0ES3_mN6thrust23THRUST_200600_302600_NS6detail15normal_iteratorINSA_10device_ptrIiEEEEPS6_SG_NS0_5tupleIJSF_S6_EEENSH_IJSG_SG_EEES6_PlJ7is_evenIiEEEE10hipError_tPvRmT3_T4_T5_T6_T7_T9_mT8_P12ihipStream_tbDpT10_ENKUlT_T0_E_clISt17integral_constantIbLb1EES16_EEDaS11_S12_EUlS11_E_NS1_11comp_targetILNS1_3genE8ELNS1_11target_archE1030ELNS1_3gpuE2ELNS1_3repE0EEENS1_30default_config_static_selectorELNS0_4arch9wavefront6targetE0EEEvT1_.kd
    .uniform_work_group_size: 1
    .uses_dynamic_stack: false
    .vgpr_count:     0
    .vgpr_spill_count: 0
    .wavefront_size: 32
    .workgroup_processor_mode: 1
  - .args:
      - .offset:         0
        .size:           112
        .value_kind:     by_value
    .group_segment_fixed_size: 0
    .kernarg_segment_align: 8
    .kernarg_segment_size: 112
    .language:       OpenCL C
    .language_version:
      - 2
      - 0
    .max_flat_workgroup_size: 256
    .name:           _ZN7rocprim17ROCPRIM_400000_NS6detail17trampoline_kernelINS0_14default_configENS1_25partition_config_selectorILNS1_17partition_subalgoE6EiNS0_10empty_typeEbEEZZNS1_14partition_implILS5_6ELb0ES3_mN6thrust23THRUST_200600_302600_NS6detail15normal_iteratorINSA_10device_ptrIiEEEEPS6_SG_NS0_5tupleIJSF_S6_EEENSH_IJSG_SG_EEES6_PlJ7is_evenIiEEEE10hipError_tPvRmT3_T4_T5_T6_T7_T9_mT8_P12ihipStream_tbDpT10_ENKUlT_T0_E_clISt17integral_constantIbLb1EES15_IbLb0EEEEDaS11_S12_EUlS11_E_NS1_11comp_targetILNS1_3genE0ELNS1_11target_archE4294967295ELNS1_3gpuE0ELNS1_3repE0EEENS1_30default_config_static_selectorELNS0_4arch9wavefront6targetE0EEEvT1_
    .private_segment_fixed_size: 0
    .sgpr_count:     0
    .sgpr_spill_count: 0
    .symbol:         _ZN7rocprim17ROCPRIM_400000_NS6detail17trampoline_kernelINS0_14default_configENS1_25partition_config_selectorILNS1_17partition_subalgoE6EiNS0_10empty_typeEbEEZZNS1_14partition_implILS5_6ELb0ES3_mN6thrust23THRUST_200600_302600_NS6detail15normal_iteratorINSA_10device_ptrIiEEEEPS6_SG_NS0_5tupleIJSF_S6_EEENSH_IJSG_SG_EEES6_PlJ7is_evenIiEEEE10hipError_tPvRmT3_T4_T5_T6_T7_T9_mT8_P12ihipStream_tbDpT10_ENKUlT_T0_E_clISt17integral_constantIbLb1EES15_IbLb0EEEEDaS11_S12_EUlS11_E_NS1_11comp_targetILNS1_3genE0ELNS1_11target_archE4294967295ELNS1_3gpuE0ELNS1_3repE0EEENS1_30default_config_static_selectorELNS0_4arch9wavefront6targetE0EEEvT1_.kd
    .uniform_work_group_size: 1
    .uses_dynamic_stack: false
    .vgpr_count:     0
    .vgpr_spill_count: 0
    .wavefront_size: 32
    .workgroup_processor_mode: 1
  - .args:
      - .offset:         0
        .size:           112
        .value_kind:     by_value
    .group_segment_fixed_size: 0
    .kernarg_segment_align: 8
    .kernarg_segment_size: 112
    .language:       OpenCL C
    .language_version:
      - 2
      - 0
    .max_flat_workgroup_size: 512
    .name:           _ZN7rocprim17ROCPRIM_400000_NS6detail17trampoline_kernelINS0_14default_configENS1_25partition_config_selectorILNS1_17partition_subalgoE6EiNS0_10empty_typeEbEEZZNS1_14partition_implILS5_6ELb0ES3_mN6thrust23THRUST_200600_302600_NS6detail15normal_iteratorINSA_10device_ptrIiEEEEPS6_SG_NS0_5tupleIJSF_S6_EEENSH_IJSG_SG_EEES6_PlJ7is_evenIiEEEE10hipError_tPvRmT3_T4_T5_T6_T7_T9_mT8_P12ihipStream_tbDpT10_ENKUlT_T0_E_clISt17integral_constantIbLb1EES15_IbLb0EEEEDaS11_S12_EUlS11_E_NS1_11comp_targetILNS1_3genE5ELNS1_11target_archE942ELNS1_3gpuE9ELNS1_3repE0EEENS1_30default_config_static_selectorELNS0_4arch9wavefront6targetE0EEEvT1_
    .private_segment_fixed_size: 0
    .sgpr_count:     0
    .sgpr_spill_count: 0
    .symbol:         _ZN7rocprim17ROCPRIM_400000_NS6detail17trampoline_kernelINS0_14default_configENS1_25partition_config_selectorILNS1_17partition_subalgoE6EiNS0_10empty_typeEbEEZZNS1_14partition_implILS5_6ELb0ES3_mN6thrust23THRUST_200600_302600_NS6detail15normal_iteratorINSA_10device_ptrIiEEEEPS6_SG_NS0_5tupleIJSF_S6_EEENSH_IJSG_SG_EEES6_PlJ7is_evenIiEEEE10hipError_tPvRmT3_T4_T5_T6_T7_T9_mT8_P12ihipStream_tbDpT10_ENKUlT_T0_E_clISt17integral_constantIbLb1EES15_IbLb0EEEEDaS11_S12_EUlS11_E_NS1_11comp_targetILNS1_3genE5ELNS1_11target_archE942ELNS1_3gpuE9ELNS1_3repE0EEENS1_30default_config_static_selectorELNS0_4arch9wavefront6targetE0EEEvT1_.kd
    .uniform_work_group_size: 1
    .uses_dynamic_stack: false
    .vgpr_count:     0
    .vgpr_spill_count: 0
    .wavefront_size: 32
    .workgroup_processor_mode: 1
  - .args:
      - .offset:         0
        .size:           112
        .value_kind:     by_value
    .group_segment_fixed_size: 0
    .kernarg_segment_align: 8
    .kernarg_segment_size: 112
    .language:       OpenCL C
    .language_version:
      - 2
      - 0
    .max_flat_workgroup_size: 512
    .name:           _ZN7rocprim17ROCPRIM_400000_NS6detail17trampoline_kernelINS0_14default_configENS1_25partition_config_selectorILNS1_17partition_subalgoE6EiNS0_10empty_typeEbEEZZNS1_14partition_implILS5_6ELb0ES3_mN6thrust23THRUST_200600_302600_NS6detail15normal_iteratorINSA_10device_ptrIiEEEEPS6_SG_NS0_5tupleIJSF_S6_EEENSH_IJSG_SG_EEES6_PlJ7is_evenIiEEEE10hipError_tPvRmT3_T4_T5_T6_T7_T9_mT8_P12ihipStream_tbDpT10_ENKUlT_T0_E_clISt17integral_constantIbLb1EES15_IbLb0EEEEDaS11_S12_EUlS11_E_NS1_11comp_targetILNS1_3genE4ELNS1_11target_archE910ELNS1_3gpuE8ELNS1_3repE0EEENS1_30default_config_static_selectorELNS0_4arch9wavefront6targetE0EEEvT1_
    .private_segment_fixed_size: 0
    .sgpr_count:     0
    .sgpr_spill_count: 0
    .symbol:         _ZN7rocprim17ROCPRIM_400000_NS6detail17trampoline_kernelINS0_14default_configENS1_25partition_config_selectorILNS1_17partition_subalgoE6EiNS0_10empty_typeEbEEZZNS1_14partition_implILS5_6ELb0ES3_mN6thrust23THRUST_200600_302600_NS6detail15normal_iteratorINSA_10device_ptrIiEEEEPS6_SG_NS0_5tupleIJSF_S6_EEENSH_IJSG_SG_EEES6_PlJ7is_evenIiEEEE10hipError_tPvRmT3_T4_T5_T6_T7_T9_mT8_P12ihipStream_tbDpT10_ENKUlT_T0_E_clISt17integral_constantIbLb1EES15_IbLb0EEEEDaS11_S12_EUlS11_E_NS1_11comp_targetILNS1_3genE4ELNS1_11target_archE910ELNS1_3gpuE8ELNS1_3repE0EEENS1_30default_config_static_selectorELNS0_4arch9wavefront6targetE0EEEvT1_.kd
    .uniform_work_group_size: 1
    .uses_dynamic_stack: false
    .vgpr_count:     0
    .vgpr_spill_count: 0
    .wavefront_size: 32
    .workgroup_processor_mode: 1
  - .args:
      - .offset:         0
        .size:           112
        .value_kind:     by_value
    .group_segment_fixed_size: 0
    .kernarg_segment_align: 8
    .kernarg_segment_size: 112
    .language:       OpenCL C
    .language_version:
      - 2
      - 0
    .max_flat_workgroup_size: 256
    .name:           _ZN7rocprim17ROCPRIM_400000_NS6detail17trampoline_kernelINS0_14default_configENS1_25partition_config_selectorILNS1_17partition_subalgoE6EiNS0_10empty_typeEbEEZZNS1_14partition_implILS5_6ELb0ES3_mN6thrust23THRUST_200600_302600_NS6detail15normal_iteratorINSA_10device_ptrIiEEEEPS6_SG_NS0_5tupleIJSF_S6_EEENSH_IJSG_SG_EEES6_PlJ7is_evenIiEEEE10hipError_tPvRmT3_T4_T5_T6_T7_T9_mT8_P12ihipStream_tbDpT10_ENKUlT_T0_E_clISt17integral_constantIbLb1EES15_IbLb0EEEEDaS11_S12_EUlS11_E_NS1_11comp_targetILNS1_3genE3ELNS1_11target_archE908ELNS1_3gpuE7ELNS1_3repE0EEENS1_30default_config_static_selectorELNS0_4arch9wavefront6targetE0EEEvT1_
    .private_segment_fixed_size: 0
    .sgpr_count:     0
    .sgpr_spill_count: 0
    .symbol:         _ZN7rocprim17ROCPRIM_400000_NS6detail17trampoline_kernelINS0_14default_configENS1_25partition_config_selectorILNS1_17partition_subalgoE6EiNS0_10empty_typeEbEEZZNS1_14partition_implILS5_6ELb0ES3_mN6thrust23THRUST_200600_302600_NS6detail15normal_iteratorINSA_10device_ptrIiEEEEPS6_SG_NS0_5tupleIJSF_S6_EEENSH_IJSG_SG_EEES6_PlJ7is_evenIiEEEE10hipError_tPvRmT3_T4_T5_T6_T7_T9_mT8_P12ihipStream_tbDpT10_ENKUlT_T0_E_clISt17integral_constantIbLb1EES15_IbLb0EEEEDaS11_S12_EUlS11_E_NS1_11comp_targetILNS1_3genE3ELNS1_11target_archE908ELNS1_3gpuE7ELNS1_3repE0EEENS1_30default_config_static_selectorELNS0_4arch9wavefront6targetE0EEEvT1_.kd
    .uniform_work_group_size: 1
    .uses_dynamic_stack: false
    .vgpr_count:     0
    .vgpr_spill_count: 0
    .wavefront_size: 32
    .workgroup_processor_mode: 1
  - .args:
      - .offset:         0
        .size:           112
        .value_kind:     by_value
    .group_segment_fixed_size: 0
    .kernarg_segment_align: 8
    .kernarg_segment_size: 112
    .language:       OpenCL C
    .language_version:
      - 2
      - 0
    .max_flat_workgroup_size: 192
    .name:           _ZN7rocprim17ROCPRIM_400000_NS6detail17trampoline_kernelINS0_14default_configENS1_25partition_config_selectorILNS1_17partition_subalgoE6EiNS0_10empty_typeEbEEZZNS1_14partition_implILS5_6ELb0ES3_mN6thrust23THRUST_200600_302600_NS6detail15normal_iteratorINSA_10device_ptrIiEEEEPS6_SG_NS0_5tupleIJSF_S6_EEENSH_IJSG_SG_EEES6_PlJ7is_evenIiEEEE10hipError_tPvRmT3_T4_T5_T6_T7_T9_mT8_P12ihipStream_tbDpT10_ENKUlT_T0_E_clISt17integral_constantIbLb1EES15_IbLb0EEEEDaS11_S12_EUlS11_E_NS1_11comp_targetILNS1_3genE2ELNS1_11target_archE906ELNS1_3gpuE6ELNS1_3repE0EEENS1_30default_config_static_selectorELNS0_4arch9wavefront6targetE0EEEvT1_
    .private_segment_fixed_size: 0
    .sgpr_count:     0
    .sgpr_spill_count: 0
    .symbol:         _ZN7rocprim17ROCPRIM_400000_NS6detail17trampoline_kernelINS0_14default_configENS1_25partition_config_selectorILNS1_17partition_subalgoE6EiNS0_10empty_typeEbEEZZNS1_14partition_implILS5_6ELb0ES3_mN6thrust23THRUST_200600_302600_NS6detail15normal_iteratorINSA_10device_ptrIiEEEEPS6_SG_NS0_5tupleIJSF_S6_EEENSH_IJSG_SG_EEES6_PlJ7is_evenIiEEEE10hipError_tPvRmT3_T4_T5_T6_T7_T9_mT8_P12ihipStream_tbDpT10_ENKUlT_T0_E_clISt17integral_constantIbLb1EES15_IbLb0EEEEDaS11_S12_EUlS11_E_NS1_11comp_targetILNS1_3genE2ELNS1_11target_archE906ELNS1_3gpuE6ELNS1_3repE0EEENS1_30default_config_static_selectorELNS0_4arch9wavefront6targetE0EEEvT1_.kd
    .uniform_work_group_size: 1
    .uses_dynamic_stack: false
    .vgpr_count:     0
    .vgpr_spill_count: 0
    .wavefront_size: 32
    .workgroup_processor_mode: 1
  - .args:
      - .offset:         0
        .size:           112
        .value_kind:     by_value
    .group_segment_fixed_size: 0
    .kernarg_segment_align: 8
    .kernarg_segment_size: 112
    .language:       OpenCL C
    .language_version:
      - 2
      - 0
    .max_flat_workgroup_size: 384
    .name:           _ZN7rocprim17ROCPRIM_400000_NS6detail17trampoline_kernelINS0_14default_configENS1_25partition_config_selectorILNS1_17partition_subalgoE6EiNS0_10empty_typeEbEEZZNS1_14partition_implILS5_6ELb0ES3_mN6thrust23THRUST_200600_302600_NS6detail15normal_iteratorINSA_10device_ptrIiEEEEPS6_SG_NS0_5tupleIJSF_S6_EEENSH_IJSG_SG_EEES6_PlJ7is_evenIiEEEE10hipError_tPvRmT3_T4_T5_T6_T7_T9_mT8_P12ihipStream_tbDpT10_ENKUlT_T0_E_clISt17integral_constantIbLb1EES15_IbLb0EEEEDaS11_S12_EUlS11_E_NS1_11comp_targetILNS1_3genE10ELNS1_11target_archE1200ELNS1_3gpuE4ELNS1_3repE0EEENS1_30default_config_static_selectorELNS0_4arch9wavefront6targetE0EEEvT1_
    .private_segment_fixed_size: 0
    .sgpr_count:     0
    .sgpr_spill_count: 0
    .symbol:         _ZN7rocprim17ROCPRIM_400000_NS6detail17trampoline_kernelINS0_14default_configENS1_25partition_config_selectorILNS1_17partition_subalgoE6EiNS0_10empty_typeEbEEZZNS1_14partition_implILS5_6ELb0ES3_mN6thrust23THRUST_200600_302600_NS6detail15normal_iteratorINSA_10device_ptrIiEEEEPS6_SG_NS0_5tupleIJSF_S6_EEENSH_IJSG_SG_EEES6_PlJ7is_evenIiEEEE10hipError_tPvRmT3_T4_T5_T6_T7_T9_mT8_P12ihipStream_tbDpT10_ENKUlT_T0_E_clISt17integral_constantIbLb1EES15_IbLb0EEEEDaS11_S12_EUlS11_E_NS1_11comp_targetILNS1_3genE10ELNS1_11target_archE1200ELNS1_3gpuE4ELNS1_3repE0EEENS1_30default_config_static_selectorELNS0_4arch9wavefront6targetE0EEEvT1_.kd
    .uniform_work_group_size: 1
    .uses_dynamic_stack: false
    .vgpr_count:     0
    .vgpr_spill_count: 0
    .wavefront_size: 32
    .workgroup_processor_mode: 1
  - .args:
      - .offset:         0
        .size:           112
        .value_kind:     by_value
    .group_segment_fixed_size: 7184
    .kernarg_segment_align: 8
    .kernarg_segment_size: 112
    .language:       OpenCL C
    .language_version:
      - 2
      - 0
    .max_flat_workgroup_size: 128
    .name:           _ZN7rocprim17ROCPRIM_400000_NS6detail17trampoline_kernelINS0_14default_configENS1_25partition_config_selectorILNS1_17partition_subalgoE6EiNS0_10empty_typeEbEEZZNS1_14partition_implILS5_6ELb0ES3_mN6thrust23THRUST_200600_302600_NS6detail15normal_iteratorINSA_10device_ptrIiEEEEPS6_SG_NS0_5tupleIJSF_S6_EEENSH_IJSG_SG_EEES6_PlJ7is_evenIiEEEE10hipError_tPvRmT3_T4_T5_T6_T7_T9_mT8_P12ihipStream_tbDpT10_ENKUlT_T0_E_clISt17integral_constantIbLb1EES15_IbLb0EEEEDaS11_S12_EUlS11_E_NS1_11comp_targetILNS1_3genE9ELNS1_11target_archE1100ELNS1_3gpuE3ELNS1_3repE0EEENS1_30default_config_static_selectorELNS0_4arch9wavefront6targetE0EEEvT1_
    .private_segment_fixed_size: 0
    .sgpr_count:     20
    .sgpr_spill_count: 0
    .symbol:         _ZN7rocprim17ROCPRIM_400000_NS6detail17trampoline_kernelINS0_14default_configENS1_25partition_config_selectorILNS1_17partition_subalgoE6EiNS0_10empty_typeEbEEZZNS1_14partition_implILS5_6ELb0ES3_mN6thrust23THRUST_200600_302600_NS6detail15normal_iteratorINSA_10device_ptrIiEEEEPS6_SG_NS0_5tupleIJSF_S6_EEENSH_IJSG_SG_EEES6_PlJ7is_evenIiEEEE10hipError_tPvRmT3_T4_T5_T6_T7_T9_mT8_P12ihipStream_tbDpT10_ENKUlT_T0_E_clISt17integral_constantIbLb1EES15_IbLb0EEEEDaS11_S12_EUlS11_E_NS1_11comp_targetILNS1_3genE9ELNS1_11target_archE1100ELNS1_3gpuE3ELNS1_3repE0EEENS1_30default_config_static_selectorELNS0_4arch9wavefront6targetE0EEEvT1_.kd
    .uniform_work_group_size: 1
    .uses_dynamic_stack: false
    .vgpr_count:     74
    .vgpr_spill_count: 0
    .wavefront_size: 32
    .workgroup_processor_mode: 1
  - .args:
      - .offset:         0
        .size:           112
        .value_kind:     by_value
    .group_segment_fixed_size: 0
    .kernarg_segment_align: 8
    .kernarg_segment_size: 112
    .language:       OpenCL C
    .language_version:
      - 2
      - 0
    .max_flat_workgroup_size: 512
    .name:           _ZN7rocprim17ROCPRIM_400000_NS6detail17trampoline_kernelINS0_14default_configENS1_25partition_config_selectorILNS1_17partition_subalgoE6EiNS0_10empty_typeEbEEZZNS1_14partition_implILS5_6ELb0ES3_mN6thrust23THRUST_200600_302600_NS6detail15normal_iteratorINSA_10device_ptrIiEEEEPS6_SG_NS0_5tupleIJSF_S6_EEENSH_IJSG_SG_EEES6_PlJ7is_evenIiEEEE10hipError_tPvRmT3_T4_T5_T6_T7_T9_mT8_P12ihipStream_tbDpT10_ENKUlT_T0_E_clISt17integral_constantIbLb1EES15_IbLb0EEEEDaS11_S12_EUlS11_E_NS1_11comp_targetILNS1_3genE8ELNS1_11target_archE1030ELNS1_3gpuE2ELNS1_3repE0EEENS1_30default_config_static_selectorELNS0_4arch9wavefront6targetE0EEEvT1_
    .private_segment_fixed_size: 0
    .sgpr_count:     0
    .sgpr_spill_count: 0
    .symbol:         _ZN7rocprim17ROCPRIM_400000_NS6detail17trampoline_kernelINS0_14default_configENS1_25partition_config_selectorILNS1_17partition_subalgoE6EiNS0_10empty_typeEbEEZZNS1_14partition_implILS5_6ELb0ES3_mN6thrust23THRUST_200600_302600_NS6detail15normal_iteratorINSA_10device_ptrIiEEEEPS6_SG_NS0_5tupleIJSF_S6_EEENSH_IJSG_SG_EEES6_PlJ7is_evenIiEEEE10hipError_tPvRmT3_T4_T5_T6_T7_T9_mT8_P12ihipStream_tbDpT10_ENKUlT_T0_E_clISt17integral_constantIbLb1EES15_IbLb0EEEEDaS11_S12_EUlS11_E_NS1_11comp_targetILNS1_3genE8ELNS1_11target_archE1030ELNS1_3gpuE2ELNS1_3repE0EEENS1_30default_config_static_selectorELNS0_4arch9wavefront6targetE0EEEvT1_.kd
    .uniform_work_group_size: 1
    .uses_dynamic_stack: false
    .vgpr_count:     0
    .vgpr_spill_count: 0
    .wavefront_size: 32
    .workgroup_processor_mode: 1
  - .args:
      - .offset:         0
        .size:           128
        .value_kind:     by_value
    .group_segment_fixed_size: 0
    .kernarg_segment_align: 8
    .kernarg_segment_size: 128
    .language:       OpenCL C
    .language_version:
      - 2
      - 0
    .max_flat_workgroup_size: 256
    .name:           _ZN7rocprim17ROCPRIM_400000_NS6detail17trampoline_kernelINS0_14default_configENS1_25partition_config_selectorILNS1_17partition_subalgoE6EiNS0_10empty_typeEbEEZZNS1_14partition_implILS5_6ELb0ES3_mN6thrust23THRUST_200600_302600_NS6detail15normal_iteratorINSA_10device_ptrIiEEEEPS6_SG_NS0_5tupleIJSF_S6_EEENSH_IJSG_SG_EEES6_PlJ7is_evenIiEEEE10hipError_tPvRmT3_T4_T5_T6_T7_T9_mT8_P12ihipStream_tbDpT10_ENKUlT_T0_E_clISt17integral_constantIbLb0EES15_IbLb1EEEEDaS11_S12_EUlS11_E_NS1_11comp_targetILNS1_3genE0ELNS1_11target_archE4294967295ELNS1_3gpuE0ELNS1_3repE0EEENS1_30default_config_static_selectorELNS0_4arch9wavefront6targetE0EEEvT1_
    .private_segment_fixed_size: 0
    .sgpr_count:     0
    .sgpr_spill_count: 0
    .symbol:         _ZN7rocprim17ROCPRIM_400000_NS6detail17trampoline_kernelINS0_14default_configENS1_25partition_config_selectorILNS1_17partition_subalgoE6EiNS0_10empty_typeEbEEZZNS1_14partition_implILS5_6ELb0ES3_mN6thrust23THRUST_200600_302600_NS6detail15normal_iteratorINSA_10device_ptrIiEEEEPS6_SG_NS0_5tupleIJSF_S6_EEENSH_IJSG_SG_EEES6_PlJ7is_evenIiEEEE10hipError_tPvRmT3_T4_T5_T6_T7_T9_mT8_P12ihipStream_tbDpT10_ENKUlT_T0_E_clISt17integral_constantIbLb0EES15_IbLb1EEEEDaS11_S12_EUlS11_E_NS1_11comp_targetILNS1_3genE0ELNS1_11target_archE4294967295ELNS1_3gpuE0ELNS1_3repE0EEENS1_30default_config_static_selectorELNS0_4arch9wavefront6targetE0EEEvT1_.kd
    .uniform_work_group_size: 1
    .uses_dynamic_stack: false
    .vgpr_count:     0
    .vgpr_spill_count: 0
    .wavefront_size: 32
    .workgroup_processor_mode: 1
  - .args:
      - .offset:         0
        .size:           128
        .value_kind:     by_value
    .group_segment_fixed_size: 0
    .kernarg_segment_align: 8
    .kernarg_segment_size: 128
    .language:       OpenCL C
    .language_version:
      - 2
      - 0
    .max_flat_workgroup_size: 512
    .name:           _ZN7rocprim17ROCPRIM_400000_NS6detail17trampoline_kernelINS0_14default_configENS1_25partition_config_selectorILNS1_17partition_subalgoE6EiNS0_10empty_typeEbEEZZNS1_14partition_implILS5_6ELb0ES3_mN6thrust23THRUST_200600_302600_NS6detail15normal_iteratorINSA_10device_ptrIiEEEEPS6_SG_NS0_5tupleIJSF_S6_EEENSH_IJSG_SG_EEES6_PlJ7is_evenIiEEEE10hipError_tPvRmT3_T4_T5_T6_T7_T9_mT8_P12ihipStream_tbDpT10_ENKUlT_T0_E_clISt17integral_constantIbLb0EES15_IbLb1EEEEDaS11_S12_EUlS11_E_NS1_11comp_targetILNS1_3genE5ELNS1_11target_archE942ELNS1_3gpuE9ELNS1_3repE0EEENS1_30default_config_static_selectorELNS0_4arch9wavefront6targetE0EEEvT1_
    .private_segment_fixed_size: 0
    .sgpr_count:     0
    .sgpr_spill_count: 0
    .symbol:         _ZN7rocprim17ROCPRIM_400000_NS6detail17trampoline_kernelINS0_14default_configENS1_25partition_config_selectorILNS1_17partition_subalgoE6EiNS0_10empty_typeEbEEZZNS1_14partition_implILS5_6ELb0ES3_mN6thrust23THRUST_200600_302600_NS6detail15normal_iteratorINSA_10device_ptrIiEEEEPS6_SG_NS0_5tupleIJSF_S6_EEENSH_IJSG_SG_EEES6_PlJ7is_evenIiEEEE10hipError_tPvRmT3_T4_T5_T6_T7_T9_mT8_P12ihipStream_tbDpT10_ENKUlT_T0_E_clISt17integral_constantIbLb0EES15_IbLb1EEEEDaS11_S12_EUlS11_E_NS1_11comp_targetILNS1_3genE5ELNS1_11target_archE942ELNS1_3gpuE9ELNS1_3repE0EEENS1_30default_config_static_selectorELNS0_4arch9wavefront6targetE0EEEvT1_.kd
    .uniform_work_group_size: 1
    .uses_dynamic_stack: false
    .vgpr_count:     0
    .vgpr_spill_count: 0
    .wavefront_size: 32
    .workgroup_processor_mode: 1
  - .args:
      - .offset:         0
        .size:           128
        .value_kind:     by_value
    .group_segment_fixed_size: 0
    .kernarg_segment_align: 8
    .kernarg_segment_size: 128
    .language:       OpenCL C
    .language_version:
      - 2
      - 0
    .max_flat_workgroup_size: 512
    .name:           _ZN7rocprim17ROCPRIM_400000_NS6detail17trampoline_kernelINS0_14default_configENS1_25partition_config_selectorILNS1_17partition_subalgoE6EiNS0_10empty_typeEbEEZZNS1_14partition_implILS5_6ELb0ES3_mN6thrust23THRUST_200600_302600_NS6detail15normal_iteratorINSA_10device_ptrIiEEEEPS6_SG_NS0_5tupleIJSF_S6_EEENSH_IJSG_SG_EEES6_PlJ7is_evenIiEEEE10hipError_tPvRmT3_T4_T5_T6_T7_T9_mT8_P12ihipStream_tbDpT10_ENKUlT_T0_E_clISt17integral_constantIbLb0EES15_IbLb1EEEEDaS11_S12_EUlS11_E_NS1_11comp_targetILNS1_3genE4ELNS1_11target_archE910ELNS1_3gpuE8ELNS1_3repE0EEENS1_30default_config_static_selectorELNS0_4arch9wavefront6targetE0EEEvT1_
    .private_segment_fixed_size: 0
    .sgpr_count:     0
    .sgpr_spill_count: 0
    .symbol:         _ZN7rocprim17ROCPRIM_400000_NS6detail17trampoline_kernelINS0_14default_configENS1_25partition_config_selectorILNS1_17partition_subalgoE6EiNS0_10empty_typeEbEEZZNS1_14partition_implILS5_6ELb0ES3_mN6thrust23THRUST_200600_302600_NS6detail15normal_iteratorINSA_10device_ptrIiEEEEPS6_SG_NS0_5tupleIJSF_S6_EEENSH_IJSG_SG_EEES6_PlJ7is_evenIiEEEE10hipError_tPvRmT3_T4_T5_T6_T7_T9_mT8_P12ihipStream_tbDpT10_ENKUlT_T0_E_clISt17integral_constantIbLb0EES15_IbLb1EEEEDaS11_S12_EUlS11_E_NS1_11comp_targetILNS1_3genE4ELNS1_11target_archE910ELNS1_3gpuE8ELNS1_3repE0EEENS1_30default_config_static_selectorELNS0_4arch9wavefront6targetE0EEEvT1_.kd
    .uniform_work_group_size: 1
    .uses_dynamic_stack: false
    .vgpr_count:     0
    .vgpr_spill_count: 0
    .wavefront_size: 32
    .workgroup_processor_mode: 1
  - .args:
      - .offset:         0
        .size:           128
        .value_kind:     by_value
    .group_segment_fixed_size: 0
    .kernarg_segment_align: 8
    .kernarg_segment_size: 128
    .language:       OpenCL C
    .language_version:
      - 2
      - 0
    .max_flat_workgroup_size: 256
    .name:           _ZN7rocprim17ROCPRIM_400000_NS6detail17trampoline_kernelINS0_14default_configENS1_25partition_config_selectorILNS1_17partition_subalgoE6EiNS0_10empty_typeEbEEZZNS1_14partition_implILS5_6ELb0ES3_mN6thrust23THRUST_200600_302600_NS6detail15normal_iteratorINSA_10device_ptrIiEEEEPS6_SG_NS0_5tupleIJSF_S6_EEENSH_IJSG_SG_EEES6_PlJ7is_evenIiEEEE10hipError_tPvRmT3_T4_T5_T6_T7_T9_mT8_P12ihipStream_tbDpT10_ENKUlT_T0_E_clISt17integral_constantIbLb0EES15_IbLb1EEEEDaS11_S12_EUlS11_E_NS1_11comp_targetILNS1_3genE3ELNS1_11target_archE908ELNS1_3gpuE7ELNS1_3repE0EEENS1_30default_config_static_selectorELNS0_4arch9wavefront6targetE0EEEvT1_
    .private_segment_fixed_size: 0
    .sgpr_count:     0
    .sgpr_spill_count: 0
    .symbol:         _ZN7rocprim17ROCPRIM_400000_NS6detail17trampoline_kernelINS0_14default_configENS1_25partition_config_selectorILNS1_17partition_subalgoE6EiNS0_10empty_typeEbEEZZNS1_14partition_implILS5_6ELb0ES3_mN6thrust23THRUST_200600_302600_NS6detail15normal_iteratorINSA_10device_ptrIiEEEEPS6_SG_NS0_5tupleIJSF_S6_EEENSH_IJSG_SG_EEES6_PlJ7is_evenIiEEEE10hipError_tPvRmT3_T4_T5_T6_T7_T9_mT8_P12ihipStream_tbDpT10_ENKUlT_T0_E_clISt17integral_constantIbLb0EES15_IbLb1EEEEDaS11_S12_EUlS11_E_NS1_11comp_targetILNS1_3genE3ELNS1_11target_archE908ELNS1_3gpuE7ELNS1_3repE0EEENS1_30default_config_static_selectorELNS0_4arch9wavefront6targetE0EEEvT1_.kd
    .uniform_work_group_size: 1
    .uses_dynamic_stack: false
    .vgpr_count:     0
    .vgpr_spill_count: 0
    .wavefront_size: 32
    .workgroup_processor_mode: 1
  - .args:
      - .offset:         0
        .size:           128
        .value_kind:     by_value
    .group_segment_fixed_size: 0
    .kernarg_segment_align: 8
    .kernarg_segment_size: 128
    .language:       OpenCL C
    .language_version:
      - 2
      - 0
    .max_flat_workgroup_size: 192
    .name:           _ZN7rocprim17ROCPRIM_400000_NS6detail17trampoline_kernelINS0_14default_configENS1_25partition_config_selectorILNS1_17partition_subalgoE6EiNS0_10empty_typeEbEEZZNS1_14partition_implILS5_6ELb0ES3_mN6thrust23THRUST_200600_302600_NS6detail15normal_iteratorINSA_10device_ptrIiEEEEPS6_SG_NS0_5tupleIJSF_S6_EEENSH_IJSG_SG_EEES6_PlJ7is_evenIiEEEE10hipError_tPvRmT3_T4_T5_T6_T7_T9_mT8_P12ihipStream_tbDpT10_ENKUlT_T0_E_clISt17integral_constantIbLb0EES15_IbLb1EEEEDaS11_S12_EUlS11_E_NS1_11comp_targetILNS1_3genE2ELNS1_11target_archE906ELNS1_3gpuE6ELNS1_3repE0EEENS1_30default_config_static_selectorELNS0_4arch9wavefront6targetE0EEEvT1_
    .private_segment_fixed_size: 0
    .sgpr_count:     0
    .sgpr_spill_count: 0
    .symbol:         _ZN7rocprim17ROCPRIM_400000_NS6detail17trampoline_kernelINS0_14default_configENS1_25partition_config_selectorILNS1_17partition_subalgoE6EiNS0_10empty_typeEbEEZZNS1_14partition_implILS5_6ELb0ES3_mN6thrust23THRUST_200600_302600_NS6detail15normal_iteratorINSA_10device_ptrIiEEEEPS6_SG_NS0_5tupleIJSF_S6_EEENSH_IJSG_SG_EEES6_PlJ7is_evenIiEEEE10hipError_tPvRmT3_T4_T5_T6_T7_T9_mT8_P12ihipStream_tbDpT10_ENKUlT_T0_E_clISt17integral_constantIbLb0EES15_IbLb1EEEEDaS11_S12_EUlS11_E_NS1_11comp_targetILNS1_3genE2ELNS1_11target_archE906ELNS1_3gpuE6ELNS1_3repE0EEENS1_30default_config_static_selectorELNS0_4arch9wavefront6targetE0EEEvT1_.kd
    .uniform_work_group_size: 1
    .uses_dynamic_stack: false
    .vgpr_count:     0
    .vgpr_spill_count: 0
    .wavefront_size: 32
    .workgroup_processor_mode: 1
  - .args:
      - .offset:         0
        .size:           128
        .value_kind:     by_value
    .group_segment_fixed_size: 0
    .kernarg_segment_align: 8
    .kernarg_segment_size: 128
    .language:       OpenCL C
    .language_version:
      - 2
      - 0
    .max_flat_workgroup_size: 384
    .name:           _ZN7rocprim17ROCPRIM_400000_NS6detail17trampoline_kernelINS0_14default_configENS1_25partition_config_selectorILNS1_17partition_subalgoE6EiNS0_10empty_typeEbEEZZNS1_14partition_implILS5_6ELb0ES3_mN6thrust23THRUST_200600_302600_NS6detail15normal_iteratorINSA_10device_ptrIiEEEEPS6_SG_NS0_5tupleIJSF_S6_EEENSH_IJSG_SG_EEES6_PlJ7is_evenIiEEEE10hipError_tPvRmT3_T4_T5_T6_T7_T9_mT8_P12ihipStream_tbDpT10_ENKUlT_T0_E_clISt17integral_constantIbLb0EES15_IbLb1EEEEDaS11_S12_EUlS11_E_NS1_11comp_targetILNS1_3genE10ELNS1_11target_archE1200ELNS1_3gpuE4ELNS1_3repE0EEENS1_30default_config_static_selectorELNS0_4arch9wavefront6targetE0EEEvT1_
    .private_segment_fixed_size: 0
    .sgpr_count:     0
    .sgpr_spill_count: 0
    .symbol:         _ZN7rocprim17ROCPRIM_400000_NS6detail17trampoline_kernelINS0_14default_configENS1_25partition_config_selectorILNS1_17partition_subalgoE6EiNS0_10empty_typeEbEEZZNS1_14partition_implILS5_6ELb0ES3_mN6thrust23THRUST_200600_302600_NS6detail15normal_iteratorINSA_10device_ptrIiEEEEPS6_SG_NS0_5tupleIJSF_S6_EEENSH_IJSG_SG_EEES6_PlJ7is_evenIiEEEE10hipError_tPvRmT3_T4_T5_T6_T7_T9_mT8_P12ihipStream_tbDpT10_ENKUlT_T0_E_clISt17integral_constantIbLb0EES15_IbLb1EEEEDaS11_S12_EUlS11_E_NS1_11comp_targetILNS1_3genE10ELNS1_11target_archE1200ELNS1_3gpuE4ELNS1_3repE0EEENS1_30default_config_static_selectorELNS0_4arch9wavefront6targetE0EEEvT1_.kd
    .uniform_work_group_size: 1
    .uses_dynamic_stack: false
    .vgpr_count:     0
    .vgpr_spill_count: 0
    .wavefront_size: 32
    .workgroup_processor_mode: 1
  - .args:
      - .offset:         0
        .size:           128
        .value_kind:     by_value
    .group_segment_fixed_size: 7184
    .kernarg_segment_align: 8
    .kernarg_segment_size: 128
    .language:       OpenCL C
    .language_version:
      - 2
      - 0
    .max_flat_workgroup_size: 128
    .name:           _ZN7rocprim17ROCPRIM_400000_NS6detail17trampoline_kernelINS0_14default_configENS1_25partition_config_selectorILNS1_17partition_subalgoE6EiNS0_10empty_typeEbEEZZNS1_14partition_implILS5_6ELb0ES3_mN6thrust23THRUST_200600_302600_NS6detail15normal_iteratorINSA_10device_ptrIiEEEEPS6_SG_NS0_5tupleIJSF_S6_EEENSH_IJSG_SG_EEES6_PlJ7is_evenIiEEEE10hipError_tPvRmT3_T4_T5_T6_T7_T9_mT8_P12ihipStream_tbDpT10_ENKUlT_T0_E_clISt17integral_constantIbLb0EES15_IbLb1EEEEDaS11_S12_EUlS11_E_NS1_11comp_targetILNS1_3genE9ELNS1_11target_archE1100ELNS1_3gpuE3ELNS1_3repE0EEENS1_30default_config_static_selectorELNS0_4arch9wavefront6targetE0EEEvT1_
    .private_segment_fixed_size: 0
    .sgpr_count:     22
    .sgpr_spill_count: 0
    .symbol:         _ZN7rocprim17ROCPRIM_400000_NS6detail17trampoline_kernelINS0_14default_configENS1_25partition_config_selectorILNS1_17partition_subalgoE6EiNS0_10empty_typeEbEEZZNS1_14partition_implILS5_6ELb0ES3_mN6thrust23THRUST_200600_302600_NS6detail15normal_iteratorINSA_10device_ptrIiEEEEPS6_SG_NS0_5tupleIJSF_S6_EEENSH_IJSG_SG_EEES6_PlJ7is_evenIiEEEE10hipError_tPvRmT3_T4_T5_T6_T7_T9_mT8_P12ihipStream_tbDpT10_ENKUlT_T0_E_clISt17integral_constantIbLb0EES15_IbLb1EEEEDaS11_S12_EUlS11_E_NS1_11comp_targetILNS1_3genE9ELNS1_11target_archE1100ELNS1_3gpuE3ELNS1_3repE0EEENS1_30default_config_static_selectorELNS0_4arch9wavefront6targetE0EEEvT1_.kd
    .uniform_work_group_size: 1
    .uses_dynamic_stack: false
    .vgpr_count:     76
    .vgpr_spill_count: 0
    .wavefront_size: 32
    .workgroup_processor_mode: 1
  - .args:
      - .offset:         0
        .size:           128
        .value_kind:     by_value
    .group_segment_fixed_size: 0
    .kernarg_segment_align: 8
    .kernarg_segment_size: 128
    .language:       OpenCL C
    .language_version:
      - 2
      - 0
    .max_flat_workgroup_size: 512
    .name:           _ZN7rocprim17ROCPRIM_400000_NS6detail17trampoline_kernelINS0_14default_configENS1_25partition_config_selectorILNS1_17partition_subalgoE6EiNS0_10empty_typeEbEEZZNS1_14partition_implILS5_6ELb0ES3_mN6thrust23THRUST_200600_302600_NS6detail15normal_iteratorINSA_10device_ptrIiEEEEPS6_SG_NS0_5tupleIJSF_S6_EEENSH_IJSG_SG_EEES6_PlJ7is_evenIiEEEE10hipError_tPvRmT3_T4_T5_T6_T7_T9_mT8_P12ihipStream_tbDpT10_ENKUlT_T0_E_clISt17integral_constantIbLb0EES15_IbLb1EEEEDaS11_S12_EUlS11_E_NS1_11comp_targetILNS1_3genE8ELNS1_11target_archE1030ELNS1_3gpuE2ELNS1_3repE0EEENS1_30default_config_static_selectorELNS0_4arch9wavefront6targetE0EEEvT1_
    .private_segment_fixed_size: 0
    .sgpr_count:     0
    .sgpr_spill_count: 0
    .symbol:         _ZN7rocprim17ROCPRIM_400000_NS6detail17trampoline_kernelINS0_14default_configENS1_25partition_config_selectorILNS1_17partition_subalgoE6EiNS0_10empty_typeEbEEZZNS1_14partition_implILS5_6ELb0ES3_mN6thrust23THRUST_200600_302600_NS6detail15normal_iteratorINSA_10device_ptrIiEEEEPS6_SG_NS0_5tupleIJSF_S6_EEENSH_IJSG_SG_EEES6_PlJ7is_evenIiEEEE10hipError_tPvRmT3_T4_T5_T6_T7_T9_mT8_P12ihipStream_tbDpT10_ENKUlT_T0_E_clISt17integral_constantIbLb0EES15_IbLb1EEEEDaS11_S12_EUlS11_E_NS1_11comp_targetILNS1_3genE8ELNS1_11target_archE1030ELNS1_3gpuE2ELNS1_3repE0EEENS1_30default_config_static_selectorELNS0_4arch9wavefront6targetE0EEEvT1_.kd
    .uniform_work_group_size: 1
    .uses_dynamic_stack: false
    .vgpr_count:     0
    .vgpr_spill_count: 0
    .wavefront_size: 32
    .workgroup_processor_mode: 1
  - .args:
      - .offset:         0
        .size:           112
        .value_kind:     by_value
    .group_segment_fixed_size: 0
    .kernarg_segment_align: 8
    .kernarg_segment_size: 112
    .language:       OpenCL C
    .language_version:
      - 2
      - 0
    .max_flat_workgroup_size: 256
    .name:           _ZN7rocprim17ROCPRIM_400000_NS6detail17trampoline_kernelINS0_14default_configENS1_25partition_config_selectorILNS1_17partition_subalgoE6EsNS0_10empty_typeEbEEZZNS1_14partition_implILS5_6ELb0ES3_mN6thrust23THRUST_200600_302600_NS6detail15normal_iteratorINSA_10device_ptrIsEEEEPS6_SG_NS0_5tupleIJSF_S6_EEENSH_IJSG_SG_EEES6_PlJ7is_evenIsEEEE10hipError_tPvRmT3_T4_T5_T6_T7_T9_mT8_P12ihipStream_tbDpT10_ENKUlT_T0_E_clISt17integral_constantIbLb0EES16_EEDaS11_S12_EUlS11_E_NS1_11comp_targetILNS1_3genE0ELNS1_11target_archE4294967295ELNS1_3gpuE0ELNS1_3repE0EEENS1_30default_config_static_selectorELNS0_4arch9wavefront6targetE0EEEvT1_
    .private_segment_fixed_size: 0
    .sgpr_count:     0
    .sgpr_spill_count: 0
    .symbol:         _ZN7rocprim17ROCPRIM_400000_NS6detail17trampoline_kernelINS0_14default_configENS1_25partition_config_selectorILNS1_17partition_subalgoE6EsNS0_10empty_typeEbEEZZNS1_14partition_implILS5_6ELb0ES3_mN6thrust23THRUST_200600_302600_NS6detail15normal_iteratorINSA_10device_ptrIsEEEEPS6_SG_NS0_5tupleIJSF_S6_EEENSH_IJSG_SG_EEES6_PlJ7is_evenIsEEEE10hipError_tPvRmT3_T4_T5_T6_T7_T9_mT8_P12ihipStream_tbDpT10_ENKUlT_T0_E_clISt17integral_constantIbLb0EES16_EEDaS11_S12_EUlS11_E_NS1_11comp_targetILNS1_3genE0ELNS1_11target_archE4294967295ELNS1_3gpuE0ELNS1_3repE0EEENS1_30default_config_static_selectorELNS0_4arch9wavefront6targetE0EEEvT1_.kd
    .uniform_work_group_size: 1
    .uses_dynamic_stack: false
    .vgpr_count:     0
    .vgpr_spill_count: 0
    .wavefront_size: 32
    .workgroup_processor_mode: 1
  - .args:
      - .offset:         0
        .size:           112
        .value_kind:     by_value
    .group_segment_fixed_size: 0
    .kernarg_segment_align: 8
    .kernarg_segment_size: 112
    .language:       OpenCL C
    .language_version:
      - 2
      - 0
    .max_flat_workgroup_size: 512
    .name:           _ZN7rocprim17ROCPRIM_400000_NS6detail17trampoline_kernelINS0_14default_configENS1_25partition_config_selectorILNS1_17partition_subalgoE6EsNS0_10empty_typeEbEEZZNS1_14partition_implILS5_6ELb0ES3_mN6thrust23THRUST_200600_302600_NS6detail15normal_iteratorINSA_10device_ptrIsEEEEPS6_SG_NS0_5tupleIJSF_S6_EEENSH_IJSG_SG_EEES6_PlJ7is_evenIsEEEE10hipError_tPvRmT3_T4_T5_T6_T7_T9_mT8_P12ihipStream_tbDpT10_ENKUlT_T0_E_clISt17integral_constantIbLb0EES16_EEDaS11_S12_EUlS11_E_NS1_11comp_targetILNS1_3genE5ELNS1_11target_archE942ELNS1_3gpuE9ELNS1_3repE0EEENS1_30default_config_static_selectorELNS0_4arch9wavefront6targetE0EEEvT1_
    .private_segment_fixed_size: 0
    .sgpr_count:     0
    .sgpr_spill_count: 0
    .symbol:         _ZN7rocprim17ROCPRIM_400000_NS6detail17trampoline_kernelINS0_14default_configENS1_25partition_config_selectorILNS1_17partition_subalgoE6EsNS0_10empty_typeEbEEZZNS1_14partition_implILS5_6ELb0ES3_mN6thrust23THRUST_200600_302600_NS6detail15normal_iteratorINSA_10device_ptrIsEEEEPS6_SG_NS0_5tupleIJSF_S6_EEENSH_IJSG_SG_EEES6_PlJ7is_evenIsEEEE10hipError_tPvRmT3_T4_T5_T6_T7_T9_mT8_P12ihipStream_tbDpT10_ENKUlT_T0_E_clISt17integral_constantIbLb0EES16_EEDaS11_S12_EUlS11_E_NS1_11comp_targetILNS1_3genE5ELNS1_11target_archE942ELNS1_3gpuE9ELNS1_3repE0EEENS1_30default_config_static_selectorELNS0_4arch9wavefront6targetE0EEEvT1_.kd
    .uniform_work_group_size: 1
    .uses_dynamic_stack: false
    .vgpr_count:     0
    .vgpr_spill_count: 0
    .wavefront_size: 32
    .workgroup_processor_mode: 1
  - .args:
      - .offset:         0
        .size:           112
        .value_kind:     by_value
    .group_segment_fixed_size: 0
    .kernarg_segment_align: 8
    .kernarg_segment_size: 112
    .language:       OpenCL C
    .language_version:
      - 2
      - 0
    .max_flat_workgroup_size: 256
    .name:           _ZN7rocprim17ROCPRIM_400000_NS6detail17trampoline_kernelINS0_14default_configENS1_25partition_config_selectorILNS1_17partition_subalgoE6EsNS0_10empty_typeEbEEZZNS1_14partition_implILS5_6ELb0ES3_mN6thrust23THRUST_200600_302600_NS6detail15normal_iteratorINSA_10device_ptrIsEEEEPS6_SG_NS0_5tupleIJSF_S6_EEENSH_IJSG_SG_EEES6_PlJ7is_evenIsEEEE10hipError_tPvRmT3_T4_T5_T6_T7_T9_mT8_P12ihipStream_tbDpT10_ENKUlT_T0_E_clISt17integral_constantIbLb0EES16_EEDaS11_S12_EUlS11_E_NS1_11comp_targetILNS1_3genE4ELNS1_11target_archE910ELNS1_3gpuE8ELNS1_3repE0EEENS1_30default_config_static_selectorELNS0_4arch9wavefront6targetE0EEEvT1_
    .private_segment_fixed_size: 0
    .sgpr_count:     0
    .sgpr_spill_count: 0
    .symbol:         _ZN7rocprim17ROCPRIM_400000_NS6detail17trampoline_kernelINS0_14default_configENS1_25partition_config_selectorILNS1_17partition_subalgoE6EsNS0_10empty_typeEbEEZZNS1_14partition_implILS5_6ELb0ES3_mN6thrust23THRUST_200600_302600_NS6detail15normal_iteratorINSA_10device_ptrIsEEEEPS6_SG_NS0_5tupleIJSF_S6_EEENSH_IJSG_SG_EEES6_PlJ7is_evenIsEEEE10hipError_tPvRmT3_T4_T5_T6_T7_T9_mT8_P12ihipStream_tbDpT10_ENKUlT_T0_E_clISt17integral_constantIbLb0EES16_EEDaS11_S12_EUlS11_E_NS1_11comp_targetILNS1_3genE4ELNS1_11target_archE910ELNS1_3gpuE8ELNS1_3repE0EEENS1_30default_config_static_selectorELNS0_4arch9wavefront6targetE0EEEvT1_.kd
    .uniform_work_group_size: 1
    .uses_dynamic_stack: false
    .vgpr_count:     0
    .vgpr_spill_count: 0
    .wavefront_size: 32
    .workgroup_processor_mode: 1
  - .args:
      - .offset:         0
        .size:           112
        .value_kind:     by_value
    .group_segment_fixed_size: 0
    .kernarg_segment_align: 8
    .kernarg_segment_size: 112
    .language:       OpenCL C
    .language_version:
      - 2
      - 0
    .max_flat_workgroup_size: 256
    .name:           _ZN7rocprim17ROCPRIM_400000_NS6detail17trampoline_kernelINS0_14default_configENS1_25partition_config_selectorILNS1_17partition_subalgoE6EsNS0_10empty_typeEbEEZZNS1_14partition_implILS5_6ELb0ES3_mN6thrust23THRUST_200600_302600_NS6detail15normal_iteratorINSA_10device_ptrIsEEEEPS6_SG_NS0_5tupleIJSF_S6_EEENSH_IJSG_SG_EEES6_PlJ7is_evenIsEEEE10hipError_tPvRmT3_T4_T5_T6_T7_T9_mT8_P12ihipStream_tbDpT10_ENKUlT_T0_E_clISt17integral_constantIbLb0EES16_EEDaS11_S12_EUlS11_E_NS1_11comp_targetILNS1_3genE3ELNS1_11target_archE908ELNS1_3gpuE7ELNS1_3repE0EEENS1_30default_config_static_selectorELNS0_4arch9wavefront6targetE0EEEvT1_
    .private_segment_fixed_size: 0
    .sgpr_count:     0
    .sgpr_spill_count: 0
    .symbol:         _ZN7rocprim17ROCPRIM_400000_NS6detail17trampoline_kernelINS0_14default_configENS1_25partition_config_selectorILNS1_17partition_subalgoE6EsNS0_10empty_typeEbEEZZNS1_14partition_implILS5_6ELb0ES3_mN6thrust23THRUST_200600_302600_NS6detail15normal_iteratorINSA_10device_ptrIsEEEEPS6_SG_NS0_5tupleIJSF_S6_EEENSH_IJSG_SG_EEES6_PlJ7is_evenIsEEEE10hipError_tPvRmT3_T4_T5_T6_T7_T9_mT8_P12ihipStream_tbDpT10_ENKUlT_T0_E_clISt17integral_constantIbLb0EES16_EEDaS11_S12_EUlS11_E_NS1_11comp_targetILNS1_3genE3ELNS1_11target_archE908ELNS1_3gpuE7ELNS1_3repE0EEENS1_30default_config_static_selectorELNS0_4arch9wavefront6targetE0EEEvT1_.kd
    .uniform_work_group_size: 1
    .uses_dynamic_stack: false
    .vgpr_count:     0
    .vgpr_spill_count: 0
    .wavefront_size: 32
    .workgroup_processor_mode: 1
  - .args:
      - .offset:         0
        .size:           112
        .value_kind:     by_value
    .group_segment_fixed_size: 0
    .kernarg_segment_align: 8
    .kernarg_segment_size: 112
    .language:       OpenCL C
    .language_version:
      - 2
      - 0
    .max_flat_workgroup_size: 256
    .name:           _ZN7rocprim17ROCPRIM_400000_NS6detail17trampoline_kernelINS0_14default_configENS1_25partition_config_selectorILNS1_17partition_subalgoE6EsNS0_10empty_typeEbEEZZNS1_14partition_implILS5_6ELb0ES3_mN6thrust23THRUST_200600_302600_NS6detail15normal_iteratorINSA_10device_ptrIsEEEEPS6_SG_NS0_5tupleIJSF_S6_EEENSH_IJSG_SG_EEES6_PlJ7is_evenIsEEEE10hipError_tPvRmT3_T4_T5_T6_T7_T9_mT8_P12ihipStream_tbDpT10_ENKUlT_T0_E_clISt17integral_constantIbLb0EES16_EEDaS11_S12_EUlS11_E_NS1_11comp_targetILNS1_3genE2ELNS1_11target_archE906ELNS1_3gpuE6ELNS1_3repE0EEENS1_30default_config_static_selectorELNS0_4arch9wavefront6targetE0EEEvT1_
    .private_segment_fixed_size: 0
    .sgpr_count:     0
    .sgpr_spill_count: 0
    .symbol:         _ZN7rocprim17ROCPRIM_400000_NS6detail17trampoline_kernelINS0_14default_configENS1_25partition_config_selectorILNS1_17partition_subalgoE6EsNS0_10empty_typeEbEEZZNS1_14partition_implILS5_6ELb0ES3_mN6thrust23THRUST_200600_302600_NS6detail15normal_iteratorINSA_10device_ptrIsEEEEPS6_SG_NS0_5tupleIJSF_S6_EEENSH_IJSG_SG_EEES6_PlJ7is_evenIsEEEE10hipError_tPvRmT3_T4_T5_T6_T7_T9_mT8_P12ihipStream_tbDpT10_ENKUlT_T0_E_clISt17integral_constantIbLb0EES16_EEDaS11_S12_EUlS11_E_NS1_11comp_targetILNS1_3genE2ELNS1_11target_archE906ELNS1_3gpuE6ELNS1_3repE0EEENS1_30default_config_static_selectorELNS0_4arch9wavefront6targetE0EEEvT1_.kd
    .uniform_work_group_size: 1
    .uses_dynamic_stack: false
    .vgpr_count:     0
    .vgpr_spill_count: 0
    .wavefront_size: 32
    .workgroup_processor_mode: 1
  - .args:
      - .offset:         0
        .size:           112
        .value_kind:     by_value
    .group_segment_fixed_size: 0
    .kernarg_segment_align: 8
    .kernarg_segment_size: 112
    .language:       OpenCL C
    .language_version:
      - 2
      - 0
    .max_flat_workgroup_size: 384
    .name:           _ZN7rocprim17ROCPRIM_400000_NS6detail17trampoline_kernelINS0_14default_configENS1_25partition_config_selectorILNS1_17partition_subalgoE6EsNS0_10empty_typeEbEEZZNS1_14partition_implILS5_6ELb0ES3_mN6thrust23THRUST_200600_302600_NS6detail15normal_iteratorINSA_10device_ptrIsEEEEPS6_SG_NS0_5tupleIJSF_S6_EEENSH_IJSG_SG_EEES6_PlJ7is_evenIsEEEE10hipError_tPvRmT3_T4_T5_T6_T7_T9_mT8_P12ihipStream_tbDpT10_ENKUlT_T0_E_clISt17integral_constantIbLb0EES16_EEDaS11_S12_EUlS11_E_NS1_11comp_targetILNS1_3genE10ELNS1_11target_archE1200ELNS1_3gpuE4ELNS1_3repE0EEENS1_30default_config_static_selectorELNS0_4arch9wavefront6targetE0EEEvT1_
    .private_segment_fixed_size: 0
    .sgpr_count:     0
    .sgpr_spill_count: 0
    .symbol:         _ZN7rocprim17ROCPRIM_400000_NS6detail17trampoline_kernelINS0_14default_configENS1_25partition_config_selectorILNS1_17partition_subalgoE6EsNS0_10empty_typeEbEEZZNS1_14partition_implILS5_6ELb0ES3_mN6thrust23THRUST_200600_302600_NS6detail15normal_iteratorINSA_10device_ptrIsEEEEPS6_SG_NS0_5tupleIJSF_S6_EEENSH_IJSG_SG_EEES6_PlJ7is_evenIsEEEE10hipError_tPvRmT3_T4_T5_T6_T7_T9_mT8_P12ihipStream_tbDpT10_ENKUlT_T0_E_clISt17integral_constantIbLb0EES16_EEDaS11_S12_EUlS11_E_NS1_11comp_targetILNS1_3genE10ELNS1_11target_archE1200ELNS1_3gpuE4ELNS1_3repE0EEENS1_30default_config_static_selectorELNS0_4arch9wavefront6targetE0EEEvT1_.kd
    .uniform_work_group_size: 1
    .uses_dynamic_stack: false
    .vgpr_count:     0
    .vgpr_spill_count: 0
    .wavefront_size: 32
    .workgroup_processor_mode: 1
  - .args:
      - .offset:         0
        .size:           112
        .value_kind:     by_value
    .group_segment_fixed_size: 7696
    .kernarg_segment_align: 8
    .kernarg_segment_size: 112
    .language:       OpenCL C
    .language_version:
      - 2
      - 0
    .max_flat_workgroup_size: 128
    .name:           _ZN7rocprim17ROCPRIM_400000_NS6detail17trampoline_kernelINS0_14default_configENS1_25partition_config_selectorILNS1_17partition_subalgoE6EsNS0_10empty_typeEbEEZZNS1_14partition_implILS5_6ELb0ES3_mN6thrust23THRUST_200600_302600_NS6detail15normal_iteratorINSA_10device_ptrIsEEEEPS6_SG_NS0_5tupleIJSF_S6_EEENSH_IJSG_SG_EEES6_PlJ7is_evenIsEEEE10hipError_tPvRmT3_T4_T5_T6_T7_T9_mT8_P12ihipStream_tbDpT10_ENKUlT_T0_E_clISt17integral_constantIbLb0EES16_EEDaS11_S12_EUlS11_E_NS1_11comp_targetILNS1_3genE9ELNS1_11target_archE1100ELNS1_3gpuE3ELNS1_3repE0EEENS1_30default_config_static_selectorELNS0_4arch9wavefront6targetE0EEEvT1_
    .private_segment_fixed_size: 0
    .sgpr_count:     21
    .sgpr_spill_count: 0
    .symbol:         _ZN7rocprim17ROCPRIM_400000_NS6detail17trampoline_kernelINS0_14default_configENS1_25partition_config_selectorILNS1_17partition_subalgoE6EsNS0_10empty_typeEbEEZZNS1_14partition_implILS5_6ELb0ES3_mN6thrust23THRUST_200600_302600_NS6detail15normal_iteratorINSA_10device_ptrIsEEEEPS6_SG_NS0_5tupleIJSF_S6_EEENSH_IJSG_SG_EEES6_PlJ7is_evenIsEEEE10hipError_tPvRmT3_T4_T5_T6_T7_T9_mT8_P12ihipStream_tbDpT10_ENKUlT_T0_E_clISt17integral_constantIbLb0EES16_EEDaS11_S12_EUlS11_E_NS1_11comp_targetILNS1_3genE9ELNS1_11target_archE1100ELNS1_3gpuE3ELNS1_3repE0EEENS1_30default_config_static_selectorELNS0_4arch9wavefront6targetE0EEEvT1_.kd
    .uniform_work_group_size: 1
    .uses_dynamic_stack: false
    .vgpr_count:     131
    .vgpr_spill_count: 0
    .wavefront_size: 32
    .workgroup_processor_mode: 1
  - .args:
      - .offset:         0
        .size:           112
        .value_kind:     by_value
    .group_segment_fixed_size: 0
    .kernarg_segment_align: 8
    .kernarg_segment_size: 112
    .language:       OpenCL C
    .language_version:
      - 2
      - 0
    .max_flat_workgroup_size: 256
    .name:           _ZN7rocprim17ROCPRIM_400000_NS6detail17trampoline_kernelINS0_14default_configENS1_25partition_config_selectorILNS1_17partition_subalgoE6EsNS0_10empty_typeEbEEZZNS1_14partition_implILS5_6ELb0ES3_mN6thrust23THRUST_200600_302600_NS6detail15normal_iteratorINSA_10device_ptrIsEEEEPS6_SG_NS0_5tupleIJSF_S6_EEENSH_IJSG_SG_EEES6_PlJ7is_evenIsEEEE10hipError_tPvRmT3_T4_T5_T6_T7_T9_mT8_P12ihipStream_tbDpT10_ENKUlT_T0_E_clISt17integral_constantIbLb0EES16_EEDaS11_S12_EUlS11_E_NS1_11comp_targetILNS1_3genE8ELNS1_11target_archE1030ELNS1_3gpuE2ELNS1_3repE0EEENS1_30default_config_static_selectorELNS0_4arch9wavefront6targetE0EEEvT1_
    .private_segment_fixed_size: 0
    .sgpr_count:     0
    .sgpr_spill_count: 0
    .symbol:         _ZN7rocprim17ROCPRIM_400000_NS6detail17trampoline_kernelINS0_14default_configENS1_25partition_config_selectorILNS1_17partition_subalgoE6EsNS0_10empty_typeEbEEZZNS1_14partition_implILS5_6ELb0ES3_mN6thrust23THRUST_200600_302600_NS6detail15normal_iteratorINSA_10device_ptrIsEEEEPS6_SG_NS0_5tupleIJSF_S6_EEENSH_IJSG_SG_EEES6_PlJ7is_evenIsEEEE10hipError_tPvRmT3_T4_T5_T6_T7_T9_mT8_P12ihipStream_tbDpT10_ENKUlT_T0_E_clISt17integral_constantIbLb0EES16_EEDaS11_S12_EUlS11_E_NS1_11comp_targetILNS1_3genE8ELNS1_11target_archE1030ELNS1_3gpuE2ELNS1_3repE0EEENS1_30default_config_static_selectorELNS0_4arch9wavefront6targetE0EEEvT1_.kd
    .uniform_work_group_size: 1
    .uses_dynamic_stack: false
    .vgpr_count:     0
    .vgpr_spill_count: 0
    .wavefront_size: 32
    .workgroup_processor_mode: 1
  - .args:
      - .offset:         0
        .size:           128
        .value_kind:     by_value
    .group_segment_fixed_size: 0
    .kernarg_segment_align: 8
    .kernarg_segment_size: 128
    .language:       OpenCL C
    .language_version:
      - 2
      - 0
    .max_flat_workgroup_size: 256
    .name:           _ZN7rocprim17ROCPRIM_400000_NS6detail17trampoline_kernelINS0_14default_configENS1_25partition_config_selectorILNS1_17partition_subalgoE6EsNS0_10empty_typeEbEEZZNS1_14partition_implILS5_6ELb0ES3_mN6thrust23THRUST_200600_302600_NS6detail15normal_iteratorINSA_10device_ptrIsEEEEPS6_SG_NS0_5tupleIJSF_S6_EEENSH_IJSG_SG_EEES6_PlJ7is_evenIsEEEE10hipError_tPvRmT3_T4_T5_T6_T7_T9_mT8_P12ihipStream_tbDpT10_ENKUlT_T0_E_clISt17integral_constantIbLb1EES16_EEDaS11_S12_EUlS11_E_NS1_11comp_targetILNS1_3genE0ELNS1_11target_archE4294967295ELNS1_3gpuE0ELNS1_3repE0EEENS1_30default_config_static_selectorELNS0_4arch9wavefront6targetE0EEEvT1_
    .private_segment_fixed_size: 0
    .sgpr_count:     0
    .sgpr_spill_count: 0
    .symbol:         _ZN7rocprim17ROCPRIM_400000_NS6detail17trampoline_kernelINS0_14default_configENS1_25partition_config_selectorILNS1_17partition_subalgoE6EsNS0_10empty_typeEbEEZZNS1_14partition_implILS5_6ELb0ES3_mN6thrust23THRUST_200600_302600_NS6detail15normal_iteratorINSA_10device_ptrIsEEEEPS6_SG_NS0_5tupleIJSF_S6_EEENSH_IJSG_SG_EEES6_PlJ7is_evenIsEEEE10hipError_tPvRmT3_T4_T5_T6_T7_T9_mT8_P12ihipStream_tbDpT10_ENKUlT_T0_E_clISt17integral_constantIbLb1EES16_EEDaS11_S12_EUlS11_E_NS1_11comp_targetILNS1_3genE0ELNS1_11target_archE4294967295ELNS1_3gpuE0ELNS1_3repE0EEENS1_30default_config_static_selectorELNS0_4arch9wavefront6targetE0EEEvT1_.kd
    .uniform_work_group_size: 1
    .uses_dynamic_stack: false
    .vgpr_count:     0
    .vgpr_spill_count: 0
    .wavefront_size: 32
    .workgroup_processor_mode: 1
  - .args:
      - .offset:         0
        .size:           128
        .value_kind:     by_value
    .group_segment_fixed_size: 0
    .kernarg_segment_align: 8
    .kernarg_segment_size: 128
    .language:       OpenCL C
    .language_version:
      - 2
      - 0
    .max_flat_workgroup_size: 512
    .name:           _ZN7rocprim17ROCPRIM_400000_NS6detail17trampoline_kernelINS0_14default_configENS1_25partition_config_selectorILNS1_17partition_subalgoE6EsNS0_10empty_typeEbEEZZNS1_14partition_implILS5_6ELb0ES3_mN6thrust23THRUST_200600_302600_NS6detail15normal_iteratorINSA_10device_ptrIsEEEEPS6_SG_NS0_5tupleIJSF_S6_EEENSH_IJSG_SG_EEES6_PlJ7is_evenIsEEEE10hipError_tPvRmT3_T4_T5_T6_T7_T9_mT8_P12ihipStream_tbDpT10_ENKUlT_T0_E_clISt17integral_constantIbLb1EES16_EEDaS11_S12_EUlS11_E_NS1_11comp_targetILNS1_3genE5ELNS1_11target_archE942ELNS1_3gpuE9ELNS1_3repE0EEENS1_30default_config_static_selectorELNS0_4arch9wavefront6targetE0EEEvT1_
    .private_segment_fixed_size: 0
    .sgpr_count:     0
    .sgpr_spill_count: 0
    .symbol:         _ZN7rocprim17ROCPRIM_400000_NS6detail17trampoline_kernelINS0_14default_configENS1_25partition_config_selectorILNS1_17partition_subalgoE6EsNS0_10empty_typeEbEEZZNS1_14partition_implILS5_6ELb0ES3_mN6thrust23THRUST_200600_302600_NS6detail15normal_iteratorINSA_10device_ptrIsEEEEPS6_SG_NS0_5tupleIJSF_S6_EEENSH_IJSG_SG_EEES6_PlJ7is_evenIsEEEE10hipError_tPvRmT3_T4_T5_T6_T7_T9_mT8_P12ihipStream_tbDpT10_ENKUlT_T0_E_clISt17integral_constantIbLb1EES16_EEDaS11_S12_EUlS11_E_NS1_11comp_targetILNS1_3genE5ELNS1_11target_archE942ELNS1_3gpuE9ELNS1_3repE0EEENS1_30default_config_static_selectorELNS0_4arch9wavefront6targetE0EEEvT1_.kd
    .uniform_work_group_size: 1
    .uses_dynamic_stack: false
    .vgpr_count:     0
    .vgpr_spill_count: 0
    .wavefront_size: 32
    .workgroup_processor_mode: 1
  - .args:
      - .offset:         0
        .size:           128
        .value_kind:     by_value
    .group_segment_fixed_size: 0
    .kernarg_segment_align: 8
    .kernarg_segment_size: 128
    .language:       OpenCL C
    .language_version:
      - 2
      - 0
    .max_flat_workgroup_size: 256
    .name:           _ZN7rocprim17ROCPRIM_400000_NS6detail17trampoline_kernelINS0_14default_configENS1_25partition_config_selectorILNS1_17partition_subalgoE6EsNS0_10empty_typeEbEEZZNS1_14partition_implILS5_6ELb0ES3_mN6thrust23THRUST_200600_302600_NS6detail15normal_iteratorINSA_10device_ptrIsEEEEPS6_SG_NS0_5tupleIJSF_S6_EEENSH_IJSG_SG_EEES6_PlJ7is_evenIsEEEE10hipError_tPvRmT3_T4_T5_T6_T7_T9_mT8_P12ihipStream_tbDpT10_ENKUlT_T0_E_clISt17integral_constantIbLb1EES16_EEDaS11_S12_EUlS11_E_NS1_11comp_targetILNS1_3genE4ELNS1_11target_archE910ELNS1_3gpuE8ELNS1_3repE0EEENS1_30default_config_static_selectorELNS0_4arch9wavefront6targetE0EEEvT1_
    .private_segment_fixed_size: 0
    .sgpr_count:     0
    .sgpr_spill_count: 0
    .symbol:         _ZN7rocprim17ROCPRIM_400000_NS6detail17trampoline_kernelINS0_14default_configENS1_25partition_config_selectorILNS1_17partition_subalgoE6EsNS0_10empty_typeEbEEZZNS1_14partition_implILS5_6ELb0ES3_mN6thrust23THRUST_200600_302600_NS6detail15normal_iteratorINSA_10device_ptrIsEEEEPS6_SG_NS0_5tupleIJSF_S6_EEENSH_IJSG_SG_EEES6_PlJ7is_evenIsEEEE10hipError_tPvRmT3_T4_T5_T6_T7_T9_mT8_P12ihipStream_tbDpT10_ENKUlT_T0_E_clISt17integral_constantIbLb1EES16_EEDaS11_S12_EUlS11_E_NS1_11comp_targetILNS1_3genE4ELNS1_11target_archE910ELNS1_3gpuE8ELNS1_3repE0EEENS1_30default_config_static_selectorELNS0_4arch9wavefront6targetE0EEEvT1_.kd
    .uniform_work_group_size: 1
    .uses_dynamic_stack: false
    .vgpr_count:     0
    .vgpr_spill_count: 0
    .wavefront_size: 32
    .workgroup_processor_mode: 1
  - .args:
      - .offset:         0
        .size:           128
        .value_kind:     by_value
    .group_segment_fixed_size: 0
    .kernarg_segment_align: 8
    .kernarg_segment_size: 128
    .language:       OpenCL C
    .language_version:
      - 2
      - 0
    .max_flat_workgroup_size: 256
    .name:           _ZN7rocprim17ROCPRIM_400000_NS6detail17trampoline_kernelINS0_14default_configENS1_25partition_config_selectorILNS1_17partition_subalgoE6EsNS0_10empty_typeEbEEZZNS1_14partition_implILS5_6ELb0ES3_mN6thrust23THRUST_200600_302600_NS6detail15normal_iteratorINSA_10device_ptrIsEEEEPS6_SG_NS0_5tupleIJSF_S6_EEENSH_IJSG_SG_EEES6_PlJ7is_evenIsEEEE10hipError_tPvRmT3_T4_T5_T6_T7_T9_mT8_P12ihipStream_tbDpT10_ENKUlT_T0_E_clISt17integral_constantIbLb1EES16_EEDaS11_S12_EUlS11_E_NS1_11comp_targetILNS1_3genE3ELNS1_11target_archE908ELNS1_3gpuE7ELNS1_3repE0EEENS1_30default_config_static_selectorELNS0_4arch9wavefront6targetE0EEEvT1_
    .private_segment_fixed_size: 0
    .sgpr_count:     0
    .sgpr_spill_count: 0
    .symbol:         _ZN7rocprim17ROCPRIM_400000_NS6detail17trampoline_kernelINS0_14default_configENS1_25partition_config_selectorILNS1_17partition_subalgoE6EsNS0_10empty_typeEbEEZZNS1_14partition_implILS5_6ELb0ES3_mN6thrust23THRUST_200600_302600_NS6detail15normal_iteratorINSA_10device_ptrIsEEEEPS6_SG_NS0_5tupleIJSF_S6_EEENSH_IJSG_SG_EEES6_PlJ7is_evenIsEEEE10hipError_tPvRmT3_T4_T5_T6_T7_T9_mT8_P12ihipStream_tbDpT10_ENKUlT_T0_E_clISt17integral_constantIbLb1EES16_EEDaS11_S12_EUlS11_E_NS1_11comp_targetILNS1_3genE3ELNS1_11target_archE908ELNS1_3gpuE7ELNS1_3repE0EEENS1_30default_config_static_selectorELNS0_4arch9wavefront6targetE0EEEvT1_.kd
    .uniform_work_group_size: 1
    .uses_dynamic_stack: false
    .vgpr_count:     0
    .vgpr_spill_count: 0
    .wavefront_size: 32
    .workgroup_processor_mode: 1
  - .args:
      - .offset:         0
        .size:           128
        .value_kind:     by_value
    .group_segment_fixed_size: 0
    .kernarg_segment_align: 8
    .kernarg_segment_size: 128
    .language:       OpenCL C
    .language_version:
      - 2
      - 0
    .max_flat_workgroup_size: 256
    .name:           _ZN7rocprim17ROCPRIM_400000_NS6detail17trampoline_kernelINS0_14default_configENS1_25partition_config_selectorILNS1_17partition_subalgoE6EsNS0_10empty_typeEbEEZZNS1_14partition_implILS5_6ELb0ES3_mN6thrust23THRUST_200600_302600_NS6detail15normal_iteratorINSA_10device_ptrIsEEEEPS6_SG_NS0_5tupleIJSF_S6_EEENSH_IJSG_SG_EEES6_PlJ7is_evenIsEEEE10hipError_tPvRmT3_T4_T5_T6_T7_T9_mT8_P12ihipStream_tbDpT10_ENKUlT_T0_E_clISt17integral_constantIbLb1EES16_EEDaS11_S12_EUlS11_E_NS1_11comp_targetILNS1_3genE2ELNS1_11target_archE906ELNS1_3gpuE6ELNS1_3repE0EEENS1_30default_config_static_selectorELNS0_4arch9wavefront6targetE0EEEvT1_
    .private_segment_fixed_size: 0
    .sgpr_count:     0
    .sgpr_spill_count: 0
    .symbol:         _ZN7rocprim17ROCPRIM_400000_NS6detail17trampoline_kernelINS0_14default_configENS1_25partition_config_selectorILNS1_17partition_subalgoE6EsNS0_10empty_typeEbEEZZNS1_14partition_implILS5_6ELb0ES3_mN6thrust23THRUST_200600_302600_NS6detail15normal_iteratorINSA_10device_ptrIsEEEEPS6_SG_NS0_5tupleIJSF_S6_EEENSH_IJSG_SG_EEES6_PlJ7is_evenIsEEEE10hipError_tPvRmT3_T4_T5_T6_T7_T9_mT8_P12ihipStream_tbDpT10_ENKUlT_T0_E_clISt17integral_constantIbLb1EES16_EEDaS11_S12_EUlS11_E_NS1_11comp_targetILNS1_3genE2ELNS1_11target_archE906ELNS1_3gpuE6ELNS1_3repE0EEENS1_30default_config_static_selectorELNS0_4arch9wavefront6targetE0EEEvT1_.kd
    .uniform_work_group_size: 1
    .uses_dynamic_stack: false
    .vgpr_count:     0
    .vgpr_spill_count: 0
    .wavefront_size: 32
    .workgroup_processor_mode: 1
  - .args:
      - .offset:         0
        .size:           128
        .value_kind:     by_value
    .group_segment_fixed_size: 0
    .kernarg_segment_align: 8
    .kernarg_segment_size: 128
    .language:       OpenCL C
    .language_version:
      - 2
      - 0
    .max_flat_workgroup_size: 384
    .name:           _ZN7rocprim17ROCPRIM_400000_NS6detail17trampoline_kernelINS0_14default_configENS1_25partition_config_selectorILNS1_17partition_subalgoE6EsNS0_10empty_typeEbEEZZNS1_14partition_implILS5_6ELb0ES3_mN6thrust23THRUST_200600_302600_NS6detail15normal_iteratorINSA_10device_ptrIsEEEEPS6_SG_NS0_5tupleIJSF_S6_EEENSH_IJSG_SG_EEES6_PlJ7is_evenIsEEEE10hipError_tPvRmT3_T4_T5_T6_T7_T9_mT8_P12ihipStream_tbDpT10_ENKUlT_T0_E_clISt17integral_constantIbLb1EES16_EEDaS11_S12_EUlS11_E_NS1_11comp_targetILNS1_3genE10ELNS1_11target_archE1200ELNS1_3gpuE4ELNS1_3repE0EEENS1_30default_config_static_selectorELNS0_4arch9wavefront6targetE0EEEvT1_
    .private_segment_fixed_size: 0
    .sgpr_count:     0
    .sgpr_spill_count: 0
    .symbol:         _ZN7rocprim17ROCPRIM_400000_NS6detail17trampoline_kernelINS0_14default_configENS1_25partition_config_selectorILNS1_17partition_subalgoE6EsNS0_10empty_typeEbEEZZNS1_14partition_implILS5_6ELb0ES3_mN6thrust23THRUST_200600_302600_NS6detail15normal_iteratorINSA_10device_ptrIsEEEEPS6_SG_NS0_5tupleIJSF_S6_EEENSH_IJSG_SG_EEES6_PlJ7is_evenIsEEEE10hipError_tPvRmT3_T4_T5_T6_T7_T9_mT8_P12ihipStream_tbDpT10_ENKUlT_T0_E_clISt17integral_constantIbLb1EES16_EEDaS11_S12_EUlS11_E_NS1_11comp_targetILNS1_3genE10ELNS1_11target_archE1200ELNS1_3gpuE4ELNS1_3repE0EEENS1_30default_config_static_selectorELNS0_4arch9wavefront6targetE0EEEvT1_.kd
    .uniform_work_group_size: 1
    .uses_dynamic_stack: false
    .vgpr_count:     0
    .vgpr_spill_count: 0
    .wavefront_size: 32
    .workgroup_processor_mode: 1
  - .args:
      - .offset:         0
        .size:           128
        .value_kind:     by_value
    .group_segment_fixed_size: 7696
    .kernarg_segment_align: 8
    .kernarg_segment_size: 128
    .language:       OpenCL C
    .language_version:
      - 2
      - 0
    .max_flat_workgroup_size: 128
    .name:           _ZN7rocprim17ROCPRIM_400000_NS6detail17trampoline_kernelINS0_14default_configENS1_25partition_config_selectorILNS1_17partition_subalgoE6EsNS0_10empty_typeEbEEZZNS1_14partition_implILS5_6ELb0ES3_mN6thrust23THRUST_200600_302600_NS6detail15normal_iteratorINSA_10device_ptrIsEEEEPS6_SG_NS0_5tupleIJSF_S6_EEENSH_IJSG_SG_EEES6_PlJ7is_evenIsEEEE10hipError_tPvRmT3_T4_T5_T6_T7_T9_mT8_P12ihipStream_tbDpT10_ENKUlT_T0_E_clISt17integral_constantIbLb1EES16_EEDaS11_S12_EUlS11_E_NS1_11comp_targetILNS1_3genE9ELNS1_11target_archE1100ELNS1_3gpuE3ELNS1_3repE0EEENS1_30default_config_static_selectorELNS0_4arch9wavefront6targetE0EEEvT1_
    .private_segment_fixed_size: 0
    .sgpr_count:     20
    .sgpr_spill_count: 0
    .symbol:         _ZN7rocprim17ROCPRIM_400000_NS6detail17trampoline_kernelINS0_14default_configENS1_25partition_config_selectorILNS1_17partition_subalgoE6EsNS0_10empty_typeEbEEZZNS1_14partition_implILS5_6ELb0ES3_mN6thrust23THRUST_200600_302600_NS6detail15normal_iteratorINSA_10device_ptrIsEEEEPS6_SG_NS0_5tupleIJSF_S6_EEENSH_IJSG_SG_EEES6_PlJ7is_evenIsEEEE10hipError_tPvRmT3_T4_T5_T6_T7_T9_mT8_P12ihipStream_tbDpT10_ENKUlT_T0_E_clISt17integral_constantIbLb1EES16_EEDaS11_S12_EUlS11_E_NS1_11comp_targetILNS1_3genE9ELNS1_11target_archE1100ELNS1_3gpuE3ELNS1_3repE0EEENS1_30default_config_static_selectorELNS0_4arch9wavefront6targetE0EEEvT1_.kd
    .uniform_work_group_size: 1
    .uses_dynamic_stack: false
    .vgpr_count:     134
    .vgpr_spill_count: 0
    .wavefront_size: 32
    .workgroup_processor_mode: 1
  - .args:
      - .offset:         0
        .size:           128
        .value_kind:     by_value
    .group_segment_fixed_size: 0
    .kernarg_segment_align: 8
    .kernarg_segment_size: 128
    .language:       OpenCL C
    .language_version:
      - 2
      - 0
    .max_flat_workgroup_size: 256
    .name:           _ZN7rocprim17ROCPRIM_400000_NS6detail17trampoline_kernelINS0_14default_configENS1_25partition_config_selectorILNS1_17partition_subalgoE6EsNS0_10empty_typeEbEEZZNS1_14partition_implILS5_6ELb0ES3_mN6thrust23THRUST_200600_302600_NS6detail15normal_iteratorINSA_10device_ptrIsEEEEPS6_SG_NS0_5tupleIJSF_S6_EEENSH_IJSG_SG_EEES6_PlJ7is_evenIsEEEE10hipError_tPvRmT3_T4_T5_T6_T7_T9_mT8_P12ihipStream_tbDpT10_ENKUlT_T0_E_clISt17integral_constantIbLb1EES16_EEDaS11_S12_EUlS11_E_NS1_11comp_targetILNS1_3genE8ELNS1_11target_archE1030ELNS1_3gpuE2ELNS1_3repE0EEENS1_30default_config_static_selectorELNS0_4arch9wavefront6targetE0EEEvT1_
    .private_segment_fixed_size: 0
    .sgpr_count:     0
    .sgpr_spill_count: 0
    .symbol:         _ZN7rocprim17ROCPRIM_400000_NS6detail17trampoline_kernelINS0_14default_configENS1_25partition_config_selectorILNS1_17partition_subalgoE6EsNS0_10empty_typeEbEEZZNS1_14partition_implILS5_6ELb0ES3_mN6thrust23THRUST_200600_302600_NS6detail15normal_iteratorINSA_10device_ptrIsEEEEPS6_SG_NS0_5tupleIJSF_S6_EEENSH_IJSG_SG_EEES6_PlJ7is_evenIsEEEE10hipError_tPvRmT3_T4_T5_T6_T7_T9_mT8_P12ihipStream_tbDpT10_ENKUlT_T0_E_clISt17integral_constantIbLb1EES16_EEDaS11_S12_EUlS11_E_NS1_11comp_targetILNS1_3genE8ELNS1_11target_archE1030ELNS1_3gpuE2ELNS1_3repE0EEENS1_30default_config_static_selectorELNS0_4arch9wavefront6targetE0EEEvT1_.kd
    .uniform_work_group_size: 1
    .uses_dynamic_stack: false
    .vgpr_count:     0
    .vgpr_spill_count: 0
    .wavefront_size: 32
    .workgroup_processor_mode: 1
  - .args:
      - .offset:         0
        .size:           112
        .value_kind:     by_value
    .group_segment_fixed_size: 0
    .kernarg_segment_align: 8
    .kernarg_segment_size: 112
    .language:       OpenCL C
    .language_version:
      - 2
      - 0
    .max_flat_workgroup_size: 256
    .name:           _ZN7rocprim17ROCPRIM_400000_NS6detail17trampoline_kernelINS0_14default_configENS1_25partition_config_selectorILNS1_17partition_subalgoE6EsNS0_10empty_typeEbEEZZNS1_14partition_implILS5_6ELb0ES3_mN6thrust23THRUST_200600_302600_NS6detail15normal_iteratorINSA_10device_ptrIsEEEEPS6_SG_NS0_5tupleIJSF_S6_EEENSH_IJSG_SG_EEES6_PlJ7is_evenIsEEEE10hipError_tPvRmT3_T4_T5_T6_T7_T9_mT8_P12ihipStream_tbDpT10_ENKUlT_T0_E_clISt17integral_constantIbLb1EES15_IbLb0EEEEDaS11_S12_EUlS11_E_NS1_11comp_targetILNS1_3genE0ELNS1_11target_archE4294967295ELNS1_3gpuE0ELNS1_3repE0EEENS1_30default_config_static_selectorELNS0_4arch9wavefront6targetE0EEEvT1_
    .private_segment_fixed_size: 0
    .sgpr_count:     0
    .sgpr_spill_count: 0
    .symbol:         _ZN7rocprim17ROCPRIM_400000_NS6detail17trampoline_kernelINS0_14default_configENS1_25partition_config_selectorILNS1_17partition_subalgoE6EsNS0_10empty_typeEbEEZZNS1_14partition_implILS5_6ELb0ES3_mN6thrust23THRUST_200600_302600_NS6detail15normal_iteratorINSA_10device_ptrIsEEEEPS6_SG_NS0_5tupleIJSF_S6_EEENSH_IJSG_SG_EEES6_PlJ7is_evenIsEEEE10hipError_tPvRmT3_T4_T5_T6_T7_T9_mT8_P12ihipStream_tbDpT10_ENKUlT_T0_E_clISt17integral_constantIbLb1EES15_IbLb0EEEEDaS11_S12_EUlS11_E_NS1_11comp_targetILNS1_3genE0ELNS1_11target_archE4294967295ELNS1_3gpuE0ELNS1_3repE0EEENS1_30default_config_static_selectorELNS0_4arch9wavefront6targetE0EEEvT1_.kd
    .uniform_work_group_size: 1
    .uses_dynamic_stack: false
    .vgpr_count:     0
    .vgpr_spill_count: 0
    .wavefront_size: 32
    .workgroup_processor_mode: 1
  - .args:
      - .offset:         0
        .size:           112
        .value_kind:     by_value
    .group_segment_fixed_size: 0
    .kernarg_segment_align: 8
    .kernarg_segment_size: 112
    .language:       OpenCL C
    .language_version:
      - 2
      - 0
    .max_flat_workgroup_size: 512
    .name:           _ZN7rocprim17ROCPRIM_400000_NS6detail17trampoline_kernelINS0_14default_configENS1_25partition_config_selectorILNS1_17partition_subalgoE6EsNS0_10empty_typeEbEEZZNS1_14partition_implILS5_6ELb0ES3_mN6thrust23THRUST_200600_302600_NS6detail15normal_iteratorINSA_10device_ptrIsEEEEPS6_SG_NS0_5tupleIJSF_S6_EEENSH_IJSG_SG_EEES6_PlJ7is_evenIsEEEE10hipError_tPvRmT3_T4_T5_T6_T7_T9_mT8_P12ihipStream_tbDpT10_ENKUlT_T0_E_clISt17integral_constantIbLb1EES15_IbLb0EEEEDaS11_S12_EUlS11_E_NS1_11comp_targetILNS1_3genE5ELNS1_11target_archE942ELNS1_3gpuE9ELNS1_3repE0EEENS1_30default_config_static_selectorELNS0_4arch9wavefront6targetE0EEEvT1_
    .private_segment_fixed_size: 0
    .sgpr_count:     0
    .sgpr_spill_count: 0
    .symbol:         _ZN7rocprim17ROCPRIM_400000_NS6detail17trampoline_kernelINS0_14default_configENS1_25partition_config_selectorILNS1_17partition_subalgoE6EsNS0_10empty_typeEbEEZZNS1_14partition_implILS5_6ELb0ES3_mN6thrust23THRUST_200600_302600_NS6detail15normal_iteratorINSA_10device_ptrIsEEEEPS6_SG_NS0_5tupleIJSF_S6_EEENSH_IJSG_SG_EEES6_PlJ7is_evenIsEEEE10hipError_tPvRmT3_T4_T5_T6_T7_T9_mT8_P12ihipStream_tbDpT10_ENKUlT_T0_E_clISt17integral_constantIbLb1EES15_IbLb0EEEEDaS11_S12_EUlS11_E_NS1_11comp_targetILNS1_3genE5ELNS1_11target_archE942ELNS1_3gpuE9ELNS1_3repE0EEENS1_30default_config_static_selectorELNS0_4arch9wavefront6targetE0EEEvT1_.kd
    .uniform_work_group_size: 1
    .uses_dynamic_stack: false
    .vgpr_count:     0
    .vgpr_spill_count: 0
    .wavefront_size: 32
    .workgroup_processor_mode: 1
  - .args:
      - .offset:         0
        .size:           112
        .value_kind:     by_value
    .group_segment_fixed_size: 0
    .kernarg_segment_align: 8
    .kernarg_segment_size: 112
    .language:       OpenCL C
    .language_version:
      - 2
      - 0
    .max_flat_workgroup_size: 256
    .name:           _ZN7rocprim17ROCPRIM_400000_NS6detail17trampoline_kernelINS0_14default_configENS1_25partition_config_selectorILNS1_17partition_subalgoE6EsNS0_10empty_typeEbEEZZNS1_14partition_implILS5_6ELb0ES3_mN6thrust23THRUST_200600_302600_NS6detail15normal_iteratorINSA_10device_ptrIsEEEEPS6_SG_NS0_5tupleIJSF_S6_EEENSH_IJSG_SG_EEES6_PlJ7is_evenIsEEEE10hipError_tPvRmT3_T4_T5_T6_T7_T9_mT8_P12ihipStream_tbDpT10_ENKUlT_T0_E_clISt17integral_constantIbLb1EES15_IbLb0EEEEDaS11_S12_EUlS11_E_NS1_11comp_targetILNS1_3genE4ELNS1_11target_archE910ELNS1_3gpuE8ELNS1_3repE0EEENS1_30default_config_static_selectorELNS0_4arch9wavefront6targetE0EEEvT1_
    .private_segment_fixed_size: 0
    .sgpr_count:     0
    .sgpr_spill_count: 0
    .symbol:         _ZN7rocprim17ROCPRIM_400000_NS6detail17trampoline_kernelINS0_14default_configENS1_25partition_config_selectorILNS1_17partition_subalgoE6EsNS0_10empty_typeEbEEZZNS1_14partition_implILS5_6ELb0ES3_mN6thrust23THRUST_200600_302600_NS6detail15normal_iteratorINSA_10device_ptrIsEEEEPS6_SG_NS0_5tupleIJSF_S6_EEENSH_IJSG_SG_EEES6_PlJ7is_evenIsEEEE10hipError_tPvRmT3_T4_T5_T6_T7_T9_mT8_P12ihipStream_tbDpT10_ENKUlT_T0_E_clISt17integral_constantIbLb1EES15_IbLb0EEEEDaS11_S12_EUlS11_E_NS1_11comp_targetILNS1_3genE4ELNS1_11target_archE910ELNS1_3gpuE8ELNS1_3repE0EEENS1_30default_config_static_selectorELNS0_4arch9wavefront6targetE0EEEvT1_.kd
    .uniform_work_group_size: 1
    .uses_dynamic_stack: false
    .vgpr_count:     0
    .vgpr_spill_count: 0
    .wavefront_size: 32
    .workgroup_processor_mode: 1
  - .args:
      - .offset:         0
        .size:           112
        .value_kind:     by_value
    .group_segment_fixed_size: 0
    .kernarg_segment_align: 8
    .kernarg_segment_size: 112
    .language:       OpenCL C
    .language_version:
      - 2
      - 0
    .max_flat_workgroup_size: 256
    .name:           _ZN7rocprim17ROCPRIM_400000_NS6detail17trampoline_kernelINS0_14default_configENS1_25partition_config_selectorILNS1_17partition_subalgoE6EsNS0_10empty_typeEbEEZZNS1_14partition_implILS5_6ELb0ES3_mN6thrust23THRUST_200600_302600_NS6detail15normal_iteratorINSA_10device_ptrIsEEEEPS6_SG_NS0_5tupleIJSF_S6_EEENSH_IJSG_SG_EEES6_PlJ7is_evenIsEEEE10hipError_tPvRmT3_T4_T5_T6_T7_T9_mT8_P12ihipStream_tbDpT10_ENKUlT_T0_E_clISt17integral_constantIbLb1EES15_IbLb0EEEEDaS11_S12_EUlS11_E_NS1_11comp_targetILNS1_3genE3ELNS1_11target_archE908ELNS1_3gpuE7ELNS1_3repE0EEENS1_30default_config_static_selectorELNS0_4arch9wavefront6targetE0EEEvT1_
    .private_segment_fixed_size: 0
    .sgpr_count:     0
    .sgpr_spill_count: 0
    .symbol:         _ZN7rocprim17ROCPRIM_400000_NS6detail17trampoline_kernelINS0_14default_configENS1_25partition_config_selectorILNS1_17partition_subalgoE6EsNS0_10empty_typeEbEEZZNS1_14partition_implILS5_6ELb0ES3_mN6thrust23THRUST_200600_302600_NS6detail15normal_iteratorINSA_10device_ptrIsEEEEPS6_SG_NS0_5tupleIJSF_S6_EEENSH_IJSG_SG_EEES6_PlJ7is_evenIsEEEE10hipError_tPvRmT3_T4_T5_T6_T7_T9_mT8_P12ihipStream_tbDpT10_ENKUlT_T0_E_clISt17integral_constantIbLb1EES15_IbLb0EEEEDaS11_S12_EUlS11_E_NS1_11comp_targetILNS1_3genE3ELNS1_11target_archE908ELNS1_3gpuE7ELNS1_3repE0EEENS1_30default_config_static_selectorELNS0_4arch9wavefront6targetE0EEEvT1_.kd
    .uniform_work_group_size: 1
    .uses_dynamic_stack: false
    .vgpr_count:     0
    .vgpr_spill_count: 0
    .wavefront_size: 32
    .workgroup_processor_mode: 1
  - .args:
      - .offset:         0
        .size:           112
        .value_kind:     by_value
    .group_segment_fixed_size: 0
    .kernarg_segment_align: 8
    .kernarg_segment_size: 112
    .language:       OpenCL C
    .language_version:
      - 2
      - 0
    .max_flat_workgroup_size: 256
    .name:           _ZN7rocprim17ROCPRIM_400000_NS6detail17trampoline_kernelINS0_14default_configENS1_25partition_config_selectorILNS1_17partition_subalgoE6EsNS0_10empty_typeEbEEZZNS1_14partition_implILS5_6ELb0ES3_mN6thrust23THRUST_200600_302600_NS6detail15normal_iteratorINSA_10device_ptrIsEEEEPS6_SG_NS0_5tupleIJSF_S6_EEENSH_IJSG_SG_EEES6_PlJ7is_evenIsEEEE10hipError_tPvRmT3_T4_T5_T6_T7_T9_mT8_P12ihipStream_tbDpT10_ENKUlT_T0_E_clISt17integral_constantIbLb1EES15_IbLb0EEEEDaS11_S12_EUlS11_E_NS1_11comp_targetILNS1_3genE2ELNS1_11target_archE906ELNS1_3gpuE6ELNS1_3repE0EEENS1_30default_config_static_selectorELNS0_4arch9wavefront6targetE0EEEvT1_
    .private_segment_fixed_size: 0
    .sgpr_count:     0
    .sgpr_spill_count: 0
    .symbol:         _ZN7rocprim17ROCPRIM_400000_NS6detail17trampoline_kernelINS0_14default_configENS1_25partition_config_selectorILNS1_17partition_subalgoE6EsNS0_10empty_typeEbEEZZNS1_14partition_implILS5_6ELb0ES3_mN6thrust23THRUST_200600_302600_NS6detail15normal_iteratorINSA_10device_ptrIsEEEEPS6_SG_NS0_5tupleIJSF_S6_EEENSH_IJSG_SG_EEES6_PlJ7is_evenIsEEEE10hipError_tPvRmT3_T4_T5_T6_T7_T9_mT8_P12ihipStream_tbDpT10_ENKUlT_T0_E_clISt17integral_constantIbLb1EES15_IbLb0EEEEDaS11_S12_EUlS11_E_NS1_11comp_targetILNS1_3genE2ELNS1_11target_archE906ELNS1_3gpuE6ELNS1_3repE0EEENS1_30default_config_static_selectorELNS0_4arch9wavefront6targetE0EEEvT1_.kd
    .uniform_work_group_size: 1
    .uses_dynamic_stack: false
    .vgpr_count:     0
    .vgpr_spill_count: 0
    .wavefront_size: 32
    .workgroup_processor_mode: 1
  - .args:
      - .offset:         0
        .size:           112
        .value_kind:     by_value
    .group_segment_fixed_size: 0
    .kernarg_segment_align: 8
    .kernarg_segment_size: 112
    .language:       OpenCL C
    .language_version:
      - 2
      - 0
    .max_flat_workgroup_size: 384
    .name:           _ZN7rocprim17ROCPRIM_400000_NS6detail17trampoline_kernelINS0_14default_configENS1_25partition_config_selectorILNS1_17partition_subalgoE6EsNS0_10empty_typeEbEEZZNS1_14partition_implILS5_6ELb0ES3_mN6thrust23THRUST_200600_302600_NS6detail15normal_iteratorINSA_10device_ptrIsEEEEPS6_SG_NS0_5tupleIJSF_S6_EEENSH_IJSG_SG_EEES6_PlJ7is_evenIsEEEE10hipError_tPvRmT3_T4_T5_T6_T7_T9_mT8_P12ihipStream_tbDpT10_ENKUlT_T0_E_clISt17integral_constantIbLb1EES15_IbLb0EEEEDaS11_S12_EUlS11_E_NS1_11comp_targetILNS1_3genE10ELNS1_11target_archE1200ELNS1_3gpuE4ELNS1_3repE0EEENS1_30default_config_static_selectorELNS0_4arch9wavefront6targetE0EEEvT1_
    .private_segment_fixed_size: 0
    .sgpr_count:     0
    .sgpr_spill_count: 0
    .symbol:         _ZN7rocprim17ROCPRIM_400000_NS6detail17trampoline_kernelINS0_14default_configENS1_25partition_config_selectorILNS1_17partition_subalgoE6EsNS0_10empty_typeEbEEZZNS1_14partition_implILS5_6ELb0ES3_mN6thrust23THRUST_200600_302600_NS6detail15normal_iteratorINSA_10device_ptrIsEEEEPS6_SG_NS0_5tupleIJSF_S6_EEENSH_IJSG_SG_EEES6_PlJ7is_evenIsEEEE10hipError_tPvRmT3_T4_T5_T6_T7_T9_mT8_P12ihipStream_tbDpT10_ENKUlT_T0_E_clISt17integral_constantIbLb1EES15_IbLb0EEEEDaS11_S12_EUlS11_E_NS1_11comp_targetILNS1_3genE10ELNS1_11target_archE1200ELNS1_3gpuE4ELNS1_3repE0EEENS1_30default_config_static_selectorELNS0_4arch9wavefront6targetE0EEEvT1_.kd
    .uniform_work_group_size: 1
    .uses_dynamic_stack: false
    .vgpr_count:     0
    .vgpr_spill_count: 0
    .wavefront_size: 32
    .workgroup_processor_mode: 1
  - .args:
      - .offset:         0
        .size:           112
        .value_kind:     by_value
    .group_segment_fixed_size: 7696
    .kernarg_segment_align: 8
    .kernarg_segment_size: 112
    .language:       OpenCL C
    .language_version:
      - 2
      - 0
    .max_flat_workgroup_size: 128
    .name:           _ZN7rocprim17ROCPRIM_400000_NS6detail17trampoline_kernelINS0_14default_configENS1_25partition_config_selectorILNS1_17partition_subalgoE6EsNS0_10empty_typeEbEEZZNS1_14partition_implILS5_6ELb0ES3_mN6thrust23THRUST_200600_302600_NS6detail15normal_iteratorINSA_10device_ptrIsEEEEPS6_SG_NS0_5tupleIJSF_S6_EEENSH_IJSG_SG_EEES6_PlJ7is_evenIsEEEE10hipError_tPvRmT3_T4_T5_T6_T7_T9_mT8_P12ihipStream_tbDpT10_ENKUlT_T0_E_clISt17integral_constantIbLb1EES15_IbLb0EEEEDaS11_S12_EUlS11_E_NS1_11comp_targetILNS1_3genE9ELNS1_11target_archE1100ELNS1_3gpuE3ELNS1_3repE0EEENS1_30default_config_static_selectorELNS0_4arch9wavefront6targetE0EEEvT1_
    .private_segment_fixed_size: 0
    .sgpr_count:     21
    .sgpr_spill_count: 0
    .symbol:         _ZN7rocprim17ROCPRIM_400000_NS6detail17trampoline_kernelINS0_14default_configENS1_25partition_config_selectorILNS1_17partition_subalgoE6EsNS0_10empty_typeEbEEZZNS1_14partition_implILS5_6ELb0ES3_mN6thrust23THRUST_200600_302600_NS6detail15normal_iteratorINSA_10device_ptrIsEEEEPS6_SG_NS0_5tupleIJSF_S6_EEENSH_IJSG_SG_EEES6_PlJ7is_evenIsEEEE10hipError_tPvRmT3_T4_T5_T6_T7_T9_mT8_P12ihipStream_tbDpT10_ENKUlT_T0_E_clISt17integral_constantIbLb1EES15_IbLb0EEEEDaS11_S12_EUlS11_E_NS1_11comp_targetILNS1_3genE9ELNS1_11target_archE1100ELNS1_3gpuE3ELNS1_3repE0EEENS1_30default_config_static_selectorELNS0_4arch9wavefront6targetE0EEEvT1_.kd
    .uniform_work_group_size: 1
    .uses_dynamic_stack: false
    .vgpr_count:     131
    .vgpr_spill_count: 0
    .wavefront_size: 32
    .workgroup_processor_mode: 1
  - .args:
      - .offset:         0
        .size:           112
        .value_kind:     by_value
    .group_segment_fixed_size: 0
    .kernarg_segment_align: 8
    .kernarg_segment_size: 112
    .language:       OpenCL C
    .language_version:
      - 2
      - 0
    .max_flat_workgroup_size: 256
    .name:           _ZN7rocprim17ROCPRIM_400000_NS6detail17trampoline_kernelINS0_14default_configENS1_25partition_config_selectorILNS1_17partition_subalgoE6EsNS0_10empty_typeEbEEZZNS1_14partition_implILS5_6ELb0ES3_mN6thrust23THRUST_200600_302600_NS6detail15normal_iteratorINSA_10device_ptrIsEEEEPS6_SG_NS0_5tupleIJSF_S6_EEENSH_IJSG_SG_EEES6_PlJ7is_evenIsEEEE10hipError_tPvRmT3_T4_T5_T6_T7_T9_mT8_P12ihipStream_tbDpT10_ENKUlT_T0_E_clISt17integral_constantIbLb1EES15_IbLb0EEEEDaS11_S12_EUlS11_E_NS1_11comp_targetILNS1_3genE8ELNS1_11target_archE1030ELNS1_3gpuE2ELNS1_3repE0EEENS1_30default_config_static_selectorELNS0_4arch9wavefront6targetE0EEEvT1_
    .private_segment_fixed_size: 0
    .sgpr_count:     0
    .sgpr_spill_count: 0
    .symbol:         _ZN7rocprim17ROCPRIM_400000_NS6detail17trampoline_kernelINS0_14default_configENS1_25partition_config_selectorILNS1_17partition_subalgoE6EsNS0_10empty_typeEbEEZZNS1_14partition_implILS5_6ELb0ES3_mN6thrust23THRUST_200600_302600_NS6detail15normal_iteratorINSA_10device_ptrIsEEEEPS6_SG_NS0_5tupleIJSF_S6_EEENSH_IJSG_SG_EEES6_PlJ7is_evenIsEEEE10hipError_tPvRmT3_T4_T5_T6_T7_T9_mT8_P12ihipStream_tbDpT10_ENKUlT_T0_E_clISt17integral_constantIbLb1EES15_IbLb0EEEEDaS11_S12_EUlS11_E_NS1_11comp_targetILNS1_3genE8ELNS1_11target_archE1030ELNS1_3gpuE2ELNS1_3repE0EEENS1_30default_config_static_selectorELNS0_4arch9wavefront6targetE0EEEvT1_.kd
    .uniform_work_group_size: 1
    .uses_dynamic_stack: false
    .vgpr_count:     0
    .vgpr_spill_count: 0
    .wavefront_size: 32
    .workgroup_processor_mode: 1
  - .args:
      - .offset:         0
        .size:           128
        .value_kind:     by_value
    .group_segment_fixed_size: 0
    .kernarg_segment_align: 8
    .kernarg_segment_size: 128
    .language:       OpenCL C
    .language_version:
      - 2
      - 0
    .max_flat_workgroup_size: 256
    .name:           _ZN7rocprim17ROCPRIM_400000_NS6detail17trampoline_kernelINS0_14default_configENS1_25partition_config_selectorILNS1_17partition_subalgoE6EsNS0_10empty_typeEbEEZZNS1_14partition_implILS5_6ELb0ES3_mN6thrust23THRUST_200600_302600_NS6detail15normal_iteratorINSA_10device_ptrIsEEEEPS6_SG_NS0_5tupleIJSF_S6_EEENSH_IJSG_SG_EEES6_PlJ7is_evenIsEEEE10hipError_tPvRmT3_T4_T5_T6_T7_T9_mT8_P12ihipStream_tbDpT10_ENKUlT_T0_E_clISt17integral_constantIbLb0EES15_IbLb1EEEEDaS11_S12_EUlS11_E_NS1_11comp_targetILNS1_3genE0ELNS1_11target_archE4294967295ELNS1_3gpuE0ELNS1_3repE0EEENS1_30default_config_static_selectorELNS0_4arch9wavefront6targetE0EEEvT1_
    .private_segment_fixed_size: 0
    .sgpr_count:     0
    .sgpr_spill_count: 0
    .symbol:         _ZN7rocprim17ROCPRIM_400000_NS6detail17trampoline_kernelINS0_14default_configENS1_25partition_config_selectorILNS1_17partition_subalgoE6EsNS0_10empty_typeEbEEZZNS1_14partition_implILS5_6ELb0ES3_mN6thrust23THRUST_200600_302600_NS6detail15normal_iteratorINSA_10device_ptrIsEEEEPS6_SG_NS0_5tupleIJSF_S6_EEENSH_IJSG_SG_EEES6_PlJ7is_evenIsEEEE10hipError_tPvRmT3_T4_T5_T6_T7_T9_mT8_P12ihipStream_tbDpT10_ENKUlT_T0_E_clISt17integral_constantIbLb0EES15_IbLb1EEEEDaS11_S12_EUlS11_E_NS1_11comp_targetILNS1_3genE0ELNS1_11target_archE4294967295ELNS1_3gpuE0ELNS1_3repE0EEENS1_30default_config_static_selectorELNS0_4arch9wavefront6targetE0EEEvT1_.kd
    .uniform_work_group_size: 1
    .uses_dynamic_stack: false
    .vgpr_count:     0
    .vgpr_spill_count: 0
    .wavefront_size: 32
    .workgroup_processor_mode: 1
  - .args:
      - .offset:         0
        .size:           128
        .value_kind:     by_value
    .group_segment_fixed_size: 0
    .kernarg_segment_align: 8
    .kernarg_segment_size: 128
    .language:       OpenCL C
    .language_version:
      - 2
      - 0
    .max_flat_workgroup_size: 512
    .name:           _ZN7rocprim17ROCPRIM_400000_NS6detail17trampoline_kernelINS0_14default_configENS1_25partition_config_selectorILNS1_17partition_subalgoE6EsNS0_10empty_typeEbEEZZNS1_14partition_implILS5_6ELb0ES3_mN6thrust23THRUST_200600_302600_NS6detail15normal_iteratorINSA_10device_ptrIsEEEEPS6_SG_NS0_5tupleIJSF_S6_EEENSH_IJSG_SG_EEES6_PlJ7is_evenIsEEEE10hipError_tPvRmT3_T4_T5_T6_T7_T9_mT8_P12ihipStream_tbDpT10_ENKUlT_T0_E_clISt17integral_constantIbLb0EES15_IbLb1EEEEDaS11_S12_EUlS11_E_NS1_11comp_targetILNS1_3genE5ELNS1_11target_archE942ELNS1_3gpuE9ELNS1_3repE0EEENS1_30default_config_static_selectorELNS0_4arch9wavefront6targetE0EEEvT1_
    .private_segment_fixed_size: 0
    .sgpr_count:     0
    .sgpr_spill_count: 0
    .symbol:         _ZN7rocprim17ROCPRIM_400000_NS6detail17trampoline_kernelINS0_14default_configENS1_25partition_config_selectorILNS1_17partition_subalgoE6EsNS0_10empty_typeEbEEZZNS1_14partition_implILS5_6ELb0ES3_mN6thrust23THRUST_200600_302600_NS6detail15normal_iteratorINSA_10device_ptrIsEEEEPS6_SG_NS0_5tupleIJSF_S6_EEENSH_IJSG_SG_EEES6_PlJ7is_evenIsEEEE10hipError_tPvRmT3_T4_T5_T6_T7_T9_mT8_P12ihipStream_tbDpT10_ENKUlT_T0_E_clISt17integral_constantIbLb0EES15_IbLb1EEEEDaS11_S12_EUlS11_E_NS1_11comp_targetILNS1_3genE5ELNS1_11target_archE942ELNS1_3gpuE9ELNS1_3repE0EEENS1_30default_config_static_selectorELNS0_4arch9wavefront6targetE0EEEvT1_.kd
    .uniform_work_group_size: 1
    .uses_dynamic_stack: false
    .vgpr_count:     0
    .vgpr_spill_count: 0
    .wavefront_size: 32
    .workgroup_processor_mode: 1
  - .args:
      - .offset:         0
        .size:           128
        .value_kind:     by_value
    .group_segment_fixed_size: 0
    .kernarg_segment_align: 8
    .kernarg_segment_size: 128
    .language:       OpenCL C
    .language_version:
      - 2
      - 0
    .max_flat_workgroup_size: 256
    .name:           _ZN7rocprim17ROCPRIM_400000_NS6detail17trampoline_kernelINS0_14default_configENS1_25partition_config_selectorILNS1_17partition_subalgoE6EsNS0_10empty_typeEbEEZZNS1_14partition_implILS5_6ELb0ES3_mN6thrust23THRUST_200600_302600_NS6detail15normal_iteratorINSA_10device_ptrIsEEEEPS6_SG_NS0_5tupleIJSF_S6_EEENSH_IJSG_SG_EEES6_PlJ7is_evenIsEEEE10hipError_tPvRmT3_T4_T5_T6_T7_T9_mT8_P12ihipStream_tbDpT10_ENKUlT_T0_E_clISt17integral_constantIbLb0EES15_IbLb1EEEEDaS11_S12_EUlS11_E_NS1_11comp_targetILNS1_3genE4ELNS1_11target_archE910ELNS1_3gpuE8ELNS1_3repE0EEENS1_30default_config_static_selectorELNS0_4arch9wavefront6targetE0EEEvT1_
    .private_segment_fixed_size: 0
    .sgpr_count:     0
    .sgpr_spill_count: 0
    .symbol:         _ZN7rocprim17ROCPRIM_400000_NS6detail17trampoline_kernelINS0_14default_configENS1_25partition_config_selectorILNS1_17partition_subalgoE6EsNS0_10empty_typeEbEEZZNS1_14partition_implILS5_6ELb0ES3_mN6thrust23THRUST_200600_302600_NS6detail15normal_iteratorINSA_10device_ptrIsEEEEPS6_SG_NS0_5tupleIJSF_S6_EEENSH_IJSG_SG_EEES6_PlJ7is_evenIsEEEE10hipError_tPvRmT3_T4_T5_T6_T7_T9_mT8_P12ihipStream_tbDpT10_ENKUlT_T0_E_clISt17integral_constantIbLb0EES15_IbLb1EEEEDaS11_S12_EUlS11_E_NS1_11comp_targetILNS1_3genE4ELNS1_11target_archE910ELNS1_3gpuE8ELNS1_3repE0EEENS1_30default_config_static_selectorELNS0_4arch9wavefront6targetE0EEEvT1_.kd
    .uniform_work_group_size: 1
    .uses_dynamic_stack: false
    .vgpr_count:     0
    .vgpr_spill_count: 0
    .wavefront_size: 32
    .workgroup_processor_mode: 1
  - .args:
      - .offset:         0
        .size:           128
        .value_kind:     by_value
    .group_segment_fixed_size: 0
    .kernarg_segment_align: 8
    .kernarg_segment_size: 128
    .language:       OpenCL C
    .language_version:
      - 2
      - 0
    .max_flat_workgroup_size: 256
    .name:           _ZN7rocprim17ROCPRIM_400000_NS6detail17trampoline_kernelINS0_14default_configENS1_25partition_config_selectorILNS1_17partition_subalgoE6EsNS0_10empty_typeEbEEZZNS1_14partition_implILS5_6ELb0ES3_mN6thrust23THRUST_200600_302600_NS6detail15normal_iteratorINSA_10device_ptrIsEEEEPS6_SG_NS0_5tupleIJSF_S6_EEENSH_IJSG_SG_EEES6_PlJ7is_evenIsEEEE10hipError_tPvRmT3_T4_T5_T6_T7_T9_mT8_P12ihipStream_tbDpT10_ENKUlT_T0_E_clISt17integral_constantIbLb0EES15_IbLb1EEEEDaS11_S12_EUlS11_E_NS1_11comp_targetILNS1_3genE3ELNS1_11target_archE908ELNS1_3gpuE7ELNS1_3repE0EEENS1_30default_config_static_selectorELNS0_4arch9wavefront6targetE0EEEvT1_
    .private_segment_fixed_size: 0
    .sgpr_count:     0
    .sgpr_spill_count: 0
    .symbol:         _ZN7rocprim17ROCPRIM_400000_NS6detail17trampoline_kernelINS0_14default_configENS1_25partition_config_selectorILNS1_17partition_subalgoE6EsNS0_10empty_typeEbEEZZNS1_14partition_implILS5_6ELb0ES3_mN6thrust23THRUST_200600_302600_NS6detail15normal_iteratorINSA_10device_ptrIsEEEEPS6_SG_NS0_5tupleIJSF_S6_EEENSH_IJSG_SG_EEES6_PlJ7is_evenIsEEEE10hipError_tPvRmT3_T4_T5_T6_T7_T9_mT8_P12ihipStream_tbDpT10_ENKUlT_T0_E_clISt17integral_constantIbLb0EES15_IbLb1EEEEDaS11_S12_EUlS11_E_NS1_11comp_targetILNS1_3genE3ELNS1_11target_archE908ELNS1_3gpuE7ELNS1_3repE0EEENS1_30default_config_static_selectorELNS0_4arch9wavefront6targetE0EEEvT1_.kd
    .uniform_work_group_size: 1
    .uses_dynamic_stack: false
    .vgpr_count:     0
    .vgpr_spill_count: 0
    .wavefront_size: 32
    .workgroup_processor_mode: 1
  - .args:
      - .offset:         0
        .size:           128
        .value_kind:     by_value
    .group_segment_fixed_size: 0
    .kernarg_segment_align: 8
    .kernarg_segment_size: 128
    .language:       OpenCL C
    .language_version:
      - 2
      - 0
    .max_flat_workgroup_size: 256
    .name:           _ZN7rocprim17ROCPRIM_400000_NS6detail17trampoline_kernelINS0_14default_configENS1_25partition_config_selectorILNS1_17partition_subalgoE6EsNS0_10empty_typeEbEEZZNS1_14partition_implILS5_6ELb0ES3_mN6thrust23THRUST_200600_302600_NS6detail15normal_iteratorINSA_10device_ptrIsEEEEPS6_SG_NS0_5tupleIJSF_S6_EEENSH_IJSG_SG_EEES6_PlJ7is_evenIsEEEE10hipError_tPvRmT3_T4_T5_T6_T7_T9_mT8_P12ihipStream_tbDpT10_ENKUlT_T0_E_clISt17integral_constantIbLb0EES15_IbLb1EEEEDaS11_S12_EUlS11_E_NS1_11comp_targetILNS1_3genE2ELNS1_11target_archE906ELNS1_3gpuE6ELNS1_3repE0EEENS1_30default_config_static_selectorELNS0_4arch9wavefront6targetE0EEEvT1_
    .private_segment_fixed_size: 0
    .sgpr_count:     0
    .sgpr_spill_count: 0
    .symbol:         _ZN7rocprim17ROCPRIM_400000_NS6detail17trampoline_kernelINS0_14default_configENS1_25partition_config_selectorILNS1_17partition_subalgoE6EsNS0_10empty_typeEbEEZZNS1_14partition_implILS5_6ELb0ES3_mN6thrust23THRUST_200600_302600_NS6detail15normal_iteratorINSA_10device_ptrIsEEEEPS6_SG_NS0_5tupleIJSF_S6_EEENSH_IJSG_SG_EEES6_PlJ7is_evenIsEEEE10hipError_tPvRmT3_T4_T5_T6_T7_T9_mT8_P12ihipStream_tbDpT10_ENKUlT_T0_E_clISt17integral_constantIbLb0EES15_IbLb1EEEEDaS11_S12_EUlS11_E_NS1_11comp_targetILNS1_3genE2ELNS1_11target_archE906ELNS1_3gpuE6ELNS1_3repE0EEENS1_30default_config_static_selectorELNS0_4arch9wavefront6targetE0EEEvT1_.kd
    .uniform_work_group_size: 1
    .uses_dynamic_stack: false
    .vgpr_count:     0
    .vgpr_spill_count: 0
    .wavefront_size: 32
    .workgroup_processor_mode: 1
  - .args:
      - .offset:         0
        .size:           128
        .value_kind:     by_value
    .group_segment_fixed_size: 0
    .kernarg_segment_align: 8
    .kernarg_segment_size: 128
    .language:       OpenCL C
    .language_version:
      - 2
      - 0
    .max_flat_workgroup_size: 384
    .name:           _ZN7rocprim17ROCPRIM_400000_NS6detail17trampoline_kernelINS0_14default_configENS1_25partition_config_selectorILNS1_17partition_subalgoE6EsNS0_10empty_typeEbEEZZNS1_14partition_implILS5_6ELb0ES3_mN6thrust23THRUST_200600_302600_NS6detail15normal_iteratorINSA_10device_ptrIsEEEEPS6_SG_NS0_5tupleIJSF_S6_EEENSH_IJSG_SG_EEES6_PlJ7is_evenIsEEEE10hipError_tPvRmT3_T4_T5_T6_T7_T9_mT8_P12ihipStream_tbDpT10_ENKUlT_T0_E_clISt17integral_constantIbLb0EES15_IbLb1EEEEDaS11_S12_EUlS11_E_NS1_11comp_targetILNS1_3genE10ELNS1_11target_archE1200ELNS1_3gpuE4ELNS1_3repE0EEENS1_30default_config_static_selectorELNS0_4arch9wavefront6targetE0EEEvT1_
    .private_segment_fixed_size: 0
    .sgpr_count:     0
    .sgpr_spill_count: 0
    .symbol:         _ZN7rocprim17ROCPRIM_400000_NS6detail17trampoline_kernelINS0_14default_configENS1_25partition_config_selectorILNS1_17partition_subalgoE6EsNS0_10empty_typeEbEEZZNS1_14partition_implILS5_6ELb0ES3_mN6thrust23THRUST_200600_302600_NS6detail15normal_iteratorINSA_10device_ptrIsEEEEPS6_SG_NS0_5tupleIJSF_S6_EEENSH_IJSG_SG_EEES6_PlJ7is_evenIsEEEE10hipError_tPvRmT3_T4_T5_T6_T7_T9_mT8_P12ihipStream_tbDpT10_ENKUlT_T0_E_clISt17integral_constantIbLb0EES15_IbLb1EEEEDaS11_S12_EUlS11_E_NS1_11comp_targetILNS1_3genE10ELNS1_11target_archE1200ELNS1_3gpuE4ELNS1_3repE0EEENS1_30default_config_static_selectorELNS0_4arch9wavefront6targetE0EEEvT1_.kd
    .uniform_work_group_size: 1
    .uses_dynamic_stack: false
    .vgpr_count:     0
    .vgpr_spill_count: 0
    .wavefront_size: 32
    .workgroup_processor_mode: 1
  - .args:
      - .offset:         0
        .size:           128
        .value_kind:     by_value
    .group_segment_fixed_size: 7696
    .kernarg_segment_align: 8
    .kernarg_segment_size: 128
    .language:       OpenCL C
    .language_version:
      - 2
      - 0
    .max_flat_workgroup_size: 128
    .name:           _ZN7rocprim17ROCPRIM_400000_NS6detail17trampoline_kernelINS0_14default_configENS1_25partition_config_selectorILNS1_17partition_subalgoE6EsNS0_10empty_typeEbEEZZNS1_14partition_implILS5_6ELb0ES3_mN6thrust23THRUST_200600_302600_NS6detail15normal_iteratorINSA_10device_ptrIsEEEEPS6_SG_NS0_5tupleIJSF_S6_EEENSH_IJSG_SG_EEES6_PlJ7is_evenIsEEEE10hipError_tPvRmT3_T4_T5_T6_T7_T9_mT8_P12ihipStream_tbDpT10_ENKUlT_T0_E_clISt17integral_constantIbLb0EES15_IbLb1EEEEDaS11_S12_EUlS11_E_NS1_11comp_targetILNS1_3genE9ELNS1_11target_archE1100ELNS1_3gpuE3ELNS1_3repE0EEENS1_30default_config_static_selectorELNS0_4arch9wavefront6targetE0EEEvT1_
    .private_segment_fixed_size: 0
    .sgpr_count:     20
    .sgpr_spill_count: 0
    .symbol:         _ZN7rocprim17ROCPRIM_400000_NS6detail17trampoline_kernelINS0_14default_configENS1_25partition_config_selectorILNS1_17partition_subalgoE6EsNS0_10empty_typeEbEEZZNS1_14partition_implILS5_6ELb0ES3_mN6thrust23THRUST_200600_302600_NS6detail15normal_iteratorINSA_10device_ptrIsEEEEPS6_SG_NS0_5tupleIJSF_S6_EEENSH_IJSG_SG_EEES6_PlJ7is_evenIsEEEE10hipError_tPvRmT3_T4_T5_T6_T7_T9_mT8_P12ihipStream_tbDpT10_ENKUlT_T0_E_clISt17integral_constantIbLb0EES15_IbLb1EEEEDaS11_S12_EUlS11_E_NS1_11comp_targetILNS1_3genE9ELNS1_11target_archE1100ELNS1_3gpuE3ELNS1_3repE0EEENS1_30default_config_static_selectorELNS0_4arch9wavefront6targetE0EEEvT1_.kd
    .uniform_work_group_size: 1
    .uses_dynamic_stack: false
    .vgpr_count:     134
    .vgpr_spill_count: 0
    .wavefront_size: 32
    .workgroup_processor_mode: 1
  - .args:
      - .offset:         0
        .size:           128
        .value_kind:     by_value
    .group_segment_fixed_size: 0
    .kernarg_segment_align: 8
    .kernarg_segment_size: 128
    .language:       OpenCL C
    .language_version:
      - 2
      - 0
    .max_flat_workgroup_size: 256
    .name:           _ZN7rocprim17ROCPRIM_400000_NS6detail17trampoline_kernelINS0_14default_configENS1_25partition_config_selectorILNS1_17partition_subalgoE6EsNS0_10empty_typeEbEEZZNS1_14partition_implILS5_6ELb0ES3_mN6thrust23THRUST_200600_302600_NS6detail15normal_iteratorINSA_10device_ptrIsEEEEPS6_SG_NS0_5tupleIJSF_S6_EEENSH_IJSG_SG_EEES6_PlJ7is_evenIsEEEE10hipError_tPvRmT3_T4_T5_T6_T7_T9_mT8_P12ihipStream_tbDpT10_ENKUlT_T0_E_clISt17integral_constantIbLb0EES15_IbLb1EEEEDaS11_S12_EUlS11_E_NS1_11comp_targetILNS1_3genE8ELNS1_11target_archE1030ELNS1_3gpuE2ELNS1_3repE0EEENS1_30default_config_static_selectorELNS0_4arch9wavefront6targetE0EEEvT1_
    .private_segment_fixed_size: 0
    .sgpr_count:     0
    .sgpr_spill_count: 0
    .symbol:         _ZN7rocprim17ROCPRIM_400000_NS6detail17trampoline_kernelINS0_14default_configENS1_25partition_config_selectorILNS1_17partition_subalgoE6EsNS0_10empty_typeEbEEZZNS1_14partition_implILS5_6ELb0ES3_mN6thrust23THRUST_200600_302600_NS6detail15normal_iteratorINSA_10device_ptrIsEEEEPS6_SG_NS0_5tupleIJSF_S6_EEENSH_IJSG_SG_EEES6_PlJ7is_evenIsEEEE10hipError_tPvRmT3_T4_T5_T6_T7_T9_mT8_P12ihipStream_tbDpT10_ENKUlT_T0_E_clISt17integral_constantIbLb0EES15_IbLb1EEEEDaS11_S12_EUlS11_E_NS1_11comp_targetILNS1_3genE8ELNS1_11target_archE1030ELNS1_3gpuE2ELNS1_3repE0EEENS1_30default_config_static_selectorELNS0_4arch9wavefront6targetE0EEEvT1_.kd
    .uniform_work_group_size: 1
    .uses_dynamic_stack: false
    .vgpr_count:     0
    .vgpr_spill_count: 0
    .wavefront_size: 32
    .workgroup_processor_mode: 1
  - .args:
      - .offset:         0
        .size:           112
        .value_kind:     by_value
    .group_segment_fixed_size: 0
    .kernarg_segment_align: 8
    .kernarg_segment_size: 112
    .language:       OpenCL C
    .language_version:
      - 2
      - 0
    .max_flat_workgroup_size: 128
    .name:           _ZN7rocprim17ROCPRIM_400000_NS6detail17trampoline_kernelINS0_14default_configENS1_25partition_config_selectorILNS1_17partition_subalgoE6EyNS0_10empty_typeEbEEZZNS1_14partition_implILS5_6ELb0ES3_mN6thrust23THRUST_200600_302600_NS6detail15normal_iteratorINSA_10device_ptrIyEEEEPS6_SG_NS0_5tupleIJSF_S6_EEENSH_IJSG_SG_EEES6_PlJ5mod_3IyEEEE10hipError_tPvRmT3_T4_T5_T6_T7_T9_mT8_P12ihipStream_tbDpT10_ENKUlT_T0_E_clISt17integral_constantIbLb0EES16_EEDaS11_S12_EUlS11_E_NS1_11comp_targetILNS1_3genE0ELNS1_11target_archE4294967295ELNS1_3gpuE0ELNS1_3repE0EEENS1_30default_config_static_selectorELNS0_4arch9wavefront6targetE0EEEvT1_
    .private_segment_fixed_size: 0
    .sgpr_count:     0
    .sgpr_spill_count: 0
    .symbol:         _ZN7rocprim17ROCPRIM_400000_NS6detail17trampoline_kernelINS0_14default_configENS1_25partition_config_selectorILNS1_17partition_subalgoE6EyNS0_10empty_typeEbEEZZNS1_14partition_implILS5_6ELb0ES3_mN6thrust23THRUST_200600_302600_NS6detail15normal_iteratorINSA_10device_ptrIyEEEEPS6_SG_NS0_5tupleIJSF_S6_EEENSH_IJSG_SG_EEES6_PlJ5mod_3IyEEEE10hipError_tPvRmT3_T4_T5_T6_T7_T9_mT8_P12ihipStream_tbDpT10_ENKUlT_T0_E_clISt17integral_constantIbLb0EES16_EEDaS11_S12_EUlS11_E_NS1_11comp_targetILNS1_3genE0ELNS1_11target_archE4294967295ELNS1_3gpuE0ELNS1_3repE0EEENS1_30default_config_static_selectorELNS0_4arch9wavefront6targetE0EEEvT1_.kd
    .uniform_work_group_size: 1
    .uses_dynamic_stack: false
    .vgpr_count:     0
    .vgpr_spill_count: 0
    .wavefront_size: 32
    .workgroup_processor_mode: 1
  - .args:
      - .offset:         0
        .size:           112
        .value_kind:     by_value
    .group_segment_fixed_size: 0
    .kernarg_segment_align: 8
    .kernarg_segment_size: 112
    .language:       OpenCL C
    .language_version:
      - 2
      - 0
    .max_flat_workgroup_size: 512
    .name:           _ZN7rocprim17ROCPRIM_400000_NS6detail17trampoline_kernelINS0_14default_configENS1_25partition_config_selectorILNS1_17partition_subalgoE6EyNS0_10empty_typeEbEEZZNS1_14partition_implILS5_6ELb0ES3_mN6thrust23THRUST_200600_302600_NS6detail15normal_iteratorINSA_10device_ptrIyEEEEPS6_SG_NS0_5tupleIJSF_S6_EEENSH_IJSG_SG_EEES6_PlJ5mod_3IyEEEE10hipError_tPvRmT3_T4_T5_T6_T7_T9_mT8_P12ihipStream_tbDpT10_ENKUlT_T0_E_clISt17integral_constantIbLb0EES16_EEDaS11_S12_EUlS11_E_NS1_11comp_targetILNS1_3genE5ELNS1_11target_archE942ELNS1_3gpuE9ELNS1_3repE0EEENS1_30default_config_static_selectorELNS0_4arch9wavefront6targetE0EEEvT1_
    .private_segment_fixed_size: 0
    .sgpr_count:     0
    .sgpr_spill_count: 0
    .symbol:         _ZN7rocprim17ROCPRIM_400000_NS6detail17trampoline_kernelINS0_14default_configENS1_25partition_config_selectorILNS1_17partition_subalgoE6EyNS0_10empty_typeEbEEZZNS1_14partition_implILS5_6ELb0ES3_mN6thrust23THRUST_200600_302600_NS6detail15normal_iteratorINSA_10device_ptrIyEEEEPS6_SG_NS0_5tupleIJSF_S6_EEENSH_IJSG_SG_EEES6_PlJ5mod_3IyEEEE10hipError_tPvRmT3_T4_T5_T6_T7_T9_mT8_P12ihipStream_tbDpT10_ENKUlT_T0_E_clISt17integral_constantIbLb0EES16_EEDaS11_S12_EUlS11_E_NS1_11comp_targetILNS1_3genE5ELNS1_11target_archE942ELNS1_3gpuE9ELNS1_3repE0EEENS1_30default_config_static_selectorELNS0_4arch9wavefront6targetE0EEEvT1_.kd
    .uniform_work_group_size: 1
    .uses_dynamic_stack: false
    .vgpr_count:     0
    .vgpr_spill_count: 0
    .wavefront_size: 32
    .workgroup_processor_mode: 1
  - .args:
      - .offset:         0
        .size:           112
        .value_kind:     by_value
    .group_segment_fixed_size: 0
    .kernarg_segment_align: 8
    .kernarg_segment_size: 112
    .language:       OpenCL C
    .language_version:
      - 2
      - 0
    .max_flat_workgroup_size: 512
    .name:           _ZN7rocprim17ROCPRIM_400000_NS6detail17trampoline_kernelINS0_14default_configENS1_25partition_config_selectorILNS1_17partition_subalgoE6EyNS0_10empty_typeEbEEZZNS1_14partition_implILS5_6ELb0ES3_mN6thrust23THRUST_200600_302600_NS6detail15normal_iteratorINSA_10device_ptrIyEEEEPS6_SG_NS0_5tupleIJSF_S6_EEENSH_IJSG_SG_EEES6_PlJ5mod_3IyEEEE10hipError_tPvRmT3_T4_T5_T6_T7_T9_mT8_P12ihipStream_tbDpT10_ENKUlT_T0_E_clISt17integral_constantIbLb0EES16_EEDaS11_S12_EUlS11_E_NS1_11comp_targetILNS1_3genE4ELNS1_11target_archE910ELNS1_3gpuE8ELNS1_3repE0EEENS1_30default_config_static_selectorELNS0_4arch9wavefront6targetE0EEEvT1_
    .private_segment_fixed_size: 0
    .sgpr_count:     0
    .sgpr_spill_count: 0
    .symbol:         _ZN7rocprim17ROCPRIM_400000_NS6detail17trampoline_kernelINS0_14default_configENS1_25partition_config_selectorILNS1_17partition_subalgoE6EyNS0_10empty_typeEbEEZZNS1_14partition_implILS5_6ELb0ES3_mN6thrust23THRUST_200600_302600_NS6detail15normal_iteratorINSA_10device_ptrIyEEEEPS6_SG_NS0_5tupleIJSF_S6_EEENSH_IJSG_SG_EEES6_PlJ5mod_3IyEEEE10hipError_tPvRmT3_T4_T5_T6_T7_T9_mT8_P12ihipStream_tbDpT10_ENKUlT_T0_E_clISt17integral_constantIbLb0EES16_EEDaS11_S12_EUlS11_E_NS1_11comp_targetILNS1_3genE4ELNS1_11target_archE910ELNS1_3gpuE8ELNS1_3repE0EEENS1_30default_config_static_selectorELNS0_4arch9wavefront6targetE0EEEvT1_.kd
    .uniform_work_group_size: 1
    .uses_dynamic_stack: false
    .vgpr_count:     0
    .vgpr_spill_count: 0
    .wavefront_size: 32
    .workgroup_processor_mode: 1
  - .args:
      - .offset:         0
        .size:           112
        .value_kind:     by_value
    .group_segment_fixed_size: 0
    .kernarg_segment_align: 8
    .kernarg_segment_size: 112
    .language:       OpenCL C
    .language_version:
      - 2
      - 0
    .max_flat_workgroup_size: 128
    .name:           _ZN7rocprim17ROCPRIM_400000_NS6detail17trampoline_kernelINS0_14default_configENS1_25partition_config_selectorILNS1_17partition_subalgoE6EyNS0_10empty_typeEbEEZZNS1_14partition_implILS5_6ELb0ES3_mN6thrust23THRUST_200600_302600_NS6detail15normal_iteratorINSA_10device_ptrIyEEEEPS6_SG_NS0_5tupleIJSF_S6_EEENSH_IJSG_SG_EEES6_PlJ5mod_3IyEEEE10hipError_tPvRmT3_T4_T5_T6_T7_T9_mT8_P12ihipStream_tbDpT10_ENKUlT_T0_E_clISt17integral_constantIbLb0EES16_EEDaS11_S12_EUlS11_E_NS1_11comp_targetILNS1_3genE3ELNS1_11target_archE908ELNS1_3gpuE7ELNS1_3repE0EEENS1_30default_config_static_selectorELNS0_4arch9wavefront6targetE0EEEvT1_
    .private_segment_fixed_size: 0
    .sgpr_count:     0
    .sgpr_spill_count: 0
    .symbol:         _ZN7rocprim17ROCPRIM_400000_NS6detail17trampoline_kernelINS0_14default_configENS1_25partition_config_selectorILNS1_17partition_subalgoE6EyNS0_10empty_typeEbEEZZNS1_14partition_implILS5_6ELb0ES3_mN6thrust23THRUST_200600_302600_NS6detail15normal_iteratorINSA_10device_ptrIyEEEEPS6_SG_NS0_5tupleIJSF_S6_EEENSH_IJSG_SG_EEES6_PlJ5mod_3IyEEEE10hipError_tPvRmT3_T4_T5_T6_T7_T9_mT8_P12ihipStream_tbDpT10_ENKUlT_T0_E_clISt17integral_constantIbLb0EES16_EEDaS11_S12_EUlS11_E_NS1_11comp_targetILNS1_3genE3ELNS1_11target_archE908ELNS1_3gpuE7ELNS1_3repE0EEENS1_30default_config_static_selectorELNS0_4arch9wavefront6targetE0EEEvT1_.kd
    .uniform_work_group_size: 1
    .uses_dynamic_stack: false
    .vgpr_count:     0
    .vgpr_spill_count: 0
    .wavefront_size: 32
    .workgroup_processor_mode: 1
  - .args:
      - .offset:         0
        .size:           112
        .value_kind:     by_value
    .group_segment_fixed_size: 0
    .kernarg_segment_align: 8
    .kernarg_segment_size: 112
    .language:       OpenCL C
    .language_version:
      - 2
      - 0
    .max_flat_workgroup_size: 256
    .name:           _ZN7rocprim17ROCPRIM_400000_NS6detail17trampoline_kernelINS0_14default_configENS1_25partition_config_selectorILNS1_17partition_subalgoE6EyNS0_10empty_typeEbEEZZNS1_14partition_implILS5_6ELb0ES3_mN6thrust23THRUST_200600_302600_NS6detail15normal_iteratorINSA_10device_ptrIyEEEEPS6_SG_NS0_5tupleIJSF_S6_EEENSH_IJSG_SG_EEES6_PlJ5mod_3IyEEEE10hipError_tPvRmT3_T4_T5_T6_T7_T9_mT8_P12ihipStream_tbDpT10_ENKUlT_T0_E_clISt17integral_constantIbLb0EES16_EEDaS11_S12_EUlS11_E_NS1_11comp_targetILNS1_3genE2ELNS1_11target_archE906ELNS1_3gpuE6ELNS1_3repE0EEENS1_30default_config_static_selectorELNS0_4arch9wavefront6targetE0EEEvT1_
    .private_segment_fixed_size: 0
    .sgpr_count:     0
    .sgpr_spill_count: 0
    .symbol:         _ZN7rocprim17ROCPRIM_400000_NS6detail17trampoline_kernelINS0_14default_configENS1_25partition_config_selectorILNS1_17partition_subalgoE6EyNS0_10empty_typeEbEEZZNS1_14partition_implILS5_6ELb0ES3_mN6thrust23THRUST_200600_302600_NS6detail15normal_iteratorINSA_10device_ptrIyEEEEPS6_SG_NS0_5tupleIJSF_S6_EEENSH_IJSG_SG_EEES6_PlJ5mod_3IyEEEE10hipError_tPvRmT3_T4_T5_T6_T7_T9_mT8_P12ihipStream_tbDpT10_ENKUlT_T0_E_clISt17integral_constantIbLb0EES16_EEDaS11_S12_EUlS11_E_NS1_11comp_targetILNS1_3genE2ELNS1_11target_archE906ELNS1_3gpuE6ELNS1_3repE0EEENS1_30default_config_static_selectorELNS0_4arch9wavefront6targetE0EEEvT1_.kd
    .uniform_work_group_size: 1
    .uses_dynamic_stack: false
    .vgpr_count:     0
    .vgpr_spill_count: 0
    .wavefront_size: 32
    .workgroup_processor_mode: 1
  - .args:
      - .offset:         0
        .size:           112
        .value_kind:     by_value
    .group_segment_fixed_size: 0
    .kernarg_segment_align: 8
    .kernarg_segment_size: 112
    .language:       OpenCL C
    .language_version:
      - 2
      - 0
    .max_flat_workgroup_size: 256
    .name:           _ZN7rocprim17ROCPRIM_400000_NS6detail17trampoline_kernelINS0_14default_configENS1_25partition_config_selectorILNS1_17partition_subalgoE6EyNS0_10empty_typeEbEEZZNS1_14partition_implILS5_6ELb0ES3_mN6thrust23THRUST_200600_302600_NS6detail15normal_iteratorINSA_10device_ptrIyEEEEPS6_SG_NS0_5tupleIJSF_S6_EEENSH_IJSG_SG_EEES6_PlJ5mod_3IyEEEE10hipError_tPvRmT3_T4_T5_T6_T7_T9_mT8_P12ihipStream_tbDpT10_ENKUlT_T0_E_clISt17integral_constantIbLb0EES16_EEDaS11_S12_EUlS11_E_NS1_11comp_targetILNS1_3genE10ELNS1_11target_archE1200ELNS1_3gpuE4ELNS1_3repE0EEENS1_30default_config_static_selectorELNS0_4arch9wavefront6targetE0EEEvT1_
    .private_segment_fixed_size: 0
    .sgpr_count:     0
    .sgpr_spill_count: 0
    .symbol:         _ZN7rocprim17ROCPRIM_400000_NS6detail17trampoline_kernelINS0_14default_configENS1_25partition_config_selectorILNS1_17partition_subalgoE6EyNS0_10empty_typeEbEEZZNS1_14partition_implILS5_6ELb0ES3_mN6thrust23THRUST_200600_302600_NS6detail15normal_iteratorINSA_10device_ptrIyEEEEPS6_SG_NS0_5tupleIJSF_S6_EEENSH_IJSG_SG_EEES6_PlJ5mod_3IyEEEE10hipError_tPvRmT3_T4_T5_T6_T7_T9_mT8_P12ihipStream_tbDpT10_ENKUlT_T0_E_clISt17integral_constantIbLb0EES16_EEDaS11_S12_EUlS11_E_NS1_11comp_targetILNS1_3genE10ELNS1_11target_archE1200ELNS1_3gpuE4ELNS1_3repE0EEENS1_30default_config_static_selectorELNS0_4arch9wavefront6targetE0EEEvT1_.kd
    .uniform_work_group_size: 1
    .uses_dynamic_stack: false
    .vgpr_count:     0
    .vgpr_spill_count: 0
    .wavefront_size: 32
    .workgroup_processor_mode: 1
  - .args:
      - .offset:         0
        .size:           112
        .value_kind:     by_value
    .group_segment_fixed_size: 18448
    .kernarg_segment_align: 8
    .kernarg_segment_size: 112
    .language:       OpenCL C
    .language_version:
      - 2
      - 0
    .max_flat_workgroup_size: 384
    .name:           _ZN7rocprim17ROCPRIM_400000_NS6detail17trampoline_kernelINS0_14default_configENS1_25partition_config_selectorILNS1_17partition_subalgoE6EyNS0_10empty_typeEbEEZZNS1_14partition_implILS5_6ELb0ES3_mN6thrust23THRUST_200600_302600_NS6detail15normal_iteratorINSA_10device_ptrIyEEEEPS6_SG_NS0_5tupleIJSF_S6_EEENSH_IJSG_SG_EEES6_PlJ5mod_3IyEEEE10hipError_tPvRmT3_T4_T5_T6_T7_T9_mT8_P12ihipStream_tbDpT10_ENKUlT_T0_E_clISt17integral_constantIbLb0EES16_EEDaS11_S12_EUlS11_E_NS1_11comp_targetILNS1_3genE9ELNS1_11target_archE1100ELNS1_3gpuE3ELNS1_3repE0EEENS1_30default_config_static_selectorELNS0_4arch9wavefront6targetE0EEEvT1_
    .private_segment_fixed_size: 0
    .sgpr_count:     21
    .sgpr_spill_count: 0
    .symbol:         _ZN7rocprim17ROCPRIM_400000_NS6detail17trampoline_kernelINS0_14default_configENS1_25partition_config_selectorILNS1_17partition_subalgoE6EyNS0_10empty_typeEbEEZZNS1_14partition_implILS5_6ELb0ES3_mN6thrust23THRUST_200600_302600_NS6detail15normal_iteratorINSA_10device_ptrIyEEEEPS6_SG_NS0_5tupleIJSF_S6_EEENSH_IJSG_SG_EEES6_PlJ5mod_3IyEEEE10hipError_tPvRmT3_T4_T5_T6_T7_T9_mT8_P12ihipStream_tbDpT10_ENKUlT_T0_E_clISt17integral_constantIbLb0EES16_EEDaS11_S12_EUlS11_E_NS1_11comp_targetILNS1_3genE9ELNS1_11target_archE1100ELNS1_3gpuE3ELNS1_3repE0EEENS1_30default_config_static_selectorELNS0_4arch9wavefront6targetE0EEEvT1_.kd
    .uniform_work_group_size: 1
    .uses_dynamic_stack: false
    .vgpr_count:     54
    .vgpr_spill_count: 0
    .wavefront_size: 32
    .workgroup_processor_mode: 1
  - .args:
      - .offset:         0
        .size:           112
        .value_kind:     by_value
    .group_segment_fixed_size: 0
    .kernarg_segment_align: 8
    .kernarg_segment_size: 112
    .language:       OpenCL C
    .language_version:
      - 2
      - 0
    .max_flat_workgroup_size: 512
    .name:           _ZN7rocprim17ROCPRIM_400000_NS6detail17trampoline_kernelINS0_14default_configENS1_25partition_config_selectorILNS1_17partition_subalgoE6EyNS0_10empty_typeEbEEZZNS1_14partition_implILS5_6ELb0ES3_mN6thrust23THRUST_200600_302600_NS6detail15normal_iteratorINSA_10device_ptrIyEEEEPS6_SG_NS0_5tupleIJSF_S6_EEENSH_IJSG_SG_EEES6_PlJ5mod_3IyEEEE10hipError_tPvRmT3_T4_T5_T6_T7_T9_mT8_P12ihipStream_tbDpT10_ENKUlT_T0_E_clISt17integral_constantIbLb0EES16_EEDaS11_S12_EUlS11_E_NS1_11comp_targetILNS1_3genE8ELNS1_11target_archE1030ELNS1_3gpuE2ELNS1_3repE0EEENS1_30default_config_static_selectorELNS0_4arch9wavefront6targetE0EEEvT1_
    .private_segment_fixed_size: 0
    .sgpr_count:     0
    .sgpr_spill_count: 0
    .symbol:         _ZN7rocprim17ROCPRIM_400000_NS6detail17trampoline_kernelINS0_14default_configENS1_25partition_config_selectorILNS1_17partition_subalgoE6EyNS0_10empty_typeEbEEZZNS1_14partition_implILS5_6ELb0ES3_mN6thrust23THRUST_200600_302600_NS6detail15normal_iteratorINSA_10device_ptrIyEEEEPS6_SG_NS0_5tupleIJSF_S6_EEENSH_IJSG_SG_EEES6_PlJ5mod_3IyEEEE10hipError_tPvRmT3_T4_T5_T6_T7_T9_mT8_P12ihipStream_tbDpT10_ENKUlT_T0_E_clISt17integral_constantIbLb0EES16_EEDaS11_S12_EUlS11_E_NS1_11comp_targetILNS1_3genE8ELNS1_11target_archE1030ELNS1_3gpuE2ELNS1_3repE0EEENS1_30default_config_static_selectorELNS0_4arch9wavefront6targetE0EEEvT1_.kd
    .uniform_work_group_size: 1
    .uses_dynamic_stack: false
    .vgpr_count:     0
    .vgpr_spill_count: 0
    .wavefront_size: 32
    .workgroup_processor_mode: 1
  - .args:
      - .offset:         0
        .size:           128
        .value_kind:     by_value
    .group_segment_fixed_size: 0
    .kernarg_segment_align: 8
    .kernarg_segment_size: 128
    .language:       OpenCL C
    .language_version:
      - 2
      - 0
    .max_flat_workgroup_size: 128
    .name:           _ZN7rocprim17ROCPRIM_400000_NS6detail17trampoline_kernelINS0_14default_configENS1_25partition_config_selectorILNS1_17partition_subalgoE6EyNS0_10empty_typeEbEEZZNS1_14partition_implILS5_6ELb0ES3_mN6thrust23THRUST_200600_302600_NS6detail15normal_iteratorINSA_10device_ptrIyEEEEPS6_SG_NS0_5tupleIJSF_S6_EEENSH_IJSG_SG_EEES6_PlJ5mod_3IyEEEE10hipError_tPvRmT3_T4_T5_T6_T7_T9_mT8_P12ihipStream_tbDpT10_ENKUlT_T0_E_clISt17integral_constantIbLb1EES16_EEDaS11_S12_EUlS11_E_NS1_11comp_targetILNS1_3genE0ELNS1_11target_archE4294967295ELNS1_3gpuE0ELNS1_3repE0EEENS1_30default_config_static_selectorELNS0_4arch9wavefront6targetE0EEEvT1_
    .private_segment_fixed_size: 0
    .sgpr_count:     0
    .sgpr_spill_count: 0
    .symbol:         _ZN7rocprim17ROCPRIM_400000_NS6detail17trampoline_kernelINS0_14default_configENS1_25partition_config_selectorILNS1_17partition_subalgoE6EyNS0_10empty_typeEbEEZZNS1_14partition_implILS5_6ELb0ES3_mN6thrust23THRUST_200600_302600_NS6detail15normal_iteratorINSA_10device_ptrIyEEEEPS6_SG_NS0_5tupleIJSF_S6_EEENSH_IJSG_SG_EEES6_PlJ5mod_3IyEEEE10hipError_tPvRmT3_T4_T5_T6_T7_T9_mT8_P12ihipStream_tbDpT10_ENKUlT_T0_E_clISt17integral_constantIbLb1EES16_EEDaS11_S12_EUlS11_E_NS1_11comp_targetILNS1_3genE0ELNS1_11target_archE4294967295ELNS1_3gpuE0ELNS1_3repE0EEENS1_30default_config_static_selectorELNS0_4arch9wavefront6targetE0EEEvT1_.kd
    .uniform_work_group_size: 1
    .uses_dynamic_stack: false
    .vgpr_count:     0
    .vgpr_spill_count: 0
    .wavefront_size: 32
    .workgroup_processor_mode: 1
  - .args:
      - .offset:         0
        .size:           128
        .value_kind:     by_value
    .group_segment_fixed_size: 0
    .kernarg_segment_align: 8
    .kernarg_segment_size: 128
    .language:       OpenCL C
    .language_version:
      - 2
      - 0
    .max_flat_workgroup_size: 512
    .name:           _ZN7rocprim17ROCPRIM_400000_NS6detail17trampoline_kernelINS0_14default_configENS1_25partition_config_selectorILNS1_17partition_subalgoE6EyNS0_10empty_typeEbEEZZNS1_14partition_implILS5_6ELb0ES3_mN6thrust23THRUST_200600_302600_NS6detail15normal_iteratorINSA_10device_ptrIyEEEEPS6_SG_NS0_5tupleIJSF_S6_EEENSH_IJSG_SG_EEES6_PlJ5mod_3IyEEEE10hipError_tPvRmT3_T4_T5_T6_T7_T9_mT8_P12ihipStream_tbDpT10_ENKUlT_T0_E_clISt17integral_constantIbLb1EES16_EEDaS11_S12_EUlS11_E_NS1_11comp_targetILNS1_3genE5ELNS1_11target_archE942ELNS1_3gpuE9ELNS1_3repE0EEENS1_30default_config_static_selectorELNS0_4arch9wavefront6targetE0EEEvT1_
    .private_segment_fixed_size: 0
    .sgpr_count:     0
    .sgpr_spill_count: 0
    .symbol:         _ZN7rocprim17ROCPRIM_400000_NS6detail17trampoline_kernelINS0_14default_configENS1_25partition_config_selectorILNS1_17partition_subalgoE6EyNS0_10empty_typeEbEEZZNS1_14partition_implILS5_6ELb0ES3_mN6thrust23THRUST_200600_302600_NS6detail15normal_iteratorINSA_10device_ptrIyEEEEPS6_SG_NS0_5tupleIJSF_S6_EEENSH_IJSG_SG_EEES6_PlJ5mod_3IyEEEE10hipError_tPvRmT3_T4_T5_T6_T7_T9_mT8_P12ihipStream_tbDpT10_ENKUlT_T0_E_clISt17integral_constantIbLb1EES16_EEDaS11_S12_EUlS11_E_NS1_11comp_targetILNS1_3genE5ELNS1_11target_archE942ELNS1_3gpuE9ELNS1_3repE0EEENS1_30default_config_static_selectorELNS0_4arch9wavefront6targetE0EEEvT1_.kd
    .uniform_work_group_size: 1
    .uses_dynamic_stack: false
    .vgpr_count:     0
    .vgpr_spill_count: 0
    .wavefront_size: 32
    .workgroup_processor_mode: 1
  - .args:
      - .offset:         0
        .size:           128
        .value_kind:     by_value
    .group_segment_fixed_size: 0
    .kernarg_segment_align: 8
    .kernarg_segment_size: 128
    .language:       OpenCL C
    .language_version:
      - 2
      - 0
    .max_flat_workgroup_size: 512
    .name:           _ZN7rocprim17ROCPRIM_400000_NS6detail17trampoline_kernelINS0_14default_configENS1_25partition_config_selectorILNS1_17partition_subalgoE6EyNS0_10empty_typeEbEEZZNS1_14partition_implILS5_6ELb0ES3_mN6thrust23THRUST_200600_302600_NS6detail15normal_iteratorINSA_10device_ptrIyEEEEPS6_SG_NS0_5tupleIJSF_S6_EEENSH_IJSG_SG_EEES6_PlJ5mod_3IyEEEE10hipError_tPvRmT3_T4_T5_T6_T7_T9_mT8_P12ihipStream_tbDpT10_ENKUlT_T0_E_clISt17integral_constantIbLb1EES16_EEDaS11_S12_EUlS11_E_NS1_11comp_targetILNS1_3genE4ELNS1_11target_archE910ELNS1_3gpuE8ELNS1_3repE0EEENS1_30default_config_static_selectorELNS0_4arch9wavefront6targetE0EEEvT1_
    .private_segment_fixed_size: 0
    .sgpr_count:     0
    .sgpr_spill_count: 0
    .symbol:         _ZN7rocprim17ROCPRIM_400000_NS6detail17trampoline_kernelINS0_14default_configENS1_25partition_config_selectorILNS1_17partition_subalgoE6EyNS0_10empty_typeEbEEZZNS1_14partition_implILS5_6ELb0ES3_mN6thrust23THRUST_200600_302600_NS6detail15normal_iteratorINSA_10device_ptrIyEEEEPS6_SG_NS0_5tupleIJSF_S6_EEENSH_IJSG_SG_EEES6_PlJ5mod_3IyEEEE10hipError_tPvRmT3_T4_T5_T6_T7_T9_mT8_P12ihipStream_tbDpT10_ENKUlT_T0_E_clISt17integral_constantIbLb1EES16_EEDaS11_S12_EUlS11_E_NS1_11comp_targetILNS1_3genE4ELNS1_11target_archE910ELNS1_3gpuE8ELNS1_3repE0EEENS1_30default_config_static_selectorELNS0_4arch9wavefront6targetE0EEEvT1_.kd
    .uniform_work_group_size: 1
    .uses_dynamic_stack: false
    .vgpr_count:     0
    .vgpr_spill_count: 0
    .wavefront_size: 32
    .workgroup_processor_mode: 1
  - .args:
      - .offset:         0
        .size:           128
        .value_kind:     by_value
    .group_segment_fixed_size: 0
    .kernarg_segment_align: 8
    .kernarg_segment_size: 128
    .language:       OpenCL C
    .language_version:
      - 2
      - 0
    .max_flat_workgroup_size: 128
    .name:           _ZN7rocprim17ROCPRIM_400000_NS6detail17trampoline_kernelINS0_14default_configENS1_25partition_config_selectorILNS1_17partition_subalgoE6EyNS0_10empty_typeEbEEZZNS1_14partition_implILS5_6ELb0ES3_mN6thrust23THRUST_200600_302600_NS6detail15normal_iteratorINSA_10device_ptrIyEEEEPS6_SG_NS0_5tupleIJSF_S6_EEENSH_IJSG_SG_EEES6_PlJ5mod_3IyEEEE10hipError_tPvRmT3_T4_T5_T6_T7_T9_mT8_P12ihipStream_tbDpT10_ENKUlT_T0_E_clISt17integral_constantIbLb1EES16_EEDaS11_S12_EUlS11_E_NS1_11comp_targetILNS1_3genE3ELNS1_11target_archE908ELNS1_3gpuE7ELNS1_3repE0EEENS1_30default_config_static_selectorELNS0_4arch9wavefront6targetE0EEEvT1_
    .private_segment_fixed_size: 0
    .sgpr_count:     0
    .sgpr_spill_count: 0
    .symbol:         _ZN7rocprim17ROCPRIM_400000_NS6detail17trampoline_kernelINS0_14default_configENS1_25partition_config_selectorILNS1_17partition_subalgoE6EyNS0_10empty_typeEbEEZZNS1_14partition_implILS5_6ELb0ES3_mN6thrust23THRUST_200600_302600_NS6detail15normal_iteratorINSA_10device_ptrIyEEEEPS6_SG_NS0_5tupleIJSF_S6_EEENSH_IJSG_SG_EEES6_PlJ5mod_3IyEEEE10hipError_tPvRmT3_T4_T5_T6_T7_T9_mT8_P12ihipStream_tbDpT10_ENKUlT_T0_E_clISt17integral_constantIbLb1EES16_EEDaS11_S12_EUlS11_E_NS1_11comp_targetILNS1_3genE3ELNS1_11target_archE908ELNS1_3gpuE7ELNS1_3repE0EEENS1_30default_config_static_selectorELNS0_4arch9wavefront6targetE0EEEvT1_.kd
    .uniform_work_group_size: 1
    .uses_dynamic_stack: false
    .vgpr_count:     0
    .vgpr_spill_count: 0
    .wavefront_size: 32
    .workgroup_processor_mode: 1
  - .args:
      - .offset:         0
        .size:           128
        .value_kind:     by_value
    .group_segment_fixed_size: 0
    .kernarg_segment_align: 8
    .kernarg_segment_size: 128
    .language:       OpenCL C
    .language_version:
      - 2
      - 0
    .max_flat_workgroup_size: 256
    .name:           _ZN7rocprim17ROCPRIM_400000_NS6detail17trampoline_kernelINS0_14default_configENS1_25partition_config_selectorILNS1_17partition_subalgoE6EyNS0_10empty_typeEbEEZZNS1_14partition_implILS5_6ELb0ES3_mN6thrust23THRUST_200600_302600_NS6detail15normal_iteratorINSA_10device_ptrIyEEEEPS6_SG_NS0_5tupleIJSF_S6_EEENSH_IJSG_SG_EEES6_PlJ5mod_3IyEEEE10hipError_tPvRmT3_T4_T5_T6_T7_T9_mT8_P12ihipStream_tbDpT10_ENKUlT_T0_E_clISt17integral_constantIbLb1EES16_EEDaS11_S12_EUlS11_E_NS1_11comp_targetILNS1_3genE2ELNS1_11target_archE906ELNS1_3gpuE6ELNS1_3repE0EEENS1_30default_config_static_selectorELNS0_4arch9wavefront6targetE0EEEvT1_
    .private_segment_fixed_size: 0
    .sgpr_count:     0
    .sgpr_spill_count: 0
    .symbol:         _ZN7rocprim17ROCPRIM_400000_NS6detail17trampoline_kernelINS0_14default_configENS1_25partition_config_selectorILNS1_17partition_subalgoE6EyNS0_10empty_typeEbEEZZNS1_14partition_implILS5_6ELb0ES3_mN6thrust23THRUST_200600_302600_NS6detail15normal_iteratorINSA_10device_ptrIyEEEEPS6_SG_NS0_5tupleIJSF_S6_EEENSH_IJSG_SG_EEES6_PlJ5mod_3IyEEEE10hipError_tPvRmT3_T4_T5_T6_T7_T9_mT8_P12ihipStream_tbDpT10_ENKUlT_T0_E_clISt17integral_constantIbLb1EES16_EEDaS11_S12_EUlS11_E_NS1_11comp_targetILNS1_3genE2ELNS1_11target_archE906ELNS1_3gpuE6ELNS1_3repE0EEENS1_30default_config_static_selectorELNS0_4arch9wavefront6targetE0EEEvT1_.kd
    .uniform_work_group_size: 1
    .uses_dynamic_stack: false
    .vgpr_count:     0
    .vgpr_spill_count: 0
    .wavefront_size: 32
    .workgroup_processor_mode: 1
  - .args:
      - .offset:         0
        .size:           128
        .value_kind:     by_value
    .group_segment_fixed_size: 0
    .kernarg_segment_align: 8
    .kernarg_segment_size: 128
    .language:       OpenCL C
    .language_version:
      - 2
      - 0
    .max_flat_workgroup_size: 256
    .name:           _ZN7rocprim17ROCPRIM_400000_NS6detail17trampoline_kernelINS0_14default_configENS1_25partition_config_selectorILNS1_17partition_subalgoE6EyNS0_10empty_typeEbEEZZNS1_14partition_implILS5_6ELb0ES3_mN6thrust23THRUST_200600_302600_NS6detail15normal_iteratorINSA_10device_ptrIyEEEEPS6_SG_NS0_5tupleIJSF_S6_EEENSH_IJSG_SG_EEES6_PlJ5mod_3IyEEEE10hipError_tPvRmT3_T4_T5_T6_T7_T9_mT8_P12ihipStream_tbDpT10_ENKUlT_T0_E_clISt17integral_constantIbLb1EES16_EEDaS11_S12_EUlS11_E_NS1_11comp_targetILNS1_3genE10ELNS1_11target_archE1200ELNS1_3gpuE4ELNS1_3repE0EEENS1_30default_config_static_selectorELNS0_4arch9wavefront6targetE0EEEvT1_
    .private_segment_fixed_size: 0
    .sgpr_count:     0
    .sgpr_spill_count: 0
    .symbol:         _ZN7rocprim17ROCPRIM_400000_NS6detail17trampoline_kernelINS0_14default_configENS1_25partition_config_selectorILNS1_17partition_subalgoE6EyNS0_10empty_typeEbEEZZNS1_14partition_implILS5_6ELb0ES3_mN6thrust23THRUST_200600_302600_NS6detail15normal_iteratorINSA_10device_ptrIyEEEEPS6_SG_NS0_5tupleIJSF_S6_EEENSH_IJSG_SG_EEES6_PlJ5mod_3IyEEEE10hipError_tPvRmT3_T4_T5_T6_T7_T9_mT8_P12ihipStream_tbDpT10_ENKUlT_T0_E_clISt17integral_constantIbLb1EES16_EEDaS11_S12_EUlS11_E_NS1_11comp_targetILNS1_3genE10ELNS1_11target_archE1200ELNS1_3gpuE4ELNS1_3repE0EEENS1_30default_config_static_selectorELNS0_4arch9wavefront6targetE0EEEvT1_.kd
    .uniform_work_group_size: 1
    .uses_dynamic_stack: false
    .vgpr_count:     0
    .vgpr_spill_count: 0
    .wavefront_size: 32
    .workgroup_processor_mode: 1
  - .args:
      - .offset:         0
        .size:           128
        .value_kind:     by_value
    .group_segment_fixed_size: 18448
    .kernarg_segment_align: 8
    .kernarg_segment_size: 128
    .language:       OpenCL C
    .language_version:
      - 2
      - 0
    .max_flat_workgroup_size: 384
    .name:           _ZN7rocprim17ROCPRIM_400000_NS6detail17trampoline_kernelINS0_14default_configENS1_25partition_config_selectorILNS1_17partition_subalgoE6EyNS0_10empty_typeEbEEZZNS1_14partition_implILS5_6ELb0ES3_mN6thrust23THRUST_200600_302600_NS6detail15normal_iteratorINSA_10device_ptrIyEEEEPS6_SG_NS0_5tupleIJSF_S6_EEENSH_IJSG_SG_EEES6_PlJ5mod_3IyEEEE10hipError_tPvRmT3_T4_T5_T6_T7_T9_mT8_P12ihipStream_tbDpT10_ENKUlT_T0_E_clISt17integral_constantIbLb1EES16_EEDaS11_S12_EUlS11_E_NS1_11comp_targetILNS1_3genE9ELNS1_11target_archE1100ELNS1_3gpuE3ELNS1_3repE0EEENS1_30default_config_static_selectorELNS0_4arch9wavefront6targetE0EEEvT1_
    .private_segment_fixed_size: 0
    .sgpr_count:     20
    .sgpr_spill_count: 0
    .symbol:         _ZN7rocprim17ROCPRIM_400000_NS6detail17trampoline_kernelINS0_14default_configENS1_25partition_config_selectorILNS1_17partition_subalgoE6EyNS0_10empty_typeEbEEZZNS1_14partition_implILS5_6ELb0ES3_mN6thrust23THRUST_200600_302600_NS6detail15normal_iteratorINSA_10device_ptrIyEEEEPS6_SG_NS0_5tupleIJSF_S6_EEENSH_IJSG_SG_EEES6_PlJ5mod_3IyEEEE10hipError_tPvRmT3_T4_T5_T6_T7_T9_mT8_P12ihipStream_tbDpT10_ENKUlT_T0_E_clISt17integral_constantIbLb1EES16_EEDaS11_S12_EUlS11_E_NS1_11comp_targetILNS1_3genE9ELNS1_11target_archE1100ELNS1_3gpuE3ELNS1_3repE0EEENS1_30default_config_static_selectorELNS0_4arch9wavefront6targetE0EEEvT1_.kd
    .uniform_work_group_size: 1
    .uses_dynamic_stack: false
    .vgpr_count:     56
    .vgpr_spill_count: 0
    .wavefront_size: 32
    .workgroup_processor_mode: 1
  - .args:
      - .offset:         0
        .size:           128
        .value_kind:     by_value
    .group_segment_fixed_size: 0
    .kernarg_segment_align: 8
    .kernarg_segment_size: 128
    .language:       OpenCL C
    .language_version:
      - 2
      - 0
    .max_flat_workgroup_size: 512
    .name:           _ZN7rocprim17ROCPRIM_400000_NS6detail17trampoline_kernelINS0_14default_configENS1_25partition_config_selectorILNS1_17partition_subalgoE6EyNS0_10empty_typeEbEEZZNS1_14partition_implILS5_6ELb0ES3_mN6thrust23THRUST_200600_302600_NS6detail15normal_iteratorINSA_10device_ptrIyEEEEPS6_SG_NS0_5tupleIJSF_S6_EEENSH_IJSG_SG_EEES6_PlJ5mod_3IyEEEE10hipError_tPvRmT3_T4_T5_T6_T7_T9_mT8_P12ihipStream_tbDpT10_ENKUlT_T0_E_clISt17integral_constantIbLb1EES16_EEDaS11_S12_EUlS11_E_NS1_11comp_targetILNS1_3genE8ELNS1_11target_archE1030ELNS1_3gpuE2ELNS1_3repE0EEENS1_30default_config_static_selectorELNS0_4arch9wavefront6targetE0EEEvT1_
    .private_segment_fixed_size: 0
    .sgpr_count:     0
    .sgpr_spill_count: 0
    .symbol:         _ZN7rocprim17ROCPRIM_400000_NS6detail17trampoline_kernelINS0_14default_configENS1_25partition_config_selectorILNS1_17partition_subalgoE6EyNS0_10empty_typeEbEEZZNS1_14partition_implILS5_6ELb0ES3_mN6thrust23THRUST_200600_302600_NS6detail15normal_iteratorINSA_10device_ptrIyEEEEPS6_SG_NS0_5tupleIJSF_S6_EEENSH_IJSG_SG_EEES6_PlJ5mod_3IyEEEE10hipError_tPvRmT3_T4_T5_T6_T7_T9_mT8_P12ihipStream_tbDpT10_ENKUlT_T0_E_clISt17integral_constantIbLb1EES16_EEDaS11_S12_EUlS11_E_NS1_11comp_targetILNS1_3genE8ELNS1_11target_archE1030ELNS1_3gpuE2ELNS1_3repE0EEENS1_30default_config_static_selectorELNS0_4arch9wavefront6targetE0EEEvT1_.kd
    .uniform_work_group_size: 1
    .uses_dynamic_stack: false
    .vgpr_count:     0
    .vgpr_spill_count: 0
    .wavefront_size: 32
    .workgroup_processor_mode: 1
  - .args:
      - .offset:         0
        .size:           112
        .value_kind:     by_value
    .group_segment_fixed_size: 0
    .kernarg_segment_align: 8
    .kernarg_segment_size: 112
    .language:       OpenCL C
    .language_version:
      - 2
      - 0
    .max_flat_workgroup_size: 128
    .name:           _ZN7rocprim17ROCPRIM_400000_NS6detail17trampoline_kernelINS0_14default_configENS1_25partition_config_selectorILNS1_17partition_subalgoE6EyNS0_10empty_typeEbEEZZNS1_14partition_implILS5_6ELb0ES3_mN6thrust23THRUST_200600_302600_NS6detail15normal_iteratorINSA_10device_ptrIyEEEEPS6_SG_NS0_5tupleIJSF_S6_EEENSH_IJSG_SG_EEES6_PlJ5mod_3IyEEEE10hipError_tPvRmT3_T4_T5_T6_T7_T9_mT8_P12ihipStream_tbDpT10_ENKUlT_T0_E_clISt17integral_constantIbLb1EES15_IbLb0EEEEDaS11_S12_EUlS11_E_NS1_11comp_targetILNS1_3genE0ELNS1_11target_archE4294967295ELNS1_3gpuE0ELNS1_3repE0EEENS1_30default_config_static_selectorELNS0_4arch9wavefront6targetE0EEEvT1_
    .private_segment_fixed_size: 0
    .sgpr_count:     0
    .sgpr_spill_count: 0
    .symbol:         _ZN7rocprim17ROCPRIM_400000_NS6detail17trampoline_kernelINS0_14default_configENS1_25partition_config_selectorILNS1_17partition_subalgoE6EyNS0_10empty_typeEbEEZZNS1_14partition_implILS5_6ELb0ES3_mN6thrust23THRUST_200600_302600_NS6detail15normal_iteratorINSA_10device_ptrIyEEEEPS6_SG_NS0_5tupleIJSF_S6_EEENSH_IJSG_SG_EEES6_PlJ5mod_3IyEEEE10hipError_tPvRmT3_T4_T5_T6_T7_T9_mT8_P12ihipStream_tbDpT10_ENKUlT_T0_E_clISt17integral_constantIbLb1EES15_IbLb0EEEEDaS11_S12_EUlS11_E_NS1_11comp_targetILNS1_3genE0ELNS1_11target_archE4294967295ELNS1_3gpuE0ELNS1_3repE0EEENS1_30default_config_static_selectorELNS0_4arch9wavefront6targetE0EEEvT1_.kd
    .uniform_work_group_size: 1
    .uses_dynamic_stack: false
    .vgpr_count:     0
    .vgpr_spill_count: 0
    .wavefront_size: 32
    .workgroup_processor_mode: 1
  - .args:
      - .offset:         0
        .size:           112
        .value_kind:     by_value
    .group_segment_fixed_size: 0
    .kernarg_segment_align: 8
    .kernarg_segment_size: 112
    .language:       OpenCL C
    .language_version:
      - 2
      - 0
    .max_flat_workgroup_size: 512
    .name:           _ZN7rocprim17ROCPRIM_400000_NS6detail17trampoline_kernelINS0_14default_configENS1_25partition_config_selectorILNS1_17partition_subalgoE6EyNS0_10empty_typeEbEEZZNS1_14partition_implILS5_6ELb0ES3_mN6thrust23THRUST_200600_302600_NS6detail15normal_iteratorINSA_10device_ptrIyEEEEPS6_SG_NS0_5tupleIJSF_S6_EEENSH_IJSG_SG_EEES6_PlJ5mod_3IyEEEE10hipError_tPvRmT3_T4_T5_T6_T7_T9_mT8_P12ihipStream_tbDpT10_ENKUlT_T0_E_clISt17integral_constantIbLb1EES15_IbLb0EEEEDaS11_S12_EUlS11_E_NS1_11comp_targetILNS1_3genE5ELNS1_11target_archE942ELNS1_3gpuE9ELNS1_3repE0EEENS1_30default_config_static_selectorELNS0_4arch9wavefront6targetE0EEEvT1_
    .private_segment_fixed_size: 0
    .sgpr_count:     0
    .sgpr_spill_count: 0
    .symbol:         _ZN7rocprim17ROCPRIM_400000_NS6detail17trampoline_kernelINS0_14default_configENS1_25partition_config_selectorILNS1_17partition_subalgoE6EyNS0_10empty_typeEbEEZZNS1_14partition_implILS5_6ELb0ES3_mN6thrust23THRUST_200600_302600_NS6detail15normal_iteratorINSA_10device_ptrIyEEEEPS6_SG_NS0_5tupleIJSF_S6_EEENSH_IJSG_SG_EEES6_PlJ5mod_3IyEEEE10hipError_tPvRmT3_T4_T5_T6_T7_T9_mT8_P12ihipStream_tbDpT10_ENKUlT_T0_E_clISt17integral_constantIbLb1EES15_IbLb0EEEEDaS11_S12_EUlS11_E_NS1_11comp_targetILNS1_3genE5ELNS1_11target_archE942ELNS1_3gpuE9ELNS1_3repE0EEENS1_30default_config_static_selectorELNS0_4arch9wavefront6targetE0EEEvT1_.kd
    .uniform_work_group_size: 1
    .uses_dynamic_stack: false
    .vgpr_count:     0
    .vgpr_spill_count: 0
    .wavefront_size: 32
    .workgroup_processor_mode: 1
  - .args:
      - .offset:         0
        .size:           112
        .value_kind:     by_value
    .group_segment_fixed_size: 0
    .kernarg_segment_align: 8
    .kernarg_segment_size: 112
    .language:       OpenCL C
    .language_version:
      - 2
      - 0
    .max_flat_workgroup_size: 512
    .name:           _ZN7rocprim17ROCPRIM_400000_NS6detail17trampoline_kernelINS0_14default_configENS1_25partition_config_selectorILNS1_17partition_subalgoE6EyNS0_10empty_typeEbEEZZNS1_14partition_implILS5_6ELb0ES3_mN6thrust23THRUST_200600_302600_NS6detail15normal_iteratorINSA_10device_ptrIyEEEEPS6_SG_NS0_5tupleIJSF_S6_EEENSH_IJSG_SG_EEES6_PlJ5mod_3IyEEEE10hipError_tPvRmT3_T4_T5_T6_T7_T9_mT8_P12ihipStream_tbDpT10_ENKUlT_T0_E_clISt17integral_constantIbLb1EES15_IbLb0EEEEDaS11_S12_EUlS11_E_NS1_11comp_targetILNS1_3genE4ELNS1_11target_archE910ELNS1_3gpuE8ELNS1_3repE0EEENS1_30default_config_static_selectorELNS0_4arch9wavefront6targetE0EEEvT1_
    .private_segment_fixed_size: 0
    .sgpr_count:     0
    .sgpr_spill_count: 0
    .symbol:         _ZN7rocprim17ROCPRIM_400000_NS6detail17trampoline_kernelINS0_14default_configENS1_25partition_config_selectorILNS1_17partition_subalgoE6EyNS0_10empty_typeEbEEZZNS1_14partition_implILS5_6ELb0ES3_mN6thrust23THRUST_200600_302600_NS6detail15normal_iteratorINSA_10device_ptrIyEEEEPS6_SG_NS0_5tupleIJSF_S6_EEENSH_IJSG_SG_EEES6_PlJ5mod_3IyEEEE10hipError_tPvRmT3_T4_T5_T6_T7_T9_mT8_P12ihipStream_tbDpT10_ENKUlT_T0_E_clISt17integral_constantIbLb1EES15_IbLb0EEEEDaS11_S12_EUlS11_E_NS1_11comp_targetILNS1_3genE4ELNS1_11target_archE910ELNS1_3gpuE8ELNS1_3repE0EEENS1_30default_config_static_selectorELNS0_4arch9wavefront6targetE0EEEvT1_.kd
    .uniform_work_group_size: 1
    .uses_dynamic_stack: false
    .vgpr_count:     0
    .vgpr_spill_count: 0
    .wavefront_size: 32
    .workgroup_processor_mode: 1
  - .args:
      - .offset:         0
        .size:           112
        .value_kind:     by_value
    .group_segment_fixed_size: 0
    .kernarg_segment_align: 8
    .kernarg_segment_size: 112
    .language:       OpenCL C
    .language_version:
      - 2
      - 0
    .max_flat_workgroup_size: 128
    .name:           _ZN7rocprim17ROCPRIM_400000_NS6detail17trampoline_kernelINS0_14default_configENS1_25partition_config_selectorILNS1_17partition_subalgoE6EyNS0_10empty_typeEbEEZZNS1_14partition_implILS5_6ELb0ES3_mN6thrust23THRUST_200600_302600_NS6detail15normal_iteratorINSA_10device_ptrIyEEEEPS6_SG_NS0_5tupleIJSF_S6_EEENSH_IJSG_SG_EEES6_PlJ5mod_3IyEEEE10hipError_tPvRmT3_T4_T5_T6_T7_T9_mT8_P12ihipStream_tbDpT10_ENKUlT_T0_E_clISt17integral_constantIbLb1EES15_IbLb0EEEEDaS11_S12_EUlS11_E_NS1_11comp_targetILNS1_3genE3ELNS1_11target_archE908ELNS1_3gpuE7ELNS1_3repE0EEENS1_30default_config_static_selectorELNS0_4arch9wavefront6targetE0EEEvT1_
    .private_segment_fixed_size: 0
    .sgpr_count:     0
    .sgpr_spill_count: 0
    .symbol:         _ZN7rocprim17ROCPRIM_400000_NS6detail17trampoline_kernelINS0_14default_configENS1_25partition_config_selectorILNS1_17partition_subalgoE6EyNS0_10empty_typeEbEEZZNS1_14partition_implILS5_6ELb0ES3_mN6thrust23THRUST_200600_302600_NS6detail15normal_iteratorINSA_10device_ptrIyEEEEPS6_SG_NS0_5tupleIJSF_S6_EEENSH_IJSG_SG_EEES6_PlJ5mod_3IyEEEE10hipError_tPvRmT3_T4_T5_T6_T7_T9_mT8_P12ihipStream_tbDpT10_ENKUlT_T0_E_clISt17integral_constantIbLb1EES15_IbLb0EEEEDaS11_S12_EUlS11_E_NS1_11comp_targetILNS1_3genE3ELNS1_11target_archE908ELNS1_3gpuE7ELNS1_3repE0EEENS1_30default_config_static_selectorELNS0_4arch9wavefront6targetE0EEEvT1_.kd
    .uniform_work_group_size: 1
    .uses_dynamic_stack: false
    .vgpr_count:     0
    .vgpr_spill_count: 0
    .wavefront_size: 32
    .workgroup_processor_mode: 1
  - .args:
      - .offset:         0
        .size:           112
        .value_kind:     by_value
    .group_segment_fixed_size: 0
    .kernarg_segment_align: 8
    .kernarg_segment_size: 112
    .language:       OpenCL C
    .language_version:
      - 2
      - 0
    .max_flat_workgroup_size: 256
    .name:           _ZN7rocprim17ROCPRIM_400000_NS6detail17trampoline_kernelINS0_14default_configENS1_25partition_config_selectorILNS1_17partition_subalgoE6EyNS0_10empty_typeEbEEZZNS1_14partition_implILS5_6ELb0ES3_mN6thrust23THRUST_200600_302600_NS6detail15normal_iteratorINSA_10device_ptrIyEEEEPS6_SG_NS0_5tupleIJSF_S6_EEENSH_IJSG_SG_EEES6_PlJ5mod_3IyEEEE10hipError_tPvRmT3_T4_T5_T6_T7_T9_mT8_P12ihipStream_tbDpT10_ENKUlT_T0_E_clISt17integral_constantIbLb1EES15_IbLb0EEEEDaS11_S12_EUlS11_E_NS1_11comp_targetILNS1_3genE2ELNS1_11target_archE906ELNS1_3gpuE6ELNS1_3repE0EEENS1_30default_config_static_selectorELNS0_4arch9wavefront6targetE0EEEvT1_
    .private_segment_fixed_size: 0
    .sgpr_count:     0
    .sgpr_spill_count: 0
    .symbol:         _ZN7rocprim17ROCPRIM_400000_NS6detail17trampoline_kernelINS0_14default_configENS1_25partition_config_selectorILNS1_17partition_subalgoE6EyNS0_10empty_typeEbEEZZNS1_14partition_implILS5_6ELb0ES3_mN6thrust23THRUST_200600_302600_NS6detail15normal_iteratorINSA_10device_ptrIyEEEEPS6_SG_NS0_5tupleIJSF_S6_EEENSH_IJSG_SG_EEES6_PlJ5mod_3IyEEEE10hipError_tPvRmT3_T4_T5_T6_T7_T9_mT8_P12ihipStream_tbDpT10_ENKUlT_T0_E_clISt17integral_constantIbLb1EES15_IbLb0EEEEDaS11_S12_EUlS11_E_NS1_11comp_targetILNS1_3genE2ELNS1_11target_archE906ELNS1_3gpuE6ELNS1_3repE0EEENS1_30default_config_static_selectorELNS0_4arch9wavefront6targetE0EEEvT1_.kd
    .uniform_work_group_size: 1
    .uses_dynamic_stack: false
    .vgpr_count:     0
    .vgpr_spill_count: 0
    .wavefront_size: 32
    .workgroup_processor_mode: 1
  - .args:
      - .offset:         0
        .size:           112
        .value_kind:     by_value
    .group_segment_fixed_size: 0
    .kernarg_segment_align: 8
    .kernarg_segment_size: 112
    .language:       OpenCL C
    .language_version:
      - 2
      - 0
    .max_flat_workgroup_size: 256
    .name:           _ZN7rocprim17ROCPRIM_400000_NS6detail17trampoline_kernelINS0_14default_configENS1_25partition_config_selectorILNS1_17partition_subalgoE6EyNS0_10empty_typeEbEEZZNS1_14partition_implILS5_6ELb0ES3_mN6thrust23THRUST_200600_302600_NS6detail15normal_iteratorINSA_10device_ptrIyEEEEPS6_SG_NS0_5tupleIJSF_S6_EEENSH_IJSG_SG_EEES6_PlJ5mod_3IyEEEE10hipError_tPvRmT3_T4_T5_T6_T7_T9_mT8_P12ihipStream_tbDpT10_ENKUlT_T0_E_clISt17integral_constantIbLb1EES15_IbLb0EEEEDaS11_S12_EUlS11_E_NS1_11comp_targetILNS1_3genE10ELNS1_11target_archE1200ELNS1_3gpuE4ELNS1_3repE0EEENS1_30default_config_static_selectorELNS0_4arch9wavefront6targetE0EEEvT1_
    .private_segment_fixed_size: 0
    .sgpr_count:     0
    .sgpr_spill_count: 0
    .symbol:         _ZN7rocprim17ROCPRIM_400000_NS6detail17trampoline_kernelINS0_14default_configENS1_25partition_config_selectorILNS1_17partition_subalgoE6EyNS0_10empty_typeEbEEZZNS1_14partition_implILS5_6ELb0ES3_mN6thrust23THRUST_200600_302600_NS6detail15normal_iteratorINSA_10device_ptrIyEEEEPS6_SG_NS0_5tupleIJSF_S6_EEENSH_IJSG_SG_EEES6_PlJ5mod_3IyEEEE10hipError_tPvRmT3_T4_T5_T6_T7_T9_mT8_P12ihipStream_tbDpT10_ENKUlT_T0_E_clISt17integral_constantIbLb1EES15_IbLb0EEEEDaS11_S12_EUlS11_E_NS1_11comp_targetILNS1_3genE10ELNS1_11target_archE1200ELNS1_3gpuE4ELNS1_3repE0EEENS1_30default_config_static_selectorELNS0_4arch9wavefront6targetE0EEEvT1_.kd
    .uniform_work_group_size: 1
    .uses_dynamic_stack: false
    .vgpr_count:     0
    .vgpr_spill_count: 0
    .wavefront_size: 32
    .workgroup_processor_mode: 1
  - .args:
      - .offset:         0
        .size:           112
        .value_kind:     by_value
    .group_segment_fixed_size: 18448
    .kernarg_segment_align: 8
    .kernarg_segment_size: 112
    .language:       OpenCL C
    .language_version:
      - 2
      - 0
    .max_flat_workgroup_size: 384
    .name:           _ZN7rocprim17ROCPRIM_400000_NS6detail17trampoline_kernelINS0_14default_configENS1_25partition_config_selectorILNS1_17partition_subalgoE6EyNS0_10empty_typeEbEEZZNS1_14partition_implILS5_6ELb0ES3_mN6thrust23THRUST_200600_302600_NS6detail15normal_iteratorINSA_10device_ptrIyEEEEPS6_SG_NS0_5tupleIJSF_S6_EEENSH_IJSG_SG_EEES6_PlJ5mod_3IyEEEE10hipError_tPvRmT3_T4_T5_T6_T7_T9_mT8_P12ihipStream_tbDpT10_ENKUlT_T0_E_clISt17integral_constantIbLb1EES15_IbLb0EEEEDaS11_S12_EUlS11_E_NS1_11comp_targetILNS1_3genE9ELNS1_11target_archE1100ELNS1_3gpuE3ELNS1_3repE0EEENS1_30default_config_static_selectorELNS0_4arch9wavefront6targetE0EEEvT1_
    .private_segment_fixed_size: 0
    .sgpr_count:     21
    .sgpr_spill_count: 0
    .symbol:         _ZN7rocprim17ROCPRIM_400000_NS6detail17trampoline_kernelINS0_14default_configENS1_25partition_config_selectorILNS1_17partition_subalgoE6EyNS0_10empty_typeEbEEZZNS1_14partition_implILS5_6ELb0ES3_mN6thrust23THRUST_200600_302600_NS6detail15normal_iteratorINSA_10device_ptrIyEEEEPS6_SG_NS0_5tupleIJSF_S6_EEENSH_IJSG_SG_EEES6_PlJ5mod_3IyEEEE10hipError_tPvRmT3_T4_T5_T6_T7_T9_mT8_P12ihipStream_tbDpT10_ENKUlT_T0_E_clISt17integral_constantIbLb1EES15_IbLb0EEEEDaS11_S12_EUlS11_E_NS1_11comp_targetILNS1_3genE9ELNS1_11target_archE1100ELNS1_3gpuE3ELNS1_3repE0EEENS1_30default_config_static_selectorELNS0_4arch9wavefront6targetE0EEEvT1_.kd
    .uniform_work_group_size: 1
    .uses_dynamic_stack: false
    .vgpr_count:     54
    .vgpr_spill_count: 0
    .wavefront_size: 32
    .workgroup_processor_mode: 1
  - .args:
      - .offset:         0
        .size:           112
        .value_kind:     by_value
    .group_segment_fixed_size: 0
    .kernarg_segment_align: 8
    .kernarg_segment_size: 112
    .language:       OpenCL C
    .language_version:
      - 2
      - 0
    .max_flat_workgroup_size: 512
    .name:           _ZN7rocprim17ROCPRIM_400000_NS6detail17trampoline_kernelINS0_14default_configENS1_25partition_config_selectorILNS1_17partition_subalgoE6EyNS0_10empty_typeEbEEZZNS1_14partition_implILS5_6ELb0ES3_mN6thrust23THRUST_200600_302600_NS6detail15normal_iteratorINSA_10device_ptrIyEEEEPS6_SG_NS0_5tupleIJSF_S6_EEENSH_IJSG_SG_EEES6_PlJ5mod_3IyEEEE10hipError_tPvRmT3_T4_T5_T6_T7_T9_mT8_P12ihipStream_tbDpT10_ENKUlT_T0_E_clISt17integral_constantIbLb1EES15_IbLb0EEEEDaS11_S12_EUlS11_E_NS1_11comp_targetILNS1_3genE8ELNS1_11target_archE1030ELNS1_3gpuE2ELNS1_3repE0EEENS1_30default_config_static_selectorELNS0_4arch9wavefront6targetE0EEEvT1_
    .private_segment_fixed_size: 0
    .sgpr_count:     0
    .sgpr_spill_count: 0
    .symbol:         _ZN7rocprim17ROCPRIM_400000_NS6detail17trampoline_kernelINS0_14default_configENS1_25partition_config_selectorILNS1_17partition_subalgoE6EyNS0_10empty_typeEbEEZZNS1_14partition_implILS5_6ELb0ES3_mN6thrust23THRUST_200600_302600_NS6detail15normal_iteratorINSA_10device_ptrIyEEEEPS6_SG_NS0_5tupleIJSF_S6_EEENSH_IJSG_SG_EEES6_PlJ5mod_3IyEEEE10hipError_tPvRmT3_T4_T5_T6_T7_T9_mT8_P12ihipStream_tbDpT10_ENKUlT_T0_E_clISt17integral_constantIbLb1EES15_IbLb0EEEEDaS11_S12_EUlS11_E_NS1_11comp_targetILNS1_3genE8ELNS1_11target_archE1030ELNS1_3gpuE2ELNS1_3repE0EEENS1_30default_config_static_selectorELNS0_4arch9wavefront6targetE0EEEvT1_.kd
    .uniform_work_group_size: 1
    .uses_dynamic_stack: false
    .vgpr_count:     0
    .vgpr_spill_count: 0
    .wavefront_size: 32
    .workgroup_processor_mode: 1
  - .args:
      - .offset:         0
        .size:           128
        .value_kind:     by_value
    .group_segment_fixed_size: 0
    .kernarg_segment_align: 8
    .kernarg_segment_size: 128
    .language:       OpenCL C
    .language_version:
      - 2
      - 0
    .max_flat_workgroup_size: 128
    .name:           _ZN7rocprim17ROCPRIM_400000_NS6detail17trampoline_kernelINS0_14default_configENS1_25partition_config_selectorILNS1_17partition_subalgoE6EyNS0_10empty_typeEbEEZZNS1_14partition_implILS5_6ELb0ES3_mN6thrust23THRUST_200600_302600_NS6detail15normal_iteratorINSA_10device_ptrIyEEEEPS6_SG_NS0_5tupleIJSF_S6_EEENSH_IJSG_SG_EEES6_PlJ5mod_3IyEEEE10hipError_tPvRmT3_T4_T5_T6_T7_T9_mT8_P12ihipStream_tbDpT10_ENKUlT_T0_E_clISt17integral_constantIbLb0EES15_IbLb1EEEEDaS11_S12_EUlS11_E_NS1_11comp_targetILNS1_3genE0ELNS1_11target_archE4294967295ELNS1_3gpuE0ELNS1_3repE0EEENS1_30default_config_static_selectorELNS0_4arch9wavefront6targetE0EEEvT1_
    .private_segment_fixed_size: 0
    .sgpr_count:     0
    .sgpr_spill_count: 0
    .symbol:         _ZN7rocprim17ROCPRIM_400000_NS6detail17trampoline_kernelINS0_14default_configENS1_25partition_config_selectorILNS1_17partition_subalgoE6EyNS0_10empty_typeEbEEZZNS1_14partition_implILS5_6ELb0ES3_mN6thrust23THRUST_200600_302600_NS6detail15normal_iteratorINSA_10device_ptrIyEEEEPS6_SG_NS0_5tupleIJSF_S6_EEENSH_IJSG_SG_EEES6_PlJ5mod_3IyEEEE10hipError_tPvRmT3_T4_T5_T6_T7_T9_mT8_P12ihipStream_tbDpT10_ENKUlT_T0_E_clISt17integral_constantIbLb0EES15_IbLb1EEEEDaS11_S12_EUlS11_E_NS1_11comp_targetILNS1_3genE0ELNS1_11target_archE4294967295ELNS1_3gpuE0ELNS1_3repE0EEENS1_30default_config_static_selectorELNS0_4arch9wavefront6targetE0EEEvT1_.kd
    .uniform_work_group_size: 1
    .uses_dynamic_stack: false
    .vgpr_count:     0
    .vgpr_spill_count: 0
    .wavefront_size: 32
    .workgroup_processor_mode: 1
  - .args:
      - .offset:         0
        .size:           128
        .value_kind:     by_value
    .group_segment_fixed_size: 0
    .kernarg_segment_align: 8
    .kernarg_segment_size: 128
    .language:       OpenCL C
    .language_version:
      - 2
      - 0
    .max_flat_workgroup_size: 512
    .name:           _ZN7rocprim17ROCPRIM_400000_NS6detail17trampoline_kernelINS0_14default_configENS1_25partition_config_selectorILNS1_17partition_subalgoE6EyNS0_10empty_typeEbEEZZNS1_14partition_implILS5_6ELb0ES3_mN6thrust23THRUST_200600_302600_NS6detail15normal_iteratorINSA_10device_ptrIyEEEEPS6_SG_NS0_5tupleIJSF_S6_EEENSH_IJSG_SG_EEES6_PlJ5mod_3IyEEEE10hipError_tPvRmT3_T4_T5_T6_T7_T9_mT8_P12ihipStream_tbDpT10_ENKUlT_T0_E_clISt17integral_constantIbLb0EES15_IbLb1EEEEDaS11_S12_EUlS11_E_NS1_11comp_targetILNS1_3genE5ELNS1_11target_archE942ELNS1_3gpuE9ELNS1_3repE0EEENS1_30default_config_static_selectorELNS0_4arch9wavefront6targetE0EEEvT1_
    .private_segment_fixed_size: 0
    .sgpr_count:     0
    .sgpr_spill_count: 0
    .symbol:         _ZN7rocprim17ROCPRIM_400000_NS6detail17trampoline_kernelINS0_14default_configENS1_25partition_config_selectorILNS1_17partition_subalgoE6EyNS0_10empty_typeEbEEZZNS1_14partition_implILS5_6ELb0ES3_mN6thrust23THRUST_200600_302600_NS6detail15normal_iteratorINSA_10device_ptrIyEEEEPS6_SG_NS0_5tupleIJSF_S6_EEENSH_IJSG_SG_EEES6_PlJ5mod_3IyEEEE10hipError_tPvRmT3_T4_T5_T6_T7_T9_mT8_P12ihipStream_tbDpT10_ENKUlT_T0_E_clISt17integral_constantIbLb0EES15_IbLb1EEEEDaS11_S12_EUlS11_E_NS1_11comp_targetILNS1_3genE5ELNS1_11target_archE942ELNS1_3gpuE9ELNS1_3repE0EEENS1_30default_config_static_selectorELNS0_4arch9wavefront6targetE0EEEvT1_.kd
    .uniform_work_group_size: 1
    .uses_dynamic_stack: false
    .vgpr_count:     0
    .vgpr_spill_count: 0
    .wavefront_size: 32
    .workgroup_processor_mode: 1
  - .args:
      - .offset:         0
        .size:           128
        .value_kind:     by_value
    .group_segment_fixed_size: 0
    .kernarg_segment_align: 8
    .kernarg_segment_size: 128
    .language:       OpenCL C
    .language_version:
      - 2
      - 0
    .max_flat_workgroup_size: 512
    .name:           _ZN7rocprim17ROCPRIM_400000_NS6detail17trampoline_kernelINS0_14default_configENS1_25partition_config_selectorILNS1_17partition_subalgoE6EyNS0_10empty_typeEbEEZZNS1_14partition_implILS5_6ELb0ES3_mN6thrust23THRUST_200600_302600_NS6detail15normal_iteratorINSA_10device_ptrIyEEEEPS6_SG_NS0_5tupleIJSF_S6_EEENSH_IJSG_SG_EEES6_PlJ5mod_3IyEEEE10hipError_tPvRmT3_T4_T5_T6_T7_T9_mT8_P12ihipStream_tbDpT10_ENKUlT_T0_E_clISt17integral_constantIbLb0EES15_IbLb1EEEEDaS11_S12_EUlS11_E_NS1_11comp_targetILNS1_3genE4ELNS1_11target_archE910ELNS1_3gpuE8ELNS1_3repE0EEENS1_30default_config_static_selectorELNS0_4arch9wavefront6targetE0EEEvT1_
    .private_segment_fixed_size: 0
    .sgpr_count:     0
    .sgpr_spill_count: 0
    .symbol:         _ZN7rocprim17ROCPRIM_400000_NS6detail17trampoline_kernelINS0_14default_configENS1_25partition_config_selectorILNS1_17partition_subalgoE6EyNS0_10empty_typeEbEEZZNS1_14partition_implILS5_6ELb0ES3_mN6thrust23THRUST_200600_302600_NS6detail15normal_iteratorINSA_10device_ptrIyEEEEPS6_SG_NS0_5tupleIJSF_S6_EEENSH_IJSG_SG_EEES6_PlJ5mod_3IyEEEE10hipError_tPvRmT3_T4_T5_T6_T7_T9_mT8_P12ihipStream_tbDpT10_ENKUlT_T0_E_clISt17integral_constantIbLb0EES15_IbLb1EEEEDaS11_S12_EUlS11_E_NS1_11comp_targetILNS1_3genE4ELNS1_11target_archE910ELNS1_3gpuE8ELNS1_3repE0EEENS1_30default_config_static_selectorELNS0_4arch9wavefront6targetE0EEEvT1_.kd
    .uniform_work_group_size: 1
    .uses_dynamic_stack: false
    .vgpr_count:     0
    .vgpr_spill_count: 0
    .wavefront_size: 32
    .workgroup_processor_mode: 1
  - .args:
      - .offset:         0
        .size:           128
        .value_kind:     by_value
    .group_segment_fixed_size: 0
    .kernarg_segment_align: 8
    .kernarg_segment_size: 128
    .language:       OpenCL C
    .language_version:
      - 2
      - 0
    .max_flat_workgroup_size: 128
    .name:           _ZN7rocprim17ROCPRIM_400000_NS6detail17trampoline_kernelINS0_14default_configENS1_25partition_config_selectorILNS1_17partition_subalgoE6EyNS0_10empty_typeEbEEZZNS1_14partition_implILS5_6ELb0ES3_mN6thrust23THRUST_200600_302600_NS6detail15normal_iteratorINSA_10device_ptrIyEEEEPS6_SG_NS0_5tupleIJSF_S6_EEENSH_IJSG_SG_EEES6_PlJ5mod_3IyEEEE10hipError_tPvRmT3_T4_T5_T6_T7_T9_mT8_P12ihipStream_tbDpT10_ENKUlT_T0_E_clISt17integral_constantIbLb0EES15_IbLb1EEEEDaS11_S12_EUlS11_E_NS1_11comp_targetILNS1_3genE3ELNS1_11target_archE908ELNS1_3gpuE7ELNS1_3repE0EEENS1_30default_config_static_selectorELNS0_4arch9wavefront6targetE0EEEvT1_
    .private_segment_fixed_size: 0
    .sgpr_count:     0
    .sgpr_spill_count: 0
    .symbol:         _ZN7rocprim17ROCPRIM_400000_NS6detail17trampoline_kernelINS0_14default_configENS1_25partition_config_selectorILNS1_17partition_subalgoE6EyNS0_10empty_typeEbEEZZNS1_14partition_implILS5_6ELb0ES3_mN6thrust23THRUST_200600_302600_NS6detail15normal_iteratorINSA_10device_ptrIyEEEEPS6_SG_NS0_5tupleIJSF_S6_EEENSH_IJSG_SG_EEES6_PlJ5mod_3IyEEEE10hipError_tPvRmT3_T4_T5_T6_T7_T9_mT8_P12ihipStream_tbDpT10_ENKUlT_T0_E_clISt17integral_constantIbLb0EES15_IbLb1EEEEDaS11_S12_EUlS11_E_NS1_11comp_targetILNS1_3genE3ELNS1_11target_archE908ELNS1_3gpuE7ELNS1_3repE0EEENS1_30default_config_static_selectorELNS0_4arch9wavefront6targetE0EEEvT1_.kd
    .uniform_work_group_size: 1
    .uses_dynamic_stack: false
    .vgpr_count:     0
    .vgpr_spill_count: 0
    .wavefront_size: 32
    .workgroup_processor_mode: 1
  - .args:
      - .offset:         0
        .size:           128
        .value_kind:     by_value
    .group_segment_fixed_size: 0
    .kernarg_segment_align: 8
    .kernarg_segment_size: 128
    .language:       OpenCL C
    .language_version:
      - 2
      - 0
    .max_flat_workgroup_size: 256
    .name:           _ZN7rocprim17ROCPRIM_400000_NS6detail17trampoline_kernelINS0_14default_configENS1_25partition_config_selectorILNS1_17partition_subalgoE6EyNS0_10empty_typeEbEEZZNS1_14partition_implILS5_6ELb0ES3_mN6thrust23THRUST_200600_302600_NS6detail15normal_iteratorINSA_10device_ptrIyEEEEPS6_SG_NS0_5tupleIJSF_S6_EEENSH_IJSG_SG_EEES6_PlJ5mod_3IyEEEE10hipError_tPvRmT3_T4_T5_T6_T7_T9_mT8_P12ihipStream_tbDpT10_ENKUlT_T0_E_clISt17integral_constantIbLb0EES15_IbLb1EEEEDaS11_S12_EUlS11_E_NS1_11comp_targetILNS1_3genE2ELNS1_11target_archE906ELNS1_3gpuE6ELNS1_3repE0EEENS1_30default_config_static_selectorELNS0_4arch9wavefront6targetE0EEEvT1_
    .private_segment_fixed_size: 0
    .sgpr_count:     0
    .sgpr_spill_count: 0
    .symbol:         _ZN7rocprim17ROCPRIM_400000_NS6detail17trampoline_kernelINS0_14default_configENS1_25partition_config_selectorILNS1_17partition_subalgoE6EyNS0_10empty_typeEbEEZZNS1_14partition_implILS5_6ELb0ES3_mN6thrust23THRUST_200600_302600_NS6detail15normal_iteratorINSA_10device_ptrIyEEEEPS6_SG_NS0_5tupleIJSF_S6_EEENSH_IJSG_SG_EEES6_PlJ5mod_3IyEEEE10hipError_tPvRmT3_T4_T5_T6_T7_T9_mT8_P12ihipStream_tbDpT10_ENKUlT_T0_E_clISt17integral_constantIbLb0EES15_IbLb1EEEEDaS11_S12_EUlS11_E_NS1_11comp_targetILNS1_3genE2ELNS1_11target_archE906ELNS1_3gpuE6ELNS1_3repE0EEENS1_30default_config_static_selectorELNS0_4arch9wavefront6targetE0EEEvT1_.kd
    .uniform_work_group_size: 1
    .uses_dynamic_stack: false
    .vgpr_count:     0
    .vgpr_spill_count: 0
    .wavefront_size: 32
    .workgroup_processor_mode: 1
  - .args:
      - .offset:         0
        .size:           128
        .value_kind:     by_value
    .group_segment_fixed_size: 0
    .kernarg_segment_align: 8
    .kernarg_segment_size: 128
    .language:       OpenCL C
    .language_version:
      - 2
      - 0
    .max_flat_workgroup_size: 256
    .name:           _ZN7rocprim17ROCPRIM_400000_NS6detail17trampoline_kernelINS0_14default_configENS1_25partition_config_selectorILNS1_17partition_subalgoE6EyNS0_10empty_typeEbEEZZNS1_14partition_implILS5_6ELb0ES3_mN6thrust23THRUST_200600_302600_NS6detail15normal_iteratorINSA_10device_ptrIyEEEEPS6_SG_NS0_5tupleIJSF_S6_EEENSH_IJSG_SG_EEES6_PlJ5mod_3IyEEEE10hipError_tPvRmT3_T4_T5_T6_T7_T9_mT8_P12ihipStream_tbDpT10_ENKUlT_T0_E_clISt17integral_constantIbLb0EES15_IbLb1EEEEDaS11_S12_EUlS11_E_NS1_11comp_targetILNS1_3genE10ELNS1_11target_archE1200ELNS1_3gpuE4ELNS1_3repE0EEENS1_30default_config_static_selectorELNS0_4arch9wavefront6targetE0EEEvT1_
    .private_segment_fixed_size: 0
    .sgpr_count:     0
    .sgpr_spill_count: 0
    .symbol:         _ZN7rocprim17ROCPRIM_400000_NS6detail17trampoline_kernelINS0_14default_configENS1_25partition_config_selectorILNS1_17partition_subalgoE6EyNS0_10empty_typeEbEEZZNS1_14partition_implILS5_6ELb0ES3_mN6thrust23THRUST_200600_302600_NS6detail15normal_iteratorINSA_10device_ptrIyEEEEPS6_SG_NS0_5tupleIJSF_S6_EEENSH_IJSG_SG_EEES6_PlJ5mod_3IyEEEE10hipError_tPvRmT3_T4_T5_T6_T7_T9_mT8_P12ihipStream_tbDpT10_ENKUlT_T0_E_clISt17integral_constantIbLb0EES15_IbLb1EEEEDaS11_S12_EUlS11_E_NS1_11comp_targetILNS1_3genE10ELNS1_11target_archE1200ELNS1_3gpuE4ELNS1_3repE0EEENS1_30default_config_static_selectorELNS0_4arch9wavefront6targetE0EEEvT1_.kd
    .uniform_work_group_size: 1
    .uses_dynamic_stack: false
    .vgpr_count:     0
    .vgpr_spill_count: 0
    .wavefront_size: 32
    .workgroup_processor_mode: 1
  - .args:
      - .offset:         0
        .size:           128
        .value_kind:     by_value
    .group_segment_fixed_size: 18448
    .kernarg_segment_align: 8
    .kernarg_segment_size: 128
    .language:       OpenCL C
    .language_version:
      - 2
      - 0
    .max_flat_workgroup_size: 384
    .name:           _ZN7rocprim17ROCPRIM_400000_NS6detail17trampoline_kernelINS0_14default_configENS1_25partition_config_selectorILNS1_17partition_subalgoE6EyNS0_10empty_typeEbEEZZNS1_14partition_implILS5_6ELb0ES3_mN6thrust23THRUST_200600_302600_NS6detail15normal_iteratorINSA_10device_ptrIyEEEEPS6_SG_NS0_5tupleIJSF_S6_EEENSH_IJSG_SG_EEES6_PlJ5mod_3IyEEEE10hipError_tPvRmT3_T4_T5_T6_T7_T9_mT8_P12ihipStream_tbDpT10_ENKUlT_T0_E_clISt17integral_constantIbLb0EES15_IbLb1EEEEDaS11_S12_EUlS11_E_NS1_11comp_targetILNS1_3genE9ELNS1_11target_archE1100ELNS1_3gpuE3ELNS1_3repE0EEENS1_30default_config_static_selectorELNS0_4arch9wavefront6targetE0EEEvT1_
    .private_segment_fixed_size: 0
    .sgpr_count:     20
    .sgpr_spill_count: 0
    .symbol:         _ZN7rocprim17ROCPRIM_400000_NS6detail17trampoline_kernelINS0_14default_configENS1_25partition_config_selectorILNS1_17partition_subalgoE6EyNS0_10empty_typeEbEEZZNS1_14partition_implILS5_6ELb0ES3_mN6thrust23THRUST_200600_302600_NS6detail15normal_iteratorINSA_10device_ptrIyEEEEPS6_SG_NS0_5tupleIJSF_S6_EEENSH_IJSG_SG_EEES6_PlJ5mod_3IyEEEE10hipError_tPvRmT3_T4_T5_T6_T7_T9_mT8_P12ihipStream_tbDpT10_ENKUlT_T0_E_clISt17integral_constantIbLb0EES15_IbLb1EEEEDaS11_S12_EUlS11_E_NS1_11comp_targetILNS1_3genE9ELNS1_11target_archE1100ELNS1_3gpuE3ELNS1_3repE0EEENS1_30default_config_static_selectorELNS0_4arch9wavefront6targetE0EEEvT1_.kd
    .uniform_work_group_size: 1
    .uses_dynamic_stack: false
    .vgpr_count:     56
    .vgpr_spill_count: 0
    .wavefront_size: 32
    .workgroup_processor_mode: 1
  - .args:
      - .offset:         0
        .size:           128
        .value_kind:     by_value
    .group_segment_fixed_size: 0
    .kernarg_segment_align: 8
    .kernarg_segment_size: 128
    .language:       OpenCL C
    .language_version:
      - 2
      - 0
    .max_flat_workgroup_size: 512
    .name:           _ZN7rocprim17ROCPRIM_400000_NS6detail17trampoline_kernelINS0_14default_configENS1_25partition_config_selectorILNS1_17partition_subalgoE6EyNS0_10empty_typeEbEEZZNS1_14partition_implILS5_6ELb0ES3_mN6thrust23THRUST_200600_302600_NS6detail15normal_iteratorINSA_10device_ptrIyEEEEPS6_SG_NS0_5tupleIJSF_S6_EEENSH_IJSG_SG_EEES6_PlJ5mod_3IyEEEE10hipError_tPvRmT3_T4_T5_T6_T7_T9_mT8_P12ihipStream_tbDpT10_ENKUlT_T0_E_clISt17integral_constantIbLb0EES15_IbLb1EEEEDaS11_S12_EUlS11_E_NS1_11comp_targetILNS1_3genE8ELNS1_11target_archE1030ELNS1_3gpuE2ELNS1_3repE0EEENS1_30default_config_static_selectorELNS0_4arch9wavefront6targetE0EEEvT1_
    .private_segment_fixed_size: 0
    .sgpr_count:     0
    .sgpr_spill_count: 0
    .symbol:         _ZN7rocprim17ROCPRIM_400000_NS6detail17trampoline_kernelINS0_14default_configENS1_25partition_config_selectorILNS1_17partition_subalgoE6EyNS0_10empty_typeEbEEZZNS1_14partition_implILS5_6ELb0ES3_mN6thrust23THRUST_200600_302600_NS6detail15normal_iteratorINSA_10device_ptrIyEEEEPS6_SG_NS0_5tupleIJSF_S6_EEENSH_IJSG_SG_EEES6_PlJ5mod_3IyEEEE10hipError_tPvRmT3_T4_T5_T6_T7_T9_mT8_P12ihipStream_tbDpT10_ENKUlT_T0_E_clISt17integral_constantIbLb0EES15_IbLb1EEEEDaS11_S12_EUlS11_E_NS1_11comp_targetILNS1_3genE8ELNS1_11target_archE1030ELNS1_3gpuE2ELNS1_3repE0EEENS1_30default_config_static_selectorELNS0_4arch9wavefront6targetE0EEEvT1_.kd
    .uniform_work_group_size: 1
    .uses_dynamic_stack: false
    .vgpr_count:     0
    .vgpr_spill_count: 0
    .wavefront_size: 32
    .workgroup_processor_mode: 1
  - .args:
      - .offset:         0
        .size:           112
        .value_kind:     by_value
    .group_segment_fixed_size: 0
    .kernarg_segment_align: 8
    .kernarg_segment_size: 112
    .language:       OpenCL C
    .language_version:
      - 2
      - 0
    .max_flat_workgroup_size: 256
    .name:           _ZN7rocprim17ROCPRIM_400000_NS6detail17trampoline_kernelINS0_14default_configENS1_25partition_config_selectorILNS1_17partition_subalgoE6EjNS0_10empty_typeEbEEZZNS1_14partition_implILS5_6ELb0ES3_mN6thrust23THRUST_200600_302600_NS6detail15normal_iteratorINSA_10device_ptrIjEEEEPS6_SG_NS0_5tupleIJSF_S6_EEENSH_IJSG_SG_EEES6_PlJ5mod_3IjEEEE10hipError_tPvRmT3_T4_T5_T6_T7_T9_mT8_P12ihipStream_tbDpT10_ENKUlT_T0_E_clISt17integral_constantIbLb0EES16_EEDaS11_S12_EUlS11_E_NS1_11comp_targetILNS1_3genE0ELNS1_11target_archE4294967295ELNS1_3gpuE0ELNS1_3repE0EEENS1_30default_config_static_selectorELNS0_4arch9wavefront6targetE0EEEvT1_
    .private_segment_fixed_size: 0
    .sgpr_count:     0
    .sgpr_spill_count: 0
    .symbol:         _ZN7rocprim17ROCPRIM_400000_NS6detail17trampoline_kernelINS0_14default_configENS1_25partition_config_selectorILNS1_17partition_subalgoE6EjNS0_10empty_typeEbEEZZNS1_14partition_implILS5_6ELb0ES3_mN6thrust23THRUST_200600_302600_NS6detail15normal_iteratorINSA_10device_ptrIjEEEEPS6_SG_NS0_5tupleIJSF_S6_EEENSH_IJSG_SG_EEES6_PlJ5mod_3IjEEEE10hipError_tPvRmT3_T4_T5_T6_T7_T9_mT8_P12ihipStream_tbDpT10_ENKUlT_T0_E_clISt17integral_constantIbLb0EES16_EEDaS11_S12_EUlS11_E_NS1_11comp_targetILNS1_3genE0ELNS1_11target_archE4294967295ELNS1_3gpuE0ELNS1_3repE0EEENS1_30default_config_static_selectorELNS0_4arch9wavefront6targetE0EEEvT1_.kd
    .uniform_work_group_size: 1
    .uses_dynamic_stack: false
    .vgpr_count:     0
    .vgpr_spill_count: 0
    .wavefront_size: 32
    .workgroup_processor_mode: 1
  - .args:
      - .offset:         0
        .size:           112
        .value_kind:     by_value
    .group_segment_fixed_size: 0
    .kernarg_segment_align: 8
    .kernarg_segment_size: 112
    .language:       OpenCL C
    .language_version:
      - 2
      - 0
    .max_flat_workgroup_size: 512
    .name:           _ZN7rocprim17ROCPRIM_400000_NS6detail17trampoline_kernelINS0_14default_configENS1_25partition_config_selectorILNS1_17partition_subalgoE6EjNS0_10empty_typeEbEEZZNS1_14partition_implILS5_6ELb0ES3_mN6thrust23THRUST_200600_302600_NS6detail15normal_iteratorINSA_10device_ptrIjEEEEPS6_SG_NS0_5tupleIJSF_S6_EEENSH_IJSG_SG_EEES6_PlJ5mod_3IjEEEE10hipError_tPvRmT3_T4_T5_T6_T7_T9_mT8_P12ihipStream_tbDpT10_ENKUlT_T0_E_clISt17integral_constantIbLb0EES16_EEDaS11_S12_EUlS11_E_NS1_11comp_targetILNS1_3genE5ELNS1_11target_archE942ELNS1_3gpuE9ELNS1_3repE0EEENS1_30default_config_static_selectorELNS0_4arch9wavefront6targetE0EEEvT1_
    .private_segment_fixed_size: 0
    .sgpr_count:     0
    .sgpr_spill_count: 0
    .symbol:         _ZN7rocprim17ROCPRIM_400000_NS6detail17trampoline_kernelINS0_14default_configENS1_25partition_config_selectorILNS1_17partition_subalgoE6EjNS0_10empty_typeEbEEZZNS1_14partition_implILS5_6ELb0ES3_mN6thrust23THRUST_200600_302600_NS6detail15normal_iteratorINSA_10device_ptrIjEEEEPS6_SG_NS0_5tupleIJSF_S6_EEENSH_IJSG_SG_EEES6_PlJ5mod_3IjEEEE10hipError_tPvRmT3_T4_T5_T6_T7_T9_mT8_P12ihipStream_tbDpT10_ENKUlT_T0_E_clISt17integral_constantIbLb0EES16_EEDaS11_S12_EUlS11_E_NS1_11comp_targetILNS1_3genE5ELNS1_11target_archE942ELNS1_3gpuE9ELNS1_3repE0EEENS1_30default_config_static_selectorELNS0_4arch9wavefront6targetE0EEEvT1_.kd
    .uniform_work_group_size: 1
    .uses_dynamic_stack: false
    .vgpr_count:     0
    .vgpr_spill_count: 0
    .wavefront_size: 32
    .workgroup_processor_mode: 1
  - .args:
      - .offset:         0
        .size:           112
        .value_kind:     by_value
    .group_segment_fixed_size: 0
    .kernarg_segment_align: 8
    .kernarg_segment_size: 112
    .language:       OpenCL C
    .language_version:
      - 2
      - 0
    .max_flat_workgroup_size: 512
    .name:           _ZN7rocprim17ROCPRIM_400000_NS6detail17trampoline_kernelINS0_14default_configENS1_25partition_config_selectorILNS1_17partition_subalgoE6EjNS0_10empty_typeEbEEZZNS1_14partition_implILS5_6ELb0ES3_mN6thrust23THRUST_200600_302600_NS6detail15normal_iteratorINSA_10device_ptrIjEEEEPS6_SG_NS0_5tupleIJSF_S6_EEENSH_IJSG_SG_EEES6_PlJ5mod_3IjEEEE10hipError_tPvRmT3_T4_T5_T6_T7_T9_mT8_P12ihipStream_tbDpT10_ENKUlT_T0_E_clISt17integral_constantIbLb0EES16_EEDaS11_S12_EUlS11_E_NS1_11comp_targetILNS1_3genE4ELNS1_11target_archE910ELNS1_3gpuE8ELNS1_3repE0EEENS1_30default_config_static_selectorELNS0_4arch9wavefront6targetE0EEEvT1_
    .private_segment_fixed_size: 0
    .sgpr_count:     0
    .sgpr_spill_count: 0
    .symbol:         _ZN7rocprim17ROCPRIM_400000_NS6detail17trampoline_kernelINS0_14default_configENS1_25partition_config_selectorILNS1_17partition_subalgoE6EjNS0_10empty_typeEbEEZZNS1_14partition_implILS5_6ELb0ES3_mN6thrust23THRUST_200600_302600_NS6detail15normal_iteratorINSA_10device_ptrIjEEEEPS6_SG_NS0_5tupleIJSF_S6_EEENSH_IJSG_SG_EEES6_PlJ5mod_3IjEEEE10hipError_tPvRmT3_T4_T5_T6_T7_T9_mT8_P12ihipStream_tbDpT10_ENKUlT_T0_E_clISt17integral_constantIbLb0EES16_EEDaS11_S12_EUlS11_E_NS1_11comp_targetILNS1_3genE4ELNS1_11target_archE910ELNS1_3gpuE8ELNS1_3repE0EEENS1_30default_config_static_selectorELNS0_4arch9wavefront6targetE0EEEvT1_.kd
    .uniform_work_group_size: 1
    .uses_dynamic_stack: false
    .vgpr_count:     0
    .vgpr_spill_count: 0
    .wavefront_size: 32
    .workgroup_processor_mode: 1
  - .args:
      - .offset:         0
        .size:           112
        .value_kind:     by_value
    .group_segment_fixed_size: 0
    .kernarg_segment_align: 8
    .kernarg_segment_size: 112
    .language:       OpenCL C
    .language_version:
      - 2
      - 0
    .max_flat_workgroup_size: 256
    .name:           _ZN7rocprim17ROCPRIM_400000_NS6detail17trampoline_kernelINS0_14default_configENS1_25partition_config_selectorILNS1_17partition_subalgoE6EjNS0_10empty_typeEbEEZZNS1_14partition_implILS5_6ELb0ES3_mN6thrust23THRUST_200600_302600_NS6detail15normal_iteratorINSA_10device_ptrIjEEEEPS6_SG_NS0_5tupleIJSF_S6_EEENSH_IJSG_SG_EEES6_PlJ5mod_3IjEEEE10hipError_tPvRmT3_T4_T5_T6_T7_T9_mT8_P12ihipStream_tbDpT10_ENKUlT_T0_E_clISt17integral_constantIbLb0EES16_EEDaS11_S12_EUlS11_E_NS1_11comp_targetILNS1_3genE3ELNS1_11target_archE908ELNS1_3gpuE7ELNS1_3repE0EEENS1_30default_config_static_selectorELNS0_4arch9wavefront6targetE0EEEvT1_
    .private_segment_fixed_size: 0
    .sgpr_count:     0
    .sgpr_spill_count: 0
    .symbol:         _ZN7rocprim17ROCPRIM_400000_NS6detail17trampoline_kernelINS0_14default_configENS1_25partition_config_selectorILNS1_17partition_subalgoE6EjNS0_10empty_typeEbEEZZNS1_14partition_implILS5_6ELb0ES3_mN6thrust23THRUST_200600_302600_NS6detail15normal_iteratorINSA_10device_ptrIjEEEEPS6_SG_NS0_5tupleIJSF_S6_EEENSH_IJSG_SG_EEES6_PlJ5mod_3IjEEEE10hipError_tPvRmT3_T4_T5_T6_T7_T9_mT8_P12ihipStream_tbDpT10_ENKUlT_T0_E_clISt17integral_constantIbLb0EES16_EEDaS11_S12_EUlS11_E_NS1_11comp_targetILNS1_3genE3ELNS1_11target_archE908ELNS1_3gpuE7ELNS1_3repE0EEENS1_30default_config_static_selectorELNS0_4arch9wavefront6targetE0EEEvT1_.kd
    .uniform_work_group_size: 1
    .uses_dynamic_stack: false
    .vgpr_count:     0
    .vgpr_spill_count: 0
    .wavefront_size: 32
    .workgroup_processor_mode: 1
  - .args:
      - .offset:         0
        .size:           112
        .value_kind:     by_value
    .group_segment_fixed_size: 0
    .kernarg_segment_align: 8
    .kernarg_segment_size: 112
    .language:       OpenCL C
    .language_version:
      - 2
      - 0
    .max_flat_workgroup_size: 192
    .name:           _ZN7rocprim17ROCPRIM_400000_NS6detail17trampoline_kernelINS0_14default_configENS1_25partition_config_selectorILNS1_17partition_subalgoE6EjNS0_10empty_typeEbEEZZNS1_14partition_implILS5_6ELb0ES3_mN6thrust23THRUST_200600_302600_NS6detail15normal_iteratorINSA_10device_ptrIjEEEEPS6_SG_NS0_5tupleIJSF_S6_EEENSH_IJSG_SG_EEES6_PlJ5mod_3IjEEEE10hipError_tPvRmT3_T4_T5_T6_T7_T9_mT8_P12ihipStream_tbDpT10_ENKUlT_T0_E_clISt17integral_constantIbLb0EES16_EEDaS11_S12_EUlS11_E_NS1_11comp_targetILNS1_3genE2ELNS1_11target_archE906ELNS1_3gpuE6ELNS1_3repE0EEENS1_30default_config_static_selectorELNS0_4arch9wavefront6targetE0EEEvT1_
    .private_segment_fixed_size: 0
    .sgpr_count:     0
    .sgpr_spill_count: 0
    .symbol:         _ZN7rocprim17ROCPRIM_400000_NS6detail17trampoline_kernelINS0_14default_configENS1_25partition_config_selectorILNS1_17partition_subalgoE6EjNS0_10empty_typeEbEEZZNS1_14partition_implILS5_6ELb0ES3_mN6thrust23THRUST_200600_302600_NS6detail15normal_iteratorINSA_10device_ptrIjEEEEPS6_SG_NS0_5tupleIJSF_S6_EEENSH_IJSG_SG_EEES6_PlJ5mod_3IjEEEE10hipError_tPvRmT3_T4_T5_T6_T7_T9_mT8_P12ihipStream_tbDpT10_ENKUlT_T0_E_clISt17integral_constantIbLb0EES16_EEDaS11_S12_EUlS11_E_NS1_11comp_targetILNS1_3genE2ELNS1_11target_archE906ELNS1_3gpuE6ELNS1_3repE0EEENS1_30default_config_static_selectorELNS0_4arch9wavefront6targetE0EEEvT1_.kd
    .uniform_work_group_size: 1
    .uses_dynamic_stack: false
    .vgpr_count:     0
    .vgpr_spill_count: 0
    .wavefront_size: 32
    .workgroup_processor_mode: 1
  - .args:
      - .offset:         0
        .size:           112
        .value_kind:     by_value
    .group_segment_fixed_size: 0
    .kernarg_segment_align: 8
    .kernarg_segment_size: 112
    .language:       OpenCL C
    .language_version:
      - 2
      - 0
    .max_flat_workgroup_size: 384
    .name:           _ZN7rocprim17ROCPRIM_400000_NS6detail17trampoline_kernelINS0_14default_configENS1_25partition_config_selectorILNS1_17partition_subalgoE6EjNS0_10empty_typeEbEEZZNS1_14partition_implILS5_6ELb0ES3_mN6thrust23THRUST_200600_302600_NS6detail15normal_iteratorINSA_10device_ptrIjEEEEPS6_SG_NS0_5tupleIJSF_S6_EEENSH_IJSG_SG_EEES6_PlJ5mod_3IjEEEE10hipError_tPvRmT3_T4_T5_T6_T7_T9_mT8_P12ihipStream_tbDpT10_ENKUlT_T0_E_clISt17integral_constantIbLb0EES16_EEDaS11_S12_EUlS11_E_NS1_11comp_targetILNS1_3genE10ELNS1_11target_archE1200ELNS1_3gpuE4ELNS1_3repE0EEENS1_30default_config_static_selectorELNS0_4arch9wavefront6targetE0EEEvT1_
    .private_segment_fixed_size: 0
    .sgpr_count:     0
    .sgpr_spill_count: 0
    .symbol:         _ZN7rocprim17ROCPRIM_400000_NS6detail17trampoline_kernelINS0_14default_configENS1_25partition_config_selectorILNS1_17partition_subalgoE6EjNS0_10empty_typeEbEEZZNS1_14partition_implILS5_6ELb0ES3_mN6thrust23THRUST_200600_302600_NS6detail15normal_iteratorINSA_10device_ptrIjEEEEPS6_SG_NS0_5tupleIJSF_S6_EEENSH_IJSG_SG_EEES6_PlJ5mod_3IjEEEE10hipError_tPvRmT3_T4_T5_T6_T7_T9_mT8_P12ihipStream_tbDpT10_ENKUlT_T0_E_clISt17integral_constantIbLb0EES16_EEDaS11_S12_EUlS11_E_NS1_11comp_targetILNS1_3genE10ELNS1_11target_archE1200ELNS1_3gpuE4ELNS1_3repE0EEENS1_30default_config_static_selectorELNS0_4arch9wavefront6targetE0EEEvT1_.kd
    .uniform_work_group_size: 1
    .uses_dynamic_stack: false
    .vgpr_count:     0
    .vgpr_spill_count: 0
    .wavefront_size: 32
    .workgroup_processor_mode: 1
  - .args:
      - .offset:         0
        .size:           112
        .value_kind:     by_value
    .group_segment_fixed_size: 7184
    .kernarg_segment_align: 8
    .kernarg_segment_size: 112
    .language:       OpenCL C
    .language_version:
      - 2
      - 0
    .max_flat_workgroup_size: 128
    .name:           _ZN7rocprim17ROCPRIM_400000_NS6detail17trampoline_kernelINS0_14default_configENS1_25partition_config_selectorILNS1_17partition_subalgoE6EjNS0_10empty_typeEbEEZZNS1_14partition_implILS5_6ELb0ES3_mN6thrust23THRUST_200600_302600_NS6detail15normal_iteratorINSA_10device_ptrIjEEEEPS6_SG_NS0_5tupleIJSF_S6_EEENSH_IJSG_SG_EEES6_PlJ5mod_3IjEEEE10hipError_tPvRmT3_T4_T5_T6_T7_T9_mT8_P12ihipStream_tbDpT10_ENKUlT_T0_E_clISt17integral_constantIbLb0EES16_EEDaS11_S12_EUlS11_E_NS1_11comp_targetILNS1_3genE9ELNS1_11target_archE1100ELNS1_3gpuE3ELNS1_3repE0EEENS1_30default_config_static_selectorELNS0_4arch9wavefront6targetE0EEEvT1_
    .private_segment_fixed_size: 0
    .sgpr_count:     20
    .sgpr_spill_count: 0
    .symbol:         _ZN7rocprim17ROCPRIM_400000_NS6detail17trampoline_kernelINS0_14default_configENS1_25partition_config_selectorILNS1_17partition_subalgoE6EjNS0_10empty_typeEbEEZZNS1_14partition_implILS5_6ELb0ES3_mN6thrust23THRUST_200600_302600_NS6detail15normal_iteratorINSA_10device_ptrIjEEEEPS6_SG_NS0_5tupleIJSF_S6_EEENSH_IJSG_SG_EEES6_PlJ5mod_3IjEEEE10hipError_tPvRmT3_T4_T5_T6_T7_T9_mT8_P12ihipStream_tbDpT10_ENKUlT_T0_E_clISt17integral_constantIbLb0EES16_EEDaS11_S12_EUlS11_E_NS1_11comp_targetILNS1_3genE9ELNS1_11target_archE1100ELNS1_3gpuE3ELNS1_3repE0EEENS1_30default_config_static_selectorELNS0_4arch9wavefront6targetE0EEEvT1_.kd
    .uniform_work_group_size: 1
    .uses_dynamic_stack: false
    .vgpr_count:     74
    .vgpr_spill_count: 0
    .wavefront_size: 32
    .workgroup_processor_mode: 1
  - .args:
      - .offset:         0
        .size:           112
        .value_kind:     by_value
    .group_segment_fixed_size: 0
    .kernarg_segment_align: 8
    .kernarg_segment_size: 112
    .language:       OpenCL C
    .language_version:
      - 2
      - 0
    .max_flat_workgroup_size: 512
    .name:           _ZN7rocprim17ROCPRIM_400000_NS6detail17trampoline_kernelINS0_14default_configENS1_25partition_config_selectorILNS1_17partition_subalgoE6EjNS0_10empty_typeEbEEZZNS1_14partition_implILS5_6ELb0ES3_mN6thrust23THRUST_200600_302600_NS6detail15normal_iteratorINSA_10device_ptrIjEEEEPS6_SG_NS0_5tupleIJSF_S6_EEENSH_IJSG_SG_EEES6_PlJ5mod_3IjEEEE10hipError_tPvRmT3_T4_T5_T6_T7_T9_mT8_P12ihipStream_tbDpT10_ENKUlT_T0_E_clISt17integral_constantIbLb0EES16_EEDaS11_S12_EUlS11_E_NS1_11comp_targetILNS1_3genE8ELNS1_11target_archE1030ELNS1_3gpuE2ELNS1_3repE0EEENS1_30default_config_static_selectorELNS0_4arch9wavefront6targetE0EEEvT1_
    .private_segment_fixed_size: 0
    .sgpr_count:     0
    .sgpr_spill_count: 0
    .symbol:         _ZN7rocprim17ROCPRIM_400000_NS6detail17trampoline_kernelINS0_14default_configENS1_25partition_config_selectorILNS1_17partition_subalgoE6EjNS0_10empty_typeEbEEZZNS1_14partition_implILS5_6ELb0ES3_mN6thrust23THRUST_200600_302600_NS6detail15normal_iteratorINSA_10device_ptrIjEEEEPS6_SG_NS0_5tupleIJSF_S6_EEENSH_IJSG_SG_EEES6_PlJ5mod_3IjEEEE10hipError_tPvRmT3_T4_T5_T6_T7_T9_mT8_P12ihipStream_tbDpT10_ENKUlT_T0_E_clISt17integral_constantIbLb0EES16_EEDaS11_S12_EUlS11_E_NS1_11comp_targetILNS1_3genE8ELNS1_11target_archE1030ELNS1_3gpuE2ELNS1_3repE0EEENS1_30default_config_static_selectorELNS0_4arch9wavefront6targetE0EEEvT1_.kd
    .uniform_work_group_size: 1
    .uses_dynamic_stack: false
    .vgpr_count:     0
    .vgpr_spill_count: 0
    .wavefront_size: 32
    .workgroup_processor_mode: 1
  - .args:
      - .offset:         0
        .size:           128
        .value_kind:     by_value
    .group_segment_fixed_size: 0
    .kernarg_segment_align: 8
    .kernarg_segment_size: 128
    .language:       OpenCL C
    .language_version:
      - 2
      - 0
    .max_flat_workgroup_size: 256
    .name:           _ZN7rocprim17ROCPRIM_400000_NS6detail17trampoline_kernelINS0_14default_configENS1_25partition_config_selectorILNS1_17partition_subalgoE6EjNS0_10empty_typeEbEEZZNS1_14partition_implILS5_6ELb0ES3_mN6thrust23THRUST_200600_302600_NS6detail15normal_iteratorINSA_10device_ptrIjEEEEPS6_SG_NS0_5tupleIJSF_S6_EEENSH_IJSG_SG_EEES6_PlJ5mod_3IjEEEE10hipError_tPvRmT3_T4_T5_T6_T7_T9_mT8_P12ihipStream_tbDpT10_ENKUlT_T0_E_clISt17integral_constantIbLb1EES16_EEDaS11_S12_EUlS11_E_NS1_11comp_targetILNS1_3genE0ELNS1_11target_archE4294967295ELNS1_3gpuE0ELNS1_3repE0EEENS1_30default_config_static_selectorELNS0_4arch9wavefront6targetE0EEEvT1_
    .private_segment_fixed_size: 0
    .sgpr_count:     0
    .sgpr_spill_count: 0
    .symbol:         _ZN7rocprim17ROCPRIM_400000_NS6detail17trampoline_kernelINS0_14default_configENS1_25partition_config_selectorILNS1_17partition_subalgoE6EjNS0_10empty_typeEbEEZZNS1_14partition_implILS5_6ELb0ES3_mN6thrust23THRUST_200600_302600_NS6detail15normal_iteratorINSA_10device_ptrIjEEEEPS6_SG_NS0_5tupleIJSF_S6_EEENSH_IJSG_SG_EEES6_PlJ5mod_3IjEEEE10hipError_tPvRmT3_T4_T5_T6_T7_T9_mT8_P12ihipStream_tbDpT10_ENKUlT_T0_E_clISt17integral_constantIbLb1EES16_EEDaS11_S12_EUlS11_E_NS1_11comp_targetILNS1_3genE0ELNS1_11target_archE4294967295ELNS1_3gpuE0ELNS1_3repE0EEENS1_30default_config_static_selectorELNS0_4arch9wavefront6targetE0EEEvT1_.kd
    .uniform_work_group_size: 1
    .uses_dynamic_stack: false
    .vgpr_count:     0
    .vgpr_spill_count: 0
    .wavefront_size: 32
    .workgroup_processor_mode: 1
  - .args:
      - .offset:         0
        .size:           128
        .value_kind:     by_value
    .group_segment_fixed_size: 0
    .kernarg_segment_align: 8
    .kernarg_segment_size: 128
    .language:       OpenCL C
    .language_version:
      - 2
      - 0
    .max_flat_workgroup_size: 512
    .name:           _ZN7rocprim17ROCPRIM_400000_NS6detail17trampoline_kernelINS0_14default_configENS1_25partition_config_selectorILNS1_17partition_subalgoE6EjNS0_10empty_typeEbEEZZNS1_14partition_implILS5_6ELb0ES3_mN6thrust23THRUST_200600_302600_NS6detail15normal_iteratorINSA_10device_ptrIjEEEEPS6_SG_NS0_5tupleIJSF_S6_EEENSH_IJSG_SG_EEES6_PlJ5mod_3IjEEEE10hipError_tPvRmT3_T4_T5_T6_T7_T9_mT8_P12ihipStream_tbDpT10_ENKUlT_T0_E_clISt17integral_constantIbLb1EES16_EEDaS11_S12_EUlS11_E_NS1_11comp_targetILNS1_3genE5ELNS1_11target_archE942ELNS1_3gpuE9ELNS1_3repE0EEENS1_30default_config_static_selectorELNS0_4arch9wavefront6targetE0EEEvT1_
    .private_segment_fixed_size: 0
    .sgpr_count:     0
    .sgpr_spill_count: 0
    .symbol:         _ZN7rocprim17ROCPRIM_400000_NS6detail17trampoline_kernelINS0_14default_configENS1_25partition_config_selectorILNS1_17partition_subalgoE6EjNS0_10empty_typeEbEEZZNS1_14partition_implILS5_6ELb0ES3_mN6thrust23THRUST_200600_302600_NS6detail15normal_iteratorINSA_10device_ptrIjEEEEPS6_SG_NS0_5tupleIJSF_S6_EEENSH_IJSG_SG_EEES6_PlJ5mod_3IjEEEE10hipError_tPvRmT3_T4_T5_T6_T7_T9_mT8_P12ihipStream_tbDpT10_ENKUlT_T0_E_clISt17integral_constantIbLb1EES16_EEDaS11_S12_EUlS11_E_NS1_11comp_targetILNS1_3genE5ELNS1_11target_archE942ELNS1_3gpuE9ELNS1_3repE0EEENS1_30default_config_static_selectorELNS0_4arch9wavefront6targetE0EEEvT1_.kd
    .uniform_work_group_size: 1
    .uses_dynamic_stack: false
    .vgpr_count:     0
    .vgpr_spill_count: 0
    .wavefront_size: 32
    .workgroup_processor_mode: 1
  - .args:
      - .offset:         0
        .size:           128
        .value_kind:     by_value
    .group_segment_fixed_size: 0
    .kernarg_segment_align: 8
    .kernarg_segment_size: 128
    .language:       OpenCL C
    .language_version:
      - 2
      - 0
    .max_flat_workgroup_size: 512
    .name:           _ZN7rocprim17ROCPRIM_400000_NS6detail17trampoline_kernelINS0_14default_configENS1_25partition_config_selectorILNS1_17partition_subalgoE6EjNS0_10empty_typeEbEEZZNS1_14partition_implILS5_6ELb0ES3_mN6thrust23THRUST_200600_302600_NS6detail15normal_iteratorINSA_10device_ptrIjEEEEPS6_SG_NS0_5tupleIJSF_S6_EEENSH_IJSG_SG_EEES6_PlJ5mod_3IjEEEE10hipError_tPvRmT3_T4_T5_T6_T7_T9_mT8_P12ihipStream_tbDpT10_ENKUlT_T0_E_clISt17integral_constantIbLb1EES16_EEDaS11_S12_EUlS11_E_NS1_11comp_targetILNS1_3genE4ELNS1_11target_archE910ELNS1_3gpuE8ELNS1_3repE0EEENS1_30default_config_static_selectorELNS0_4arch9wavefront6targetE0EEEvT1_
    .private_segment_fixed_size: 0
    .sgpr_count:     0
    .sgpr_spill_count: 0
    .symbol:         _ZN7rocprim17ROCPRIM_400000_NS6detail17trampoline_kernelINS0_14default_configENS1_25partition_config_selectorILNS1_17partition_subalgoE6EjNS0_10empty_typeEbEEZZNS1_14partition_implILS5_6ELb0ES3_mN6thrust23THRUST_200600_302600_NS6detail15normal_iteratorINSA_10device_ptrIjEEEEPS6_SG_NS0_5tupleIJSF_S6_EEENSH_IJSG_SG_EEES6_PlJ5mod_3IjEEEE10hipError_tPvRmT3_T4_T5_T6_T7_T9_mT8_P12ihipStream_tbDpT10_ENKUlT_T0_E_clISt17integral_constantIbLb1EES16_EEDaS11_S12_EUlS11_E_NS1_11comp_targetILNS1_3genE4ELNS1_11target_archE910ELNS1_3gpuE8ELNS1_3repE0EEENS1_30default_config_static_selectorELNS0_4arch9wavefront6targetE0EEEvT1_.kd
    .uniform_work_group_size: 1
    .uses_dynamic_stack: false
    .vgpr_count:     0
    .vgpr_spill_count: 0
    .wavefront_size: 32
    .workgroup_processor_mode: 1
  - .args:
      - .offset:         0
        .size:           128
        .value_kind:     by_value
    .group_segment_fixed_size: 0
    .kernarg_segment_align: 8
    .kernarg_segment_size: 128
    .language:       OpenCL C
    .language_version:
      - 2
      - 0
    .max_flat_workgroup_size: 256
    .name:           _ZN7rocprim17ROCPRIM_400000_NS6detail17trampoline_kernelINS0_14default_configENS1_25partition_config_selectorILNS1_17partition_subalgoE6EjNS0_10empty_typeEbEEZZNS1_14partition_implILS5_6ELb0ES3_mN6thrust23THRUST_200600_302600_NS6detail15normal_iteratorINSA_10device_ptrIjEEEEPS6_SG_NS0_5tupleIJSF_S6_EEENSH_IJSG_SG_EEES6_PlJ5mod_3IjEEEE10hipError_tPvRmT3_T4_T5_T6_T7_T9_mT8_P12ihipStream_tbDpT10_ENKUlT_T0_E_clISt17integral_constantIbLb1EES16_EEDaS11_S12_EUlS11_E_NS1_11comp_targetILNS1_3genE3ELNS1_11target_archE908ELNS1_3gpuE7ELNS1_3repE0EEENS1_30default_config_static_selectorELNS0_4arch9wavefront6targetE0EEEvT1_
    .private_segment_fixed_size: 0
    .sgpr_count:     0
    .sgpr_spill_count: 0
    .symbol:         _ZN7rocprim17ROCPRIM_400000_NS6detail17trampoline_kernelINS0_14default_configENS1_25partition_config_selectorILNS1_17partition_subalgoE6EjNS0_10empty_typeEbEEZZNS1_14partition_implILS5_6ELb0ES3_mN6thrust23THRUST_200600_302600_NS6detail15normal_iteratorINSA_10device_ptrIjEEEEPS6_SG_NS0_5tupleIJSF_S6_EEENSH_IJSG_SG_EEES6_PlJ5mod_3IjEEEE10hipError_tPvRmT3_T4_T5_T6_T7_T9_mT8_P12ihipStream_tbDpT10_ENKUlT_T0_E_clISt17integral_constantIbLb1EES16_EEDaS11_S12_EUlS11_E_NS1_11comp_targetILNS1_3genE3ELNS1_11target_archE908ELNS1_3gpuE7ELNS1_3repE0EEENS1_30default_config_static_selectorELNS0_4arch9wavefront6targetE0EEEvT1_.kd
    .uniform_work_group_size: 1
    .uses_dynamic_stack: false
    .vgpr_count:     0
    .vgpr_spill_count: 0
    .wavefront_size: 32
    .workgroup_processor_mode: 1
  - .args:
      - .offset:         0
        .size:           128
        .value_kind:     by_value
    .group_segment_fixed_size: 0
    .kernarg_segment_align: 8
    .kernarg_segment_size: 128
    .language:       OpenCL C
    .language_version:
      - 2
      - 0
    .max_flat_workgroup_size: 192
    .name:           _ZN7rocprim17ROCPRIM_400000_NS6detail17trampoline_kernelINS0_14default_configENS1_25partition_config_selectorILNS1_17partition_subalgoE6EjNS0_10empty_typeEbEEZZNS1_14partition_implILS5_6ELb0ES3_mN6thrust23THRUST_200600_302600_NS6detail15normal_iteratorINSA_10device_ptrIjEEEEPS6_SG_NS0_5tupleIJSF_S6_EEENSH_IJSG_SG_EEES6_PlJ5mod_3IjEEEE10hipError_tPvRmT3_T4_T5_T6_T7_T9_mT8_P12ihipStream_tbDpT10_ENKUlT_T0_E_clISt17integral_constantIbLb1EES16_EEDaS11_S12_EUlS11_E_NS1_11comp_targetILNS1_3genE2ELNS1_11target_archE906ELNS1_3gpuE6ELNS1_3repE0EEENS1_30default_config_static_selectorELNS0_4arch9wavefront6targetE0EEEvT1_
    .private_segment_fixed_size: 0
    .sgpr_count:     0
    .sgpr_spill_count: 0
    .symbol:         _ZN7rocprim17ROCPRIM_400000_NS6detail17trampoline_kernelINS0_14default_configENS1_25partition_config_selectorILNS1_17partition_subalgoE6EjNS0_10empty_typeEbEEZZNS1_14partition_implILS5_6ELb0ES3_mN6thrust23THRUST_200600_302600_NS6detail15normal_iteratorINSA_10device_ptrIjEEEEPS6_SG_NS0_5tupleIJSF_S6_EEENSH_IJSG_SG_EEES6_PlJ5mod_3IjEEEE10hipError_tPvRmT3_T4_T5_T6_T7_T9_mT8_P12ihipStream_tbDpT10_ENKUlT_T0_E_clISt17integral_constantIbLb1EES16_EEDaS11_S12_EUlS11_E_NS1_11comp_targetILNS1_3genE2ELNS1_11target_archE906ELNS1_3gpuE6ELNS1_3repE0EEENS1_30default_config_static_selectorELNS0_4arch9wavefront6targetE0EEEvT1_.kd
    .uniform_work_group_size: 1
    .uses_dynamic_stack: false
    .vgpr_count:     0
    .vgpr_spill_count: 0
    .wavefront_size: 32
    .workgroup_processor_mode: 1
  - .args:
      - .offset:         0
        .size:           128
        .value_kind:     by_value
    .group_segment_fixed_size: 0
    .kernarg_segment_align: 8
    .kernarg_segment_size: 128
    .language:       OpenCL C
    .language_version:
      - 2
      - 0
    .max_flat_workgroup_size: 384
    .name:           _ZN7rocprim17ROCPRIM_400000_NS6detail17trampoline_kernelINS0_14default_configENS1_25partition_config_selectorILNS1_17partition_subalgoE6EjNS0_10empty_typeEbEEZZNS1_14partition_implILS5_6ELb0ES3_mN6thrust23THRUST_200600_302600_NS6detail15normal_iteratorINSA_10device_ptrIjEEEEPS6_SG_NS0_5tupleIJSF_S6_EEENSH_IJSG_SG_EEES6_PlJ5mod_3IjEEEE10hipError_tPvRmT3_T4_T5_T6_T7_T9_mT8_P12ihipStream_tbDpT10_ENKUlT_T0_E_clISt17integral_constantIbLb1EES16_EEDaS11_S12_EUlS11_E_NS1_11comp_targetILNS1_3genE10ELNS1_11target_archE1200ELNS1_3gpuE4ELNS1_3repE0EEENS1_30default_config_static_selectorELNS0_4arch9wavefront6targetE0EEEvT1_
    .private_segment_fixed_size: 0
    .sgpr_count:     0
    .sgpr_spill_count: 0
    .symbol:         _ZN7rocprim17ROCPRIM_400000_NS6detail17trampoline_kernelINS0_14default_configENS1_25partition_config_selectorILNS1_17partition_subalgoE6EjNS0_10empty_typeEbEEZZNS1_14partition_implILS5_6ELb0ES3_mN6thrust23THRUST_200600_302600_NS6detail15normal_iteratorINSA_10device_ptrIjEEEEPS6_SG_NS0_5tupleIJSF_S6_EEENSH_IJSG_SG_EEES6_PlJ5mod_3IjEEEE10hipError_tPvRmT3_T4_T5_T6_T7_T9_mT8_P12ihipStream_tbDpT10_ENKUlT_T0_E_clISt17integral_constantIbLb1EES16_EEDaS11_S12_EUlS11_E_NS1_11comp_targetILNS1_3genE10ELNS1_11target_archE1200ELNS1_3gpuE4ELNS1_3repE0EEENS1_30default_config_static_selectorELNS0_4arch9wavefront6targetE0EEEvT1_.kd
    .uniform_work_group_size: 1
    .uses_dynamic_stack: false
    .vgpr_count:     0
    .vgpr_spill_count: 0
    .wavefront_size: 32
    .workgroup_processor_mode: 1
  - .args:
      - .offset:         0
        .size:           128
        .value_kind:     by_value
    .group_segment_fixed_size: 7184
    .kernarg_segment_align: 8
    .kernarg_segment_size: 128
    .language:       OpenCL C
    .language_version:
      - 2
      - 0
    .max_flat_workgroup_size: 128
    .name:           _ZN7rocprim17ROCPRIM_400000_NS6detail17trampoline_kernelINS0_14default_configENS1_25partition_config_selectorILNS1_17partition_subalgoE6EjNS0_10empty_typeEbEEZZNS1_14partition_implILS5_6ELb0ES3_mN6thrust23THRUST_200600_302600_NS6detail15normal_iteratorINSA_10device_ptrIjEEEEPS6_SG_NS0_5tupleIJSF_S6_EEENSH_IJSG_SG_EEES6_PlJ5mod_3IjEEEE10hipError_tPvRmT3_T4_T5_T6_T7_T9_mT8_P12ihipStream_tbDpT10_ENKUlT_T0_E_clISt17integral_constantIbLb1EES16_EEDaS11_S12_EUlS11_E_NS1_11comp_targetILNS1_3genE9ELNS1_11target_archE1100ELNS1_3gpuE3ELNS1_3repE0EEENS1_30default_config_static_selectorELNS0_4arch9wavefront6targetE0EEEvT1_
    .private_segment_fixed_size: 0
    .sgpr_count:     22
    .sgpr_spill_count: 0
    .symbol:         _ZN7rocprim17ROCPRIM_400000_NS6detail17trampoline_kernelINS0_14default_configENS1_25partition_config_selectorILNS1_17partition_subalgoE6EjNS0_10empty_typeEbEEZZNS1_14partition_implILS5_6ELb0ES3_mN6thrust23THRUST_200600_302600_NS6detail15normal_iteratorINSA_10device_ptrIjEEEEPS6_SG_NS0_5tupleIJSF_S6_EEENSH_IJSG_SG_EEES6_PlJ5mod_3IjEEEE10hipError_tPvRmT3_T4_T5_T6_T7_T9_mT8_P12ihipStream_tbDpT10_ENKUlT_T0_E_clISt17integral_constantIbLb1EES16_EEDaS11_S12_EUlS11_E_NS1_11comp_targetILNS1_3genE9ELNS1_11target_archE1100ELNS1_3gpuE3ELNS1_3repE0EEENS1_30default_config_static_selectorELNS0_4arch9wavefront6targetE0EEEvT1_.kd
    .uniform_work_group_size: 1
    .uses_dynamic_stack: false
    .vgpr_count:     76
    .vgpr_spill_count: 0
    .wavefront_size: 32
    .workgroup_processor_mode: 1
  - .args:
      - .offset:         0
        .size:           128
        .value_kind:     by_value
    .group_segment_fixed_size: 0
    .kernarg_segment_align: 8
    .kernarg_segment_size: 128
    .language:       OpenCL C
    .language_version:
      - 2
      - 0
    .max_flat_workgroup_size: 512
    .name:           _ZN7rocprim17ROCPRIM_400000_NS6detail17trampoline_kernelINS0_14default_configENS1_25partition_config_selectorILNS1_17partition_subalgoE6EjNS0_10empty_typeEbEEZZNS1_14partition_implILS5_6ELb0ES3_mN6thrust23THRUST_200600_302600_NS6detail15normal_iteratorINSA_10device_ptrIjEEEEPS6_SG_NS0_5tupleIJSF_S6_EEENSH_IJSG_SG_EEES6_PlJ5mod_3IjEEEE10hipError_tPvRmT3_T4_T5_T6_T7_T9_mT8_P12ihipStream_tbDpT10_ENKUlT_T0_E_clISt17integral_constantIbLb1EES16_EEDaS11_S12_EUlS11_E_NS1_11comp_targetILNS1_3genE8ELNS1_11target_archE1030ELNS1_3gpuE2ELNS1_3repE0EEENS1_30default_config_static_selectorELNS0_4arch9wavefront6targetE0EEEvT1_
    .private_segment_fixed_size: 0
    .sgpr_count:     0
    .sgpr_spill_count: 0
    .symbol:         _ZN7rocprim17ROCPRIM_400000_NS6detail17trampoline_kernelINS0_14default_configENS1_25partition_config_selectorILNS1_17partition_subalgoE6EjNS0_10empty_typeEbEEZZNS1_14partition_implILS5_6ELb0ES3_mN6thrust23THRUST_200600_302600_NS6detail15normal_iteratorINSA_10device_ptrIjEEEEPS6_SG_NS0_5tupleIJSF_S6_EEENSH_IJSG_SG_EEES6_PlJ5mod_3IjEEEE10hipError_tPvRmT3_T4_T5_T6_T7_T9_mT8_P12ihipStream_tbDpT10_ENKUlT_T0_E_clISt17integral_constantIbLb1EES16_EEDaS11_S12_EUlS11_E_NS1_11comp_targetILNS1_3genE8ELNS1_11target_archE1030ELNS1_3gpuE2ELNS1_3repE0EEENS1_30default_config_static_selectorELNS0_4arch9wavefront6targetE0EEEvT1_.kd
    .uniform_work_group_size: 1
    .uses_dynamic_stack: false
    .vgpr_count:     0
    .vgpr_spill_count: 0
    .wavefront_size: 32
    .workgroup_processor_mode: 1
  - .args:
      - .offset:         0
        .size:           112
        .value_kind:     by_value
    .group_segment_fixed_size: 0
    .kernarg_segment_align: 8
    .kernarg_segment_size: 112
    .language:       OpenCL C
    .language_version:
      - 2
      - 0
    .max_flat_workgroup_size: 256
    .name:           _ZN7rocprim17ROCPRIM_400000_NS6detail17trampoline_kernelINS0_14default_configENS1_25partition_config_selectorILNS1_17partition_subalgoE6EjNS0_10empty_typeEbEEZZNS1_14partition_implILS5_6ELb0ES3_mN6thrust23THRUST_200600_302600_NS6detail15normal_iteratorINSA_10device_ptrIjEEEEPS6_SG_NS0_5tupleIJSF_S6_EEENSH_IJSG_SG_EEES6_PlJ5mod_3IjEEEE10hipError_tPvRmT3_T4_T5_T6_T7_T9_mT8_P12ihipStream_tbDpT10_ENKUlT_T0_E_clISt17integral_constantIbLb1EES15_IbLb0EEEEDaS11_S12_EUlS11_E_NS1_11comp_targetILNS1_3genE0ELNS1_11target_archE4294967295ELNS1_3gpuE0ELNS1_3repE0EEENS1_30default_config_static_selectorELNS0_4arch9wavefront6targetE0EEEvT1_
    .private_segment_fixed_size: 0
    .sgpr_count:     0
    .sgpr_spill_count: 0
    .symbol:         _ZN7rocprim17ROCPRIM_400000_NS6detail17trampoline_kernelINS0_14default_configENS1_25partition_config_selectorILNS1_17partition_subalgoE6EjNS0_10empty_typeEbEEZZNS1_14partition_implILS5_6ELb0ES3_mN6thrust23THRUST_200600_302600_NS6detail15normal_iteratorINSA_10device_ptrIjEEEEPS6_SG_NS0_5tupleIJSF_S6_EEENSH_IJSG_SG_EEES6_PlJ5mod_3IjEEEE10hipError_tPvRmT3_T4_T5_T6_T7_T9_mT8_P12ihipStream_tbDpT10_ENKUlT_T0_E_clISt17integral_constantIbLb1EES15_IbLb0EEEEDaS11_S12_EUlS11_E_NS1_11comp_targetILNS1_3genE0ELNS1_11target_archE4294967295ELNS1_3gpuE0ELNS1_3repE0EEENS1_30default_config_static_selectorELNS0_4arch9wavefront6targetE0EEEvT1_.kd
    .uniform_work_group_size: 1
    .uses_dynamic_stack: false
    .vgpr_count:     0
    .vgpr_spill_count: 0
    .wavefront_size: 32
    .workgroup_processor_mode: 1
  - .args:
      - .offset:         0
        .size:           112
        .value_kind:     by_value
    .group_segment_fixed_size: 0
    .kernarg_segment_align: 8
    .kernarg_segment_size: 112
    .language:       OpenCL C
    .language_version:
      - 2
      - 0
    .max_flat_workgroup_size: 512
    .name:           _ZN7rocprim17ROCPRIM_400000_NS6detail17trampoline_kernelINS0_14default_configENS1_25partition_config_selectorILNS1_17partition_subalgoE6EjNS0_10empty_typeEbEEZZNS1_14partition_implILS5_6ELb0ES3_mN6thrust23THRUST_200600_302600_NS6detail15normal_iteratorINSA_10device_ptrIjEEEEPS6_SG_NS0_5tupleIJSF_S6_EEENSH_IJSG_SG_EEES6_PlJ5mod_3IjEEEE10hipError_tPvRmT3_T4_T5_T6_T7_T9_mT8_P12ihipStream_tbDpT10_ENKUlT_T0_E_clISt17integral_constantIbLb1EES15_IbLb0EEEEDaS11_S12_EUlS11_E_NS1_11comp_targetILNS1_3genE5ELNS1_11target_archE942ELNS1_3gpuE9ELNS1_3repE0EEENS1_30default_config_static_selectorELNS0_4arch9wavefront6targetE0EEEvT1_
    .private_segment_fixed_size: 0
    .sgpr_count:     0
    .sgpr_spill_count: 0
    .symbol:         _ZN7rocprim17ROCPRIM_400000_NS6detail17trampoline_kernelINS0_14default_configENS1_25partition_config_selectorILNS1_17partition_subalgoE6EjNS0_10empty_typeEbEEZZNS1_14partition_implILS5_6ELb0ES3_mN6thrust23THRUST_200600_302600_NS6detail15normal_iteratorINSA_10device_ptrIjEEEEPS6_SG_NS0_5tupleIJSF_S6_EEENSH_IJSG_SG_EEES6_PlJ5mod_3IjEEEE10hipError_tPvRmT3_T4_T5_T6_T7_T9_mT8_P12ihipStream_tbDpT10_ENKUlT_T0_E_clISt17integral_constantIbLb1EES15_IbLb0EEEEDaS11_S12_EUlS11_E_NS1_11comp_targetILNS1_3genE5ELNS1_11target_archE942ELNS1_3gpuE9ELNS1_3repE0EEENS1_30default_config_static_selectorELNS0_4arch9wavefront6targetE0EEEvT1_.kd
    .uniform_work_group_size: 1
    .uses_dynamic_stack: false
    .vgpr_count:     0
    .vgpr_spill_count: 0
    .wavefront_size: 32
    .workgroup_processor_mode: 1
  - .args:
      - .offset:         0
        .size:           112
        .value_kind:     by_value
    .group_segment_fixed_size: 0
    .kernarg_segment_align: 8
    .kernarg_segment_size: 112
    .language:       OpenCL C
    .language_version:
      - 2
      - 0
    .max_flat_workgroup_size: 512
    .name:           _ZN7rocprim17ROCPRIM_400000_NS6detail17trampoline_kernelINS0_14default_configENS1_25partition_config_selectorILNS1_17partition_subalgoE6EjNS0_10empty_typeEbEEZZNS1_14partition_implILS5_6ELb0ES3_mN6thrust23THRUST_200600_302600_NS6detail15normal_iteratorINSA_10device_ptrIjEEEEPS6_SG_NS0_5tupleIJSF_S6_EEENSH_IJSG_SG_EEES6_PlJ5mod_3IjEEEE10hipError_tPvRmT3_T4_T5_T6_T7_T9_mT8_P12ihipStream_tbDpT10_ENKUlT_T0_E_clISt17integral_constantIbLb1EES15_IbLb0EEEEDaS11_S12_EUlS11_E_NS1_11comp_targetILNS1_3genE4ELNS1_11target_archE910ELNS1_3gpuE8ELNS1_3repE0EEENS1_30default_config_static_selectorELNS0_4arch9wavefront6targetE0EEEvT1_
    .private_segment_fixed_size: 0
    .sgpr_count:     0
    .sgpr_spill_count: 0
    .symbol:         _ZN7rocprim17ROCPRIM_400000_NS6detail17trampoline_kernelINS0_14default_configENS1_25partition_config_selectorILNS1_17partition_subalgoE6EjNS0_10empty_typeEbEEZZNS1_14partition_implILS5_6ELb0ES3_mN6thrust23THRUST_200600_302600_NS6detail15normal_iteratorINSA_10device_ptrIjEEEEPS6_SG_NS0_5tupleIJSF_S6_EEENSH_IJSG_SG_EEES6_PlJ5mod_3IjEEEE10hipError_tPvRmT3_T4_T5_T6_T7_T9_mT8_P12ihipStream_tbDpT10_ENKUlT_T0_E_clISt17integral_constantIbLb1EES15_IbLb0EEEEDaS11_S12_EUlS11_E_NS1_11comp_targetILNS1_3genE4ELNS1_11target_archE910ELNS1_3gpuE8ELNS1_3repE0EEENS1_30default_config_static_selectorELNS0_4arch9wavefront6targetE0EEEvT1_.kd
    .uniform_work_group_size: 1
    .uses_dynamic_stack: false
    .vgpr_count:     0
    .vgpr_spill_count: 0
    .wavefront_size: 32
    .workgroup_processor_mode: 1
  - .args:
      - .offset:         0
        .size:           112
        .value_kind:     by_value
    .group_segment_fixed_size: 0
    .kernarg_segment_align: 8
    .kernarg_segment_size: 112
    .language:       OpenCL C
    .language_version:
      - 2
      - 0
    .max_flat_workgroup_size: 256
    .name:           _ZN7rocprim17ROCPRIM_400000_NS6detail17trampoline_kernelINS0_14default_configENS1_25partition_config_selectorILNS1_17partition_subalgoE6EjNS0_10empty_typeEbEEZZNS1_14partition_implILS5_6ELb0ES3_mN6thrust23THRUST_200600_302600_NS6detail15normal_iteratorINSA_10device_ptrIjEEEEPS6_SG_NS0_5tupleIJSF_S6_EEENSH_IJSG_SG_EEES6_PlJ5mod_3IjEEEE10hipError_tPvRmT3_T4_T5_T6_T7_T9_mT8_P12ihipStream_tbDpT10_ENKUlT_T0_E_clISt17integral_constantIbLb1EES15_IbLb0EEEEDaS11_S12_EUlS11_E_NS1_11comp_targetILNS1_3genE3ELNS1_11target_archE908ELNS1_3gpuE7ELNS1_3repE0EEENS1_30default_config_static_selectorELNS0_4arch9wavefront6targetE0EEEvT1_
    .private_segment_fixed_size: 0
    .sgpr_count:     0
    .sgpr_spill_count: 0
    .symbol:         _ZN7rocprim17ROCPRIM_400000_NS6detail17trampoline_kernelINS0_14default_configENS1_25partition_config_selectorILNS1_17partition_subalgoE6EjNS0_10empty_typeEbEEZZNS1_14partition_implILS5_6ELb0ES3_mN6thrust23THRUST_200600_302600_NS6detail15normal_iteratorINSA_10device_ptrIjEEEEPS6_SG_NS0_5tupleIJSF_S6_EEENSH_IJSG_SG_EEES6_PlJ5mod_3IjEEEE10hipError_tPvRmT3_T4_T5_T6_T7_T9_mT8_P12ihipStream_tbDpT10_ENKUlT_T0_E_clISt17integral_constantIbLb1EES15_IbLb0EEEEDaS11_S12_EUlS11_E_NS1_11comp_targetILNS1_3genE3ELNS1_11target_archE908ELNS1_3gpuE7ELNS1_3repE0EEENS1_30default_config_static_selectorELNS0_4arch9wavefront6targetE0EEEvT1_.kd
    .uniform_work_group_size: 1
    .uses_dynamic_stack: false
    .vgpr_count:     0
    .vgpr_spill_count: 0
    .wavefront_size: 32
    .workgroup_processor_mode: 1
  - .args:
      - .offset:         0
        .size:           112
        .value_kind:     by_value
    .group_segment_fixed_size: 0
    .kernarg_segment_align: 8
    .kernarg_segment_size: 112
    .language:       OpenCL C
    .language_version:
      - 2
      - 0
    .max_flat_workgroup_size: 192
    .name:           _ZN7rocprim17ROCPRIM_400000_NS6detail17trampoline_kernelINS0_14default_configENS1_25partition_config_selectorILNS1_17partition_subalgoE6EjNS0_10empty_typeEbEEZZNS1_14partition_implILS5_6ELb0ES3_mN6thrust23THRUST_200600_302600_NS6detail15normal_iteratorINSA_10device_ptrIjEEEEPS6_SG_NS0_5tupleIJSF_S6_EEENSH_IJSG_SG_EEES6_PlJ5mod_3IjEEEE10hipError_tPvRmT3_T4_T5_T6_T7_T9_mT8_P12ihipStream_tbDpT10_ENKUlT_T0_E_clISt17integral_constantIbLb1EES15_IbLb0EEEEDaS11_S12_EUlS11_E_NS1_11comp_targetILNS1_3genE2ELNS1_11target_archE906ELNS1_3gpuE6ELNS1_3repE0EEENS1_30default_config_static_selectorELNS0_4arch9wavefront6targetE0EEEvT1_
    .private_segment_fixed_size: 0
    .sgpr_count:     0
    .sgpr_spill_count: 0
    .symbol:         _ZN7rocprim17ROCPRIM_400000_NS6detail17trampoline_kernelINS0_14default_configENS1_25partition_config_selectorILNS1_17partition_subalgoE6EjNS0_10empty_typeEbEEZZNS1_14partition_implILS5_6ELb0ES3_mN6thrust23THRUST_200600_302600_NS6detail15normal_iteratorINSA_10device_ptrIjEEEEPS6_SG_NS0_5tupleIJSF_S6_EEENSH_IJSG_SG_EEES6_PlJ5mod_3IjEEEE10hipError_tPvRmT3_T4_T5_T6_T7_T9_mT8_P12ihipStream_tbDpT10_ENKUlT_T0_E_clISt17integral_constantIbLb1EES15_IbLb0EEEEDaS11_S12_EUlS11_E_NS1_11comp_targetILNS1_3genE2ELNS1_11target_archE906ELNS1_3gpuE6ELNS1_3repE0EEENS1_30default_config_static_selectorELNS0_4arch9wavefront6targetE0EEEvT1_.kd
    .uniform_work_group_size: 1
    .uses_dynamic_stack: false
    .vgpr_count:     0
    .vgpr_spill_count: 0
    .wavefront_size: 32
    .workgroup_processor_mode: 1
  - .args:
      - .offset:         0
        .size:           112
        .value_kind:     by_value
    .group_segment_fixed_size: 0
    .kernarg_segment_align: 8
    .kernarg_segment_size: 112
    .language:       OpenCL C
    .language_version:
      - 2
      - 0
    .max_flat_workgroup_size: 384
    .name:           _ZN7rocprim17ROCPRIM_400000_NS6detail17trampoline_kernelINS0_14default_configENS1_25partition_config_selectorILNS1_17partition_subalgoE6EjNS0_10empty_typeEbEEZZNS1_14partition_implILS5_6ELb0ES3_mN6thrust23THRUST_200600_302600_NS6detail15normal_iteratorINSA_10device_ptrIjEEEEPS6_SG_NS0_5tupleIJSF_S6_EEENSH_IJSG_SG_EEES6_PlJ5mod_3IjEEEE10hipError_tPvRmT3_T4_T5_T6_T7_T9_mT8_P12ihipStream_tbDpT10_ENKUlT_T0_E_clISt17integral_constantIbLb1EES15_IbLb0EEEEDaS11_S12_EUlS11_E_NS1_11comp_targetILNS1_3genE10ELNS1_11target_archE1200ELNS1_3gpuE4ELNS1_3repE0EEENS1_30default_config_static_selectorELNS0_4arch9wavefront6targetE0EEEvT1_
    .private_segment_fixed_size: 0
    .sgpr_count:     0
    .sgpr_spill_count: 0
    .symbol:         _ZN7rocprim17ROCPRIM_400000_NS6detail17trampoline_kernelINS0_14default_configENS1_25partition_config_selectorILNS1_17partition_subalgoE6EjNS0_10empty_typeEbEEZZNS1_14partition_implILS5_6ELb0ES3_mN6thrust23THRUST_200600_302600_NS6detail15normal_iteratorINSA_10device_ptrIjEEEEPS6_SG_NS0_5tupleIJSF_S6_EEENSH_IJSG_SG_EEES6_PlJ5mod_3IjEEEE10hipError_tPvRmT3_T4_T5_T6_T7_T9_mT8_P12ihipStream_tbDpT10_ENKUlT_T0_E_clISt17integral_constantIbLb1EES15_IbLb0EEEEDaS11_S12_EUlS11_E_NS1_11comp_targetILNS1_3genE10ELNS1_11target_archE1200ELNS1_3gpuE4ELNS1_3repE0EEENS1_30default_config_static_selectorELNS0_4arch9wavefront6targetE0EEEvT1_.kd
    .uniform_work_group_size: 1
    .uses_dynamic_stack: false
    .vgpr_count:     0
    .vgpr_spill_count: 0
    .wavefront_size: 32
    .workgroup_processor_mode: 1
  - .args:
      - .offset:         0
        .size:           112
        .value_kind:     by_value
    .group_segment_fixed_size: 7184
    .kernarg_segment_align: 8
    .kernarg_segment_size: 112
    .language:       OpenCL C
    .language_version:
      - 2
      - 0
    .max_flat_workgroup_size: 128
    .name:           _ZN7rocprim17ROCPRIM_400000_NS6detail17trampoline_kernelINS0_14default_configENS1_25partition_config_selectorILNS1_17partition_subalgoE6EjNS0_10empty_typeEbEEZZNS1_14partition_implILS5_6ELb0ES3_mN6thrust23THRUST_200600_302600_NS6detail15normal_iteratorINSA_10device_ptrIjEEEEPS6_SG_NS0_5tupleIJSF_S6_EEENSH_IJSG_SG_EEES6_PlJ5mod_3IjEEEE10hipError_tPvRmT3_T4_T5_T6_T7_T9_mT8_P12ihipStream_tbDpT10_ENKUlT_T0_E_clISt17integral_constantIbLb1EES15_IbLb0EEEEDaS11_S12_EUlS11_E_NS1_11comp_targetILNS1_3genE9ELNS1_11target_archE1100ELNS1_3gpuE3ELNS1_3repE0EEENS1_30default_config_static_selectorELNS0_4arch9wavefront6targetE0EEEvT1_
    .private_segment_fixed_size: 0
    .sgpr_count:     20
    .sgpr_spill_count: 0
    .symbol:         _ZN7rocprim17ROCPRIM_400000_NS6detail17trampoline_kernelINS0_14default_configENS1_25partition_config_selectorILNS1_17partition_subalgoE6EjNS0_10empty_typeEbEEZZNS1_14partition_implILS5_6ELb0ES3_mN6thrust23THRUST_200600_302600_NS6detail15normal_iteratorINSA_10device_ptrIjEEEEPS6_SG_NS0_5tupleIJSF_S6_EEENSH_IJSG_SG_EEES6_PlJ5mod_3IjEEEE10hipError_tPvRmT3_T4_T5_T6_T7_T9_mT8_P12ihipStream_tbDpT10_ENKUlT_T0_E_clISt17integral_constantIbLb1EES15_IbLb0EEEEDaS11_S12_EUlS11_E_NS1_11comp_targetILNS1_3genE9ELNS1_11target_archE1100ELNS1_3gpuE3ELNS1_3repE0EEENS1_30default_config_static_selectorELNS0_4arch9wavefront6targetE0EEEvT1_.kd
    .uniform_work_group_size: 1
    .uses_dynamic_stack: false
    .vgpr_count:     74
    .vgpr_spill_count: 0
    .wavefront_size: 32
    .workgroup_processor_mode: 1
  - .args:
      - .offset:         0
        .size:           112
        .value_kind:     by_value
    .group_segment_fixed_size: 0
    .kernarg_segment_align: 8
    .kernarg_segment_size: 112
    .language:       OpenCL C
    .language_version:
      - 2
      - 0
    .max_flat_workgroup_size: 512
    .name:           _ZN7rocprim17ROCPRIM_400000_NS6detail17trampoline_kernelINS0_14default_configENS1_25partition_config_selectorILNS1_17partition_subalgoE6EjNS0_10empty_typeEbEEZZNS1_14partition_implILS5_6ELb0ES3_mN6thrust23THRUST_200600_302600_NS6detail15normal_iteratorINSA_10device_ptrIjEEEEPS6_SG_NS0_5tupleIJSF_S6_EEENSH_IJSG_SG_EEES6_PlJ5mod_3IjEEEE10hipError_tPvRmT3_T4_T5_T6_T7_T9_mT8_P12ihipStream_tbDpT10_ENKUlT_T0_E_clISt17integral_constantIbLb1EES15_IbLb0EEEEDaS11_S12_EUlS11_E_NS1_11comp_targetILNS1_3genE8ELNS1_11target_archE1030ELNS1_3gpuE2ELNS1_3repE0EEENS1_30default_config_static_selectorELNS0_4arch9wavefront6targetE0EEEvT1_
    .private_segment_fixed_size: 0
    .sgpr_count:     0
    .sgpr_spill_count: 0
    .symbol:         _ZN7rocprim17ROCPRIM_400000_NS6detail17trampoline_kernelINS0_14default_configENS1_25partition_config_selectorILNS1_17partition_subalgoE6EjNS0_10empty_typeEbEEZZNS1_14partition_implILS5_6ELb0ES3_mN6thrust23THRUST_200600_302600_NS6detail15normal_iteratorINSA_10device_ptrIjEEEEPS6_SG_NS0_5tupleIJSF_S6_EEENSH_IJSG_SG_EEES6_PlJ5mod_3IjEEEE10hipError_tPvRmT3_T4_T5_T6_T7_T9_mT8_P12ihipStream_tbDpT10_ENKUlT_T0_E_clISt17integral_constantIbLb1EES15_IbLb0EEEEDaS11_S12_EUlS11_E_NS1_11comp_targetILNS1_3genE8ELNS1_11target_archE1030ELNS1_3gpuE2ELNS1_3repE0EEENS1_30default_config_static_selectorELNS0_4arch9wavefront6targetE0EEEvT1_.kd
    .uniform_work_group_size: 1
    .uses_dynamic_stack: false
    .vgpr_count:     0
    .vgpr_spill_count: 0
    .wavefront_size: 32
    .workgroup_processor_mode: 1
  - .args:
      - .offset:         0
        .size:           128
        .value_kind:     by_value
    .group_segment_fixed_size: 0
    .kernarg_segment_align: 8
    .kernarg_segment_size: 128
    .language:       OpenCL C
    .language_version:
      - 2
      - 0
    .max_flat_workgroup_size: 256
    .name:           _ZN7rocprim17ROCPRIM_400000_NS6detail17trampoline_kernelINS0_14default_configENS1_25partition_config_selectorILNS1_17partition_subalgoE6EjNS0_10empty_typeEbEEZZNS1_14partition_implILS5_6ELb0ES3_mN6thrust23THRUST_200600_302600_NS6detail15normal_iteratorINSA_10device_ptrIjEEEEPS6_SG_NS0_5tupleIJSF_S6_EEENSH_IJSG_SG_EEES6_PlJ5mod_3IjEEEE10hipError_tPvRmT3_T4_T5_T6_T7_T9_mT8_P12ihipStream_tbDpT10_ENKUlT_T0_E_clISt17integral_constantIbLb0EES15_IbLb1EEEEDaS11_S12_EUlS11_E_NS1_11comp_targetILNS1_3genE0ELNS1_11target_archE4294967295ELNS1_3gpuE0ELNS1_3repE0EEENS1_30default_config_static_selectorELNS0_4arch9wavefront6targetE0EEEvT1_
    .private_segment_fixed_size: 0
    .sgpr_count:     0
    .sgpr_spill_count: 0
    .symbol:         _ZN7rocprim17ROCPRIM_400000_NS6detail17trampoline_kernelINS0_14default_configENS1_25partition_config_selectorILNS1_17partition_subalgoE6EjNS0_10empty_typeEbEEZZNS1_14partition_implILS5_6ELb0ES3_mN6thrust23THRUST_200600_302600_NS6detail15normal_iteratorINSA_10device_ptrIjEEEEPS6_SG_NS0_5tupleIJSF_S6_EEENSH_IJSG_SG_EEES6_PlJ5mod_3IjEEEE10hipError_tPvRmT3_T4_T5_T6_T7_T9_mT8_P12ihipStream_tbDpT10_ENKUlT_T0_E_clISt17integral_constantIbLb0EES15_IbLb1EEEEDaS11_S12_EUlS11_E_NS1_11comp_targetILNS1_3genE0ELNS1_11target_archE4294967295ELNS1_3gpuE0ELNS1_3repE0EEENS1_30default_config_static_selectorELNS0_4arch9wavefront6targetE0EEEvT1_.kd
    .uniform_work_group_size: 1
    .uses_dynamic_stack: false
    .vgpr_count:     0
    .vgpr_spill_count: 0
    .wavefront_size: 32
    .workgroup_processor_mode: 1
  - .args:
      - .offset:         0
        .size:           128
        .value_kind:     by_value
    .group_segment_fixed_size: 0
    .kernarg_segment_align: 8
    .kernarg_segment_size: 128
    .language:       OpenCL C
    .language_version:
      - 2
      - 0
    .max_flat_workgroup_size: 512
    .name:           _ZN7rocprim17ROCPRIM_400000_NS6detail17trampoline_kernelINS0_14default_configENS1_25partition_config_selectorILNS1_17partition_subalgoE6EjNS0_10empty_typeEbEEZZNS1_14partition_implILS5_6ELb0ES3_mN6thrust23THRUST_200600_302600_NS6detail15normal_iteratorINSA_10device_ptrIjEEEEPS6_SG_NS0_5tupleIJSF_S6_EEENSH_IJSG_SG_EEES6_PlJ5mod_3IjEEEE10hipError_tPvRmT3_T4_T5_T6_T7_T9_mT8_P12ihipStream_tbDpT10_ENKUlT_T0_E_clISt17integral_constantIbLb0EES15_IbLb1EEEEDaS11_S12_EUlS11_E_NS1_11comp_targetILNS1_3genE5ELNS1_11target_archE942ELNS1_3gpuE9ELNS1_3repE0EEENS1_30default_config_static_selectorELNS0_4arch9wavefront6targetE0EEEvT1_
    .private_segment_fixed_size: 0
    .sgpr_count:     0
    .sgpr_spill_count: 0
    .symbol:         _ZN7rocprim17ROCPRIM_400000_NS6detail17trampoline_kernelINS0_14default_configENS1_25partition_config_selectorILNS1_17partition_subalgoE6EjNS0_10empty_typeEbEEZZNS1_14partition_implILS5_6ELb0ES3_mN6thrust23THRUST_200600_302600_NS6detail15normal_iteratorINSA_10device_ptrIjEEEEPS6_SG_NS0_5tupleIJSF_S6_EEENSH_IJSG_SG_EEES6_PlJ5mod_3IjEEEE10hipError_tPvRmT3_T4_T5_T6_T7_T9_mT8_P12ihipStream_tbDpT10_ENKUlT_T0_E_clISt17integral_constantIbLb0EES15_IbLb1EEEEDaS11_S12_EUlS11_E_NS1_11comp_targetILNS1_3genE5ELNS1_11target_archE942ELNS1_3gpuE9ELNS1_3repE0EEENS1_30default_config_static_selectorELNS0_4arch9wavefront6targetE0EEEvT1_.kd
    .uniform_work_group_size: 1
    .uses_dynamic_stack: false
    .vgpr_count:     0
    .vgpr_spill_count: 0
    .wavefront_size: 32
    .workgroup_processor_mode: 1
  - .args:
      - .offset:         0
        .size:           128
        .value_kind:     by_value
    .group_segment_fixed_size: 0
    .kernarg_segment_align: 8
    .kernarg_segment_size: 128
    .language:       OpenCL C
    .language_version:
      - 2
      - 0
    .max_flat_workgroup_size: 512
    .name:           _ZN7rocprim17ROCPRIM_400000_NS6detail17trampoline_kernelINS0_14default_configENS1_25partition_config_selectorILNS1_17partition_subalgoE6EjNS0_10empty_typeEbEEZZNS1_14partition_implILS5_6ELb0ES3_mN6thrust23THRUST_200600_302600_NS6detail15normal_iteratorINSA_10device_ptrIjEEEEPS6_SG_NS0_5tupleIJSF_S6_EEENSH_IJSG_SG_EEES6_PlJ5mod_3IjEEEE10hipError_tPvRmT3_T4_T5_T6_T7_T9_mT8_P12ihipStream_tbDpT10_ENKUlT_T0_E_clISt17integral_constantIbLb0EES15_IbLb1EEEEDaS11_S12_EUlS11_E_NS1_11comp_targetILNS1_3genE4ELNS1_11target_archE910ELNS1_3gpuE8ELNS1_3repE0EEENS1_30default_config_static_selectorELNS0_4arch9wavefront6targetE0EEEvT1_
    .private_segment_fixed_size: 0
    .sgpr_count:     0
    .sgpr_spill_count: 0
    .symbol:         _ZN7rocprim17ROCPRIM_400000_NS6detail17trampoline_kernelINS0_14default_configENS1_25partition_config_selectorILNS1_17partition_subalgoE6EjNS0_10empty_typeEbEEZZNS1_14partition_implILS5_6ELb0ES3_mN6thrust23THRUST_200600_302600_NS6detail15normal_iteratorINSA_10device_ptrIjEEEEPS6_SG_NS0_5tupleIJSF_S6_EEENSH_IJSG_SG_EEES6_PlJ5mod_3IjEEEE10hipError_tPvRmT3_T4_T5_T6_T7_T9_mT8_P12ihipStream_tbDpT10_ENKUlT_T0_E_clISt17integral_constantIbLb0EES15_IbLb1EEEEDaS11_S12_EUlS11_E_NS1_11comp_targetILNS1_3genE4ELNS1_11target_archE910ELNS1_3gpuE8ELNS1_3repE0EEENS1_30default_config_static_selectorELNS0_4arch9wavefront6targetE0EEEvT1_.kd
    .uniform_work_group_size: 1
    .uses_dynamic_stack: false
    .vgpr_count:     0
    .vgpr_spill_count: 0
    .wavefront_size: 32
    .workgroup_processor_mode: 1
  - .args:
      - .offset:         0
        .size:           128
        .value_kind:     by_value
    .group_segment_fixed_size: 0
    .kernarg_segment_align: 8
    .kernarg_segment_size: 128
    .language:       OpenCL C
    .language_version:
      - 2
      - 0
    .max_flat_workgroup_size: 256
    .name:           _ZN7rocprim17ROCPRIM_400000_NS6detail17trampoline_kernelINS0_14default_configENS1_25partition_config_selectorILNS1_17partition_subalgoE6EjNS0_10empty_typeEbEEZZNS1_14partition_implILS5_6ELb0ES3_mN6thrust23THRUST_200600_302600_NS6detail15normal_iteratorINSA_10device_ptrIjEEEEPS6_SG_NS0_5tupleIJSF_S6_EEENSH_IJSG_SG_EEES6_PlJ5mod_3IjEEEE10hipError_tPvRmT3_T4_T5_T6_T7_T9_mT8_P12ihipStream_tbDpT10_ENKUlT_T0_E_clISt17integral_constantIbLb0EES15_IbLb1EEEEDaS11_S12_EUlS11_E_NS1_11comp_targetILNS1_3genE3ELNS1_11target_archE908ELNS1_3gpuE7ELNS1_3repE0EEENS1_30default_config_static_selectorELNS0_4arch9wavefront6targetE0EEEvT1_
    .private_segment_fixed_size: 0
    .sgpr_count:     0
    .sgpr_spill_count: 0
    .symbol:         _ZN7rocprim17ROCPRIM_400000_NS6detail17trampoline_kernelINS0_14default_configENS1_25partition_config_selectorILNS1_17partition_subalgoE6EjNS0_10empty_typeEbEEZZNS1_14partition_implILS5_6ELb0ES3_mN6thrust23THRUST_200600_302600_NS6detail15normal_iteratorINSA_10device_ptrIjEEEEPS6_SG_NS0_5tupleIJSF_S6_EEENSH_IJSG_SG_EEES6_PlJ5mod_3IjEEEE10hipError_tPvRmT3_T4_T5_T6_T7_T9_mT8_P12ihipStream_tbDpT10_ENKUlT_T0_E_clISt17integral_constantIbLb0EES15_IbLb1EEEEDaS11_S12_EUlS11_E_NS1_11comp_targetILNS1_3genE3ELNS1_11target_archE908ELNS1_3gpuE7ELNS1_3repE0EEENS1_30default_config_static_selectorELNS0_4arch9wavefront6targetE0EEEvT1_.kd
    .uniform_work_group_size: 1
    .uses_dynamic_stack: false
    .vgpr_count:     0
    .vgpr_spill_count: 0
    .wavefront_size: 32
    .workgroup_processor_mode: 1
  - .args:
      - .offset:         0
        .size:           128
        .value_kind:     by_value
    .group_segment_fixed_size: 0
    .kernarg_segment_align: 8
    .kernarg_segment_size: 128
    .language:       OpenCL C
    .language_version:
      - 2
      - 0
    .max_flat_workgroup_size: 192
    .name:           _ZN7rocprim17ROCPRIM_400000_NS6detail17trampoline_kernelINS0_14default_configENS1_25partition_config_selectorILNS1_17partition_subalgoE6EjNS0_10empty_typeEbEEZZNS1_14partition_implILS5_6ELb0ES3_mN6thrust23THRUST_200600_302600_NS6detail15normal_iteratorINSA_10device_ptrIjEEEEPS6_SG_NS0_5tupleIJSF_S6_EEENSH_IJSG_SG_EEES6_PlJ5mod_3IjEEEE10hipError_tPvRmT3_T4_T5_T6_T7_T9_mT8_P12ihipStream_tbDpT10_ENKUlT_T0_E_clISt17integral_constantIbLb0EES15_IbLb1EEEEDaS11_S12_EUlS11_E_NS1_11comp_targetILNS1_3genE2ELNS1_11target_archE906ELNS1_3gpuE6ELNS1_3repE0EEENS1_30default_config_static_selectorELNS0_4arch9wavefront6targetE0EEEvT1_
    .private_segment_fixed_size: 0
    .sgpr_count:     0
    .sgpr_spill_count: 0
    .symbol:         _ZN7rocprim17ROCPRIM_400000_NS6detail17trampoline_kernelINS0_14default_configENS1_25partition_config_selectorILNS1_17partition_subalgoE6EjNS0_10empty_typeEbEEZZNS1_14partition_implILS5_6ELb0ES3_mN6thrust23THRUST_200600_302600_NS6detail15normal_iteratorINSA_10device_ptrIjEEEEPS6_SG_NS0_5tupleIJSF_S6_EEENSH_IJSG_SG_EEES6_PlJ5mod_3IjEEEE10hipError_tPvRmT3_T4_T5_T6_T7_T9_mT8_P12ihipStream_tbDpT10_ENKUlT_T0_E_clISt17integral_constantIbLb0EES15_IbLb1EEEEDaS11_S12_EUlS11_E_NS1_11comp_targetILNS1_3genE2ELNS1_11target_archE906ELNS1_3gpuE6ELNS1_3repE0EEENS1_30default_config_static_selectorELNS0_4arch9wavefront6targetE0EEEvT1_.kd
    .uniform_work_group_size: 1
    .uses_dynamic_stack: false
    .vgpr_count:     0
    .vgpr_spill_count: 0
    .wavefront_size: 32
    .workgroup_processor_mode: 1
  - .args:
      - .offset:         0
        .size:           128
        .value_kind:     by_value
    .group_segment_fixed_size: 0
    .kernarg_segment_align: 8
    .kernarg_segment_size: 128
    .language:       OpenCL C
    .language_version:
      - 2
      - 0
    .max_flat_workgroup_size: 384
    .name:           _ZN7rocprim17ROCPRIM_400000_NS6detail17trampoline_kernelINS0_14default_configENS1_25partition_config_selectorILNS1_17partition_subalgoE6EjNS0_10empty_typeEbEEZZNS1_14partition_implILS5_6ELb0ES3_mN6thrust23THRUST_200600_302600_NS6detail15normal_iteratorINSA_10device_ptrIjEEEEPS6_SG_NS0_5tupleIJSF_S6_EEENSH_IJSG_SG_EEES6_PlJ5mod_3IjEEEE10hipError_tPvRmT3_T4_T5_T6_T7_T9_mT8_P12ihipStream_tbDpT10_ENKUlT_T0_E_clISt17integral_constantIbLb0EES15_IbLb1EEEEDaS11_S12_EUlS11_E_NS1_11comp_targetILNS1_3genE10ELNS1_11target_archE1200ELNS1_3gpuE4ELNS1_3repE0EEENS1_30default_config_static_selectorELNS0_4arch9wavefront6targetE0EEEvT1_
    .private_segment_fixed_size: 0
    .sgpr_count:     0
    .sgpr_spill_count: 0
    .symbol:         _ZN7rocprim17ROCPRIM_400000_NS6detail17trampoline_kernelINS0_14default_configENS1_25partition_config_selectorILNS1_17partition_subalgoE6EjNS0_10empty_typeEbEEZZNS1_14partition_implILS5_6ELb0ES3_mN6thrust23THRUST_200600_302600_NS6detail15normal_iteratorINSA_10device_ptrIjEEEEPS6_SG_NS0_5tupleIJSF_S6_EEENSH_IJSG_SG_EEES6_PlJ5mod_3IjEEEE10hipError_tPvRmT3_T4_T5_T6_T7_T9_mT8_P12ihipStream_tbDpT10_ENKUlT_T0_E_clISt17integral_constantIbLb0EES15_IbLb1EEEEDaS11_S12_EUlS11_E_NS1_11comp_targetILNS1_3genE10ELNS1_11target_archE1200ELNS1_3gpuE4ELNS1_3repE0EEENS1_30default_config_static_selectorELNS0_4arch9wavefront6targetE0EEEvT1_.kd
    .uniform_work_group_size: 1
    .uses_dynamic_stack: false
    .vgpr_count:     0
    .vgpr_spill_count: 0
    .wavefront_size: 32
    .workgroup_processor_mode: 1
  - .args:
      - .offset:         0
        .size:           128
        .value_kind:     by_value
    .group_segment_fixed_size: 7184
    .kernarg_segment_align: 8
    .kernarg_segment_size: 128
    .language:       OpenCL C
    .language_version:
      - 2
      - 0
    .max_flat_workgroup_size: 128
    .name:           _ZN7rocprim17ROCPRIM_400000_NS6detail17trampoline_kernelINS0_14default_configENS1_25partition_config_selectorILNS1_17partition_subalgoE6EjNS0_10empty_typeEbEEZZNS1_14partition_implILS5_6ELb0ES3_mN6thrust23THRUST_200600_302600_NS6detail15normal_iteratorINSA_10device_ptrIjEEEEPS6_SG_NS0_5tupleIJSF_S6_EEENSH_IJSG_SG_EEES6_PlJ5mod_3IjEEEE10hipError_tPvRmT3_T4_T5_T6_T7_T9_mT8_P12ihipStream_tbDpT10_ENKUlT_T0_E_clISt17integral_constantIbLb0EES15_IbLb1EEEEDaS11_S12_EUlS11_E_NS1_11comp_targetILNS1_3genE9ELNS1_11target_archE1100ELNS1_3gpuE3ELNS1_3repE0EEENS1_30default_config_static_selectorELNS0_4arch9wavefront6targetE0EEEvT1_
    .private_segment_fixed_size: 0
    .sgpr_count:     22
    .sgpr_spill_count: 0
    .symbol:         _ZN7rocprim17ROCPRIM_400000_NS6detail17trampoline_kernelINS0_14default_configENS1_25partition_config_selectorILNS1_17partition_subalgoE6EjNS0_10empty_typeEbEEZZNS1_14partition_implILS5_6ELb0ES3_mN6thrust23THRUST_200600_302600_NS6detail15normal_iteratorINSA_10device_ptrIjEEEEPS6_SG_NS0_5tupleIJSF_S6_EEENSH_IJSG_SG_EEES6_PlJ5mod_3IjEEEE10hipError_tPvRmT3_T4_T5_T6_T7_T9_mT8_P12ihipStream_tbDpT10_ENKUlT_T0_E_clISt17integral_constantIbLb0EES15_IbLb1EEEEDaS11_S12_EUlS11_E_NS1_11comp_targetILNS1_3genE9ELNS1_11target_archE1100ELNS1_3gpuE3ELNS1_3repE0EEENS1_30default_config_static_selectorELNS0_4arch9wavefront6targetE0EEEvT1_.kd
    .uniform_work_group_size: 1
    .uses_dynamic_stack: false
    .vgpr_count:     76
    .vgpr_spill_count: 0
    .wavefront_size: 32
    .workgroup_processor_mode: 1
  - .args:
      - .offset:         0
        .size:           128
        .value_kind:     by_value
    .group_segment_fixed_size: 0
    .kernarg_segment_align: 8
    .kernarg_segment_size: 128
    .language:       OpenCL C
    .language_version:
      - 2
      - 0
    .max_flat_workgroup_size: 512
    .name:           _ZN7rocprim17ROCPRIM_400000_NS6detail17trampoline_kernelINS0_14default_configENS1_25partition_config_selectorILNS1_17partition_subalgoE6EjNS0_10empty_typeEbEEZZNS1_14partition_implILS5_6ELb0ES3_mN6thrust23THRUST_200600_302600_NS6detail15normal_iteratorINSA_10device_ptrIjEEEEPS6_SG_NS0_5tupleIJSF_S6_EEENSH_IJSG_SG_EEES6_PlJ5mod_3IjEEEE10hipError_tPvRmT3_T4_T5_T6_T7_T9_mT8_P12ihipStream_tbDpT10_ENKUlT_T0_E_clISt17integral_constantIbLb0EES15_IbLb1EEEEDaS11_S12_EUlS11_E_NS1_11comp_targetILNS1_3genE8ELNS1_11target_archE1030ELNS1_3gpuE2ELNS1_3repE0EEENS1_30default_config_static_selectorELNS0_4arch9wavefront6targetE0EEEvT1_
    .private_segment_fixed_size: 0
    .sgpr_count:     0
    .sgpr_spill_count: 0
    .symbol:         _ZN7rocprim17ROCPRIM_400000_NS6detail17trampoline_kernelINS0_14default_configENS1_25partition_config_selectorILNS1_17partition_subalgoE6EjNS0_10empty_typeEbEEZZNS1_14partition_implILS5_6ELb0ES3_mN6thrust23THRUST_200600_302600_NS6detail15normal_iteratorINSA_10device_ptrIjEEEEPS6_SG_NS0_5tupleIJSF_S6_EEENSH_IJSG_SG_EEES6_PlJ5mod_3IjEEEE10hipError_tPvRmT3_T4_T5_T6_T7_T9_mT8_P12ihipStream_tbDpT10_ENKUlT_T0_E_clISt17integral_constantIbLb0EES15_IbLb1EEEEDaS11_S12_EUlS11_E_NS1_11comp_targetILNS1_3genE8ELNS1_11target_archE1030ELNS1_3gpuE2ELNS1_3repE0EEENS1_30default_config_static_selectorELNS0_4arch9wavefront6targetE0EEEvT1_.kd
    .uniform_work_group_size: 1
    .uses_dynamic_stack: false
    .vgpr_count:     0
    .vgpr_spill_count: 0
    .wavefront_size: 32
    .workgroup_processor_mode: 1
  - .args:
      - .offset:         0
        .size:           112
        .value_kind:     by_value
    .group_segment_fixed_size: 0
    .kernarg_segment_align: 8
    .kernarg_segment_size: 112
    .language:       OpenCL C
    .language_version:
      - 2
      - 0
    .max_flat_workgroup_size: 256
    .name:           _ZN7rocprim17ROCPRIM_400000_NS6detail17trampoline_kernelINS0_14default_configENS1_25partition_config_selectorILNS1_17partition_subalgoE6EtNS0_10empty_typeEbEEZZNS1_14partition_implILS5_6ELb0ES3_mN6thrust23THRUST_200600_302600_NS6detail15normal_iteratorINSA_10device_ptrItEEEEPS6_SG_NS0_5tupleIJSF_S6_EEENSH_IJSG_SG_EEES6_PlJ5mod_3ItEEEE10hipError_tPvRmT3_T4_T5_T6_T7_T9_mT8_P12ihipStream_tbDpT10_ENKUlT_T0_E_clISt17integral_constantIbLb0EES16_EEDaS11_S12_EUlS11_E_NS1_11comp_targetILNS1_3genE0ELNS1_11target_archE4294967295ELNS1_3gpuE0ELNS1_3repE0EEENS1_30default_config_static_selectorELNS0_4arch9wavefront6targetE0EEEvT1_
    .private_segment_fixed_size: 0
    .sgpr_count:     0
    .sgpr_spill_count: 0
    .symbol:         _ZN7rocprim17ROCPRIM_400000_NS6detail17trampoline_kernelINS0_14default_configENS1_25partition_config_selectorILNS1_17partition_subalgoE6EtNS0_10empty_typeEbEEZZNS1_14partition_implILS5_6ELb0ES3_mN6thrust23THRUST_200600_302600_NS6detail15normal_iteratorINSA_10device_ptrItEEEEPS6_SG_NS0_5tupleIJSF_S6_EEENSH_IJSG_SG_EEES6_PlJ5mod_3ItEEEE10hipError_tPvRmT3_T4_T5_T6_T7_T9_mT8_P12ihipStream_tbDpT10_ENKUlT_T0_E_clISt17integral_constantIbLb0EES16_EEDaS11_S12_EUlS11_E_NS1_11comp_targetILNS1_3genE0ELNS1_11target_archE4294967295ELNS1_3gpuE0ELNS1_3repE0EEENS1_30default_config_static_selectorELNS0_4arch9wavefront6targetE0EEEvT1_.kd
    .uniform_work_group_size: 1
    .uses_dynamic_stack: false
    .vgpr_count:     0
    .vgpr_spill_count: 0
    .wavefront_size: 32
    .workgroup_processor_mode: 1
  - .args:
      - .offset:         0
        .size:           112
        .value_kind:     by_value
    .group_segment_fixed_size: 0
    .kernarg_segment_align: 8
    .kernarg_segment_size: 112
    .language:       OpenCL C
    .language_version:
      - 2
      - 0
    .max_flat_workgroup_size: 512
    .name:           _ZN7rocprim17ROCPRIM_400000_NS6detail17trampoline_kernelINS0_14default_configENS1_25partition_config_selectorILNS1_17partition_subalgoE6EtNS0_10empty_typeEbEEZZNS1_14partition_implILS5_6ELb0ES3_mN6thrust23THRUST_200600_302600_NS6detail15normal_iteratorINSA_10device_ptrItEEEEPS6_SG_NS0_5tupleIJSF_S6_EEENSH_IJSG_SG_EEES6_PlJ5mod_3ItEEEE10hipError_tPvRmT3_T4_T5_T6_T7_T9_mT8_P12ihipStream_tbDpT10_ENKUlT_T0_E_clISt17integral_constantIbLb0EES16_EEDaS11_S12_EUlS11_E_NS1_11comp_targetILNS1_3genE5ELNS1_11target_archE942ELNS1_3gpuE9ELNS1_3repE0EEENS1_30default_config_static_selectorELNS0_4arch9wavefront6targetE0EEEvT1_
    .private_segment_fixed_size: 0
    .sgpr_count:     0
    .sgpr_spill_count: 0
    .symbol:         _ZN7rocprim17ROCPRIM_400000_NS6detail17trampoline_kernelINS0_14default_configENS1_25partition_config_selectorILNS1_17partition_subalgoE6EtNS0_10empty_typeEbEEZZNS1_14partition_implILS5_6ELb0ES3_mN6thrust23THRUST_200600_302600_NS6detail15normal_iteratorINSA_10device_ptrItEEEEPS6_SG_NS0_5tupleIJSF_S6_EEENSH_IJSG_SG_EEES6_PlJ5mod_3ItEEEE10hipError_tPvRmT3_T4_T5_T6_T7_T9_mT8_P12ihipStream_tbDpT10_ENKUlT_T0_E_clISt17integral_constantIbLb0EES16_EEDaS11_S12_EUlS11_E_NS1_11comp_targetILNS1_3genE5ELNS1_11target_archE942ELNS1_3gpuE9ELNS1_3repE0EEENS1_30default_config_static_selectorELNS0_4arch9wavefront6targetE0EEEvT1_.kd
    .uniform_work_group_size: 1
    .uses_dynamic_stack: false
    .vgpr_count:     0
    .vgpr_spill_count: 0
    .wavefront_size: 32
    .workgroup_processor_mode: 1
  - .args:
      - .offset:         0
        .size:           112
        .value_kind:     by_value
    .group_segment_fixed_size: 0
    .kernarg_segment_align: 8
    .kernarg_segment_size: 112
    .language:       OpenCL C
    .language_version:
      - 2
      - 0
    .max_flat_workgroup_size: 256
    .name:           _ZN7rocprim17ROCPRIM_400000_NS6detail17trampoline_kernelINS0_14default_configENS1_25partition_config_selectorILNS1_17partition_subalgoE6EtNS0_10empty_typeEbEEZZNS1_14partition_implILS5_6ELb0ES3_mN6thrust23THRUST_200600_302600_NS6detail15normal_iteratorINSA_10device_ptrItEEEEPS6_SG_NS0_5tupleIJSF_S6_EEENSH_IJSG_SG_EEES6_PlJ5mod_3ItEEEE10hipError_tPvRmT3_T4_T5_T6_T7_T9_mT8_P12ihipStream_tbDpT10_ENKUlT_T0_E_clISt17integral_constantIbLb0EES16_EEDaS11_S12_EUlS11_E_NS1_11comp_targetILNS1_3genE4ELNS1_11target_archE910ELNS1_3gpuE8ELNS1_3repE0EEENS1_30default_config_static_selectorELNS0_4arch9wavefront6targetE0EEEvT1_
    .private_segment_fixed_size: 0
    .sgpr_count:     0
    .sgpr_spill_count: 0
    .symbol:         _ZN7rocprim17ROCPRIM_400000_NS6detail17trampoline_kernelINS0_14default_configENS1_25partition_config_selectorILNS1_17partition_subalgoE6EtNS0_10empty_typeEbEEZZNS1_14partition_implILS5_6ELb0ES3_mN6thrust23THRUST_200600_302600_NS6detail15normal_iteratorINSA_10device_ptrItEEEEPS6_SG_NS0_5tupleIJSF_S6_EEENSH_IJSG_SG_EEES6_PlJ5mod_3ItEEEE10hipError_tPvRmT3_T4_T5_T6_T7_T9_mT8_P12ihipStream_tbDpT10_ENKUlT_T0_E_clISt17integral_constantIbLb0EES16_EEDaS11_S12_EUlS11_E_NS1_11comp_targetILNS1_3genE4ELNS1_11target_archE910ELNS1_3gpuE8ELNS1_3repE0EEENS1_30default_config_static_selectorELNS0_4arch9wavefront6targetE0EEEvT1_.kd
    .uniform_work_group_size: 1
    .uses_dynamic_stack: false
    .vgpr_count:     0
    .vgpr_spill_count: 0
    .wavefront_size: 32
    .workgroup_processor_mode: 1
  - .args:
      - .offset:         0
        .size:           112
        .value_kind:     by_value
    .group_segment_fixed_size: 0
    .kernarg_segment_align: 8
    .kernarg_segment_size: 112
    .language:       OpenCL C
    .language_version:
      - 2
      - 0
    .max_flat_workgroup_size: 256
    .name:           _ZN7rocprim17ROCPRIM_400000_NS6detail17trampoline_kernelINS0_14default_configENS1_25partition_config_selectorILNS1_17partition_subalgoE6EtNS0_10empty_typeEbEEZZNS1_14partition_implILS5_6ELb0ES3_mN6thrust23THRUST_200600_302600_NS6detail15normal_iteratorINSA_10device_ptrItEEEEPS6_SG_NS0_5tupleIJSF_S6_EEENSH_IJSG_SG_EEES6_PlJ5mod_3ItEEEE10hipError_tPvRmT3_T4_T5_T6_T7_T9_mT8_P12ihipStream_tbDpT10_ENKUlT_T0_E_clISt17integral_constantIbLb0EES16_EEDaS11_S12_EUlS11_E_NS1_11comp_targetILNS1_3genE3ELNS1_11target_archE908ELNS1_3gpuE7ELNS1_3repE0EEENS1_30default_config_static_selectorELNS0_4arch9wavefront6targetE0EEEvT1_
    .private_segment_fixed_size: 0
    .sgpr_count:     0
    .sgpr_spill_count: 0
    .symbol:         _ZN7rocprim17ROCPRIM_400000_NS6detail17trampoline_kernelINS0_14default_configENS1_25partition_config_selectorILNS1_17partition_subalgoE6EtNS0_10empty_typeEbEEZZNS1_14partition_implILS5_6ELb0ES3_mN6thrust23THRUST_200600_302600_NS6detail15normal_iteratorINSA_10device_ptrItEEEEPS6_SG_NS0_5tupleIJSF_S6_EEENSH_IJSG_SG_EEES6_PlJ5mod_3ItEEEE10hipError_tPvRmT3_T4_T5_T6_T7_T9_mT8_P12ihipStream_tbDpT10_ENKUlT_T0_E_clISt17integral_constantIbLb0EES16_EEDaS11_S12_EUlS11_E_NS1_11comp_targetILNS1_3genE3ELNS1_11target_archE908ELNS1_3gpuE7ELNS1_3repE0EEENS1_30default_config_static_selectorELNS0_4arch9wavefront6targetE0EEEvT1_.kd
    .uniform_work_group_size: 1
    .uses_dynamic_stack: false
    .vgpr_count:     0
    .vgpr_spill_count: 0
    .wavefront_size: 32
    .workgroup_processor_mode: 1
  - .args:
      - .offset:         0
        .size:           112
        .value_kind:     by_value
    .group_segment_fixed_size: 0
    .kernarg_segment_align: 8
    .kernarg_segment_size: 112
    .language:       OpenCL C
    .language_version:
      - 2
      - 0
    .max_flat_workgroup_size: 256
    .name:           _ZN7rocprim17ROCPRIM_400000_NS6detail17trampoline_kernelINS0_14default_configENS1_25partition_config_selectorILNS1_17partition_subalgoE6EtNS0_10empty_typeEbEEZZNS1_14partition_implILS5_6ELb0ES3_mN6thrust23THRUST_200600_302600_NS6detail15normal_iteratorINSA_10device_ptrItEEEEPS6_SG_NS0_5tupleIJSF_S6_EEENSH_IJSG_SG_EEES6_PlJ5mod_3ItEEEE10hipError_tPvRmT3_T4_T5_T6_T7_T9_mT8_P12ihipStream_tbDpT10_ENKUlT_T0_E_clISt17integral_constantIbLb0EES16_EEDaS11_S12_EUlS11_E_NS1_11comp_targetILNS1_3genE2ELNS1_11target_archE906ELNS1_3gpuE6ELNS1_3repE0EEENS1_30default_config_static_selectorELNS0_4arch9wavefront6targetE0EEEvT1_
    .private_segment_fixed_size: 0
    .sgpr_count:     0
    .sgpr_spill_count: 0
    .symbol:         _ZN7rocprim17ROCPRIM_400000_NS6detail17trampoline_kernelINS0_14default_configENS1_25partition_config_selectorILNS1_17partition_subalgoE6EtNS0_10empty_typeEbEEZZNS1_14partition_implILS5_6ELb0ES3_mN6thrust23THRUST_200600_302600_NS6detail15normal_iteratorINSA_10device_ptrItEEEEPS6_SG_NS0_5tupleIJSF_S6_EEENSH_IJSG_SG_EEES6_PlJ5mod_3ItEEEE10hipError_tPvRmT3_T4_T5_T6_T7_T9_mT8_P12ihipStream_tbDpT10_ENKUlT_T0_E_clISt17integral_constantIbLb0EES16_EEDaS11_S12_EUlS11_E_NS1_11comp_targetILNS1_3genE2ELNS1_11target_archE906ELNS1_3gpuE6ELNS1_3repE0EEENS1_30default_config_static_selectorELNS0_4arch9wavefront6targetE0EEEvT1_.kd
    .uniform_work_group_size: 1
    .uses_dynamic_stack: false
    .vgpr_count:     0
    .vgpr_spill_count: 0
    .wavefront_size: 32
    .workgroup_processor_mode: 1
  - .args:
      - .offset:         0
        .size:           112
        .value_kind:     by_value
    .group_segment_fixed_size: 0
    .kernarg_segment_align: 8
    .kernarg_segment_size: 112
    .language:       OpenCL C
    .language_version:
      - 2
      - 0
    .max_flat_workgroup_size: 384
    .name:           _ZN7rocprim17ROCPRIM_400000_NS6detail17trampoline_kernelINS0_14default_configENS1_25partition_config_selectorILNS1_17partition_subalgoE6EtNS0_10empty_typeEbEEZZNS1_14partition_implILS5_6ELb0ES3_mN6thrust23THRUST_200600_302600_NS6detail15normal_iteratorINSA_10device_ptrItEEEEPS6_SG_NS0_5tupleIJSF_S6_EEENSH_IJSG_SG_EEES6_PlJ5mod_3ItEEEE10hipError_tPvRmT3_T4_T5_T6_T7_T9_mT8_P12ihipStream_tbDpT10_ENKUlT_T0_E_clISt17integral_constantIbLb0EES16_EEDaS11_S12_EUlS11_E_NS1_11comp_targetILNS1_3genE10ELNS1_11target_archE1200ELNS1_3gpuE4ELNS1_3repE0EEENS1_30default_config_static_selectorELNS0_4arch9wavefront6targetE0EEEvT1_
    .private_segment_fixed_size: 0
    .sgpr_count:     0
    .sgpr_spill_count: 0
    .symbol:         _ZN7rocprim17ROCPRIM_400000_NS6detail17trampoline_kernelINS0_14default_configENS1_25partition_config_selectorILNS1_17partition_subalgoE6EtNS0_10empty_typeEbEEZZNS1_14partition_implILS5_6ELb0ES3_mN6thrust23THRUST_200600_302600_NS6detail15normal_iteratorINSA_10device_ptrItEEEEPS6_SG_NS0_5tupleIJSF_S6_EEENSH_IJSG_SG_EEES6_PlJ5mod_3ItEEEE10hipError_tPvRmT3_T4_T5_T6_T7_T9_mT8_P12ihipStream_tbDpT10_ENKUlT_T0_E_clISt17integral_constantIbLb0EES16_EEDaS11_S12_EUlS11_E_NS1_11comp_targetILNS1_3genE10ELNS1_11target_archE1200ELNS1_3gpuE4ELNS1_3repE0EEENS1_30default_config_static_selectorELNS0_4arch9wavefront6targetE0EEEvT1_.kd
    .uniform_work_group_size: 1
    .uses_dynamic_stack: false
    .vgpr_count:     0
    .vgpr_spill_count: 0
    .wavefront_size: 32
    .workgroup_processor_mode: 1
  - .args:
      - .offset:         0
        .size:           112
        .value_kind:     by_value
    .group_segment_fixed_size: 7696
    .kernarg_segment_align: 8
    .kernarg_segment_size: 112
    .language:       OpenCL C
    .language_version:
      - 2
      - 0
    .max_flat_workgroup_size: 128
    .name:           _ZN7rocprim17ROCPRIM_400000_NS6detail17trampoline_kernelINS0_14default_configENS1_25partition_config_selectorILNS1_17partition_subalgoE6EtNS0_10empty_typeEbEEZZNS1_14partition_implILS5_6ELb0ES3_mN6thrust23THRUST_200600_302600_NS6detail15normal_iteratorINSA_10device_ptrItEEEEPS6_SG_NS0_5tupleIJSF_S6_EEENSH_IJSG_SG_EEES6_PlJ5mod_3ItEEEE10hipError_tPvRmT3_T4_T5_T6_T7_T9_mT8_P12ihipStream_tbDpT10_ENKUlT_T0_E_clISt17integral_constantIbLb0EES16_EEDaS11_S12_EUlS11_E_NS1_11comp_targetILNS1_3genE9ELNS1_11target_archE1100ELNS1_3gpuE3ELNS1_3repE0EEENS1_30default_config_static_selectorELNS0_4arch9wavefront6targetE0EEEvT1_
    .private_segment_fixed_size: 0
    .sgpr_count:     22
    .sgpr_spill_count: 0
    .symbol:         _ZN7rocprim17ROCPRIM_400000_NS6detail17trampoline_kernelINS0_14default_configENS1_25partition_config_selectorILNS1_17partition_subalgoE6EtNS0_10empty_typeEbEEZZNS1_14partition_implILS5_6ELb0ES3_mN6thrust23THRUST_200600_302600_NS6detail15normal_iteratorINSA_10device_ptrItEEEEPS6_SG_NS0_5tupleIJSF_S6_EEENSH_IJSG_SG_EEES6_PlJ5mod_3ItEEEE10hipError_tPvRmT3_T4_T5_T6_T7_T9_mT8_P12ihipStream_tbDpT10_ENKUlT_T0_E_clISt17integral_constantIbLb0EES16_EEDaS11_S12_EUlS11_E_NS1_11comp_targetILNS1_3genE9ELNS1_11target_archE1100ELNS1_3gpuE3ELNS1_3repE0EEENS1_30default_config_static_selectorELNS0_4arch9wavefront6targetE0EEEvT1_.kd
    .uniform_work_group_size: 1
    .uses_dynamic_stack: false
    .vgpr_count:     130
    .vgpr_spill_count: 0
    .wavefront_size: 32
    .workgroup_processor_mode: 1
  - .args:
      - .offset:         0
        .size:           112
        .value_kind:     by_value
    .group_segment_fixed_size: 0
    .kernarg_segment_align: 8
    .kernarg_segment_size: 112
    .language:       OpenCL C
    .language_version:
      - 2
      - 0
    .max_flat_workgroup_size: 256
    .name:           _ZN7rocprim17ROCPRIM_400000_NS6detail17trampoline_kernelINS0_14default_configENS1_25partition_config_selectorILNS1_17partition_subalgoE6EtNS0_10empty_typeEbEEZZNS1_14partition_implILS5_6ELb0ES3_mN6thrust23THRUST_200600_302600_NS6detail15normal_iteratorINSA_10device_ptrItEEEEPS6_SG_NS0_5tupleIJSF_S6_EEENSH_IJSG_SG_EEES6_PlJ5mod_3ItEEEE10hipError_tPvRmT3_T4_T5_T6_T7_T9_mT8_P12ihipStream_tbDpT10_ENKUlT_T0_E_clISt17integral_constantIbLb0EES16_EEDaS11_S12_EUlS11_E_NS1_11comp_targetILNS1_3genE8ELNS1_11target_archE1030ELNS1_3gpuE2ELNS1_3repE0EEENS1_30default_config_static_selectorELNS0_4arch9wavefront6targetE0EEEvT1_
    .private_segment_fixed_size: 0
    .sgpr_count:     0
    .sgpr_spill_count: 0
    .symbol:         _ZN7rocprim17ROCPRIM_400000_NS6detail17trampoline_kernelINS0_14default_configENS1_25partition_config_selectorILNS1_17partition_subalgoE6EtNS0_10empty_typeEbEEZZNS1_14partition_implILS5_6ELb0ES3_mN6thrust23THRUST_200600_302600_NS6detail15normal_iteratorINSA_10device_ptrItEEEEPS6_SG_NS0_5tupleIJSF_S6_EEENSH_IJSG_SG_EEES6_PlJ5mod_3ItEEEE10hipError_tPvRmT3_T4_T5_T6_T7_T9_mT8_P12ihipStream_tbDpT10_ENKUlT_T0_E_clISt17integral_constantIbLb0EES16_EEDaS11_S12_EUlS11_E_NS1_11comp_targetILNS1_3genE8ELNS1_11target_archE1030ELNS1_3gpuE2ELNS1_3repE0EEENS1_30default_config_static_selectorELNS0_4arch9wavefront6targetE0EEEvT1_.kd
    .uniform_work_group_size: 1
    .uses_dynamic_stack: false
    .vgpr_count:     0
    .vgpr_spill_count: 0
    .wavefront_size: 32
    .workgroup_processor_mode: 1
  - .args:
      - .offset:         0
        .size:           128
        .value_kind:     by_value
    .group_segment_fixed_size: 0
    .kernarg_segment_align: 8
    .kernarg_segment_size: 128
    .language:       OpenCL C
    .language_version:
      - 2
      - 0
    .max_flat_workgroup_size: 256
    .name:           _ZN7rocprim17ROCPRIM_400000_NS6detail17trampoline_kernelINS0_14default_configENS1_25partition_config_selectorILNS1_17partition_subalgoE6EtNS0_10empty_typeEbEEZZNS1_14partition_implILS5_6ELb0ES3_mN6thrust23THRUST_200600_302600_NS6detail15normal_iteratorINSA_10device_ptrItEEEEPS6_SG_NS0_5tupleIJSF_S6_EEENSH_IJSG_SG_EEES6_PlJ5mod_3ItEEEE10hipError_tPvRmT3_T4_T5_T6_T7_T9_mT8_P12ihipStream_tbDpT10_ENKUlT_T0_E_clISt17integral_constantIbLb1EES16_EEDaS11_S12_EUlS11_E_NS1_11comp_targetILNS1_3genE0ELNS1_11target_archE4294967295ELNS1_3gpuE0ELNS1_3repE0EEENS1_30default_config_static_selectorELNS0_4arch9wavefront6targetE0EEEvT1_
    .private_segment_fixed_size: 0
    .sgpr_count:     0
    .sgpr_spill_count: 0
    .symbol:         _ZN7rocprim17ROCPRIM_400000_NS6detail17trampoline_kernelINS0_14default_configENS1_25partition_config_selectorILNS1_17partition_subalgoE6EtNS0_10empty_typeEbEEZZNS1_14partition_implILS5_6ELb0ES3_mN6thrust23THRUST_200600_302600_NS6detail15normal_iteratorINSA_10device_ptrItEEEEPS6_SG_NS0_5tupleIJSF_S6_EEENSH_IJSG_SG_EEES6_PlJ5mod_3ItEEEE10hipError_tPvRmT3_T4_T5_T6_T7_T9_mT8_P12ihipStream_tbDpT10_ENKUlT_T0_E_clISt17integral_constantIbLb1EES16_EEDaS11_S12_EUlS11_E_NS1_11comp_targetILNS1_3genE0ELNS1_11target_archE4294967295ELNS1_3gpuE0ELNS1_3repE0EEENS1_30default_config_static_selectorELNS0_4arch9wavefront6targetE0EEEvT1_.kd
    .uniform_work_group_size: 1
    .uses_dynamic_stack: false
    .vgpr_count:     0
    .vgpr_spill_count: 0
    .wavefront_size: 32
    .workgroup_processor_mode: 1
  - .args:
      - .offset:         0
        .size:           128
        .value_kind:     by_value
    .group_segment_fixed_size: 0
    .kernarg_segment_align: 8
    .kernarg_segment_size: 128
    .language:       OpenCL C
    .language_version:
      - 2
      - 0
    .max_flat_workgroup_size: 512
    .name:           _ZN7rocprim17ROCPRIM_400000_NS6detail17trampoline_kernelINS0_14default_configENS1_25partition_config_selectorILNS1_17partition_subalgoE6EtNS0_10empty_typeEbEEZZNS1_14partition_implILS5_6ELb0ES3_mN6thrust23THRUST_200600_302600_NS6detail15normal_iteratorINSA_10device_ptrItEEEEPS6_SG_NS0_5tupleIJSF_S6_EEENSH_IJSG_SG_EEES6_PlJ5mod_3ItEEEE10hipError_tPvRmT3_T4_T5_T6_T7_T9_mT8_P12ihipStream_tbDpT10_ENKUlT_T0_E_clISt17integral_constantIbLb1EES16_EEDaS11_S12_EUlS11_E_NS1_11comp_targetILNS1_3genE5ELNS1_11target_archE942ELNS1_3gpuE9ELNS1_3repE0EEENS1_30default_config_static_selectorELNS0_4arch9wavefront6targetE0EEEvT1_
    .private_segment_fixed_size: 0
    .sgpr_count:     0
    .sgpr_spill_count: 0
    .symbol:         _ZN7rocprim17ROCPRIM_400000_NS6detail17trampoline_kernelINS0_14default_configENS1_25partition_config_selectorILNS1_17partition_subalgoE6EtNS0_10empty_typeEbEEZZNS1_14partition_implILS5_6ELb0ES3_mN6thrust23THRUST_200600_302600_NS6detail15normal_iteratorINSA_10device_ptrItEEEEPS6_SG_NS0_5tupleIJSF_S6_EEENSH_IJSG_SG_EEES6_PlJ5mod_3ItEEEE10hipError_tPvRmT3_T4_T5_T6_T7_T9_mT8_P12ihipStream_tbDpT10_ENKUlT_T0_E_clISt17integral_constantIbLb1EES16_EEDaS11_S12_EUlS11_E_NS1_11comp_targetILNS1_3genE5ELNS1_11target_archE942ELNS1_3gpuE9ELNS1_3repE0EEENS1_30default_config_static_selectorELNS0_4arch9wavefront6targetE0EEEvT1_.kd
    .uniform_work_group_size: 1
    .uses_dynamic_stack: false
    .vgpr_count:     0
    .vgpr_spill_count: 0
    .wavefront_size: 32
    .workgroup_processor_mode: 1
  - .args:
      - .offset:         0
        .size:           128
        .value_kind:     by_value
    .group_segment_fixed_size: 0
    .kernarg_segment_align: 8
    .kernarg_segment_size: 128
    .language:       OpenCL C
    .language_version:
      - 2
      - 0
    .max_flat_workgroup_size: 256
    .name:           _ZN7rocprim17ROCPRIM_400000_NS6detail17trampoline_kernelINS0_14default_configENS1_25partition_config_selectorILNS1_17partition_subalgoE6EtNS0_10empty_typeEbEEZZNS1_14partition_implILS5_6ELb0ES3_mN6thrust23THRUST_200600_302600_NS6detail15normal_iteratorINSA_10device_ptrItEEEEPS6_SG_NS0_5tupleIJSF_S6_EEENSH_IJSG_SG_EEES6_PlJ5mod_3ItEEEE10hipError_tPvRmT3_T4_T5_T6_T7_T9_mT8_P12ihipStream_tbDpT10_ENKUlT_T0_E_clISt17integral_constantIbLb1EES16_EEDaS11_S12_EUlS11_E_NS1_11comp_targetILNS1_3genE4ELNS1_11target_archE910ELNS1_3gpuE8ELNS1_3repE0EEENS1_30default_config_static_selectorELNS0_4arch9wavefront6targetE0EEEvT1_
    .private_segment_fixed_size: 0
    .sgpr_count:     0
    .sgpr_spill_count: 0
    .symbol:         _ZN7rocprim17ROCPRIM_400000_NS6detail17trampoline_kernelINS0_14default_configENS1_25partition_config_selectorILNS1_17partition_subalgoE6EtNS0_10empty_typeEbEEZZNS1_14partition_implILS5_6ELb0ES3_mN6thrust23THRUST_200600_302600_NS6detail15normal_iteratorINSA_10device_ptrItEEEEPS6_SG_NS0_5tupleIJSF_S6_EEENSH_IJSG_SG_EEES6_PlJ5mod_3ItEEEE10hipError_tPvRmT3_T4_T5_T6_T7_T9_mT8_P12ihipStream_tbDpT10_ENKUlT_T0_E_clISt17integral_constantIbLb1EES16_EEDaS11_S12_EUlS11_E_NS1_11comp_targetILNS1_3genE4ELNS1_11target_archE910ELNS1_3gpuE8ELNS1_3repE0EEENS1_30default_config_static_selectorELNS0_4arch9wavefront6targetE0EEEvT1_.kd
    .uniform_work_group_size: 1
    .uses_dynamic_stack: false
    .vgpr_count:     0
    .vgpr_spill_count: 0
    .wavefront_size: 32
    .workgroup_processor_mode: 1
  - .args:
      - .offset:         0
        .size:           128
        .value_kind:     by_value
    .group_segment_fixed_size: 0
    .kernarg_segment_align: 8
    .kernarg_segment_size: 128
    .language:       OpenCL C
    .language_version:
      - 2
      - 0
    .max_flat_workgroup_size: 256
    .name:           _ZN7rocprim17ROCPRIM_400000_NS6detail17trampoline_kernelINS0_14default_configENS1_25partition_config_selectorILNS1_17partition_subalgoE6EtNS0_10empty_typeEbEEZZNS1_14partition_implILS5_6ELb0ES3_mN6thrust23THRUST_200600_302600_NS6detail15normal_iteratorINSA_10device_ptrItEEEEPS6_SG_NS0_5tupleIJSF_S6_EEENSH_IJSG_SG_EEES6_PlJ5mod_3ItEEEE10hipError_tPvRmT3_T4_T5_T6_T7_T9_mT8_P12ihipStream_tbDpT10_ENKUlT_T0_E_clISt17integral_constantIbLb1EES16_EEDaS11_S12_EUlS11_E_NS1_11comp_targetILNS1_3genE3ELNS1_11target_archE908ELNS1_3gpuE7ELNS1_3repE0EEENS1_30default_config_static_selectorELNS0_4arch9wavefront6targetE0EEEvT1_
    .private_segment_fixed_size: 0
    .sgpr_count:     0
    .sgpr_spill_count: 0
    .symbol:         _ZN7rocprim17ROCPRIM_400000_NS6detail17trampoline_kernelINS0_14default_configENS1_25partition_config_selectorILNS1_17partition_subalgoE6EtNS0_10empty_typeEbEEZZNS1_14partition_implILS5_6ELb0ES3_mN6thrust23THRUST_200600_302600_NS6detail15normal_iteratorINSA_10device_ptrItEEEEPS6_SG_NS0_5tupleIJSF_S6_EEENSH_IJSG_SG_EEES6_PlJ5mod_3ItEEEE10hipError_tPvRmT3_T4_T5_T6_T7_T9_mT8_P12ihipStream_tbDpT10_ENKUlT_T0_E_clISt17integral_constantIbLb1EES16_EEDaS11_S12_EUlS11_E_NS1_11comp_targetILNS1_3genE3ELNS1_11target_archE908ELNS1_3gpuE7ELNS1_3repE0EEENS1_30default_config_static_selectorELNS0_4arch9wavefront6targetE0EEEvT1_.kd
    .uniform_work_group_size: 1
    .uses_dynamic_stack: false
    .vgpr_count:     0
    .vgpr_spill_count: 0
    .wavefront_size: 32
    .workgroup_processor_mode: 1
  - .args:
      - .offset:         0
        .size:           128
        .value_kind:     by_value
    .group_segment_fixed_size: 0
    .kernarg_segment_align: 8
    .kernarg_segment_size: 128
    .language:       OpenCL C
    .language_version:
      - 2
      - 0
    .max_flat_workgroup_size: 256
    .name:           _ZN7rocprim17ROCPRIM_400000_NS6detail17trampoline_kernelINS0_14default_configENS1_25partition_config_selectorILNS1_17partition_subalgoE6EtNS0_10empty_typeEbEEZZNS1_14partition_implILS5_6ELb0ES3_mN6thrust23THRUST_200600_302600_NS6detail15normal_iteratorINSA_10device_ptrItEEEEPS6_SG_NS0_5tupleIJSF_S6_EEENSH_IJSG_SG_EEES6_PlJ5mod_3ItEEEE10hipError_tPvRmT3_T4_T5_T6_T7_T9_mT8_P12ihipStream_tbDpT10_ENKUlT_T0_E_clISt17integral_constantIbLb1EES16_EEDaS11_S12_EUlS11_E_NS1_11comp_targetILNS1_3genE2ELNS1_11target_archE906ELNS1_3gpuE6ELNS1_3repE0EEENS1_30default_config_static_selectorELNS0_4arch9wavefront6targetE0EEEvT1_
    .private_segment_fixed_size: 0
    .sgpr_count:     0
    .sgpr_spill_count: 0
    .symbol:         _ZN7rocprim17ROCPRIM_400000_NS6detail17trampoline_kernelINS0_14default_configENS1_25partition_config_selectorILNS1_17partition_subalgoE6EtNS0_10empty_typeEbEEZZNS1_14partition_implILS5_6ELb0ES3_mN6thrust23THRUST_200600_302600_NS6detail15normal_iteratorINSA_10device_ptrItEEEEPS6_SG_NS0_5tupleIJSF_S6_EEENSH_IJSG_SG_EEES6_PlJ5mod_3ItEEEE10hipError_tPvRmT3_T4_T5_T6_T7_T9_mT8_P12ihipStream_tbDpT10_ENKUlT_T0_E_clISt17integral_constantIbLb1EES16_EEDaS11_S12_EUlS11_E_NS1_11comp_targetILNS1_3genE2ELNS1_11target_archE906ELNS1_3gpuE6ELNS1_3repE0EEENS1_30default_config_static_selectorELNS0_4arch9wavefront6targetE0EEEvT1_.kd
    .uniform_work_group_size: 1
    .uses_dynamic_stack: false
    .vgpr_count:     0
    .vgpr_spill_count: 0
    .wavefront_size: 32
    .workgroup_processor_mode: 1
  - .args:
      - .offset:         0
        .size:           128
        .value_kind:     by_value
    .group_segment_fixed_size: 0
    .kernarg_segment_align: 8
    .kernarg_segment_size: 128
    .language:       OpenCL C
    .language_version:
      - 2
      - 0
    .max_flat_workgroup_size: 384
    .name:           _ZN7rocprim17ROCPRIM_400000_NS6detail17trampoline_kernelINS0_14default_configENS1_25partition_config_selectorILNS1_17partition_subalgoE6EtNS0_10empty_typeEbEEZZNS1_14partition_implILS5_6ELb0ES3_mN6thrust23THRUST_200600_302600_NS6detail15normal_iteratorINSA_10device_ptrItEEEEPS6_SG_NS0_5tupleIJSF_S6_EEENSH_IJSG_SG_EEES6_PlJ5mod_3ItEEEE10hipError_tPvRmT3_T4_T5_T6_T7_T9_mT8_P12ihipStream_tbDpT10_ENKUlT_T0_E_clISt17integral_constantIbLb1EES16_EEDaS11_S12_EUlS11_E_NS1_11comp_targetILNS1_3genE10ELNS1_11target_archE1200ELNS1_3gpuE4ELNS1_3repE0EEENS1_30default_config_static_selectorELNS0_4arch9wavefront6targetE0EEEvT1_
    .private_segment_fixed_size: 0
    .sgpr_count:     0
    .sgpr_spill_count: 0
    .symbol:         _ZN7rocprim17ROCPRIM_400000_NS6detail17trampoline_kernelINS0_14default_configENS1_25partition_config_selectorILNS1_17partition_subalgoE6EtNS0_10empty_typeEbEEZZNS1_14partition_implILS5_6ELb0ES3_mN6thrust23THRUST_200600_302600_NS6detail15normal_iteratorINSA_10device_ptrItEEEEPS6_SG_NS0_5tupleIJSF_S6_EEENSH_IJSG_SG_EEES6_PlJ5mod_3ItEEEE10hipError_tPvRmT3_T4_T5_T6_T7_T9_mT8_P12ihipStream_tbDpT10_ENKUlT_T0_E_clISt17integral_constantIbLb1EES16_EEDaS11_S12_EUlS11_E_NS1_11comp_targetILNS1_3genE10ELNS1_11target_archE1200ELNS1_3gpuE4ELNS1_3repE0EEENS1_30default_config_static_selectorELNS0_4arch9wavefront6targetE0EEEvT1_.kd
    .uniform_work_group_size: 1
    .uses_dynamic_stack: false
    .vgpr_count:     0
    .vgpr_spill_count: 0
    .wavefront_size: 32
    .workgroup_processor_mode: 1
  - .args:
      - .offset:         0
        .size:           128
        .value_kind:     by_value
    .group_segment_fixed_size: 7696
    .kernarg_segment_align: 8
    .kernarg_segment_size: 128
    .language:       OpenCL C
    .language_version:
      - 2
      - 0
    .max_flat_workgroup_size: 128
    .name:           _ZN7rocprim17ROCPRIM_400000_NS6detail17trampoline_kernelINS0_14default_configENS1_25partition_config_selectorILNS1_17partition_subalgoE6EtNS0_10empty_typeEbEEZZNS1_14partition_implILS5_6ELb0ES3_mN6thrust23THRUST_200600_302600_NS6detail15normal_iteratorINSA_10device_ptrItEEEEPS6_SG_NS0_5tupleIJSF_S6_EEENSH_IJSG_SG_EEES6_PlJ5mod_3ItEEEE10hipError_tPvRmT3_T4_T5_T6_T7_T9_mT8_P12ihipStream_tbDpT10_ENKUlT_T0_E_clISt17integral_constantIbLb1EES16_EEDaS11_S12_EUlS11_E_NS1_11comp_targetILNS1_3genE9ELNS1_11target_archE1100ELNS1_3gpuE3ELNS1_3repE0EEENS1_30default_config_static_selectorELNS0_4arch9wavefront6targetE0EEEvT1_
    .private_segment_fixed_size: 0
    .sgpr_count:     21
    .sgpr_spill_count: 0
    .symbol:         _ZN7rocprim17ROCPRIM_400000_NS6detail17trampoline_kernelINS0_14default_configENS1_25partition_config_selectorILNS1_17partition_subalgoE6EtNS0_10empty_typeEbEEZZNS1_14partition_implILS5_6ELb0ES3_mN6thrust23THRUST_200600_302600_NS6detail15normal_iteratorINSA_10device_ptrItEEEEPS6_SG_NS0_5tupleIJSF_S6_EEENSH_IJSG_SG_EEES6_PlJ5mod_3ItEEEE10hipError_tPvRmT3_T4_T5_T6_T7_T9_mT8_P12ihipStream_tbDpT10_ENKUlT_T0_E_clISt17integral_constantIbLb1EES16_EEDaS11_S12_EUlS11_E_NS1_11comp_targetILNS1_3genE9ELNS1_11target_archE1100ELNS1_3gpuE3ELNS1_3repE0EEENS1_30default_config_static_selectorELNS0_4arch9wavefront6targetE0EEEvT1_.kd
    .uniform_work_group_size: 1
    .uses_dynamic_stack: false
    .vgpr_count:     133
    .vgpr_spill_count: 0
    .wavefront_size: 32
    .workgroup_processor_mode: 1
  - .args:
      - .offset:         0
        .size:           128
        .value_kind:     by_value
    .group_segment_fixed_size: 0
    .kernarg_segment_align: 8
    .kernarg_segment_size: 128
    .language:       OpenCL C
    .language_version:
      - 2
      - 0
    .max_flat_workgroup_size: 256
    .name:           _ZN7rocprim17ROCPRIM_400000_NS6detail17trampoline_kernelINS0_14default_configENS1_25partition_config_selectorILNS1_17partition_subalgoE6EtNS0_10empty_typeEbEEZZNS1_14partition_implILS5_6ELb0ES3_mN6thrust23THRUST_200600_302600_NS6detail15normal_iteratorINSA_10device_ptrItEEEEPS6_SG_NS0_5tupleIJSF_S6_EEENSH_IJSG_SG_EEES6_PlJ5mod_3ItEEEE10hipError_tPvRmT3_T4_T5_T6_T7_T9_mT8_P12ihipStream_tbDpT10_ENKUlT_T0_E_clISt17integral_constantIbLb1EES16_EEDaS11_S12_EUlS11_E_NS1_11comp_targetILNS1_3genE8ELNS1_11target_archE1030ELNS1_3gpuE2ELNS1_3repE0EEENS1_30default_config_static_selectorELNS0_4arch9wavefront6targetE0EEEvT1_
    .private_segment_fixed_size: 0
    .sgpr_count:     0
    .sgpr_spill_count: 0
    .symbol:         _ZN7rocprim17ROCPRIM_400000_NS6detail17trampoline_kernelINS0_14default_configENS1_25partition_config_selectorILNS1_17partition_subalgoE6EtNS0_10empty_typeEbEEZZNS1_14partition_implILS5_6ELb0ES3_mN6thrust23THRUST_200600_302600_NS6detail15normal_iteratorINSA_10device_ptrItEEEEPS6_SG_NS0_5tupleIJSF_S6_EEENSH_IJSG_SG_EEES6_PlJ5mod_3ItEEEE10hipError_tPvRmT3_T4_T5_T6_T7_T9_mT8_P12ihipStream_tbDpT10_ENKUlT_T0_E_clISt17integral_constantIbLb1EES16_EEDaS11_S12_EUlS11_E_NS1_11comp_targetILNS1_3genE8ELNS1_11target_archE1030ELNS1_3gpuE2ELNS1_3repE0EEENS1_30default_config_static_selectorELNS0_4arch9wavefront6targetE0EEEvT1_.kd
    .uniform_work_group_size: 1
    .uses_dynamic_stack: false
    .vgpr_count:     0
    .vgpr_spill_count: 0
    .wavefront_size: 32
    .workgroup_processor_mode: 1
  - .args:
      - .offset:         0
        .size:           112
        .value_kind:     by_value
    .group_segment_fixed_size: 0
    .kernarg_segment_align: 8
    .kernarg_segment_size: 112
    .language:       OpenCL C
    .language_version:
      - 2
      - 0
    .max_flat_workgroup_size: 256
    .name:           _ZN7rocprim17ROCPRIM_400000_NS6detail17trampoline_kernelINS0_14default_configENS1_25partition_config_selectorILNS1_17partition_subalgoE6EtNS0_10empty_typeEbEEZZNS1_14partition_implILS5_6ELb0ES3_mN6thrust23THRUST_200600_302600_NS6detail15normal_iteratorINSA_10device_ptrItEEEEPS6_SG_NS0_5tupleIJSF_S6_EEENSH_IJSG_SG_EEES6_PlJ5mod_3ItEEEE10hipError_tPvRmT3_T4_T5_T6_T7_T9_mT8_P12ihipStream_tbDpT10_ENKUlT_T0_E_clISt17integral_constantIbLb1EES15_IbLb0EEEEDaS11_S12_EUlS11_E_NS1_11comp_targetILNS1_3genE0ELNS1_11target_archE4294967295ELNS1_3gpuE0ELNS1_3repE0EEENS1_30default_config_static_selectorELNS0_4arch9wavefront6targetE0EEEvT1_
    .private_segment_fixed_size: 0
    .sgpr_count:     0
    .sgpr_spill_count: 0
    .symbol:         _ZN7rocprim17ROCPRIM_400000_NS6detail17trampoline_kernelINS0_14default_configENS1_25partition_config_selectorILNS1_17partition_subalgoE6EtNS0_10empty_typeEbEEZZNS1_14partition_implILS5_6ELb0ES3_mN6thrust23THRUST_200600_302600_NS6detail15normal_iteratorINSA_10device_ptrItEEEEPS6_SG_NS0_5tupleIJSF_S6_EEENSH_IJSG_SG_EEES6_PlJ5mod_3ItEEEE10hipError_tPvRmT3_T4_T5_T6_T7_T9_mT8_P12ihipStream_tbDpT10_ENKUlT_T0_E_clISt17integral_constantIbLb1EES15_IbLb0EEEEDaS11_S12_EUlS11_E_NS1_11comp_targetILNS1_3genE0ELNS1_11target_archE4294967295ELNS1_3gpuE0ELNS1_3repE0EEENS1_30default_config_static_selectorELNS0_4arch9wavefront6targetE0EEEvT1_.kd
    .uniform_work_group_size: 1
    .uses_dynamic_stack: false
    .vgpr_count:     0
    .vgpr_spill_count: 0
    .wavefront_size: 32
    .workgroup_processor_mode: 1
  - .args:
      - .offset:         0
        .size:           112
        .value_kind:     by_value
    .group_segment_fixed_size: 0
    .kernarg_segment_align: 8
    .kernarg_segment_size: 112
    .language:       OpenCL C
    .language_version:
      - 2
      - 0
    .max_flat_workgroup_size: 512
    .name:           _ZN7rocprim17ROCPRIM_400000_NS6detail17trampoline_kernelINS0_14default_configENS1_25partition_config_selectorILNS1_17partition_subalgoE6EtNS0_10empty_typeEbEEZZNS1_14partition_implILS5_6ELb0ES3_mN6thrust23THRUST_200600_302600_NS6detail15normal_iteratorINSA_10device_ptrItEEEEPS6_SG_NS0_5tupleIJSF_S6_EEENSH_IJSG_SG_EEES6_PlJ5mod_3ItEEEE10hipError_tPvRmT3_T4_T5_T6_T7_T9_mT8_P12ihipStream_tbDpT10_ENKUlT_T0_E_clISt17integral_constantIbLb1EES15_IbLb0EEEEDaS11_S12_EUlS11_E_NS1_11comp_targetILNS1_3genE5ELNS1_11target_archE942ELNS1_3gpuE9ELNS1_3repE0EEENS1_30default_config_static_selectorELNS0_4arch9wavefront6targetE0EEEvT1_
    .private_segment_fixed_size: 0
    .sgpr_count:     0
    .sgpr_spill_count: 0
    .symbol:         _ZN7rocprim17ROCPRIM_400000_NS6detail17trampoline_kernelINS0_14default_configENS1_25partition_config_selectorILNS1_17partition_subalgoE6EtNS0_10empty_typeEbEEZZNS1_14partition_implILS5_6ELb0ES3_mN6thrust23THRUST_200600_302600_NS6detail15normal_iteratorINSA_10device_ptrItEEEEPS6_SG_NS0_5tupleIJSF_S6_EEENSH_IJSG_SG_EEES6_PlJ5mod_3ItEEEE10hipError_tPvRmT3_T4_T5_T6_T7_T9_mT8_P12ihipStream_tbDpT10_ENKUlT_T0_E_clISt17integral_constantIbLb1EES15_IbLb0EEEEDaS11_S12_EUlS11_E_NS1_11comp_targetILNS1_3genE5ELNS1_11target_archE942ELNS1_3gpuE9ELNS1_3repE0EEENS1_30default_config_static_selectorELNS0_4arch9wavefront6targetE0EEEvT1_.kd
    .uniform_work_group_size: 1
    .uses_dynamic_stack: false
    .vgpr_count:     0
    .vgpr_spill_count: 0
    .wavefront_size: 32
    .workgroup_processor_mode: 1
  - .args:
      - .offset:         0
        .size:           112
        .value_kind:     by_value
    .group_segment_fixed_size: 0
    .kernarg_segment_align: 8
    .kernarg_segment_size: 112
    .language:       OpenCL C
    .language_version:
      - 2
      - 0
    .max_flat_workgroup_size: 256
    .name:           _ZN7rocprim17ROCPRIM_400000_NS6detail17trampoline_kernelINS0_14default_configENS1_25partition_config_selectorILNS1_17partition_subalgoE6EtNS0_10empty_typeEbEEZZNS1_14partition_implILS5_6ELb0ES3_mN6thrust23THRUST_200600_302600_NS6detail15normal_iteratorINSA_10device_ptrItEEEEPS6_SG_NS0_5tupleIJSF_S6_EEENSH_IJSG_SG_EEES6_PlJ5mod_3ItEEEE10hipError_tPvRmT3_T4_T5_T6_T7_T9_mT8_P12ihipStream_tbDpT10_ENKUlT_T0_E_clISt17integral_constantIbLb1EES15_IbLb0EEEEDaS11_S12_EUlS11_E_NS1_11comp_targetILNS1_3genE4ELNS1_11target_archE910ELNS1_3gpuE8ELNS1_3repE0EEENS1_30default_config_static_selectorELNS0_4arch9wavefront6targetE0EEEvT1_
    .private_segment_fixed_size: 0
    .sgpr_count:     0
    .sgpr_spill_count: 0
    .symbol:         _ZN7rocprim17ROCPRIM_400000_NS6detail17trampoline_kernelINS0_14default_configENS1_25partition_config_selectorILNS1_17partition_subalgoE6EtNS0_10empty_typeEbEEZZNS1_14partition_implILS5_6ELb0ES3_mN6thrust23THRUST_200600_302600_NS6detail15normal_iteratorINSA_10device_ptrItEEEEPS6_SG_NS0_5tupleIJSF_S6_EEENSH_IJSG_SG_EEES6_PlJ5mod_3ItEEEE10hipError_tPvRmT3_T4_T5_T6_T7_T9_mT8_P12ihipStream_tbDpT10_ENKUlT_T0_E_clISt17integral_constantIbLb1EES15_IbLb0EEEEDaS11_S12_EUlS11_E_NS1_11comp_targetILNS1_3genE4ELNS1_11target_archE910ELNS1_3gpuE8ELNS1_3repE0EEENS1_30default_config_static_selectorELNS0_4arch9wavefront6targetE0EEEvT1_.kd
    .uniform_work_group_size: 1
    .uses_dynamic_stack: false
    .vgpr_count:     0
    .vgpr_spill_count: 0
    .wavefront_size: 32
    .workgroup_processor_mode: 1
  - .args:
      - .offset:         0
        .size:           112
        .value_kind:     by_value
    .group_segment_fixed_size: 0
    .kernarg_segment_align: 8
    .kernarg_segment_size: 112
    .language:       OpenCL C
    .language_version:
      - 2
      - 0
    .max_flat_workgroup_size: 256
    .name:           _ZN7rocprim17ROCPRIM_400000_NS6detail17trampoline_kernelINS0_14default_configENS1_25partition_config_selectorILNS1_17partition_subalgoE6EtNS0_10empty_typeEbEEZZNS1_14partition_implILS5_6ELb0ES3_mN6thrust23THRUST_200600_302600_NS6detail15normal_iteratorINSA_10device_ptrItEEEEPS6_SG_NS0_5tupleIJSF_S6_EEENSH_IJSG_SG_EEES6_PlJ5mod_3ItEEEE10hipError_tPvRmT3_T4_T5_T6_T7_T9_mT8_P12ihipStream_tbDpT10_ENKUlT_T0_E_clISt17integral_constantIbLb1EES15_IbLb0EEEEDaS11_S12_EUlS11_E_NS1_11comp_targetILNS1_3genE3ELNS1_11target_archE908ELNS1_3gpuE7ELNS1_3repE0EEENS1_30default_config_static_selectorELNS0_4arch9wavefront6targetE0EEEvT1_
    .private_segment_fixed_size: 0
    .sgpr_count:     0
    .sgpr_spill_count: 0
    .symbol:         _ZN7rocprim17ROCPRIM_400000_NS6detail17trampoline_kernelINS0_14default_configENS1_25partition_config_selectorILNS1_17partition_subalgoE6EtNS0_10empty_typeEbEEZZNS1_14partition_implILS5_6ELb0ES3_mN6thrust23THRUST_200600_302600_NS6detail15normal_iteratorINSA_10device_ptrItEEEEPS6_SG_NS0_5tupleIJSF_S6_EEENSH_IJSG_SG_EEES6_PlJ5mod_3ItEEEE10hipError_tPvRmT3_T4_T5_T6_T7_T9_mT8_P12ihipStream_tbDpT10_ENKUlT_T0_E_clISt17integral_constantIbLb1EES15_IbLb0EEEEDaS11_S12_EUlS11_E_NS1_11comp_targetILNS1_3genE3ELNS1_11target_archE908ELNS1_3gpuE7ELNS1_3repE0EEENS1_30default_config_static_selectorELNS0_4arch9wavefront6targetE0EEEvT1_.kd
    .uniform_work_group_size: 1
    .uses_dynamic_stack: false
    .vgpr_count:     0
    .vgpr_spill_count: 0
    .wavefront_size: 32
    .workgroup_processor_mode: 1
  - .args:
      - .offset:         0
        .size:           112
        .value_kind:     by_value
    .group_segment_fixed_size: 0
    .kernarg_segment_align: 8
    .kernarg_segment_size: 112
    .language:       OpenCL C
    .language_version:
      - 2
      - 0
    .max_flat_workgroup_size: 256
    .name:           _ZN7rocprim17ROCPRIM_400000_NS6detail17trampoline_kernelINS0_14default_configENS1_25partition_config_selectorILNS1_17partition_subalgoE6EtNS0_10empty_typeEbEEZZNS1_14partition_implILS5_6ELb0ES3_mN6thrust23THRUST_200600_302600_NS6detail15normal_iteratorINSA_10device_ptrItEEEEPS6_SG_NS0_5tupleIJSF_S6_EEENSH_IJSG_SG_EEES6_PlJ5mod_3ItEEEE10hipError_tPvRmT3_T4_T5_T6_T7_T9_mT8_P12ihipStream_tbDpT10_ENKUlT_T0_E_clISt17integral_constantIbLb1EES15_IbLb0EEEEDaS11_S12_EUlS11_E_NS1_11comp_targetILNS1_3genE2ELNS1_11target_archE906ELNS1_3gpuE6ELNS1_3repE0EEENS1_30default_config_static_selectorELNS0_4arch9wavefront6targetE0EEEvT1_
    .private_segment_fixed_size: 0
    .sgpr_count:     0
    .sgpr_spill_count: 0
    .symbol:         _ZN7rocprim17ROCPRIM_400000_NS6detail17trampoline_kernelINS0_14default_configENS1_25partition_config_selectorILNS1_17partition_subalgoE6EtNS0_10empty_typeEbEEZZNS1_14partition_implILS5_6ELb0ES3_mN6thrust23THRUST_200600_302600_NS6detail15normal_iteratorINSA_10device_ptrItEEEEPS6_SG_NS0_5tupleIJSF_S6_EEENSH_IJSG_SG_EEES6_PlJ5mod_3ItEEEE10hipError_tPvRmT3_T4_T5_T6_T7_T9_mT8_P12ihipStream_tbDpT10_ENKUlT_T0_E_clISt17integral_constantIbLb1EES15_IbLb0EEEEDaS11_S12_EUlS11_E_NS1_11comp_targetILNS1_3genE2ELNS1_11target_archE906ELNS1_3gpuE6ELNS1_3repE0EEENS1_30default_config_static_selectorELNS0_4arch9wavefront6targetE0EEEvT1_.kd
    .uniform_work_group_size: 1
    .uses_dynamic_stack: false
    .vgpr_count:     0
    .vgpr_spill_count: 0
    .wavefront_size: 32
    .workgroup_processor_mode: 1
  - .args:
      - .offset:         0
        .size:           112
        .value_kind:     by_value
    .group_segment_fixed_size: 0
    .kernarg_segment_align: 8
    .kernarg_segment_size: 112
    .language:       OpenCL C
    .language_version:
      - 2
      - 0
    .max_flat_workgroup_size: 384
    .name:           _ZN7rocprim17ROCPRIM_400000_NS6detail17trampoline_kernelINS0_14default_configENS1_25partition_config_selectorILNS1_17partition_subalgoE6EtNS0_10empty_typeEbEEZZNS1_14partition_implILS5_6ELb0ES3_mN6thrust23THRUST_200600_302600_NS6detail15normal_iteratorINSA_10device_ptrItEEEEPS6_SG_NS0_5tupleIJSF_S6_EEENSH_IJSG_SG_EEES6_PlJ5mod_3ItEEEE10hipError_tPvRmT3_T4_T5_T6_T7_T9_mT8_P12ihipStream_tbDpT10_ENKUlT_T0_E_clISt17integral_constantIbLb1EES15_IbLb0EEEEDaS11_S12_EUlS11_E_NS1_11comp_targetILNS1_3genE10ELNS1_11target_archE1200ELNS1_3gpuE4ELNS1_3repE0EEENS1_30default_config_static_selectorELNS0_4arch9wavefront6targetE0EEEvT1_
    .private_segment_fixed_size: 0
    .sgpr_count:     0
    .sgpr_spill_count: 0
    .symbol:         _ZN7rocprim17ROCPRIM_400000_NS6detail17trampoline_kernelINS0_14default_configENS1_25partition_config_selectorILNS1_17partition_subalgoE6EtNS0_10empty_typeEbEEZZNS1_14partition_implILS5_6ELb0ES3_mN6thrust23THRUST_200600_302600_NS6detail15normal_iteratorINSA_10device_ptrItEEEEPS6_SG_NS0_5tupleIJSF_S6_EEENSH_IJSG_SG_EEES6_PlJ5mod_3ItEEEE10hipError_tPvRmT3_T4_T5_T6_T7_T9_mT8_P12ihipStream_tbDpT10_ENKUlT_T0_E_clISt17integral_constantIbLb1EES15_IbLb0EEEEDaS11_S12_EUlS11_E_NS1_11comp_targetILNS1_3genE10ELNS1_11target_archE1200ELNS1_3gpuE4ELNS1_3repE0EEENS1_30default_config_static_selectorELNS0_4arch9wavefront6targetE0EEEvT1_.kd
    .uniform_work_group_size: 1
    .uses_dynamic_stack: false
    .vgpr_count:     0
    .vgpr_spill_count: 0
    .wavefront_size: 32
    .workgroup_processor_mode: 1
  - .args:
      - .offset:         0
        .size:           112
        .value_kind:     by_value
    .group_segment_fixed_size: 7696
    .kernarg_segment_align: 8
    .kernarg_segment_size: 112
    .language:       OpenCL C
    .language_version:
      - 2
      - 0
    .max_flat_workgroup_size: 128
    .name:           _ZN7rocprim17ROCPRIM_400000_NS6detail17trampoline_kernelINS0_14default_configENS1_25partition_config_selectorILNS1_17partition_subalgoE6EtNS0_10empty_typeEbEEZZNS1_14partition_implILS5_6ELb0ES3_mN6thrust23THRUST_200600_302600_NS6detail15normal_iteratorINSA_10device_ptrItEEEEPS6_SG_NS0_5tupleIJSF_S6_EEENSH_IJSG_SG_EEES6_PlJ5mod_3ItEEEE10hipError_tPvRmT3_T4_T5_T6_T7_T9_mT8_P12ihipStream_tbDpT10_ENKUlT_T0_E_clISt17integral_constantIbLb1EES15_IbLb0EEEEDaS11_S12_EUlS11_E_NS1_11comp_targetILNS1_3genE9ELNS1_11target_archE1100ELNS1_3gpuE3ELNS1_3repE0EEENS1_30default_config_static_selectorELNS0_4arch9wavefront6targetE0EEEvT1_
    .private_segment_fixed_size: 0
    .sgpr_count:     22
    .sgpr_spill_count: 0
    .symbol:         _ZN7rocprim17ROCPRIM_400000_NS6detail17trampoline_kernelINS0_14default_configENS1_25partition_config_selectorILNS1_17partition_subalgoE6EtNS0_10empty_typeEbEEZZNS1_14partition_implILS5_6ELb0ES3_mN6thrust23THRUST_200600_302600_NS6detail15normal_iteratorINSA_10device_ptrItEEEEPS6_SG_NS0_5tupleIJSF_S6_EEENSH_IJSG_SG_EEES6_PlJ5mod_3ItEEEE10hipError_tPvRmT3_T4_T5_T6_T7_T9_mT8_P12ihipStream_tbDpT10_ENKUlT_T0_E_clISt17integral_constantIbLb1EES15_IbLb0EEEEDaS11_S12_EUlS11_E_NS1_11comp_targetILNS1_3genE9ELNS1_11target_archE1100ELNS1_3gpuE3ELNS1_3repE0EEENS1_30default_config_static_selectorELNS0_4arch9wavefront6targetE0EEEvT1_.kd
    .uniform_work_group_size: 1
    .uses_dynamic_stack: false
    .vgpr_count:     130
    .vgpr_spill_count: 0
    .wavefront_size: 32
    .workgroup_processor_mode: 1
  - .args:
      - .offset:         0
        .size:           112
        .value_kind:     by_value
    .group_segment_fixed_size: 0
    .kernarg_segment_align: 8
    .kernarg_segment_size: 112
    .language:       OpenCL C
    .language_version:
      - 2
      - 0
    .max_flat_workgroup_size: 256
    .name:           _ZN7rocprim17ROCPRIM_400000_NS6detail17trampoline_kernelINS0_14default_configENS1_25partition_config_selectorILNS1_17partition_subalgoE6EtNS0_10empty_typeEbEEZZNS1_14partition_implILS5_6ELb0ES3_mN6thrust23THRUST_200600_302600_NS6detail15normal_iteratorINSA_10device_ptrItEEEEPS6_SG_NS0_5tupleIJSF_S6_EEENSH_IJSG_SG_EEES6_PlJ5mod_3ItEEEE10hipError_tPvRmT3_T4_T5_T6_T7_T9_mT8_P12ihipStream_tbDpT10_ENKUlT_T0_E_clISt17integral_constantIbLb1EES15_IbLb0EEEEDaS11_S12_EUlS11_E_NS1_11comp_targetILNS1_3genE8ELNS1_11target_archE1030ELNS1_3gpuE2ELNS1_3repE0EEENS1_30default_config_static_selectorELNS0_4arch9wavefront6targetE0EEEvT1_
    .private_segment_fixed_size: 0
    .sgpr_count:     0
    .sgpr_spill_count: 0
    .symbol:         _ZN7rocprim17ROCPRIM_400000_NS6detail17trampoline_kernelINS0_14default_configENS1_25partition_config_selectorILNS1_17partition_subalgoE6EtNS0_10empty_typeEbEEZZNS1_14partition_implILS5_6ELb0ES3_mN6thrust23THRUST_200600_302600_NS6detail15normal_iteratorINSA_10device_ptrItEEEEPS6_SG_NS0_5tupleIJSF_S6_EEENSH_IJSG_SG_EEES6_PlJ5mod_3ItEEEE10hipError_tPvRmT3_T4_T5_T6_T7_T9_mT8_P12ihipStream_tbDpT10_ENKUlT_T0_E_clISt17integral_constantIbLb1EES15_IbLb0EEEEDaS11_S12_EUlS11_E_NS1_11comp_targetILNS1_3genE8ELNS1_11target_archE1030ELNS1_3gpuE2ELNS1_3repE0EEENS1_30default_config_static_selectorELNS0_4arch9wavefront6targetE0EEEvT1_.kd
    .uniform_work_group_size: 1
    .uses_dynamic_stack: false
    .vgpr_count:     0
    .vgpr_spill_count: 0
    .wavefront_size: 32
    .workgroup_processor_mode: 1
  - .args:
      - .offset:         0
        .size:           128
        .value_kind:     by_value
    .group_segment_fixed_size: 0
    .kernarg_segment_align: 8
    .kernarg_segment_size: 128
    .language:       OpenCL C
    .language_version:
      - 2
      - 0
    .max_flat_workgroup_size: 256
    .name:           _ZN7rocprim17ROCPRIM_400000_NS6detail17trampoline_kernelINS0_14default_configENS1_25partition_config_selectorILNS1_17partition_subalgoE6EtNS0_10empty_typeEbEEZZNS1_14partition_implILS5_6ELb0ES3_mN6thrust23THRUST_200600_302600_NS6detail15normal_iteratorINSA_10device_ptrItEEEEPS6_SG_NS0_5tupleIJSF_S6_EEENSH_IJSG_SG_EEES6_PlJ5mod_3ItEEEE10hipError_tPvRmT3_T4_T5_T6_T7_T9_mT8_P12ihipStream_tbDpT10_ENKUlT_T0_E_clISt17integral_constantIbLb0EES15_IbLb1EEEEDaS11_S12_EUlS11_E_NS1_11comp_targetILNS1_3genE0ELNS1_11target_archE4294967295ELNS1_3gpuE0ELNS1_3repE0EEENS1_30default_config_static_selectorELNS0_4arch9wavefront6targetE0EEEvT1_
    .private_segment_fixed_size: 0
    .sgpr_count:     0
    .sgpr_spill_count: 0
    .symbol:         _ZN7rocprim17ROCPRIM_400000_NS6detail17trampoline_kernelINS0_14default_configENS1_25partition_config_selectorILNS1_17partition_subalgoE6EtNS0_10empty_typeEbEEZZNS1_14partition_implILS5_6ELb0ES3_mN6thrust23THRUST_200600_302600_NS6detail15normal_iteratorINSA_10device_ptrItEEEEPS6_SG_NS0_5tupleIJSF_S6_EEENSH_IJSG_SG_EEES6_PlJ5mod_3ItEEEE10hipError_tPvRmT3_T4_T5_T6_T7_T9_mT8_P12ihipStream_tbDpT10_ENKUlT_T0_E_clISt17integral_constantIbLb0EES15_IbLb1EEEEDaS11_S12_EUlS11_E_NS1_11comp_targetILNS1_3genE0ELNS1_11target_archE4294967295ELNS1_3gpuE0ELNS1_3repE0EEENS1_30default_config_static_selectorELNS0_4arch9wavefront6targetE0EEEvT1_.kd
    .uniform_work_group_size: 1
    .uses_dynamic_stack: false
    .vgpr_count:     0
    .vgpr_spill_count: 0
    .wavefront_size: 32
    .workgroup_processor_mode: 1
  - .args:
      - .offset:         0
        .size:           128
        .value_kind:     by_value
    .group_segment_fixed_size: 0
    .kernarg_segment_align: 8
    .kernarg_segment_size: 128
    .language:       OpenCL C
    .language_version:
      - 2
      - 0
    .max_flat_workgroup_size: 512
    .name:           _ZN7rocprim17ROCPRIM_400000_NS6detail17trampoline_kernelINS0_14default_configENS1_25partition_config_selectorILNS1_17partition_subalgoE6EtNS0_10empty_typeEbEEZZNS1_14partition_implILS5_6ELb0ES3_mN6thrust23THRUST_200600_302600_NS6detail15normal_iteratorINSA_10device_ptrItEEEEPS6_SG_NS0_5tupleIJSF_S6_EEENSH_IJSG_SG_EEES6_PlJ5mod_3ItEEEE10hipError_tPvRmT3_T4_T5_T6_T7_T9_mT8_P12ihipStream_tbDpT10_ENKUlT_T0_E_clISt17integral_constantIbLb0EES15_IbLb1EEEEDaS11_S12_EUlS11_E_NS1_11comp_targetILNS1_3genE5ELNS1_11target_archE942ELNS1_3gpuE9ELNS1_3repE0EEENS1_30default_config_static_selectorELNS0_4arch9wavefront6targetE0EEEvT1_
    .private_segment_fixed_size: 0
    .sgpr_count:     0
    .sgpr_spill_count: 0
    .symbol:         _ZN7rocprim17ROCPRIM_400000_NS6detail17trampoline_kernelINS0_14default_configENS1_25partition_config_selectorILNS1_17partition_subalgoE6EtNS0_10empty_typeEbEEZZNS1_14partition_implILS5_6ELb0ES3_mN6thrust23THRUST_200600_302600_NS6detail15normal_iteratorINSA_10device_ptrItEEEEPS6_SG_NS0_5tupleIJSF_S6_EEENSH_IJSG_SG_EEES6_PlJ5mod_3ItEEEE10hipError_tPvRmT3_T4_T5_T6_T7_T9_mT8_P12ihipStream_tbDpT10_ENKUlT_T0_E_clISt17integral_constantIbLb0EES15_IbLb1EEEEDaS11_S12_EUlS11_E_NS1_11comp_targetILNS1_3genE5ELNS1_11target_archE942ELNS1_3gpuE9ELNS1_3repE0EEENS1_30default_config_static_selectorELNS0_4arch9wavefront6targetE0EEEvT1_.kd
    .uniform_work_group_size: 1
    .uses_dynamic_stack: false
    .vgpr_count:     0
    .vgpr_spill_count: 0
    .wavefront_size: 32
    .workgroup_processor_mode: 1
  - .args:
      - .offset:         0
        .size:           128
        .value_kind:     by_value
    .group_segment_fixed_size: 0
    .kernarg_segment_align: 8
    .kernarg_segment_size: 128
    .language:       OpenCL C
    .language_version:
      - 2
      - 0
    .max_flat_workgroup_size: 256
    .name:           _ZN7rocprim17ROCPRIM_400000_NS6detail17trampoline_kernelINS0_14default_configENS1_25partition_config_selectorILNS1_17partition_subalgoE6EtNS0_10empty_typeEbEEZZNS1_14partition_implILS5_6ELb0ES3_mN6thrust23THRUST_200600_302600_NS6detail15normal_iteratorINSA_10device_ptrItEEEEPS6_SG_NS0_5tupleIJSF_S6_EEENSH_IJSG_SG_EEES6_PlJ5mod_3ItEEEE10hipError_tPvRmT3_T4_T5_T6_T7_T9_mT8_P12ihipStream_tbDpT10_ENKUlT_T0_E_clISt17integral_constantIbLb0EES15_IbLb1EEEEDaS11_S12_EUlS11_E_NS1_11comp_targetILNS1_3genE4ELNS1_11target_archE910ELNS1_3gpuE8ELNS1_3repE0EEENS1_30default_config_static_selectorELNS0_4arch9wavefront6targetE0EEEvT1_
    .private_segment_fixed_size: 0
    .sgpr_count:     0
    .sgpr_spill_count: 0
    .symbol:         _ZN7rocprim17ROCPRIM_400000_NS6detail17trampoline_kernelINS0_14default_configENS1_25partition_config_selectorILNS1_17partition_subalgoE6EtNS0_10empty_typeEbEEZZNS1_14partition_implILS5_6ELb0ES3_mN6thrust23THRUST_200600_302600_NS6detail15normal_iteratorINSA_10device_ptrItEEEEPS6_SG_NS0_5tupleIJSF_S6_EEENSH_IJSG_SG_EEES6_PlJ5mod_3ItEEEE10hipError_tPvRmT3_T4_T5_T6_T7_T9_mT8_P12ihipStream_tbDpT10_ENKUlT_T0_E_clISt17integral_constantIbLb0EES15_IbLb1EEEEDaS11_S12_EUlS11_E_NS1_11comp_targetILNS1_3genE4ELNS1_11target_archE910ELNS1_3gpuE8ELNS1_3repE0EEENS1_30default_config_static_selectorELNS0_4arch9wavefront6targetE0EEEvT1_.kd
    .uniform_work_group_size: 1
    .uses_dynamic_stack: false
    .vgpr_count:     0
    .vgpr_spill_count: 0
    .wavefront_size: 32
    .workgroup_processor_mode: 1
  - .args:
      - .offset:         0
        .size:           128
        .value_kind:     by_value
    .group_segment_fixed_size: 0
    .kernarg_segment_align: 8
    .kernarg_segment_size: 128
    .language:       OpenCL C
    .language_version:
      - 2
      - 0
    .max_flat_workgroup_size: 256
    .name:           _ZN7rocprim17ROCPRIM_400000_NS6detail17trampoline_kernelINS0_14default_configENS1_25partition_config_selectorILNS1_17partition_subalgoE6EtNS0_10empty_typeEbEEZZNS1_14partition_implILS5_6ELb0ES3_mN6thrust23THRUST_200600_302600_NS6detail15normal_iteratorINSA_10device_ptrItEEEEPS6_SG_NS0_5tupleIJSF_S6_EEENSH_IJSG_SG_EEES6_PlJ5mod_3ItEEEE10hipError_tPvRmT3_T4_T5_T6_T7_T9_mT8_P12ihipStream_tbDpT10_ENKUlT_T0_E_clISt17integral_constantIbLb0EES15_IbLb1EEEEDaS11_S12_EUlS11_E_NS1_11comp_targetILNS1_3genE3ELNS1_11target_archE908ELNS1_3gpuE7ELNS1_3repE0EEENS1_30default_config_static_selectorELNS0_4arch9wavefront6targetE0EEEvT1_
    .private_segment_fixed_size: 0
    .sgpr_count:     0
    .sgpr_spill_count: 0
    .symbol:         _ZN7rocprim17ROCPRIM_400000_NS6detail17trampoline_kernelINS0_14default_configENS1_25partition_config_selectorILNS1_17partition_subalgoE6EtNS0_10empty_typeEbEEZZNS1_14partition_implILS5_6ELb0ES3_mN6thrust23THRUST_200600_302600_NS6detail15normal_iteratorINSA_10device_ptrItEEEEPS6_SG_NS0_5tupleIJSF_S6_EEENSH_IJSG_SG_EEES6_PlJ5mod_3ItEEEE10hipError_tPvRmT3_T4_T5_T6_T7_T9_mT8_P12ihipStream_tbDpT10_ENKUlT_T0_E_clISt17integral_constantIbLb0EES15_IbLb1EEEEDaS11_S12_EUlS11_E_NS1_11comp_targetILNS1_3genE3ELNS1_11target_archE908ELNS1_3gpuE7ELNS1_3repE0EEENS1_30default_config_static_selectorELNS0_4arch9wavefront6targetE0EEEvT1_.kd
    .uniform_work_group_size: 1
    .uses_dynamic_stack: false
    .vgpr_count:     0
    .vgpr_spill_count: 0
    .wavefront_size: 32
    .workgroup_processor_mode: 1
  - .args:
      - .offset:         0
        .size:           128
        .value_kind:     by_value
    .group_segment_fixed_size: 0
    .kernarg_segment_align: 8
    .kernarg_segment_size: 128
    .language:       OpenCL C
    .language_version:
      - 2
      - 0
    .max_flat_workgroup_size: 256
    .name:           _ZN7rocprim17ROCPRIM_400000_NS6detail17trampoline_kernelINS0_14default_configENS1_25partition_config_selectorILNS1_17partition_subalgoE6EtNS0_10empty_typeEbEEZZNS1_14partition_implILS5_6ELb0ES3_mN6thrust23THRUST_200600_302600_NS6detail15normal_iteratorINSA_10device_ptrItEEEEPS6_SG_NS0_5tupleIJSF_S6_EEENSH_IJSG_SG_EEES6_PlJ5mod_3ItEEEE10hipError_tPvRmT3_T4_T5_T6_T7_T9_mT8_P12ihipStream_tbDpT10_ENKUlT_T0_E_clISt17integral_constantIbLb0EES15_IbLb1EEEEDaS11_S12_EUlS11_E_NS1_11comp_targetILNS1_3genE2ELNS1_11target_archE906ELNS1_3gpuE6ELNS1_3repE0EEENS1_30default_config_static_selectorELNS0_4arch9wavefront6targetE0EEEvT1_
    .private_segment_fixed_size: 0
    .sgpr_count:     0
    .sgpr_spill_count: 0
    .symbol:         _ZN7rocprim17ROCPRIM_400000_NS6detail17trampoline_kernelINS0_14default_configENS1_25partition_config_selectorILNS1_17partition_subalgoE6EtNS0_10empty_typeEbEEZZNS1_14partition_implILS5_6ELb0ES3_mN6thrust23THRUST_200600_302600_NS6detail15normal_iteratorINSA_10device_ptrItEEEEPS6_SG_NS0_5tupleIJSF_S6_EEENSH_IJSG_SG_EEES6_PlJ5mod_3ItEEEE10hipError_tPvRmT3_T4_T5_T6_T7_T9_mT8_P12ihipStream_tbDpT10_ENKUlT_T0_E_clISt17integral_constantIbLb0EES15_IbLb1EEEEDaS11_S12_EUlS11_E_NS1_11comp_targetILNS1_3genE2ELNS1_11target_archE906ELNS1_3gpuE6ELNS1_3repE0EEENS1_30default_config_static_selectorELNS0_4arch9wavefront6targetE0EEEvT1_.kd
    .uniform_work_group_size: 1
    .uses_dynamic_stack: false
    .vgpr_count:     0
    .vgpr_spill_count: 0
    .wavefront_size: 32
    .workgroup_processor_mode: 1
  - .args:
      - .offset:         0
        .size:           128
        .value_kind:     by_value
    .group_segment_fixed_size: 0
    .kernarg_segment_align: 8
    .kernarg_segment_size: 128
    .language:       OpenCL C
    .language_version:
      - 2
      - 0
    .max_flat_workgroup_size: 384
    .name:           _ZN7rocprim17ROCPRIM_400000_NS6detail17trampoline_kernelINS0_14default_configENS1_25partition_config_selectorILNS1_17partition_subalgoE6EtNS0_10empty_typeEbEEZZNS1_14partition_implILS5_6ELb0ES3_mN6thrust23THRUST_200600_302600_NS6detail15normal_iteratorINSA_10device_ptrItEEEEPS6_SG_NS0_5tupleIJSF_S6_EEENSH_IJSG_SG_EEES6_PlJ5mod_3ItEEEE10hipError_tPvRmT3_T4_T5_T6_T7_T9_mT8_P12ihipStream_tbDpT10_ENKUlT_T0_E_clISt17integral_constantIbLb0EES15_IbLb1EEEEDaS11_S12_EUlS11_E_NS1_11comp_targetILNS1_3genE10ELNS1_11target_archE1200ELNS1_3gpuE4ELNS1_3repE0EEENS1_30default_config_static_selectorELNS0_4arch9wavefront6targetE0EEEvT1_
    .private_segment_fixed_size: 0
    .sgpr_count:     0
    .sgpr_spill_count: 0
    .symbol:         _ZN7rocprim17ROCPRIM_400000_NS6detail17trampoline_kernelINS0_14default_configENS1_25partition_config_selectorILNS1_17partition_subalgoE6EtNS0_10empty_typeEbEEZZNS1_14partition_implILS5_6ELb0ES3_mN6thrust23THRUST_200600_302600_NS6detail15normal_iteratorINSA_10device_ptrItEEEEPS6_SG_NS0_5tupleIJSF_S6_EEENSH_IJSG_SG_EEES6_PlJ5mod_3ItEEEE10hipError_tPvRmT3_T4_T5_T6_T7_T9_mT8_P12ihipStream_tbDpT10_ENKUlT_T0_E_clISt17integral_constantIbLb0EES15_IbLb1EEEEDaS11_S12_EUlS11_E_NS1_11comp_targetILNS1_3genE10ELNS1_11target_archE1200ELNS1_3gpuE4ELNS1_3repE0EEENS1_30default_config_static_selectorELNS0_4arch9wavefront6targetE0EEEvT1_.kd
    .uniform_work_group_size: 1
    .uses_dynamic_stack: false
    .vgpr_count:     0
    .vgpr_spill_count: 0
    .wavefront_size: 32
    .workgroup_processor_mode: 1
  - .args:
      - .offset:         0
        .size:           128
        .value_kind:     by_value
    .group_segment_fixed_size: 7696
    .kernarg_segment_align: 8
    .kernarg_segment_size: 128
    .language:       OpenCL C
    .language_version:
      - 2
      - 0
    .max_flat_workgroup_size: 128
    .name:           _ZN7rocprim17ROCPRIM_400000_NS6detail17trampoline_kernelINS0_14default_configENS1_25partition_config_selectorILNS1_17partition_subalgoE6EtNS0_10empty_typeEbEEZZNS1_14partition_implILS5_6ELb0ES3_mN6thrust23THRUST_200600_302600_NS6detail15normal_iteratorINSA_10device_ptrItEEEEPS6_SG_NS0_5tupleIJSF_S6_EEENSH_IJSG_SG_EEES6_PlJ5mod_3ItEEEE10hipError_tPvRmT3_T4_T5_T6_T7_T9_mT8_P12ihipStream_tbDpT10_ENKUlT_T0_E_clISt17integral_constantIbLb0EES15_IbLb1EEEEDaS11_S12_EUlS11_E_NS1_11comp_targetILNS1_3genE9ELNS1_11target_archE1100ELNS1_3gpuE3ELNS1_3repE0EEENS1_30default_config_static_selectorELNS0_4arch9wavefront6targetE0EEEvT1_
    .private_segment_fixed_size: 0
    .sgpr_count:     21
    .sgpr_spill_count: 0
    .symbol:         _ZN7rocprim17ROCPRIM_400000_NS6detail17trampoline_kernelINS0_14default_configENS1_25partition_config_selectorILNS1_17partition_subalgoE6EtNS0_10empty_typeEbEEZZNS1_14partition_implILS5_6ELb0ES3_mN6thrust23THRUST_200600_302600_NS6detail15normal_iteratorINSA_10device_ptrItEEEEPS6_SG_NS0_5tupleIJSF_S6_EEENSH_IJSG_SG_EEES6_PlJ5mod_3ItEEEE10hipError_tPvRmT3_T4_T5_T6_T7_T9_mT8_P12ihipStream_tbDpT10_ENKUlT_T0_E_clISt17integral_constantIbLb0EES15_IbLb1EEEEDaS11_S12_EUlS11_E_NS1_11comp_targetILNS1_3genE9ELNS1_11target_archE1100ELNS1_3gpuE3ELNS1_3repE0EEENS1_30default_config_static_selectorELNS0_4arch9wavefront6targetE0EEEvT1_.kd
    .uniform_work_group_size: 1
    .uses_dynamic_stack: false
    .vgpr_count:     133
    .vgpr_spill_count: 0
    .wavefront_size: 32
    .workgroup_processor_mode: 1
  - .args:
      - .offset:         0
        .size:           128
        .value_kind:     by_value
    .group_segment_fixed_size: 0
    .kernarg_segment_align: 8
    .kernarg_segment_size: 128
    .language:       OpenCL C
    .language_version:
      - 2
      - 0
    .max_flat_workgroup_size: 256
    .name:           _ZN7rocprim17ROCPRIM_400000_NS6detail17trampoline_kernelINS0_14default_configENS1_25partition_config_selectorILNS1_17partition_subalgoE6EtNS0_10empty_typeEbEEZZNS1_14partition_implILS5_6ELb0ES3_mN6thrust23THRUST_200600_302600_NS6detail15normal_iteratorINSA_10device_ptrItEEEEPS6_SG_NS0_5tupleIJSF_S6_EEENSH_IJSG_SG_EEES6_PlJ5mod_3ItEEEE10hipError_tPvRmT3_T4_T5_T6_T7_T9_mT8_P12ihipStream_tbDpT10_ENKUlT_T0_E_clISt17integral_constantIbLb0EES15_IbLb1EEEEDaS11_S12_EUlS11_E_NS1_11comp_targetILNS1_3genE8ELNS1_11target_archE1030ELNS1_3gpuE2ELNS1_3repE0EEENS1_30default_config_static_selectorELNS0_4arch9wavefront6targetE0EEEvT1_
    .private_segment_fixed_size: 0
    .sgpr_count:     0
    .sgpr_spill_count: 0
    .symbol:         _ZN7rocprim17ROCPRIM_400000_NS6detail17trampoline_kernelINS0_14default_configENS1_25partition_config_selectorILNS1_17partition_subalgoE6EtNS0_10empty_typeEbEEZZNS1_14partition_implILS5_6ELb0ES3_mN6thrust23THRUST_200600_302600_NS6detail15normal_iteratorINSA_10device_ptrItEEEEPS6_SG_NS0_5tupleIJSF_S6_EEENSH_IJSG_SG_EEES6_PlJ5mod_3ItEEEE10hipError_tPvRmT3_T4_T5_T6_T7_T9_mT8_P12ihipStream_tbDpT10_ENKUlT_T0_E_clISt17integral_constantIbLb0EES15_IbLb1EEEEDaS11_S12_EUlS11_E_NS1_11comp_targetILNS1_3genE8ELNS1_11target_archE1030ELNS1_3gpuE2ELNS1_3repE0EEENS1_30default_config_static_selectorELNS0_4arch9wavefront6targetE0EEEvT1_.kd
    .uniform_work_group_size: 1
    .uses_dynamic_stack: false
    .vgpr_count:     0
    .vgpr_spill_count: 0
    .wavefront_size: 32
    .workgroup_processor_mode: 1
  - .args:
      - .offset:         0
        .size:           112
        .value_kind:     by_value
    .group_segment_fixed_size: 0
    .kernarg_segment_align: 8
    .kernarg_segment_size: 112
    .language:       OpenCL C
    .language_version:
      - 2
      - 0
    .max_flat_workgroup_size: 128
    .name:           _ZN7rocprim17ROCPRIM_400000_NS6detail17trampoline_kernelINS0_14default_configENS1_25partition_config_selectorILNS1_17partition_subalgoE6ExNS0_10empty_typeEbEEZZNS1_14partition_implILS5_6ELb0ES3_mN6thrust23THRUST_200600_302600_NS6detail15normal_iteratorINSA_10device_ptrIxEEEEPS6_SG_NS0_5tupleIJSF_S6_EEENSH_IJSG_SG_EEES6_PlJ5mod_3IxEEEE10hipError_tPvRmT3_T4_T5_T6_T7_T9_mT8_P12ihipStream_tbDpT10_ENKUlT_T0_E_clISt17integral_constantIbLb0EES16_EEDaS11_S12_EUlS11_E_NS1_11comp_targetILNS1_3genE0ELNS1_11target_archE4294967295ELNS1_3gpuE0ELNS1_3repE0EEENS1_30default_config_static_selectorELNS0_4arch9wavefront6targetE0EEEvT1_
    .private_segment_fixed_size: 0
    .sgpr_count:     0
    .sgpr_spill_count: 0
    .symbol:         _ZN7rocprim17ROCPRIM_400000_NS6detail17trampoline_kernelINS0_14default_configENS1_25partition_config_selectorILNS1_17partition_subalgoE6ExNS0_10empty_typeEbEEZZNS1_14partition_implILS5_6ELb0ES3_mN6thrust23THRUST_200600_302600_NS6detail15normal_iteratorINSA_10device_ptrIxEEEEPS6_SG_NS0_5tupleIJSF_S6_EEENSH_IJSG_SG_EEES6_PlJ5mod_3IxEEEE10hipError_tPvRmT3_T4_T5_T6_T7_T9_mT8_P12ihipStream_tbDpT10_ENKUlT_T0_E_clISt17integral_constantIbLb0EES16_EEDaS11_S12_EUlS11_E_NS1_11comp_targetILNS1_3genE0ELNS1_11target_archE4294967295ELNS1_3gpuE0ELNS1_3repE0EEENS1_30default_config_static_selectorELNS0_4arch9wavefront6targetE0EEEvT1_.kd
    .uniform_work_group_size: 1
    .uses_dynamic_stack: false
    .vgpr_count:     0
    .vgpr_spill_count: 0
    .wavefront_size: 32
    .workgroup_processor_mode: 1
  - .args:
      - .offset:         0
        .size:           112
        .value_kind:     by_value
    .group_segment_fixed_size: 0
    .kernarg_segment_align: 8
    .kernarg_segment_size: 112
    .language:       OpenCL C
    .language_version:
      - 2
      - 0
    .max_flat_workgroup_size: 512
    .name:           _ZN7rocprim17ROCPRIM_400000_NS6detail17trampoline_kernelINS0_14default_configENS1_25partition_config_selectorILNS1_17partition_subalgoE6ExNS0_10empty_typeEbEEZZNS1_14partition_implILS5_6ELb0ES3_mN6thrust23THRUST_200600_302600_NS6detail15normal_iteratorINSA_10device_ptrIxEEEEPS6_SG_NS0_5tupleIJSF_S6_EEENSH_IJSG_SG_EEES6_PlJ5mod_3IxEEEE10hipError_tPvRmT3_T4_T5_T6_T7_T9_mT8_P12ihipStream_tbDpT10_ENKUlT_T0_E_clISt17integral_constantIbLb0EES16_EEDaS11_S12_EUlS11_E_NS1_11comp_targetILNS1_3genE5ELNS1_11target_archE942ELNS1_3gpuE9ELNS1_3repE0EEENS1_30default_config_static_selectorELNS0_4arch9wavefront6targetE0EEEvT1_
    .private_segment_fixed_size: 0
    .sgpr_count:     0
    .sgpr_spill_count: 0
    .symbol:         _ZN7rocprim17ROCPRIM_400000_NS6detail17trampoline_kernelINS0_14default_configENS1_25partition_config_selectorILNS1_17partition_subalgoE6ExNS0_10empty_typeEbEEZZNS1_14partition_implILS5_6ELb0ES3_mN6thrust23THRUST_200600_302600_NS6detail15normal_iteratorINSA_10device_ptrIxEEEEPS6_SG_NS0_5tupleIJSF_S6_EEENSH_IJSG_SG_EEES6_PlJ5mod_3IxEEEE10hipError_tPvRmT3_T4_T5_T6_T7_T9_mT8_P12ihipStream_tbDpT10_ENKUlT_T0_E_clISt17integral_constantIbLb0EES16_EEDaS11_S12_EUlS11_E_NS1_11comp_targetILNS1_3genE5ELNS1_11target_archE942ELNS1_3gpuE9ELNS1_3repE0EEENS1_30default_config_static_selectorELNS0_4arch9wavefront6targetE0EEEvT1_.kd
    .uniform_work_group_size: 1
    .uses_dynamic_stack: false
    .vgpr_count:     0
    .vgpr_spill_count: 0
    .wavefront_size: 32
    .workgroup_processor_mode: 1
  - .args:
      - .offset:         0
        .size:           112
        .value_kind:     by_value
    .group_segment_fixed_size: 0
    .kernarg_segment_align: 8
    .kernarg_segment_size: 112
    .language:       OpenCL C
    .language_version:
      - 2
      - 0
    .max_flat_workgroup_size: 512
    .name:           _ZN7rocprim17ROCPRIM_400000_NS6detail17trampoline_kernelINS0_14default_configENS1_25partition_config_selectorILNS1_17partition_subalgoE6ExNS0_10empty_typeEbEEZZNS1_14partition_implILS5_6ELb0ES3_mN6thrust23THRUST_200600_302600_NS6detail15normal_iteratorINSA_10device_ptrIxEEEEPS6_SG_NS0_5tupleIJSF_S6_EEENSH_IJSG_SG_EEES6_PlJ5mod_3IxEEEE10hipError_tPvRmT3_T4_T5_T6_T7_T9_mT8_P12ihipStream_tbDpT10_ENKUlT_T0_E_clISt17integral_constantIbLb0EES16_EEDaS11_S12_EUlS11_E_NS1_11comp_targetILNS1_3genE4ELNS1_11target_archE910ELNS1_3gpuE8ELNS1_3repE0EEENS1_30default_config_static_selectorELNS0_4arch9wavefront6targetE0EEEvT1_
    .private_segment_fixed_size: 0
    .sgpr_count:     0
    .sgpr_spill_count: 0
    .symbol:         _ZN7rocprim17ROCPRIM_400000_NS6detail17trampoline_kernelINS0_14default_configENS1_25partition_config_selectorILNS1_17partition_subalgoE6ExNS0_10empty_typeEbEEZZNS1_14partition_implILS5_6ELb0ES3_mN6thrust23THRUST_200600_302600_NS6detail15normal_iteratorINSA_10device_ptrIxEEEEPS6_SG_NS0_5tupleIJSF_S6_EEENSH_IJSG_SG_EEES6_PlJ5mod_3IxEEEE10hipError_tPvRmT3_T4_T5_T6_T7_T9_mT8_P12ihipStream_tbDpT10_ENKUlT_T0_E_clISt17integral_constantIbLb0EES16_EEDaS11_S12_EUlS11_E_NS1_11comp_targetILNS1_3genE4ELNS1_11target_archE910ELNS1_3gpuE8ELNS1_3repE0EEENS1_30default_config_static_selectorELNS0_4arch9wavefront6targetE0EEEvT1_.kd
    .uniform_work_group_size: 1
    .uses_dynamic_stack: false
    .vgpr_count:     0
    .vgpr_spill_count: 0
    .wavefront_size: 32
    .workgroup_processor_mode: 1
  - .args:
      - .offset:         0
        .size:           112
        .value_kind:     by_value
    .group_segment_fixed_size: 0
    .kernarg_segment_align: 8
    .kernarg_segment_size: 112
    .language:       OpenCL C
    .language_version:
      - 2
      - 0
    .max_flat_workgroup_size: 128
    .name:           _ZN7rocprim17ROCPRIM_400000_NS6detail17trampoline_kernelINS0_14default_configENS1_25partition_config_selectorILNS1_17partition_subalgoE6ExNS0_10empty_typeEbEEZZNS1_14partition_implILS5_6ELb0ES3_mN6thrust23THRUST_200600_302600_NS6detail15normal_iteratorINSA_10device_ptrIxEEEEPS6_SG_NS0_5tupleIJSF_S6_EEENSH_IJSG_SG_EEES6_PlJ5mod_3IxEEEE10hipError_tPvRmT3_T4_T5_T6_T7_T9_mT8_P12ihipStream_tbDpT10_ENKUlT_T0_E_clISt17integral_constantIbLb0EES16_EEDaS11_S12_EUlS11_E_NS1_11comp_targetILNS1_3genE3ELNS1_11target_archE908ELNS1_3gpuE7ELNS1_3repE0EEENS1_30default_config_static_selectorELNS0_4arch9wavefront6targetE0EEEvT1_
    .private_segment_fixed_size: 0
    .sgpr_count:     0
    .sgpr_spill_count: 0
    .symbol:         _ZN7rocprim17ROCPRIM_400000_NS6detail17trampoline_kernelINS0_14default_configENS1_25partition_config_selectorILNS1_17partition_subalgoE6ExNS0_10empty_typeEbEEZZNS1_14partition_implILS5_6ELb0ES3_mN6thrust23THRUST_200600_302600_NS6detail15normal_iteratorINSA_10device_ptrIxEEEEPS6_SG_NS0_5tupleIJSF_S6_EEENSH_IJSG_SG_EEES6_PlJ5mod_3IxEEEE10hipError_tPvRmT3_T4_T5_T6_T7_T9_mT8_P12ihipStream_tbDpT10_ENKUlT_T0_E_clISt17integral_constantIbLb0EES16_EEDaS11_S12_EUlS11_E_NS1_11comp_targetILNS1_3genE3ELNS1_11target_archE908ELNS1_3gpuE7ELNS1_3repE0EEENS1_30default_config_static_selectorELNS0_4arch9wavefront6targetE0EEEvT1_.kd
    .uniform_work_group_size: 1
    .uses_dynamic_stack: false
    .vgpr_count:     0
    .vgpr_spill_count: 0
    .wavefront_size: 32
    .workgroup_processor_mode: 1
  - .args:
      - .offset:         0
        .size:           112
        .value_kind:     by_value
    .group_segment_fixed_size: 0
    .kernarg_segment_align: 8
    .kernarg_segment_size: 112
    .language:       OpenCL C
    .language_version:
      - 2
      - 0
    .max_flat_workgroup_size: 256
    .name:           _ZN7rocprim17ROCPRIM_400000_NS6detail17trampoline_kernelINS0_14default_configENS1_25partition_config_selectorILNS1_17partition_subalgoE6ExNS0_10empty_typeEbEEZZNS1_14partition_implILS5_6ELb0ES3_mN6thrust23THRUST_200600_302600_NS6detail15normal_iteratorINSA_10device_ptrIxEEEEPS6_SG_NS0_5tupleIJSF_S6_EEENSH_IJSG_SG_EEES6_PlJ5mod_3IxEEEE10hipError_tPvRmT3_T4_T5_T6_T7_T9_mT8_P12ihipStream_tbDpT10_ENKUlT_T0_E_clISt17integral_constantIbLb0EES16_EEDaS11_S12_EUlS11_E_NS1_11comp_targetILNS1_3genE2ELNS1_11target_archE906ELNS1_3gpuE6ELNS1_3repE0EEENS1_30default_config_static_selectorELNS0_4arch9wavefront6targetE0EEEvT1_
    .private_segment_fixed_size: 0
    .sgpr_count:     0
    .sgpr_spill_count: 0
    .symbol:         _ZN7rocprim17ROCPRIM_400000_NS6detail17trampoline_kernelINS0_14default_configENS1_25partition_config_selectorILNS1_17partition_subalgoE6ExNS0_10empty_typeEbEEZZNS1_14partition_implILS5_6ELb0ES3_mN6thrust23THRUST_200600_302600_NS6detail15normal_iteratorINSA_10device_ptrIxEEEEPS6_SG_NS0_5tupleIJSF_S6_EEENSH_IJSG_SG_EEES6_PlJ5mod_3IxEEEE10hipError_tPvRmT3_T4_T5_T6_T7_T9_mT8_P12ihipStream_tbDpT10_ENKUlT_T0_E_clISt17integral_constantIbLb0EES16_EEDaS11_S12_EUlS11_E_NS1_11comp_targetILNS1_3genE2ELNS1_11target_archE906ELNS1_3gpuE6ELNS1_3repE0EEENS1_30default_config_static_selectorELNS0_4arch9wavefront6targetE0EEEvT1_.kd
    .uniform_work_group_size: 1
    .uses_dynamic_stack: false
    .vgpr_count:     0
    .vgpr_spill_count: 0
    .wavefront_size: 32
    .workgroup_processor_mode: 1
  - .args:
      - .offset:         0
        .size:           112
        .value_kind:     by_value
    .group_segment_fixed_size: 0
    .kernarg_segment_align: 8
    .kernarg_segment_size: 112
    .language:       OpenCL C
    .language_version:
      - 2
      - 0
    .max_flat_workgroup_size: 256
    .name:           _ZN7rocprim17ROCPRIM_400000_NS6detail17trampoline_kernelINS0_14default_configENS1_25partition_config_selectorILNS1_17partition_subalgoE6ExNS0_10empty_typeEbEEZZNS1_14partition_implILS5_6ELb0ES3_mN6thrust23THRUST_200600_302600_NS6detail15normal_iteratorINSA_10device_ptrIxEEEEPS6_SG_NS0_5tupleIJSF_S6_EEENSH_IJSG_SG_EEES6_PlJ5mod_3IxEEEE10hipError_tPvRmT3_T4_T5_T6_T7_T9_mT8_P12ihipStream_tbDpT10_ENKUlT_T0_E_clISt17integral_constantIbLb0EES16_EEDaS11_S12_EUlS11_E_NS1_11comp_targetILNS1_3genE10ELNS1_11target_archE1200ELNS1_3gpuE4ELNS1_3repE0EEENS1_30default_config_static_selectorELNS0_4arch9wavefront6targetE0EEEvT1_
    .private_segment_fixed_size: 0
    .sgpr_count:     0
    .sgpr_spill_count: 0
    .symbol:         _ZN7rocprim17ROCPRIM_400000_NS6detail17trampoline_kernelINS0_14default_configENS1_25partition_config_selectorILNS1_17partition_subalgoE6ExNS0_10empty_typeEbEEZZNS1_14partition_implILS5_6ELb0ES3_mN6thrust23THRUST_200600_302600_NS6detail15normal_iteratorINSA_10device_ptrIxEEEEPS6_SG_NS0_5tupleIJSF_S6_EEENSH_IJSG_SG_EEES6_PlJ5mod_3IxEEEE10hipError_tPvRmT3_T4_T5_T6_T7_T9_mT8_P12ihipStream_tbDpT10_ENKUlT_T0_E_clISt17integral_constantIbLb0EES16_EEDaS11_S12_EUlS11_E_NS1_11comp_targetILNS1_3genE10ELNS1_11target_archE1200ELNS1_3gpuE4ELNS1_3repE0EEENS1_30default_config_static_selectorELNS0_4arch9wavefront6targetE0EEEvT1_.kd
    .uniform_work_group_size: 1
    .uses_dynamic_stack: false
    .vgpr_count:     0
    .vgpr_spill_count: 0
    .wavefront_size: 32
    .workgroup_processor_mode: 1
  - .args:
      - .offset:         0
        .size:           112
        .value_kind:     by_value
    .group_segment_fixed_size: 18448
    .kernarg_segment_align: 8
    .kernarg_segment_size: 112
    .language:       OpenCL C
    .language_version:
      - 2
      - 0
    .max_flat_workgroup_size: 384
    .name:           _ZN7rocprim17ROCPRIM_400000_NS6detail17trampoline_kernelINS0_14default_configENS1_25partition_config_selectorILNS1_17partition_subalgoE6ExNS0_10empty_typeEbEEZZNS1_14partition_implILS5_6ELb0ES3_mN6thrust23THRUST_200600_302600_NS6detail15normal_iteratorINSA_10device_ptrIxEEEEPS6_SG_NS0_5tupleIJSF_S6_EEENSH_IJSG_SG_EEES6_PlJ5mod_3IxEEEE10hipError_tPvRmT3_T4_T5_T6_T7_T9_mT8_P12ihipStream_tbDpT10_ENKUlT_T0_E_clISt17integral_constantIbLb0EES16_EEDaS11_S12_EUlS11_E_NS1_11comp_targetILNS1_3genE9ELNS1_11target_archE1100ELNS1_3gpuE3ELNS1_3repE0EEENS1_30default_config_static_selectorELNS0_4arch9wavefront6targetE0EEEvT1_
    .private_segment_fixed_size: 0
    .sgpr_count:     21
    .sgpr_spill_count: 0
    .symbol:         _ZN7rocprim17ROCPRIM_400000_NS6detail17trampoline_kernelINS0_14default_configENS1_25partition_config_selectorILNS1_17partition_subalgoE6ExNS0_10empty_typeEbEEZZNS1_14partition_implILS5_6ELb0ES3_mN6thrust23THRUST_200600_302600_NS6detail15normal_iteratorINSA_10device_ptrIxEEEEPS6_SG_NS0_5tupleIJSF_S6_EEENSH_IJSG_SG_EEES6_PlJ5mod_3IxEEEE10hipError_tPvRmT3_T4_T5_T6_T7_T9_mT8_P12ihipStream_tbDpT10_ENKUlT_T0_E_clISt17integral_constantIbLb0EES16_EEDaS11_S12_EUlS11_E_NS1_11comp_targetILNS1_3genE9ELNS1_11target_archE1100ELNS1_3gpuE3ELNS1_3repE0EEENS1_30default_config_static_selectorELNS0_4arch9wavefront6targetE0EEEvT1_.kd
    .uniform_work_group_size: 1
    .uses_dynamic_stack: false
    .vgpr_count:     54
    .vgpr_spill_count: 0
    .wavefront_size: 32
    .workgroup_processor_mode: 1
  - .args:
      - .offset:         0
        .size:           112
        .value_kind:     by_value
    .group_segment_fixed_size: 0
    .kernarg_segment_align: 8
    .kernarg_segment_size: 112
    .language:       OpenCL C
    .language_version:
      - 2
      - 0
    .max_flat_workgroup_size: 512
    .name:           _ZN7rocprim17ROCPRIM_400000_NS6detail17trampoline_kernelINS0_14default_configENS1_25partition_config_selectorILNS1_17partition_subalgoE6ExNS0_10empty_typeEbEEZZNS1_14partition_implILS5_6ELb0ES3_mN6thrust23THRUST_200600_302600_NS6detail15normal_iteratorINSA_10device_ptrIxEEEEPS6_SG_NS0_5tupleIJSF_S6_EEENSH_IJSG_SG_EEES6_PlJ5mod_3IxEEEE10hipError_tPvRmT3_T4_T5_T6_T7_T9_mT8_P12ihipStream_tbDpT10_ENKUlT_T0_E_clISt17integral_constantIbLb0EES16_EEDaS11_S12_EUlS11_E_NS1_11comp_targetILNS1_3genE8ELNS1_11target_archE1030ELNS1_3gpuE2ELNS1_3repE0EEENS1_30default_config_static_selectorELNS0_4arch9wavefront6targetE0EEEvT1_
    .private_segment_fixed_size: 0
    .sgpr_count:     0
    .sgpr_spill_count: 0
    .symbol:         _ZN7rocprim17ROCPRIM_400000_NS6detail17trampoline_kernelINS0_14default_configENS1_25partition_config_selectorILNS1_17partition_subalgoE6ExNS0_10empty_typeEbEEZZNS1_14partition_implILS5_6ELb0ES3_mN6thrust23THRUST_200600_302600_NS6detail15normal_iteratorINSA_10device_ptrIxEEEEPS6_SG_NS0_5tupleIJSF_S6_EEENSH_IJSG_SG_EEES6_PlJ5mod_3IxEEEE10hipError_tPvRmT3_T4_T5_T6_T7_T9_mT8_P12ihipStream_tbDpT10_ENKUlT_T0_E_clISt17integral_constantIbLb0EES16_EEDaS11_S12_EUlS11_E_NS1_11comp_targetILNS1_3genE8ELNS1_11target_archE1030ELNS1_3gpuE2ELNS1_3repE0EEENS1_30default_config_static_selectorELNS0_4arch9wavefront6targetE0EEEvT1_.kd
    .uniform_work_group_size: 1
    .uses_dynamic_stack: false
    .vgpr_count:     0
    .vgpr_spill_count: 0
    .wavefront_size: 32
    .workgroup_processor_mode: 1
  - .args:
      - .offset:         0
        .size:           128
        .value_kind:     by_value
    .group_segment_fixed_size: 0
    .kernarg_segment_align: 8
    .kernarg_segment_size: 128
    .language:       OpenCL C
    .language_version:
      - 2
      - 0
    .max_flat_workgroup_size: 128
    .name:           _ZN7rocprim17ROCPRIM_400000_NS6detail17trampoline_kernelINS0_14default_configENS1_25partition_config_selectorILNS1_17partition_subalgoE6ExNS0_10empty_typeEbEEZZNS1_14partition_implILS5_6ELb0ES3_mN6thrust23THRUST_200600_302600_NS6detail15normal_iteratorINSA_10device_ptrIxEEEEPS6_SG_NS0_5tupleIJSF_S6_EEENSH_IJSG_SG_EEES6_PlJ5mod_3IxEEEE10hipError_tPvRmT3_T4_T5_T6_T7_T9_mT8_P12ihipStream_tbDpT10_ENKUlT_T0_E_clISt17integral_constantIbLb1EES16_EEDaS11_S12_EUlS11_E_NS1_11comp_targetILNS1_3genE0ELNS1_11target_archE4294967295ELNS1_3gpuE0ELNS1_3repE0EEENS1_30default_config_static_selectorELNS0_4arch9wavefront6targetE0EEEvT1_
    .private_segment_fixed_size: 0
    .sgpr_count:     0
    .sgpr_spill_count: 0
    .symbol:         _ZN7rocprim17ROCPRIM_400000_NS6detail17trampoline_kernelINS0_14default_configENS1_25partition_config_selectorILNS1_17partition_subalgoE6ExNS0_10empty_typeEbEEZZNS1_14partition_implILS5_6ELb0ES3_mN6thrust23THRUST_200600_302600_NS6detail15normal_iteratorINSA_10device_ptrIxEEEEPS6_SG_NS0_5tupleIJSF_S6_EEENSH_IJSG_SG_EEES6_PlJ5mod_3IxEEEE10hipError_tPvRmT3_T4_T5_T6_T7_T9_mT8_P12ihipStream_tbDpT10_ENKUlT_T0_E_clISt17integral_constantIbLb1EES16_EEDaS11_S12_EUlS11_E_NS1_11comp_targetILNS1_3genE0ELNS1_11target_archE4294967295ELNS1_3gpuE0ELNS1_3repE0EEENS1_30default_config_static_selectorELNS0_4arch9wavefront6targetE0EEEvT1_.kd
    .uniform_work_group_size: 1
    .uses_dynamic_stack: false
    .vgpr_count:     0
    .vgpr_spill_count: 0
    .wavefront_size: 32
    .workgroup_processor_mode: 1
  - .args:
      - .offset:         0
        .size:           128
        .value_kind:     by_value
    .group_segment_fixed_size: 0
    .kernarg_segment_align: 8
    .kernarg_segment_size: 128
    .language:       OpenCL C
    .language_version:
      - 2
      - 0
    .max_flat_workgroup_size: 512
    .name:           _ZN7rocprim17ROCPRIM_400000_NS6detail17trampoline_kernelINS0_14default_configENS1_25partition_config_selectorILNS1_17partition_subalgoE6ExNS0_10empty_typeEbEEZZNS1_14partition_implILS5_6ELb0ES3_mN6thrust23THRUST_200600_302600_NS6detail15normal_iteratorINSA_10device_ptrIxEEEEPS6_SG_NS0_5tupleIJSF_S6_EEENSH_IJSG_SG_EEES6_PlJ5mod_3IxEEEE10hipError_tPvRmT3_T4_T5_T6_T7_T9_mT8_P12ihipStream_tbDpT10_ENKUlT_T0_E_clISt17integral_constantIbLb1EES16_EEDaS11_S12_EUlS11_E_NS1_11comp_targetILNS1_3genE5ELNS1_11target_archE942ELNS1_3gpuE9ELNS1_3repE0EEENS1_30default_config_static_selectorELNS0_4arch9wavefront6targetE0EEEvT1_
    .private_segment_fixed_size: 0
    .sgpr_count:     0
    .sgpr_spill_count: 0
    .symbol:         _ZN7rocprim17ROCPRIM_400000_NS6detail17trampoline_kernelINS0_14default_configENS1_25partition_config_selectorILNS1_17partition_subalgoE6ExNS0_10empty_typeEbEEZZNS1_14partition_implILS5_6ELb0ES3_mN6thrust23THRUST_200600_302600_NS6detail15normal_iteratorINSA_10device_ptrIxEEEEPS6_SG_NS0_5tupleIJSF_S6_EEENSH_IJSG_SG_EEES6_PlJ5mod_3IxEEEE10hipError_tPvRmT3_T4_T5_T6_T7_T9_mT8_P12ihipStream_tbDpT10_ENKUlT_T0_E_clISt17integral_constantIbLb1EES16_EEDaS11_S12_EUlS11_E_NS1_11comp_targetILNS1_3genE5ELNS1_11target_archE942ELNS1_3gpuE9ELNS1_3repE0EEENS1_30default_config_static_selectorELNS0_4arch9wavefront6targetE0EEEvT1_.kd
    .uniform_work_group_size: 1
    .uses_dynamic_stack: false
    .vgpr_count:     0
    .vgpr_spill_count: 0
    .wavefront_size: 32
    .workgroup_processor_mode: 1
  - .args:
      - .offset:         0
        .size:           128
        .value_kind:     by_value
    .group_segment_fixed_size: 0
    .kernarg_segment_align: 8
    .kernarg_segment_size: 128
    .language:       OpenCL C
    .language_version:
      - 2
      - 0
    .max_flat_workgroup_size: 512
    .name:           _ZN7rocprim17ROCPRIM_400000_NS6detail17trampoline_kernelINS0_14default_configENS1_25partition_config_selectorILNS1_17partition_subalgoE6ExNS0_10empty_typeEbEEZZNS1_14partition_implILS5_6ELb0ES3_mN6thrust23THRUST_200600_302600_NS6detail15normal_iteratorINSA_10device_ptrIxEEEEPS6_SG_NS0_5tupleIJSF_S6_EEENSH_IJSG_SG_EEES6_PlJ5mod_3IxEEEE10hipError_tPvRmT3_T4_T5_T6_T7_T9_mT8_P12ihipStream_tbDpT10_ENKUlT_T0_E_clISt17integral_constantIbLb1EES16_EEDaS11_S12_EUlS11_E_NS1_11comp_targetILNS1_3genE4ELNS1_11target_archE910ELNS1_3gpuE8ELNS1_3repE0EEENS1_30default_config_static_selectorELNS0_4arch9wavefront6targetE0EEEvT1_
    .private_segment_fixed_size: 0
    .sgpr_count:     0
    .sgpr_spill_count: 0
    .symbol:         _ZN7rocprim17ROCPRIM_400000_NS6detail17trampoline_kernelINS0_14default_configENS1_25partition_config_selectorILNS1_17partition_subalgoE6ExNS0_10empty_typeEbEEZZNS1_14partition_implILS5_6ELb0ES3_mN6thrust23THRUST_200600_302600_NS6detail15normal_iteratorINSA_10device_ptrIxEEEEPS6_SG_NS0_5tupleIJSF_S6_EEENSH_IJSG_SG_EEES6_PlJ5mod_3IxEEEE10hipError_tPvRmT3_T4_T5_T6_T7_T9_mT8_P12ihipStream_tbDpT10_ENKUlT_T0_E_clISt17integral_constantIbLb1EES16_EEDaS11_S12_EUlS11_E_NS1_11comp_targetILNS1_3genE4ELNS1_11target_archE910ELNS1_3gpuE8ELNS1_3repE0EEENS1_30default_config_static_selectorELNS0_4arch9wavefront6targetE0EEEvT1_.kd
    .uniform_work_group_size: 1
    .uses_dynamic_stack: false
    .vgpr_count:     0
    .vgpr_spill_count: 0
    .wavefront_size: 32
    .workgroup_processor_mode: 1
  - .args:
      - .offset:         0
        .size:           128
        .value_kind:     by_value
    .group_segment_fixed_size: 0
    .kernarg_segment_align: 8
    .kernarg_segment_size: 128
    .language:       OpenCL C
    .language_version:
      - 2
      - 0
    .max_flat_workgroup_size: 128
    .name:           _ZN7rocprim17ROCPRIM_400000_NS6detail17trampoline_kernelINS0_14default_configENS1_25partition_config_selectorILNS1_17partition_subalgoE6ExNS0_10empty_typeEbEEZZNS1_14partition_implILS5_6ELb0ES3_mN6thrust23THRUST_200600_302600_NS6detail15normal_iteratorINSA_10device_ptrIxEEEEPS6_SG_NS0_5tupleIJSF_S6_EEENSH_IJSG_SG_EEES6_PlJ5mod_3IxEEEE10hipError_tPvRmT3_T4_T5_T6_T7_T9_mT8_P12ihipStream_tbDpT10_ENKUlT_T0_E_clISt17integral_constantIbLb1EES16_EEDaS11_S12_EUlS11_E_NS1_11comp_targetILNS1_3genE3ELNS1_11target_archE908ELNS1_3gpuE7ELNS1_3repE0EEENS1_30default_config_static_selectorELNS0_4arch9wavefront6targetE0EEEvT1_
    .private_segment_fixed_size: 0
    .sgpr_count:     0
    .sgpr_spill_count: 0
    .symbol:         _ZN7rocprim17ROCPRIM_400000_NS6detail17trampoline_kernelINS0_14default_configENS1_25partition_config_selectorILNS1_17partition_subalgoE6ExNS0_10empty_typeEbEEZZNS1_14partition_implILS5_6ELb0ES3_mN6thrust23THRUST_200600_302600_NS6detail15normal_iteratorINSA_10device_ptrIxEEEEPS6_SG_NS0_5tupleIJSF_S6_EEENSH_IJSG_SG_EEES6_PlJ5mod_3IxEEEE10hipError_tPvRmT3_T4_T5_T6_T7_T9_mT8_P12ihipStream_tbDpT10_ENKUlT_T0_E_clISt17integral_constantIbLb1EES16_EEDaS11_S12_EUlS11_E_NS1_11comp_targetILNS1_3genE3ELNS1_11target_archE908ELNS1_3gpuE7ELNS1_3repE0EEENS1_30default_config_static_selectorELNS0_4arch9wavefront6targetE0EEEvT1_.kd
    .uniform_work_group_size: 1
    .uses_dynamic_stack: false
    .vgpr_count:     0
    .vgpr_spill_count: 0
    .wavefront_size: 32
    .workgroup_processor_mode: 1
  - .args:
      - .offset:         0
        .size:           128
        .value_kind:     by_value
    .group_segment_fixed_size: 0
    .kernarg_segment_align: 8
    .kernarg_segment_size: 128
    .language:       OpenCL C
    .language_version:
      - 2
      - 0
    .max_flat_workgroup_size: 256
    .name:           _ZN7rocprim17ROCPRIM_400000_NS6detail17trampoline_kernelINS0_14default_configENS1_25partition_config_selectorILNS1_17partition_subalgoE6ExNS0_10empty_typeEbEEZZNS1_14partition_implILS5_6ELb0ES3_mN6thrust23THRUST_200600_302600_NS6detail15normal_iteratorINSA_10device_ptrIxEEEEPS6_SG_NS0_5tupleIJSF_S6_EEENSH_IJSG_SG_EEES6_PlJ5mod_3IxEEEE10hipError_tPvRmT3_T4_T5_T6_T7_T9_mT8_P12ihipStream_tbDpT10_ENKUlT_T0_E_clISt17integral_constantIbLb1EES16_EEDaS11_S12_EUlS11_E_NS1_11comp_targetILNS1_3genE2ELNS1_11target_archE906ELNS1_3gpuE6ELNS1_3repE0EEENS1_30default_config_static_selectorELNS0_4arch9wavefront6targetE0EEEvT1_
    .private_segment_fixed_size: 0
    .sgpr_count:     0
    .sgpr_spill_count: 0
    .symbol:         _ZN7rocprim17ROCPRIM_400000_NS6detail17trampoline_kernelINS0_14default_configENS1_25partition_config_selectorILNS1_17partition_subalgoE6ExNS0_10empty_typeEbEEZZNS1_14partition_implILS5_6ELb0ES3_mN6thrust23THRUST_200600_302600_NS6detail15normal_iteratorINSA_10device_ptrIxEEEEPS6_SG_NS0_5tupleIJSF_S6_EEENSH_IJSG_SG_EEES6_PlJ5mod_3IxEEEE10hipError_tPvRmT3_T4_T5_T6_T7_T9_mT8_P12ihipStream_tbDpT10_ENKUlT_T0_E_clISt17integral_constantIbLb1EES16_EEDaS11_S12_EUlS11_E_NS1_11comp_targetILNS1_3genE2ELNS1_11target_archE906ELNS1_3gpuE6ELNS1_3repE0EEENS1_30default_config_static_selectorELNS0_4arch9wavefront6targetE0EEEvT1_.kd
    .uniform_work_group_size: 1
    .uses_dynamic_stack: false
    .vgpr_count:     0
    .vgpr_spill_count: 0
    .wavefront_size: 32
    .workgroup_processor_mode: 1
  - .args:
      - .offset:         0
        .size:           128
        .value_kind:     by_value
    .group_segment_fixed_size: 0
    .kernarg_segment_align: 8
    .kernarg_segment_size: 128
    .language:       OpenCL C
    .language_version:
      - 2
      - 0
    .max_flat_workgroup_size: 256
    .name:           _ZN7rocprim17ROCPRIM_400000_NS6detail17trampoline_kernelINS0_14default_configENS1_25partition_config_selectorILNS1_17partition_subalgoE6ExNS0_10empty_typeEbEEZZNS1_14partition_implILS5_6ELb0ES3_mN6thrust23THRUST_200600_302600_NS6detail15normal_iteratorINSA_10device_ptrIxEEEEPS6_SG_NS0_5tupleIJSF_S6_EEENSH_IJSG_SG_EEES6_PlJ5mod_3IxEEEE10hipError_tPvRmT3_T4_T5_T6_T7_T9_mT8_P12ihipStream_tbDpT10_ENKUlT_T0_E_clISt17integral_constantIbLb1EES16_EEDaS11_S12_EUlS11_E_NS1_11comp_targetILNS1_3genE10ELNS1_11target_archE1200ELNS1_3gpuE4ELNS1_3repE0EEENS1_30default_config_static_selectorELNS0_4arch9wavefront6targetE0EEEvT1_
    .private_segment_fixed_size: 0
    .sgpr_count:     0
    .sgpr_spill_count: 0
    .symbol:         _ZN7rocprim17ROCPRIM_400000_NS6detail17trampoline_kernelINS0_14default_configENS1_25partition_config_selectorILNS1_17partition_subalgoE6ExNS0_10empty_typeEbEEZZNS1_14partition_implILS5_6ELb0ES3_mN6thrust23THRUST_200600_302600_NS6detail15normal_iteratorINSA_10device_ptrIxEEEEPS6_SG_NS0_5tupleIJSF_S6_EEENSH_IJSG_SG_EEES6_PlJ5mod_3IxEEEE10hipError_tPvRmT3_T4_T5_T6_T7_T9_mT8_P12ihipStream_tbDpT10_ENKUlT_T0_E_clISt17integral_constantIbLb1EES16_EEDaS11_S12_EUlS11_E_NS1_11comp_targetILNS1_3genE10ELNS1_11target_archE1200ELNS1_3gpuE4ELNS1_3repE0EEENS1_30default_config_static_selectorELNS0_4arch9wavefront6targetE0EEEvT1_.kd
    .uniform_work_group_size: 1
    .uses_dynamic_stack: false
    .vgpr_count:     0
    .vgpr_spill_count: 0
    .wavefront_size: 32
    .workgroup_processor_mode: 1
  - .args:
      - .offset:         0
        .size:           128
        .value_kind:     by_value
    .group_segment_fixed_size: 18448
    .kernarg_segment_align: 8
    .kernarg_segment_size: 128
    .language:       OpenCL C
    .language_version:
      - 2
      - 0
    .max_flat_workgroup_size: 384
    .name:           _ZN7rocprim17ROCPRIM_400000_NS6detail17trampoline_kernelINS0_14default_configENS1_25partition_config_selectorILNS1_17partition_subalgoE6ExNS0_10empty_typeEbEEZZNS1_14partition_implILS5_6ELb0ES3_mN6thrust23THRUST_200600_302600_NS6detail15normal_iteratorINSA_10device_ptrIxEEEEPS6_SG_NS0_5tupleIJSF_S6_EEENSH_IJSG_SG_EEES6_PlJ5mod_3IxEEEE10hipError_tPvRmT3_T4_T5_T6_T7_T9_mT8_P12ihipStream_tbDpT10_ENKUlT_T0_E_clISt17integral_constantIbLb1EES16_EEDaS11_S12_EUlS11_E_NS1_11comp_targetILNS1_3genE9ELNS1_11target_archE1100ELNS1_3gpuE3ELNS1_3repE0EEENS1_30default_config_static_selectorELNS0_4arch9wavefront6targetE0EEEvT1_
    .private_segment_fixed_size: 0
    .sgpr_count:     20
    .sgpr_spill_count: 0
    .symbol:         _ZN7rocprim17ROCPRIM_400000_NS6detail17trampoline_kernelINS0_14default_configENS1_25partition_config_selectorILNS1_17partition_subalgoE6ExNS0_10empty_typeEbEEZZNS1_14partition_implILS5_6ELb0ES3_mN6thrust23THRUST_200600_302600_NS6detail15normal_iteratorINSA_10device_ptrIxEEEEPS6_SG_NS0_5tupleIJSF_S6_EEENSH_IJSG_SG_EEES6_PlJ5mod_3IxEEEE10hipError_tPvRmT3_T4_T5_T6_T7_T9_mT8_P12ihipStream_tbDpT10_ENKUlT_T0_E_clISt17integral_constantIbLb1EES16_EEDaS11_S12_EUlS11_E_NS1_11comp_targetILNS1_3genE9ELNS1_11target_archE1100ELNS1_3gpuE3ELNS1_3repE0EEENS1_30default_config_static_selectorELNS0_4arch9wavefront6targetE0EEEvT1_.kd
    .uniform_work_group_size: 1
    .uses_dynamic_stack: false
    .vgpr_count:     56
    .vgpr_spill_count: 0
    .wavefront_size: 32
    .workgroup_processor_mode: 1
  - .args:
      - .offset:         0
        .size:           128
        .value_kind:     by_value
    .group_segment_fixed_size: 0
    .kernarg_segment_align: 8
    .kernarg_segment_size: 128
    .language:       OpenCL C
    .language_version:
      - 2
      - 0
    .max_flat_workgroup_size: 512
    .name:           _ZN7rocprim17ROCPRIM_400000_NS6detail17trampoline_kernelINS0_14default_configENS1_25partition_config_selectorILNS1_17partition_subalgoE6ExNS0_10empty_typeEbEEZZNS1_14partition_implILS5_6ELb0ES3_mN6thrust23THRUST_200600_302600_NS6detail15normal_iteratorINSA_10device_ptrIxEEEEPS6_SG_NS0_5tupleIJSF_S6_EEENSH_IJSG_SG_EEES6_PlJ5mod_3IxEEEE10hipError_tPvRmT3_T4_T5_T6_T7_T9_mT8_P12ihipStream_tbDpT10_ENKUlT_T0_E_clISt17integral_constantIbLb1EES16_EEDaS11_S12_EUlS11_E_NS1_11comp_targetILNS1_3genE8ELNS1_11target_archE1030ELNS1_3gpuE2ELNS1_3repE0EEENS1_30default_config_static_selectorELNS0_4arch9wavefront6targetE0EEEvT1_
    .private_segment_fixed_size: 0
    .sgpr_count:     0
    .sgpr_spill_count: 0
    .symbol:         _ZN7rocprim17ROCPRIM_400000_NS6detail17trampoline_kernelINS0_14default_configENS1_25partition_config_selectorILNS1_17partition_subalgoE6ExNS0_10empty_typeEbEEZZNS1_14partition_implILS5_6ELb0ES3_mN6thrust23THRUST_200600_302600_NS6detail15normal_iteratorINSA_10device_ptrIxEEEEPS6_SG_NS0_5tupleIJSF_S6_EEENSH_IJSG_SG_EEES6_PlJ5mod_3IxEEEE10hipError_tPvRmT3_T4_T5_T6_T7_T9_mT8_P12ihipStream_tbDpT10_ENKUlT_T0_E_clISt17integral_constantIbLb1EES16_EEDaS11_S12_EUlS11_E_NS1_11comp_targetILNS1_3genE8ELNS1_11target_archE1030ELNS1_3gpuE2ELNS1_3repE0EEENS1_30default_config_static_selectorELNS0_4arch9wavefront6targetE0EEEvT1_.kd
    .uniform_work_group_size: 1
    .uses_dynamic_stack: false
    .vgpr_count:     0
    .vgpr_spill_count: 0
    .wavefront_size: 32
    .workgroup_processor_mode: 1
  - .args:
      - .offset:         0
        .size:           112
        .value_kind:     by_value
    .group_segment_fixed_size: 0
    .kernarg_segment_align: 8
    .kernarg_segment_size: 112
    .language:       OpenCL C
    .language_version:
      - 2
      - 0
    .max_flat_workgroup_size: 128
    .name:           _ZN7rocprim17ROCPRIM_400000_NS6detail17trampoline_kernelINS0_14default_configENS1_25partition_config_selectorILNS1_17partition_subalgoE6ExNS0_10empty_typeEbEEZZNS1_14partition_implILS5_6ELb0ES3_mN6thrust23THRUST_200600_302600_NS6detail15normal_iteratorINSA_10device_ptrIxEEEEPS6_SG_NS0_5tupleIJSF_S6_EEENSH_IJSG_SG_EEES6_PlJ5mod_3IxEEEE10hipError_tPvRmT3_T4_T5_T6_T7_T9_mT8_P12ihipStream_tbDpT10_ENKUlT_T0_E_clISt17integral_constantIbLb1EES15_IbLb0EEEEDaS11_S12_EUlS11_E_NS1_11comp_targetILNS1_3genE0ELNS1_11target_archE4294967295ELNS1_3gpuE0ELNS1_3repE0EEENS1_30default_config_static_selectorELNS0_4arch9wavefront6targetE0EEEvT1_
    .private_segment_fixed_size: 0
    .sgpr_count:     0
    .sgpr_spill_count: 0
    .symbol:         _ZN7rocprim17ROCPRIM_400000_NS6detail17trampoline_kernelINS0_14default_configENS1_25partition_config_selectorILNS1_17partition_subalgoE6ExNS0_10empty_typeEbEEZZNS1_14partition_implILS5_6ELb0ES3_mN6thrust23THRUST_200600_302600_NS6detail15normal_iteratorINSA_10device_ptrIxEEEEPS6_SG_NS0_5tupleIJSF_S6_EEENSH_IJSG_SG_EEES6_PlJ5mod_3IxEEEE10hipError_tPvRmT3_T4_T5_T6_T7_T9_mT8_P12ihipStream_tbDpT10_ENKUlT_T0_E_clISt17integral_constantIbLb1EES15_IbLb0EEEEDaS11_S12_EUlS11_E_NS1_11comp_targetILNS1_3genE0ELNS1_11target_archE4294967295ELNS1_3gpuE0ELNS1_3repE0EEENS1_30default_config_static_selectorELNS0_4arch9wavefront6targetE0EEEvT1_.kd
    .uniform_work_group_size: 1
    .uses_dynamic_stack: false
    .vgpr_count:     0
    .vgpr_spill_count: 0
    .wavefront_size: 32
    .workgroup_processor_mode: 1
  - .args:
      - .offset:         0
        .size:           112
        .value_kind:     by_value
    .group_segment_fixed_size: 0
    .kernarg_segment_align: 8
    .kernarg_segment_size: 112
    .language:       OpenCL C
    .language_version:
      - 2
      - 0
    .max_flat_workgroup_size: 512
    .name:           _ZN7rocprim17ROCPRIM_400000_NS6detail17trampoline_kernelINS0_14default_configENS1_25partition_config_selectorILNS1_17partition_subalgoE6ExNS0_10empty_typeEbEEZZNS1_14partition_implILS5_6ELb0ES3_mN6thrust23THRUST_200600_302600_NS6detail15normal_iteratorINSA_10device_ptrIxEEEEPS6_SG_NS0_5tupleIJSF_S6_EEENSH_IJSG_SG_EEES6_PlJ5mod_3IxEEEE10hipError_tPvRmT3_T4_T5_T6_T7_T9_mT8_P12ihipStream_tbDpT10_ENKUlT_T0_E_clISt17integral_constantIbLb1EES15_IbLb0EEEEDaS11_S12_EUlS11_E_NS1_11comp_targetILNS1_3genE5ELNS1_11target_archE942ELNS1_3gpuE9ELNS1_3repE0EEENS1_30default_config_static_selectorELNS0_4arch9wavefront6targetE0EEEvT1_
    .private_segment_fixed_size: 0
    .sgpr_count:     0
    .sgpr_spill_count: 0
    .symbol:         _ZN7rocprim17ROCPRIM_400000_NS6detail17trampoline_kernelINS0_14default_configENS1_25partition_config_selectorILNS1_17partition_subalgoE6ExNS0_10empty_typeEbEEZZNS1_14partition_implILS5_6ELb0ES3_mN6thrust23THRUST_200600_302600_NS6detail15normal_iteratorINSA_10device_ptrIxEEEEPS6_SG_NS0_5tupleIJSF_S6_EEENSH_IJSG_SG_EEES6_PlJ5mod_3IxEEEE10hipError_tPvRmT3_T4_T5_T6_T7_T9_mT8_P12ihipStream_tbDpT10_ENKUlT_T0_E_clISt17integral_constantIbLb1EES15_IbLb0EEEEDaS11_S12_EUlS11_E_NS1_11comp_targetILNS1_3genE5ELNS1_11target_archE942ELNS1_3gpuE9ELNS1_3repE0EEENS1_30default_config_static_selectorELNS0_4arch9wavefront6targetE0EEEvT1_.kd
    .uniform_work_group_size: 1
    .uses_dynamic_stack: false
    .vgpr_count:     0
    .vgpr_spill_count: 0
    .wavefront_size: 32
    .workgroup_processor_mode: 1
  - .args:
      - .offset:         0
        .size:           112
        .value_kind:     by_value
    .group_segment_fixed_size: 0
    .kernarg_segment_align: 8
    .kernarg_segment_size: 112
    .language:       OpenCL C
    .language_version:
      - 2
      - 0
    .max_flat_workgroup_size: 512
    .name:           _ZN7rocprim17ROCPRIM_400000_NS6detail17trampoline_kernelINS0_14default_configENS1_25partition_config_selectorILNS1_17partition_subalgoE6ExNS0_10empty_typeEbEEZZNS1_14partition_implILS5_6ELb0ES3_mN6thrust23THRUST_200600_302600_NS6detail15normal_iteratorINSA_10device_ptrIxEEEEPS6_SG_NS0_5tupleIJSF_S6_EEENSH_IJSG_SG_EEES6_PlJ5mod_3IxEEEE10hipError_tPvRmT3_T4_T5_T6_T7_T9_mT8_P12ihipStream_tbDpT10_ENKUlT_T0_E_clISt17integral_constantIbLb1EES15_IbLb0EEEEDaS11_S12_EUlS11_E_NS1_11comp_targetILNS1_3genE4ELNS1_11target_archE910ELNS1_3gpuE8ELNS1_3repE0EEENS1_30default_config_static_selectorELNS0_4arch9wavefront6targetE0EEEvT1_
    .private_segment_fixed_size: 0
    .sgpr_count:     0
    .sgpr_spill_count: 0
    .symbol:         _ZN7rocprim17ROCPRIM_400000_NS6detail17trampoline_kernelINS0_14default_configENS1_25partition_config_selectorILNS1_17partition_subalgoE6ExNS0_10empty_typeEbEEZZNS1_14partition_implILS5_6ELb0ES3_mN6thrust23THRUST_200600_302600_NS6detail15normal_iteratorINSA_10device_ptrIxEEEEPS6_SG_NS0_5tupleIJSF_S6_EEENSH_IJSG_SG_EEES6_PlJ5mod_3IxEEEE10hipError_tPvRmT3_T4_T5_T6_T7_T9_mT8_P12ihipStream_tbDpT10_ENKUlT_T0_E_clISt17integral_constantIbLb1EES15_IbLb0EEEEDaS11_S12_EUlS11_E_NS1_11comp_targetILNS1_3genE4ELNS1_11target_archE910ELNS1_3gpuE8ELNS1_3repE0EEENS1_30default_config_static_selectorELNS0_4arch9wavefront6targetE0EEEvT1_.kd
    .uniform_work_group_size: 1
    .uses_dynamic_stack: false
    .vgpr_count:     0
    .vgpr_spill_count: 0
    .wavefront_size: 32
    .workgroup_processor_mode: 1
  - .args:
      - .offset:         0
        .size:           112
        .value_kind:     by_value
    .group_segment_fixed_size: 0
    .kernarg_segment_align: 8
    .kernarg_segment_size: 112
    .language:       OpenCL C
    .language_version:
      - 2
      - 0
    .max_flat_workgroup_size: 128
    .name:           _ZN7rocprim17ROCPRIM_400000_NS6detail17trampoline_kernelINS0_14default_configENS1_25partition_config_selectorILNS1_17partition_subalgoE6ExNS0_10empty_typeEbEEZZNS1_14partition_implILS5_6ELb0ES3_mN6thrust23THRUST_200600_302600_NS6detail15normal_iteratorINSA_10device_ptrIxEEEEPS6_SG_NS0_5tupleIJSF_S6_EEENSH_IJSG_SG_EEES6_PlJ5mod_3IxEEEE10hipError_tPvRmT3_T4_T5_T6_T7_T9_mT8_P12ihipStream_tbDpT10_ENKUlT_T0_E_clISt17integral_constantIbLb1EES15_IbLb0EEEEDaS11_S12_EUlS11_E_NS1_11comp_targetILNS1_3genE3ELNS1_11target_archE908ELNS1_3gpuE7ELNS1_3repE0EEENS1_30default_config_static_selectorELNS0_4arch9wavefront6targetE0EEEvT1_
    .private_segment_fixed_size: 0
    .sgpr_count:     0
    .sgpr_spill_count: 0
    .symbol:         _ZN7rocprim17ROCPRIM_400000_NS6detail17trampoline_kernelINS0_14default_configENS1_25partition_config_selectorILNS1_17partition_subalgoE6ExNS0_10empty_typeEbEEZZNS1_14partition_implILS5_6ELb0ES3_mN6thrust23THRUST_200600_302600_NS6detail15normal_iteratorINSA_10device_ptrIxEEEEPS6_SG_NS0_5tupleIJSF_S6_EEENSH_IJSG_SG_EEES6_PlJ5mod_3IxEEEE10hipError_tPvRmT3_T4_T5_T6_T7_T9_mT8_P12ihipStream_tbDpT10_ENKUlT_T0_E_clISt17integral_constantIbLb1EES15_IbLb0EEEEDaS11_S12_EUlS11_E_NS1_11comp_targetILNS1_3genE3ELNS1_11target_archE908ELNS1_3gpuE7ELNS1_3repE0EEENS1_30default_config_static_selectorELNS0_4arch9wavefront6targetE0EEEvT1_.kd
    .uniform_work_group_size: 1
    .uses_dynamic_stack: false
    .vgpr_count:     0
    .vgpr_spill_count: 0
    .wavefront_size: 32
    .workgroup_processor_mode: 1
  - .args:
      - .offset:         0
        .size:           112
        .value_kind:     by_value
    .group_segment_fixed_size: 0
    .kernarg_segment_align: 8
    .kernarg_segment_size: 112
    .language:       OpenCL C
    .language_version:
      - 2
      - 0
    .max_flat_workgroup_size: 256
    .name:           _ZN7rocprim17ROCPRIM_400000_NS6detail17trampoline_kernelINS0_14default_configENS1_25partition_config_selectorILNS1_17partition_subalgoE6ExNS0_10empty_typeEbEEZZNS1_14partition_implILS5_6ELb0ES3_mN6thrust23THRUST_200600_302600_NS6detail15normal_iteratorINSA_10device_ptrIxEEEEPS6_SG_NS0_5tupleIJSF_S6_EEENSH_IJSG_SG_EEES6_PlJ5mod_3IxEEEE10hipError_tPvRmT3_T4_T5_T6_T7_T9_mT8_P12ihipStream_tbDpT10_ENKUlT_T0_E_clISt17integral_constantIbLb1EES15_IbLb0EEEEDaS11_S12_EUlS11_E_NS1_11comp_targetILNS1_3genE2ELNS1_11target_archE906ELNS1_3gpuE6ELNS1_3repE0EEENS1_30default_config_static_selectorELNS0_4arch9wavefront6targetE0EEEvT1_
    .private_segment_fixed_size: 0
    .sgpr_count:     0
    .sgpr_spill_count: 0
    .symbol:         _ZN7rocprim17ROCPRIM_400000_NS6detail17trampoline_kernelINS0_14default_configENS1_25partition_config_selectorILNS1_17partition_subalgoE6ExNS0_10empty_typeEbEEZZNS1_14partition_implILS5_6ELb0ES3_mN6thrust23THRUST_200600_302600_NS6detail15normal_iteratorINSA_10device_ptrIxEEEEPS6_SG_NS0_5tupleIJSF_S6_EEENSH_IJSG_SG_EEES6_PlJ5mod_3IxEEEE10hipError_tPvRmT3_T4_T5_T6_T7_T9_mT8_P12ihipStream_tbDpT10_ENKUlT_T0_E_clISt17integral_constantIbLb1EES15_IbLb0EEEEDaS11_S12_EUlS11_E_NS1_11comp_targetILNS1_3genE2ELNS1_11target_archE906ELNS1_3gpuE6ELNS1_3repE0EEENS1_30default_config_static_selectorELNS0_4arch9wavefront6targetE0EEEvT1_.kd
    .uniform_work_group_size: 1
    .uses_dynamic_stack: false
    .vgpr_count:     0
    .vgpr_spill_count: 0
    .wavefront_size: 32
    .workgroup_processor_mode: 1
  - .args:
      - .offset:         0
        .size:           112
        .value_kind:     by_value
    .group_segment_fixed_size: 0
    .kernarg_segment_align: 8
    .kernarg_segment_size: 112
    .language:       OpenCL C
    .language_version:
      - 2
      - 0
    .max_flat_workgroup_size: 256
    .name:           _ZN7rocprim17ROCPRIM_400000_NS6detail17trampoline_kernelINS0_14default_configENS1_25partition_config_selectorILNS1_17partition_subalgoE6ExNS0_10empty_typeEbEEZZNS1_14partition_implILS5_6ELb0ES3_mN6thrust23THRUST_200600_302600_NS6detail15normal_iteratorINSA_10device_ptrIxEEEEPS6_SG_NS0_5tupleIJSF_S6_EEENSH_IJSG_SG_EEES6_PlJ5mod_3IxEEEE10hipError_tPvRmT3_T4_T5_T6_T7_T9_mT8_P12ihipStream_tbDpT10_ENKUlT_T0_E_clISt17integral_constantIbLb1EES15_IbLb0EEEEDaS11_S12_EUlS11_E_NS1_11comp_targetILNS1_3genE10ELNS1_11target_archE1200ELNS1_3gpuE4ELNS1_3repE0EEENS1_30default_config_static_selectorELNS0_4arch9wavefront6targetE0EEEvT1_
    .private_segment_fixed_size: 0
    .sgpr_count:     0
    .sgpr_spill_count: 0
    .symbol:         _ZN7rocprim17ROCPRIM_400000_NS6detail17trampoline_kernelINS0_14default_configENS1_25partition_config_selectorILNS1_17partition_subalgoE6ExNS0_10empty_typeEbEEZZNS1_14partition_implILS5_6ELb0ES3_mN6thrust23THRUST_200600_302600_NS6detail15normal_iteratorINSA_10device_ptrIxEEEEPS6_SG_NS0_5tupleIJSF_S6_EEENSH_IJSG_SG_EEES6_PlJ5mod_3IxEEEE10hipError_tPvRmT3_T4_T5_T6_T7_T9_mT8_P12ihipStream_tbDpT10_ENKUlT_T0_E_clISt17integral_constantIbLb1EES15_IbLb0EEEEDaS11_S12_EUlS11_E_NS1_11comp_targetILNS1_3genE10ELNS1_11target_archE1200ELNS1_3gpuE4ELNS1_3repE0EEENS1_30default_config_static_selectorELNS0_4arch9wavefront6targetE0EEEvT1_.kd
    .uniform_work_group_size: 1
    .uses_dynamic_stack: false
    .vgpr_count:     0
    .vgpr_spill_count: 0
    .wavefront_size: 32
    .workgroup_processor_mode: 1
  - .args:
      - .offset:         0
        .size:           112
        .value_kind:     by_value
    .group_segment_fixed_size: 18448
    .kernarg_segment_align: 8
    .kernarg_segment_size: 112
    .language:       OpenCL C
    .language_version:
      - 2
      - 0
    .max_flat_workgroup_size: 384
    .name:           _ZN7rocprim17ROCPRIM_400000_NS6detail17trampoline_kernelINS0_14default_configENS1_25partition_config_selectorILNS1_17partition_subalgoE6ExNS0_10empty_typeEbEEZZNS1_14partition_implILS5_6ELb0ES3_mN6thrust23THRUST_200600_302600_NS6detail15normal_iteratorINSA_10device_ptrIxEEEEPS6_SG_NS0_5tupleIJSF_S6_EEENSH_IJSG_SG_EEES6_PlJ5mod_3IxEEEE10hipError_tPvRmT3_T4_T5_T6_T7_T9_mT8_P12ihipStream_tbDpT10_ENKUlT_T0_E_clISt17integral_constantIbLb1EES15_IbLb0EEEEDaS11_S12_EUlS11_E_NS1_11comp_targetILNS1_3genE9ELNS1_11target_archE1100ELNS1_3gpuE3ELNS1_3repE0EEENS1_30default_config_static_selectorELNS0_4arch9wavefront6targetE0EEEvT1_
    .private_segment_fixed_size: 0
    .sgpr_count:     21
    .sgpr_spill_count: 0
    .symbol:         _ZN7rocprim17ROCPRIM_400000_NS6detail17trampoline_kernelINS0_14default_configENS1_25partition_config_selectorILNS1_17partition_subalgoE6ExNS0_10empty_typeEbEEZZNS1_14partition_implILS5_6ELb0ES3_mN6thrust23THRUST_200600_302600_NS6detail15normal_iteratorINSA_10device_ptrIxEEEEPS6_SG_NS0_5tupleIJSF_S6_EEENSH_IJSG_SG_EEES6_PlJ5mod_3IxEEEE10hipError_tPvRmT3_T4_T5_T6_T7_T9_mT8_P12ihipStream_tbDpT10_ENKUlT_T0_E_clISt17integral_constantIbLb1EES15_IbLb0EEEEDaS11_S12_EUlS11_E_NS1_11comp_targetILNS1_3genE9ELNS1_11target_archE1100ELNS1_3gpuE3ELNS1_3repE0EEENS1_30default_config_static_selectorELNS0_4arch9wavefront6targetE0EEEvT1_.kd
    .uniform_work_group_size: 1
    .uses_dynamic_stack: false
    .vgpr_count:     54
    .vgpr_spill_count: 0
    .wavefront_size: 32
    .workgroup_processor_mode: 1
  - .args:
      - .offset:         0
        .size:           112
        .value_kind:     by_value
    .group_segment_fixed_size: 0
    .kernarg_segment_align: 8
    .kernarg_segment_size: 112
    .language:       OpenCL C
    .language_version:
      - 2
      - 0
    .max_flat_workgroup_size: 512
    .name:           _ZN7rocprim17ROCPRIM_400000_NS6detail17trampoline_kernelINS0_14default_configENS1_25partition_config_selectorILNS1_17partition_subalgoE6ExNS0_10empty_typeEbEEZZNS1_14partition_implILS5_6ELb0ES3_mN6thrust23THRUST_200600_302600_NS6detail15normal_iteratorINSA_10device_ptrIxEEEEPS6_SG_NS0_5tupleIJSF_S6_EEENSH_IJSG_SG_EEES6_PlJ5mod_3IxEEEE10hipError_tPvRmT3_T4_T5_T6_T7_T9_mT8_P12ihipStream_tbDpT10_ENKUlT_T0_E_clISt17integral_constantIbLb1EES15_IbLb0EEEEDaS11_S12_EUlS11_E_NS1_11comp_targetILNS1_3genE8ELNS1_11target_archE1030ELNS1_3gpuE2ELNS1_3repE0EEENS1_30default_config_static_selectorELNS0_4arch9wavefront6targetE0EEEvT1_
    .private_segment_fixed_size: 0
    .sgpr_count:     0
    .sgpr_spill_count: 0
    .symbol:         _ZN7rocprim17ROCPRIM_400000_NS6detail17trampoline_kernelINS0_14default_configENS1_25partition_config_selectorILNS1_17partition_subalgoE6ExNS0_10empty_typeEbEEZZNS1_14partition_implILS5_6ELb0ES3_mN6thrust23THRUST_200600_302600_NS6detail15normal_iteratorINSA_10device_ptrIxEEEEPS6_SG_NS0_5tupleIJSF_S6_EEENSH_IJSG_SG_EEES6_PlJ5mod_3IxEEEE10hipError_tPvRmT3_T4_T5_T6_T7_T9_mT8_P12ihipStream_tbDpT10_ENKUlT_T0_E_clISt17integral_constantIbLb1EES15_IbLb0EEEEDaS11_S12_EUlS11_E_NS1_11comp_targetILNS1_3genE8ELNS1_11target_archE1030ELNS1_3gpuE2ELNS1_3repE0EEENS1_30default_config_static_selectorELNS0_4arch9wavefront6targetE0EEEvT1_.kd
    .uniform_work_group_size: 1
    .uses_dynamic_stack: false
    .vgpr_count:     0
    .vgpr_spill_count: 0
    .wavefront_size: 32
    .workgroup_processor_mode: 1
  - .args:
      - .offset:         0
        .size:           128
        .value_kind:     by_value
    .group_segment_fixed_size: 0
    .kernarg_segment_align: 8
    .kernarg_segment_size: 128
    .language:       OpenCL C
    .language_version:
      - 2
      - 0
    .max_flat_workgroup_size: 128
    .name:           _ZN7rocprim17ROCPRIM_400000_NS6detail17trampoline_kernelINS0_14default_configENS1_25partition_config_selectorILNS1_17partition_subalgoE6ExNS0_10empty_typeEbEEZZNS1_14partition_implILS5_6ELb0ES3_mN6thrust23THRUST_200600_302600_NS6detail15normal_iteratorINSA_10device_ptrIxEEEEPS6_SG_NS0_5tupleIJSF_S6_EEENSH_IJSG_SG_EEES6_PlJ5mod_3IxEEEE10hipError_tPvRmT3_T4_T5_T6_T7_T9_mT8_P12ihipStream_tbDpT10_ENKUlT_T0_E_clISt17integral_constantIbLb0EES15_IbLb1EEEEDaS11_S12_EUlS11_E_NS1_11comp_targetILNS1_3genE0ELNS1_11target_archE4294967295ELNS1_3gpuE0ELNS1_3repE0EEENS1_30default_config_static_selectorELNS0_4arch9wavefront6targetE0EEEvT1_
    .private_segment_fixed_size: 0
    .sgpr_count:     0
    .sgpr_spill_count: 0
    .symbol:         _ZN7rocprim17ROCPRIM_400000_NS6detail17trampoline_kernelINS0_14default_configENS1_25partition_config_selectorILNS1_17partition_subalgoE6ExNS0_10empty_typeEbEEZZNS1_14partition_implILS5_6ELb0ES3_mN6thrust23THRUST_200600_302600_NS6detail15normal_iteratorINSA_10device_ptrIxEEEEPS6_SG_NS0_5tupleIJSF_S6_EEENSH_IJSG_SG_EEES6_PlJ5mod_3IxEEEE10hipError_tPvRmT3_T4_T5_T6_T7_T9_mT8_P12ihipStream_tbDpT10_ENKUlT_T0_E_clISt17integral_constantIbLb0EES15_IbLb1EEEEDaS11_S12_EUlS11_E_NS1_11comp_targetILNS1_3genE0ELNS1_11target_archE4294967295ELNS1_3gpuE0ELNS1_3repE0EEENS1_30default_config_static_selectorELNS0_4arch9wavefront6targetE0EEEvT1_.kd
    .uniform_work_group_size: 1
    .uses_dynamic_stack: false
    .vgpr_count:     0
    .vgpr_spill_count: 0
    .wavefront_size: 32
    .workgroup_processor_mode: 1
  - .args:
      - .offset:         0
        .size:           128
        .value_kind:     by_value
    .group_segment_fixed_size: 0
    .kernarg_segment_align: 8
    .kernarg_segment_size: 128
    .language:       OpenCL C
    .language_version:
      - 2
      - 0
    .max_flat_workgroup_size: 512
    .name:           _ZN7rocprim17ROCPRIM_400000_NS6detail17trampoline_kernelINS0_14default_configENS1_25partition_config_selectorILNS1_17partition_subalgoE6ExNS0_10empty_typeEbEEZZNS1_14partition_implILS5_6ELb0ES3_mN6thrust23THRUST_200600_302600_NS6detail15normal_iteratorINSA_10device_ptrIxEEEEPS6_SG_NS0_5tupleIJSF_S6_EEENSH_IJSG_SG_EEES6_PlJ5mod_3IxEEEE10hipError_tPvRmT3_T4_T5_T6_T7_T9_mT8_P12ihipStream_tbDpT10_ENKUlT_T0_E_clISt17integral_constantIbLb0EES15_IbLb1EEEEDaS11_S12_EUlS11_E_NS1_11comp_targetILNS1_3genE5ELNS1_11target_archE942ELNS1_3gpuE9ELNS1_3repE0EEENS1_30default_config_static_selectorELNS0_4arch9wavefront6targetE0EEEvT1_
    .private_segment_fixed_size: 0
    .sgpr_count:     0
    .sgpr_spill_count: 0
    .symbol:         _ZN7rocprim17ROCPRIM_400000_NS6detail17trampoline_kernelINS0_14default_configENS1_25partition_config_selectorILNS1_17partition_subalgoE6ExNS0_10empty_typeEbEEZZNS1_14partition_implILS5_6ELb0ES3_mN6thrust23THRUST_200600_302600_NS6detail15normal_iteratorINSA_10device_ptrIxEEEEPS6_SG_NS0_5tupleIJSF_S6_EEENSH_IJSG_SG_EEES6_PlJ5mod_3IxEEEE10hipError_tPvRmT3_T4_T5_T6_T7_T9_mT8_P12ihipStream_tbDpT10_ENKUlT_T0_E_clISt17integral_constantIbLb0EES15_IbLb1EEEEDaS11_S12_EUlS11_E_NS1_11comp_targetILNS1_3genE5ELNS1_11target_archE942ELNS1_3gpuE9ELNS1_3repE0EEENS1_30default_config_static_selectorELNS0_4arch9wavefront6targetE0EEEvT1_.kd
    .uniform_work_group_size: 1
    .uses_dynamic_stack: false
    .vgpr_count:     0
    .vgpr_spill_count: 0
    .wavefront_size: 32
    .workgroup_processor_mode: 1
  - .args:
      - .offset:         0
        .size:           128
        .value_kind:     by_value
    .group_segment_fixed_size: 0
    .kernarg_segment_align: 8
    .kernarg_segment_size: 128
    .language:       OpenCL C
    .language_version:
      - 2
      - 0
    .max_flat_workgroup_size: 512
    .name:           _ZN7rocprim17ROCPRIM_400000_NS6detail17trampoline_kernelINS0_14default_configENS1_25partition_config_selectorILNS1_17partition_subalgoE6ExNS0_10empty_typeEbEEZZNS1_14partition_implILS5_6ELb0ES3_mN6thrust23THRUST_200600_302600_NS6detail15normal_iteratorINSA_10device_ptrIxEEEEPS6_SG_NS0_5tupleIJSF_S6_EEENSH_IJSG_SG_EEES6_PlJ5mod_3IxEEEE10hipError_tPvRmT3_T4_T5_T6_T7_T9_mT8_P12ihipStream_tbDpT10_ENKUlT_T0_E_clISt17integral_constantIbLb0EES15_IbLb1EEEEDaS11_S12_EUlS11_E_NS1_11comp_targetILNS1_3genE4ELNS1_11target_archE910ELNS1_3gpuE8ELNS1_3repE0EEENS1_30default_config_static_selectorELNS0_4arch9wavefront6targetE0EEEvT1_
    .private_segment_fixed_size: 0
    .sgpr_count:     0
    .sgpr_spill_count: 0
    .symbol:         _ZN7rocprim17ROCPRIM_400000_NS6detail17trampoline_kernelINS0_14default_configENS1_25partition_config_selectorILNS1_17partition_subalgoE6ExNS0_10empty_typeEbEEZZNS1_14partition_implILS5_6ELb0ES3_mN6thrust23THRUST_200600_302600_NS6detail15normal_iteratorINSA_10device_ptrIxEEEEPS6_SG_NS0_5tupleIJSF_S6_EEENSH_IJSG_SG_EEES6_PlJ5mod_3IxEEEE10hipError_tPvRmT3_T4_T5_T6_T7_T9_mT8_P12ihipStream_tbDpT10_ENKUlT_T0_E_clISt17integral_constantIbLb0EES15_IbLb1EEEEDaS11_S12_EUlS11_E_NS1_11comp_targetILNS1_3genE4ELNS1_11target_archE910ELNS1_3gpuE8ELNS1_3repE0EEENS1_30default_config_static_selectorELNS0_4arch9wavefront6targetE0EEEvT1_.kd
    .uniform_work_group_size: 1
    .uses_dynamic_stack: false
    .vgpr_count:     0
    .vgpr_spill_count: 0
    .wavefront_size: 32
    .workgroup_processor_mode: 1
  - .args:
      - .offset:         0
        .size:           128
        .value_kind:     by_value
    .group_segment_fixed_size: 0
    .kernarg_segment_align: 8
    .kernarg_segment_size: 128
    .language:       OpenCL C
    .language_version:
      - 2
      - 0
    .max_flat_workgroup_size: 128
    .name:           _ZN7rocprim17ROCPRIM_400000_NS6detail17trampoline_kernelINS0_14default_configENS1_25partition_config_selectorILNS1_17partition_subalgoE6ExNS0_10empty_typeEbEEZZNS1_14partition_implILS5_6ELb0ES3_mN6thrust23THRUST_200600_302600_NS6detail15normal_iteratorINSA_10device_ptrIxEEEEPS6_SG_NS0_5tupleIJSF_S6_EEENSH_IJSG_SG_EEES6_PlJ5mod_3IxEEEE10hipError_tPvRmT3_T4_T5_T6_T7_T9_mT8_P12ihipStream_tbDpT10_ENKUlT_T0_E_clISt17integral_constantIbLb0EES15_IbLb1EEEEDaS11_S12_EUlS11_E_NS1_11comp_targetILNS1_3genE3ELNS1_11target_archE908ELNS1_3gpuE7ELNS1_3repE0EEENS1_30default_config_static_selectorELNS0_4arch9wavefront6targetE0EEEvT1_
    .private_segment_fixed_size: 0
    .sgpr_count:     0
    .sgpr_spill_count: 0
    .symbol:         _ZN7rocprim17ROCPRIM_400000_NS6detail17trampoline_kernelINS0_14default_configENS1_25partition_config_selectorILNS1_17partition_subalgoE6ExNS0_10empty_typeEbEEZZNS1_14partition_implILS5_6ELb0ES3_mN6thrust23THRUST_200600_302600_NS6detail15normal_iteratorINSA_10device_ptrIxEEEEPS6_SG_NS0_5tupleIJSF_S6_EEENSH_IJSG_SG_EEES6_PlJ5mod_3IxEEEE10hipError_tPvRmT3_T4_T5_T6_T7_T9_mT8_P12ihipStream_tbDpT10_ENKUlT_T0_E_clISt17integral_constantIbLb0EES15_IbLb1EEEEDaS11_S12_EUlS11_E_NS1_11comp_targetILNS1_3genE3ELNS1_11target_archE908ELNS1_3gpuE7ELNS1_3repE0EEENS1_30default_config_static_selectorELNS0_4arch9wavefront6targetE0EEEvT1_.kd
    .uniform_work_group_size: 1
    .uses_dynamic_stack: false
    .vgpr_count:     0
    .vgpr_spill_count: 0
    .wavefront_size: 32
    .workgroup_processor_mode: 1
  - .args:
      - .offset:         0
        .size:           128
        .value_kind:     by_value
    .group_segment_fixed_size: 0
    .kernarg_segment_align: 8
    .kernarg_segment_size: 128
    .language:       OpenCL C
    .language_version:
      - 2
      - 0
    .max_flat_workgroup_size: 256
    .name:           _ZN7rocprim17ROCPRIM_400000_NS6detail17trampoline_kernelINS0_14default_configENS1_25partition_config_selectorILNS1_17partition_subalgoE6ExNS0_10empty_typeEbEEZZNS1_14partition_implILS5_6ELb0ES3_mN6thrust23THRUST_200600_302600_NS6detail15normal_iteratorINSA_10device_ptrIxEEEEPS6_SG_NS0_5tupleIJSF_S6_EEENSH_IJSG_SG_EEES6_PlJ5mod_3IxEEEE10hipError_tPvRmT3_T4_T5_T6_T7_T9_mT8_P12ihipStream_tbDpT10_ENKUlT_T0_E_clISt17integral_constantIbLb0EES15_IbLb1EEEEDaS11_S12_EUlS11_E_NS1_11comp_targetILNS1_3genE2ELNS1_11target_archE906ELNS1_3gpuE6ELNS1_3repE0EEENS1_30default_config_static_selectorELNS0_4arch9wavefront6targetE0EEEvT1_
    .private_segment_fixed_size: 0
    .sgpr_count:     0
    .sgpr_spill_count: 0
    .symbol:         _ZN7rocprim17ROCPRIM_400000_NS6detail17trampoline_kernelINS0_14default_configENS1_25partition_config_selectorILNS1_17partition_subalgoE6ExNS0_10empty_typeEbEEZZNS1_14partition_implILS5_6ELb0ES3_mN6thrust23THRUST_200600_302600_NS6detail15normal_iteratorINSA_10device_ptrIxEEEEPS6_SG_NS0_5tupleIJSF_S6_EEENSH_IJSG_SG_EEES6_PlJ5mod_3IxEEEE10hipError_tPvRmT3_T4_T5_T6_T7_T9_mT8_P12ihipStream_tbDpT10_ENKUlT_T0_E_clISt17integral_constantIbLb0EES15_IbLb1EEEEDaS11_S12_EUlS11_E_NS1_11comp_targetILNS1_3genE2ELNS1_11target_archE906ELNS1_3gpuE6ELNS1_3repE0EEENS1_30default_config_static_selectorELNS0_4arch9wavefront6targetE0EEEvT1_.kd
    .uniform_work_group_size: 1
    .uses_dynamic_stack: false
    .vgpr_count:     0
    .vgpr_spill_count: 0
    .wavefront_size: 32
    .workgroup_processor_mode: 1
  - .args:
      - .offset:         0
        .size:           128
        .value_kind:     by_value
    .group_segment_fixed_size: 0
    .kernarg_segment_align: 8
    .kernarg_segment_size: 128
    .language:       OpenCL C
    .language_version:
      - 2
      - 0
    .max_flat_workgroup_size: 256
    .name:           _ZN7rocprim17ROCPRIM_400000_NS6detail17trampoline_kernelINS0_14default_configENS1_25partition_config_selectorILNS1_17partition_subalgoE6ExNS0_10empty_typeEbEEZZNS1_14partition_implILS5_6ELb0ES3_mN6thrust23THRUST_200600_302600_NS6detail15normal_iteratorINSA_10device_ptrIxEEEEPS6_SG_NS0_5tupleIJSF_S6_EEENSH_IJSG_SG_EEES6_PlJ5mod_3IxEEEE10hipError_tPvRmT3_T4_T5_T6_T7_T9_mT8_P12ihipStream_tbDpT10_ENKUlT_T0_E_clISt17integral_constantIbLb0EES15_IbLb1EEEEDaS11_S12_EUlS11_E_NS1_11comp_targetILNS1_3genE10ELNS1_11target_archE1200ELNS1_3gpuE4ELNS1_3repE0EEENS1_30default_config_static_selectorELNS0_4arch9wavefront6targetE0EEEvT1_
    .private_segment_fixed_size: 0
    .sgpr_count:     0
    .sgpr_spill_count: 0
    .symbol:         _ZN7rocprim17ROCPRIM_400000_NS6detail17trampoline_kernelINS0_14default_configENS1_25partition_config_selectorILNS1_17partition_subalgoE6ExNS0_10empty_typeEbEEZZNS1_14partition_implILS5_6ELb0ES3_mN6thrust23THRUST_200600_302600_NS6detail15normal_iteratorINSA_10device_ptrIxEEEEPS6_SG_NS0_5tupleIJSF_S6_EEENSH_IJSG_SG_EEES6_PlJ5mod_3IxEEEE10hipError_tPvRmT3_T4_T5_T6_T7_T9_mT8_P12ihipStream_tbDpT10_ENKUlT_T0_E_clISt17integral_constantIbLb0EES15_IbLb1EEEEDaS11_S12_EUlS11_E_NS1_11comp_targetILNS1_3genE10ELNS1_11target_archE1200ELNS1_3gpuE4ELNS1_3repE0EEENS1_30default_config_static_selectorELNS0_4arch9wavefront6targetE0EEEvT1_.kd
    .uniform_work_group_size: 1
    .uses_dynamic_stack: false
    .vgpr_count:     0
    .vgpr_spill_count: 0
    .wavefront_size: 32
    .workgroup_processor_mode: 1
  - .args:
      - .offset:         0
        .size:           128
        .value_kind:     by_value
    .group_segment_fixed_size: 18448
    .kernarg_segment_align: 8
    .kernarg_segment_size: 128
    .language:       OpenCL C
    .language_version:
      - 2
      - 0
    .max_flat_workgroup_size: 384
    .name:           _ZN7rocprim17ROCPRIM_400000_NS6detail17trampoline_kernelINS0_14default_configENS1_25partition_config_selectorILNS1_17partition_subalgoE6ExNS0_10empty_typeEbEEZZNS1_14partition_implILS5_6ELb0ES3_mN6thrust23THRUST_200600_302600_NS6detail15normal_iteratorINSA_10device_ptrIxEEEEPS6_SG_NS0_5tupleIJSF_S6_EEENSH_IJSG_SG_EEES6_PlJ5mod_3IxEEEE10hipError_tPvRmT3_T4_T5_T6_T7_T9_mT8_P12ihipStream_tbDpT10_ENKUlT_T0_E_clISt17integral_constantIbLb0EES15_IbLb1EEEEDaS11_S12_EUlS11_E_NS1_11comp_targetILNS1_3genE9ELNS1_11target_archE1100ELNS1_3gpuE3ELNS1_3repE0EEENS1_30default_config_static_selectorELNS0_4arch9wavefront6targetE0EEEvT1_
    .private_segment_fixed_size: 0
    .sgpr_count:     20
    .sgpr_spill_count: 0
    .symbol:         _ZN7rocprim17ROCPRIM_400000_NS6detail17trampoline_kernelINS0_14default_configENS1_25partition_config_selectorILNS1_17partition_subalgoE6ExNS0_10empty_typeEbEEZZNS1_14partition_implILS5_6ELb0ES3_mN6thrust23THRUST_200600_302600_NS6detail15normal_iteratorINSA_10device_ptrIxEEEEPS6_SG_NS0_5tupleIJSF_S6_EEENSH_IJSG_SG_EEES6_PlJ5mod_3IxEEEE10hipError_tPvRmT3_T4_T5_T6_T7_T9_mT8_P12ihipStream_tbDpT10_ENKUlT_T0_E_clISt17integral_constantIbLb0EES15_IbLb1EEEEDaS11_S12_EUlS11_E_NS1_11comp_targetILNS1_3genE9ELNS1_11target_archE1100ELNS1_3gpuE3ELNS1_3repE0EEENS1_30default_config_static_selectorELNS0_4arch9wavefront6targetE0EEEvT1_.kd
    .uniform_work_group_size: 1
    .uses_dynamic_stack: false
    .vgpr_count:     56
    .vgpr_spill_count: 0
    .wavefront_size: 32
    .workgroup_processor_mode: 1
  - .args:
      - .offset:         0
        .size:           128
        .value_kind:     by_value
    .group_segment_fixed_size: 0
    .kernarg_segment_align: 8
    .kernarg_segment_size: 128
    .language:       OpenCL C
    .language_version:
      - 2
      - 0
    .max_flat_workgroup_size: 512
    .name:           _ZN7rocprim17ROCPRIM_400000_NS6detail17trampoline_kernelINS0_14default_configENS1_25partition_config_selectorILNS1_17partition_subalgoE6ExNS0_10empty_typeEbEEZZNS1_14partition_implILS5_6ELb0ES3_mN6thrust23THRUST_200600_302600_NS6detail15normal_iteratorINSA_10device_ptrIxEEEEPS6_SG_NS0_5tupleIJSF_S6_EEENSH_IJSG_SG_EEES6_PlJ5mod_3IxEEEE10hipError_tPvRmT3_T4_T5_T6_T7_T9_mT8_P12ihipStream_tbDpT10_ENKUlT_T0_E_clISt17integral_constantIbLb0EES15_IbLb1EEEEDaS11_S12_EUlS11_E_NS1_11comp_targetILNS1_3genE8ELNS1_11target_archE1030ELNS1_3gpuE2ELNS1_3repE0EEENS1_30default_config_static_selectorELNS0_4arch9wavefront6targetE0EEEvT1_
    .private_segment_fixed_size: 0
    .sgpr_count:     0
    .sgpr_spill_count: 0
    .symbol:         _ZN7rocprim17ROCPRIM_400000_NS6detail17trampoline_kernelINS0_14default_configENS1_25partition_config_selectorILNS1_17partition_subalgoE6ExNS0_10empty_typeEbEEZZNS1_14partition_implILS5_6ELb0ES3_mN6thrust23THRUST_200600_302600_NS6detail15normal_iteratorINSA_10device_ptrIxEEEEPS6_SG_NS0_5tupleIJSF_S6_EEENSH_IJSG_SG_EEES6_PlJ5mod_3IxEEEE10hipError_tPvRmT3_T4_T5_T6_T7_T9_mT8_P12ihipStream_tbDpT10_ENKUlT_T0_E_clISt17integral_constantIbLb0EES15_IbLb1EEEEDaS11_S12_EUlS11_E_NS1_11comp_targetILNS1_3genE8ELNS1_11target_archE1030ELNS1_3gpuE2ELNS1_3repE0EEENS1_30default_config_static_selectorELNS0_4arch9wavefront6targetE0EEEvT1_.kd
    .uniform_work_group_size: 1
    .uses_dynamic_stack: false
    .vgpr_count:     0
    .vgpr_spill_count: 0
    .wavefront_size: 32
    .workgroup_processor_mode: 1
  - .args:
      - .offset:         0
        .size:           112
        .value_kind:     by_value
    .group_segment_fixed_size: 0
    .kernarg_segment_align: 8
    .kernarg_segment_size: 112
    .language:       OpenCL C
    .language_version:
      - 2
      - 0
    .max_flat_workgroup_size: 256
    .name:           _ZN7rocprim17ROCPRIM_400000_NS6detail17trampoline_kernelINS0_14default_configENS1_25partition_config_selectorILNS1_17partition_subalgoE6EiNS0_10empty_typeEbEEZZNS1_14partition_implILS5_6ELb0ES3_mN6thrust23THRUST_200600_302600_NS6detail15normal_iteratorINSA_10device_ptrIiEEEEPS6_SG_NS0_5tupleIJSF_S6_EEENSH_IJSG_SG_EEES6_PlJ5mod_3IiEEEE10hipError_tPvRmT3_T4_T5_T6_T7_T9_mT8_P12ihipStream_tbDpT10_ENKUlT_T0_E_clISt17integral_constantIbLb0EES16_EEDaS11_S12_EUlS11_E_NS1_11comp_targetILNS1_3genE0ELNS1_11target_archE4294967295ELNS1_3gpuE0ELNS1_3repE0EEENS1_30default_config_static_selectorELNS0_4arch9wavefront6targetE0EEEvT1_
    .private_segment_fixed_size: 0
    .sgpr_count:     0
    .sgpr_spill_count: 0
    .symbol:         _ZN7rocprim17ROCPRIM_400000_NS6detail17trampoline_kernelINS0_14default_configENS1_25partition_config_selectorILNS1_17partition_subalgoE6EiNS0_10empty_typeEbEEZZNS1_14partition_implILS5_6ELb0ES3_mN6thrust23THRUST_200600_302600_NS6detail15normal_iteratorINSA_10device_ptrIiEEEEPS6_SG_NS0_5tupleIJSF_S6_EEENSH_IJSG_SG_EEES6_PlJ5mod_3IiEEEE10hipError_tPvRmT3_T4_T5_T6_T7_T9_mT8_P12ihipStream_tbDpT10_ENKUlT_T0_E_clISt17integral_constantIbLb0EES16_EEDaS11_S12_EUlS11_E_NS1_11comp_targetILNS1_3genE0ELNS1_11target_archE4294967295ELNS1_3gpuE0ELNS1_3repE0EEENS1_30default_config_static_selectorELNS0_4arch9wavefront6targetE0EEEvT1_.kd
    .uniform_work_group_size: 1
    .uses_dynamic_stack: false
    .vgpr_count:     0
    .vgpr_spill_count: 0
    .wavefront_size: 32
    .workgroup_processor_mode: 1
  - .args:
      - .offset:         0
        .size:           112
        .value_kind:     by_value
    .group_segment_fixed_size: 0
    .kernarg_segment_align: 8
    .kernarg_segment_size: 112
    .language:       OpenCL C
    .language_version:
      - 2
      - 0
    .max_flat_workgroup_size: 512
    .name:           _ZN7rocprim17ROCPRIM_400000_NS6detail17trampoline_kernelINS0_14default_configENS1_25partition_config_selectorILNS1_17partition_subalgoE6EiNS0_10empty_typeEbEEZZNS1_14partition_implILS5_6ELb0ES3_mN6thrust23THRUST_200600_302600_NS6detail15normal_iteratorINSA_10device_ptrIiEEEEPS6_SG_NS0_5tupleIJSF_S6_EEENSH_IJSG_SG_EEES6_PlJ5mod_3IiEEEE10hipError_tPvRmT3_T4_T5_T6_T7_T9_mT8_P12ihipStream_tbDpT10_ENKUlT_T0_E_clISt17integral_constantIbLb0EES16_EEDaS11_S12_EUlS11_E_NS1_11comp_targetILNS1_3genE5ELNS1_11target_archE942ELNS1_3gpuE9ELNS1_3repE0EEENS1_30default_config_static_selectorELNS0_4arch9wavefront6targetE0EEEvT1_
    .private_segment_fixed_size: 0
    .sgpr_count:     0
    .sgpr_spill_count: 0
    .symbol:         _ZN7rocprim17ROCPRIM_400000_NS6detail17trampoline_kernelINS0_14default_configENS1_25partition_config_selectorILNS1_17partition_subalgoE6EiNS0_10empty_typeEbEEZZNS1_14partition_implILS5_6ELb0ES3_mN6thrust23THRUST_200600_302600_NS6detail15normal_iteratorINSA_10device_ptrIiEEEEPS6_SG_NS0_5tupleIJSF_S6_EEENSH_IJSG_SG_EEES6_PlJ5mod_3IiEEEE10hipError_tPvRmT3_T4_T5_T6_T7_T9_mT8_P12ihipStream_tbDpT10_ENKUlT_T0_E_clISt17integral_constantIbLb0EES16_EEDaS11_S12_EUlS11_E_NS1_11comp_targetILNS1_3genE5ELNS1_11target_archE942ELNS1_3gpuE9ELNS1_3repE0EEENS1_30default_config_static_selectorELNS0_4arch9wavefront6targetE0EEEvT1_.kd
    .uniform_work_group_size: 1
    .uses_dynamic_stack: false
    .vgpr_count:     0
    .vgpr_spill_count: 0
    .wavefront_size: 32
    .workgroup_processor_mode: 1
  - .args:
      - .offset:         0
        .size:           112
        .value_kind:     by_value
    .group_segment_fixed_size: 0
    .kernarg_segment_align: 8
    .kernarg_segment_size: 112
    .language:       OpenCL C
    .language_version:
      - 2
      - 0
    .max_flat_workgroup_size: 512
    .name:           _ZN7rocprim17ROCPRIM_400000_NS6detail17trampoline_kernelINS0_14default_configENS1_25partition_config_selectorILNS1_17partition_subalgoE6EiNS0_10empty_typeEbEEZZNS1_14partition_implILS5_6ELb0ES3_mN6thrust23THRUST_200600_302600_NS6detail15normal_iteratorINSA_10device_ptrIiEEEEPS6_SG_NS0_5tupleIJSF_S6_EEENSH_IJSG_SG_EEES6_PlJ5mod_3IiEEEE10hipError_tPvRmT3_T4_T5_T6_T7_T9_mT8_P12ihipStream_tbDpT10_ENKUlT_T0_E_clISt17integral_constantIbLb0EES16_EEDaS11_S12_EUlS11_E_NS1_11comp_targetILNS1_3genE4ELNS1_11target_archE910ELNS1_3gpuE8ELNS1_3repE0EEENS1_30default_config_static_selectorELNS0_4arch9wavefront6targetE0EEEvT1_
    .private_segment_fixed_size: 0
    .sgpr_count:     0
    .sgpr_spill_count: 0
    .symbol:         _ZN7rocprim17ROCPRIM_400000_NS6detail17trampoline_kernelINS0_14default_configENS1_25partition_config_selectorILNS1_17partition_subalgoE6EiNS0_10empty_typeEbEEZZNS1_14partition_implILS5_6ELb0ES3_mN6thrust23THRUST_200600_302600_NS6detail15normal_iteratorINSA_10device_ptrIiEEEEPS6_SG_NS0_5tupleIJSF_S6_EEENSH_IJSG_SG_EEES6_PlJ5mod_3IiEEEE10hipError_tPvRmT3_T4_T5_T6_T7_T9_mT8_P12ihipStream_tbDpT10_ENKUlT_T0_E_clISt17integral_constantIbLb0EES16_EEDaS11_S12_EUlS11_E_NS1_11comp_targetILNS1_3genE4ELNS1_11target_archE910ELNS1_3gpuE8ELNS1_3repE0EEENS1_30default_config_static_selectorELNS0_4arch9wavefront6targetE0EEEvT1_.kd
    .uniform_work_group_size: 1
    .uses_dynamic_stack: false
    .vgpr_count:     0
    .vgpr_spill_count: 0
    .wavefront_size: 32
    .workgroup_processor_mode: 1
  - .args:
      - .offset:         0
        .size:           112
        .value_kind:     by_value
    .group_segment_fixed_size: 0
    .kernarg_segment_align: 8
    .kernarg_segment_size: 112
    .language:       OpenCL C
    .language_version:
      - 2
      - 0
    .max_flat_workgroup_size: 256
    .name:           _ZN7rocprim17ROCPRIM_400000_NS6detail17trampoline_kernelINS0_14default_configENS1_25partition_config_selectorILNS1_17partition_subalgoE6EiNS0_10empty_typeEbEEZZNS1_14partition_implILS5_6ELb0ES3_mN6thrust23THRUST_200600_302600_NS6detail15normal_iteratorINSA_10device_ptrIiEEEEPS6_SG_NS0_5tupleIJSF_S6_EEENSH_IJSG_SG_EEES6_PlJ5mod_3IiEEEE10hipError_tPvRmT3_T4_T5_T6_T7_T9_mT8_P12ihipStream_tbDpT10_ENKUlT_T0_E_clISt17integral_constantIbLb0EES16_EEDaS11_S12_EUlS11_E_NS1_11comp_targetILNS1_3genE3ELNS1_11target_archE908ELNS1_3gpuE7ELNS1_3repE0EEENS1_30default_config_static_selectorELNS0_4arch9wavefront6targetE0EEEvT1_
    .private_segment_fixed_size: 0
    .sgpr_count:     0
    .sgpr_spill_count: 0
    .symbol:         _ZN7rocprim17ROCPRIM_400000_NS6detail17trampoline_kernelINS0_14default_configENS1_25partition_config_selectorILNS1_17partition_subalgoE6EiNS0_10empty_typeEbEEZZNS1_14partition_implILS5_6ELb0ES3_mN6thrust23THRUST_200600_302600_NS6detail15normal_iteratorINSA_10device_ptrIiEEEEPS6_SG_NS0_5tupleIJSF_S6_EEENSH_IJSG_SG_EEES6_PlJ5mod_3IiEEEE10hipError_tPvRmT3_T4_T5_T6_T7_T9_mT8_P12ihipStream_tbDpT10_ENKUlT_T0_E_clISt17integral_constantIbLb0EES16_EEDaS11_S12_EUlS11_E_NS1_11comp_targetILNS1_3genE3ELNS1_11target_archE908ELNS1_3gpuE7ELNS1_3repE0EEENS1_30default_config_static_selectorELNS0_4arch9wavefront6targetE0EEEvT1_.kd
    .uniform_work_group_size: 1
    .uses_dynamic_stack: false
    .vgpr_count:     0
    .vgpr_spill_count: 0
    .wavefront_size: 32
    .workgroup_processor_mode: 1
  - .args:
      - .offset:         0
        .size:           112
        .value_kind:     by_value
    .group_segment_fixed_size: 0
    .kernarg_segment_align: 8
    .kernarg_segment_size: 112
    .language:       OpenCL C
    .language_version:
      - 2
      - 0
    .max_flat_workgroup_size: 192
    .name:           _ZN7rocprim17ROCPRIM_400000_NS6detail17trampoline_kernelINS0_14default_configENS1_25partition_config_selectorILNS1_17partition_subalgoE6EiNS0_10empty_typeEbEEZZNS1_14partition_implILS5_6ELb0ES3_mN6thrust23THRUST_200600_302600_NS6detail15normal_iteratorINSA_10device_ptrIiEEEEPS6_SG_NS0_5tupleIJSF_S6_EEENSH_IJSG_SG_EEES6_PlJ5mod_3IiEEEE10hipError_tPvRmT3_T4_T5_T6_T7_T9_mT8_P12ihipStream_tbDpT10_ENKUlT_T0_E_clISt17integral_constantIbLb0EES16_EEDaS11_S12_EUlS11_E_NS1_11comp_targetILNS1_3genE2ELNS1_11target_archE906ELNS1_3gpuE6ELNS1_3repE0EEENS1_30default_config_static_selectorELNS0_4arch9wavefront6targetE0EEEvT1_
    .private_segment_fixed_size: 0
    .sgpr_count:     0
    .sgpr_spill_count: 0
    .symbol:         _ZN7rocprim17ROCPRIM_400000_NS6detail17trampoline_kernelINS0_14default_configENS1_25partition_config_selectorILNS1_17partition_subalgoE6EiNS0_10empty_typeEbEEZZNS1_14partition_implILS5_6ELb0ES3_mN6thrust23THRUST_200600_302600_NS6detail15normal_iteratorINSA_10device_ptrIiEEEEPS6_SG_NS0_5tupleIJSF_S6_EEENSH_IJSG_SG_EEES6_PlJ5mod_3IiEEEE10hipError_tPvRmT3_T4_T5_T6_T7_T9_mT8_P12ihipStream_tbDpT10_ENKUlT_T0_E_clISt17integral_constantIbLb0EES16_EEDaS11_S12_EUlS11_E_NS1_11comp_targetILNS1_3genE2ELNS1_11target_archE906ELNS1_3gpuE6ELNS1_3repE0EEENS1_30default_config_static_selectorELNS0_4arch9wavefront6targetE0EEEvT1_.kd
    .uniform_work_group_size: 1
    .uses_dynamic_stack: false
    .vgpr_count:     0
    .vgpr_spill_count: 0
    .wavefront_size: 32
    .workgroup_processor_mode: 1
  - .args:
      - .offset:         0
        .size:           112
        .value_kind:     by_value
    .group_segment_fixed_size: 0
    .kernarg_segment_align: 8
    .kernarg_segment_size: 112
    .language:       OpenCL C
    .language_version:
      - 2
      - 0
    .max_flat_workgroup_size: 384
    .name:           _ZN7rocprim17ROCPRIM_400000_NS6detail17trampoline_kernelINS0_14default_configENS1_25partition_config_selectorILNS1_17partition_subalgoE6EiNS0_10empty_typeEbEEZZNS1_14partition_implILS5_6ELb0ES3_mN6thrust23THRUST_200600_302600_NS6detail15normal_iteratorINSA_10device_ptrIiEEEEPS6_SG_NS0_5tupleIJSF_S6_EEENSH_IJSG_SG_EEES6_PlJ5mod_3IiEEEE10hipError_tPvRmT3_T4_T5_T6_T7_T9_mT8_P12ihipStream_tbDpT10_ENKUlT_T0_E_clISt17integral_constantIbLb0EES16_EEDaS11_S12_EUlS11_E_NS1_11comp_targetILNS1_3genE10ELNS1_11target_archE1200ELNS1_3gpuE4ELNS1_3repE0EEENS1_30default_config_static_selectorELNS0_4arch9wavefront6targetE0EEEvT1_
    .private_segment_fixed_size: 0
    .sgpr_count:     0
    .sgpr_spill_count: 0
    .symbol:         _ZN7rocprim17ROCPRIM_400000_NS6detail17trampoline_kernelINS0_14default_configENS1_25partition_config_selectorILNS1_17partition_subalgoE6EiNS0_10empty_typeEbEEZZNS1_14partition_implILS5_6ELb0ES3_mN6thrust23THRUST_200600_302600_NS6detail15normal_iteratorINSA_10device_ptrIiEEEEPS6_SG_NS0_5tupleIJSF_S6_EEENSH_IJSG_SG_EEES6_PlJ5mod_3IiEEEE10hipError_tPvRmT3_T4_T5_T6_T7_T9_mT8_P12ihipStream_tbDpT10_ENKUlT_T0_E_clISt17integral_constantIbLb0EES16_EEDaS11_S12_EUlS11_E_NS1_11comp_targetILNS1_3genE10ELNS1_11target_archE1200ELNS1_3gpuE4ELNS1_3repE0EEENS1_30default_config_static_selectorELNS0_4arch9wavefront6targetE0EEEvT1_.kd
    .uniform_work_group_size: 1
    .uses_dynamic_stack: false
    .vgpr_count:     0
    .vgpr_spill_count: 0
    .wavefront_size: 32
    .workgroup_processor_mode: 1
  - .args:
      - .offset:         0
        .size:           112
        .value_kind:     by_value
    .group_segment_fixed_size: 7184
    .kernarg_segment_align: 8
    .kernarg_segment_size: 112
    .language:       OpenCL C
    .language_version:
      - 2
      - 0
    .max_flat_workgroup_size: 128
    .name:           _ZN7rocprim17ROCPRIM_400000_NS6detail17trampoline_kernelINS0_14default_configENS1_25partition_config_selectorILNS1_17partition_subalgoE6EiNS0_10empty_typeEbEEZZNS1_14partition_implILS5_6ELb0ES3_mN6thrust23THRUST_200600_302600_NS6detail15normal_iteratorINSA_10device_ptrIiEEEEPS6_SG_NS0_5tupleIJSF_S6_EEENSH_IJSG_SG_EEES6_PlJ5mod_3IiEEEE10hipError_tPvRmT3_T4_T5_T6_T7_T9_mT8_P12ihipStream_tbDpT10_ENKUlT_T0_E_clISt17integral_constantIbLb0EES16_EEDaS11_S12_EUlS11_E_NS1_11comp_targetILNS1_3genE9ELNS1_11target_archE1100ELNS1_3gpuE3ELNS1_3repE0EEENS1_30default_config_static_selectorELNS0_4arch9wavefront6targetE0EEEvT1_
    .private_segment_fixed_size: 0
    .sgpr_count:     20
    .sgpr_spill_count: 0
    .symbol:         _ZN7rocprim17ROCPRIM_400000_NS6detail17trampoline_kernelINS0_14default_configENS1_25partition_config_selectorILNS1_17partition_subalgoE6EiNS0_10empty_typeEbEEZZNS1_14partition_implILS5_6ELb0ES3_mN6thrust23THRUST_200600_302600_NS6detail15normal_iteratorINSA_10device_ptrIiEEEEPS6_SG_NS0_5tupleIJSF_S6_EEENSH_IJSG_SG_EEES6_PlJ5mod_3IiEEEE10hipError_tPvRmT3_T4_T5_T6_T7_T9_mT8_P12ihipStream_tbDpT10_ENKUlT_T0_E_clISt17integral_constantIbLb0EES16_EEDaS11_S12_EUlS11_E_NS1_11comp_targetILNS1_3genE9ELNS1_11target_archE1100ELNS1_3gpuE3ELNS1_3repE0EEENS1_30default_config_static_selectorELNS0_4arch9wavefront6targetE0EEEvT1_.kd
    .uniform_work_group_size: 1
    .uses_dynamic_stack: false
    .vgpr_count:     74
    .vgpr_spill_count: 0
    .wavefront_size: 32
    .workgroup_processor_mode: 1
  - .args:
      - .offset:         0
        .size:           112
        .value_kind:     by_value
    .group_segment_fixed_size: 0
    .kernarg_segment_align: 8
    .kernarg_segment_size: 112
    .language:       OpenCL C
    .language_version:
      - 2
      - 0
    .max_flat_workgroup_size: 512
    .name:           _ZN7rocprim17ROCPRIM_400000_NS6detail17trampoline_kernelINS0_14default_configENS1_25partition_config_selectorILNS1_17partition_subalgoE6EiNS0_10empty_typeEbEEZZNS1_14partition_implILS5_6ELb0ES3_mN6thrust23THRUST_200600_302600_NS6detail15normal_iteratorINSA_10device_ptrIiEEEEPS6_SG_NS0_5tupleIJSF_S6_EEENSH_IJSG_SG_EEES6_PlJ5mod_3IiEEEE10hipError_tPvRmT3_T4_T5_T6_T7_T9_mT8_P12ihipStream_tbDpT10_ENKUlT_T0_E_clISt17integral_constantIbLb0EES16_EEDaS11_S12_EUlS11_E_NS1_11comp_targetILNS1_3genE8ELNS1_11target_archE1030ELNS1_3gpuE2ELNS1_3repE0EEENS1_30default_config_static_selectorELNS0_4arch9wavefront6targetE0EEEvT1_
    .private_segment_fixed_size: 0
    .sgpr_count:     0
    .sgpr_spill_count: 0
    .symbol:         _ZN7rocprim17ROCPRIM_400000_NS6detail17trampoline_kernelINS0_14default_configENS1_25partition_config_selectorILNS1_17partition_subalgoE6EiNS0_10empty_typeEbEEZZNS1_14partition_implILS5_6ELb0ES3_mN6thrust23THRUST_200600_302600_NS6detail15normal_iteratorINSA_10device_ptrIiEEEEPS6_SG_NS0_5tupleIJSF_S6_EEENSH_IJSG_SG_EEES6_PlJ5mod_3IiEEEE10hipError_tPvRmT3_T4_T5_T6_T7_T9_mT8_P12ihipStream_tbDpT10_ENKUlT_T0_E_clISt17integral_constantIbLb0EES16_EEDaS11_S12_EUlS11_E_NS1_11comp_targetILNS1_3genE8ELNS1_11target_archE1030ELNS1_3gpuE2ELNS1_3repE0EEENS1_30default_config_static_selectorELNS0_4arch9wavefront6targetE0EEEvT1_.kd
    .uniform_work_group_size: 1
    .uses_dynamic_stack: false
    .vgpr_count:     0
    .vgpr_spill_count: 0
    .wavefront_size: 32
    .workgroup_processor_mode: 1
  - .args:
      - .offset:         0
        .size:           128
        .value_kind:     by_value
    .group_segment_fixed_size: 0
    .kernarg_segment_align: 8
    .kernarg_segment_size: 128
    .language:       OpenCL C
    .language_version:
      - 2
      - 0
    .max_flat_workgroup_size: 256
    .name:           _ZN7rocprim17ROCPRIM_400000_NS6detail17trampoline_kernelINS0_14default_configENS1_25partition_config_selectorILNS1_17partition_subalgoE6EiNS0_10empty_typeEbEEZZNS1_14partition_implILS5_6ELb0ES3_mN6thrust23THRUST_200600_302600_NS6detail15normal_iteratorINSA_10device_ptrIiEEEEPS6_SG_NS0_5tupleIJSF_S6_EEENSH_IJSG_SG_EEES6_PlJ5mod_3IiEEEE10hipError_tPvRmT3_T4_T5_T6_T7_T9_mT8_P12ihipStream_tbDpT10_ENKUlT_T0_E_clISt17integral_constantIbLb1EES16_EEDaS11_S12_EUlS11_E_NS1_11comp_targetILNS1_3genE0ELNS1_11target_archE4294967295ELNS1_3gpuE0ELNS1_3repE0EEENS1_30default_config_static_selectorELNS0_4arch9wavefront6targetE0EEEvT1_
    .private_segment_fixed_size: 0
    .sgpr_count:     0
    .sgpr_spill_count: 0
    .symbol:         _ZN7rocprim17ROCPRIM_400000_NS6detail17trampoline_kernelINS0_14default_configENS1_25partition_config_selectorILNS1_17partition_subalgoE6EiNS0_10empty_typeEbEEZZNS1_14partition_implILS5_6ELb0ES3_mN6thrust23THRUST_200600_302600_NS6detail15normal_iteratorINSA_10device_ptrIiEEEEPS6_SG_NS0_5tupleIJSF_S6_EEENSH_IJSG_SG_EEES6_PlJ5mod_3IiEEEE10hipError_tPvRmT3_T4_T5_T6_T7_T9_mT8_P12ihipStream_tbDpT10_ENKUlT_T0_E_clISt17integral_constantIbLb1EES16_EEDaS11_S12_EUlS11_E_NS1_11comp_targetILNS1_3genE0ELNS1_11target_archE4294967295ELNS1_3gpuE0ELNS1_3repE0EEENS1_30default_config_static_selectorELNS0_4arch9wavefront6targetE0EEEvT1_.kd
    .uniform_work_group_size: 1
    .uses_dynamic_stack: false
    .vgpr_count:     0
    .vgpr_spill_count: 0
    .wavefront_size: 32
    .workgroup_processor_mode: 1
  - .args:
      - .offset:         0
        .size:           128
        .value_kind:     by_value
    .group_segment_fixed_size: 0
    .kernarg_segment_align: 8
    .kernarg_segment_size: 128
    .language:       OpenCL C
    .language_version:
      - 2
      - 0
    .max_flat_workgroup_size: 512
    .name:           _ZN7rocprim17ROCPRIM_400000_NS6detail17trampoline_kernelINS0_14default_configENS1_25partition_config_selectorILNS1_17partition_subalgoE6EiNS0_10empty_typeEbEEZZNS1_14partition_implILS5_6ELb0ES3_mN6thrust23THRUST_200600_302600_NS6detail15normal_iteratorINSA_10device_ptrIiEEEEPS6_SG_NS0_5tupleIJSF_S6_EEENSH_IJSG_SG_EEES6_PlJ5mod_3IiEEEE10hipError_tPvRmT3_T4_T5_T6_T7_T9_mT8_P12ihipStream_tbDpT10_ENKUlT_T0_E_clISt17integral_constantIbLb1EES16_EEDaS11_S12_EUlS11_E_NS1_11comp_targetILNS1_3genE5ELNS1_11target_archE942ELNS1_3gpuE9ELNS1_3repE0EEENS1_30default_config_static_selectorELNS0_4arch9wavefront6targetE0EEEvT1_
    .private_segment_fixed_size: 0
    .sgpr_count:     0
    .sgpr_spill_count: 0
    .symbol:         _ZN7rocprim17ROCPRIM_400000_NS6detail17trampoline_kernelINS0_14default_configENS1_25partition_config_selectorILNS1_17partition_subalgoE6EiNS0_10empty_typeEbEEZZNS1_14partition_implILS5_6ELb0ES3_mN6thrust23THRUST_200600_302600_NS6detail15normal_iteratorINSA_10device_ptrIiEEEEPS6_SG_NS0_5tupleIJSF_S6_EEENSH_IJSG_SG_EEES6_PlJ5mod_3IiEEEE10hipError_tPvRmT3_T4_T5_T6_T7_T9_mT8_P12ihipStream_tbDpT10_ENKUlT_T0_E_clISt17integral_constantIbLb1EES16_EEDaS11_S12_EUlS11_E_NS1_11comp_targetILNS1_3genE5ELNS1_11target_archE942ELNS1_3gpuE9ELNS1_3repE0EEENS1_30default_config_static_selectorELNS0_4arch9wavefront6targetE0EEEvT1_.kd
    .uniform_work_group_size: 1
    .uses_dynamic_stack: false
    .vgpr_count:     0
    .vgpr_spill_count: 0
    .wavefront_size: 32
    .workgroup_processor_mode: 1
  - .args:
      - .offset:         0
        .size:           128
        .value_kind:     by_value
    .group_segment_fixed_size: 0
    .kernarg_segment_align: 8
    .kernarg_segment_size: 128
    .language:       OpenCL C
    .language_version:
      - 2
      - 0
    .max_flat_workgroup_size: 512
    .name:           _ZN7rocprim17ROCPRIM_400000_NS6detail17trampoline_kernelINS0_14default_configENS1_25partition_config_selectorILNS1_17partition_subalgoE6EiNS0_10empty_typeEbEEZZNS1_14partition_implILS5_6ELb0ES3_mN6thrust23THRUST_200600_302600_NS6detail15normal_iteratorINSA_10device_ptrIiEEEEPS6_SG_NS0_5tupleIJSF_S6_EEENSH_IJSG_SG_EEES6_PlJ5mod_3IiEEEE10hipError_tPvRmT3_T4_T5_T6_T7_T9_mT8_P12ihipStream_tbDpT10_ENKUlT_T0_E_clISt17integral_constantIbLb1EES16_EEDaS11_S12_EUlS11_E_NS1_11comp_targetILNS1_3genE4ELNS1_11target_archE910ELNS1_3gpuE8ELNS1_3repE0EEENS1_30default_config_static_selectorELNS0_4arch9wavefront6targetE0EEEvT1_
    .private_segment_fixed_size: 0
    .sgpr_count:     0
    .sgpr_spill_count: 0
    .symbol:         _ZN7rocprim17ROCPRIM_400000_NS6detail17trampoline_kernelINS0_14default_configENS1_25partition_config_selectorILNS1_17partition_subalgoE6EiNS0_10empty_typeEbEEZZNS1_14partition_implILS5_6ELb0ES3_mN6thrust23THRUST_200600_302600_NS6detail15normal_iteratorINSA_10device_ptrIiEEEEPS6_SG_NS0_5tupleIJSF_S6_EEENSH_IJSG_SG_EEES6_PlJ5mod_3IiEEEE10hipError_tPvRmT3_T4_T5_T6_T7_T9_mT8_P12ihipStream_tbDpT10_ENKUlT_T0_E_clISt17integral_constantIbLb1EES16_EEDaS11_S12_EUlS11_E_NS1_11comp_targetILNS1_3genE4ELNS1_11target_archE910ELNS1_3gpuE8ELNS1_3repE0EEENS1_30default_config_static_selectorELNS0_4arch9wavefront6targetE0EEEvT1_.kd
    .uniform_work_group_size: 1
    .uses_dynamic_stack: false
    .vgpr_count:     0
    .vgpr_spill_count: 0
    .wavefront_size: 32
    .workgroup_processor_mode: 1
  - .args:
      - .offset:         0
        .size:           128
        .value_kind:     by_value
    .group_segment_fixed_size: 0
    .kernarg_segment_align: 8
    .kernarg_segment_size: 128
    .language:       OpenCL C
    .language_version:
      - 2
      - 0
    .max_flat_workgroup_size: 256
    .name:           _ZN7rocprim17ROCPRIM_400000_NS6detail17trampoline_kernelINS0_14default_configENS1_25partition_config_selectorILNS1_17partition_subalgoE6EiNS0_10empty_typeEbEEZZNS1_14partition_implILS5_6ELb0ES3_mN6thrust23THRUST_200600_302600_NS6detail15normal_iteratorINSA_10device_ptrIiEEEEPS6_SG_NS0_5tupleIJSF_S6_EEENSH_IJSG_SG_EEES6_PlJ5mod_3IiEEEE10hipError_tPvRmT3_T4_T5_T6_T7_T9_mT8_P12ihipStream_tbDpT10_ENKUlT_T0_E_clISt17integral_constantIbLb1EES16_EEDaS11_S12_EUlS11_E_NS1_11comp_targetILNS1_3genE3ELNS1_11target_archE908ELNS1_3gpuE7ELNS1_3repE0EEENS1_30default_config_static_selectorELNS0_4arch9wavefront6targetE0EEEvT1_
    .private_segment_fixed_size: 0
    .sgpr_count:     0
    .sgpr_spill_count: 0
    .symbol:         _ZN7rocprim17ROCPRIM_400000_NS6detail17trampoline_kernelINS0_14default_configENS1_25partition_config_selectorILNS1_17partition_subalgoE6EiNS0_10empty_typeEbEEZZNS1_14partition_implILS5_6ELb0ES3_mN6thrust23THRUST_200600_302600_NS6detail15normal_iteratorINSA_10device_ptrIiEEEEPS6_SG_NS0_5tupleIJSF_S6_EEENSH_IJSG_SG_EEES6_PlJ5mod_3IiEEEE10hipError_tPvRmT3_T4_T5_T6_T7_T9_mT8_P12ihipStream_tbDpT10_ENKUlT_T0_E_clISt17integral_constantIbLb1EES16_EEDaS11_S12_EUlS11_E_NS1_11comp_targetILNS1_3genE3ELNS1_11target_archE908ELNS1_3gpuE7ELNS1_3repE0EEENS1_30default_config_static_selectorELNS0_4arch9wavefront6targetE0EEEvT1_.kd
    .uniform_work_group_size: 1
    .uses_dynamic_stack: false
    .vgpr_count:     0
    .vgpr_spill_count: 0
    .wavefront_size: 32
    .workgroup_processor_mode: 1
  - .args:
      - .offset:         0
        .size:           128
        .value_kind:     by_value
    .group_segment_fixed_size: 0
    .kernarg_segment_align: 8
    .kernarg_segment_size: 128
    .language:       OpenCL C
    .language_version:
      - 2
      - 0
    .max_flat_workgroup_size: 192
    .name:           _ZN7rocprim17ROCPRIM_400000_NS6detail17trampoline_kernelINS0_14default_configENS1_25partition_config_selectorILNS1_17partition_subalgoE6EiNS0_10empty_typeEbEEZZNS1_14partition_implILS5_6ELb0ES3_mN6thrust23THRUST_200600_302600_NS6detail15normal_iteratorINSA_10device_ptrIiEEEEPS6_SG_NS0_5tupleIJSF_S6_EEENSH_IJSG_SG_EEES6_PlJ5mod_3IiEEEE10hipError_tPvRmT3_T4_T5_T6_T7_T9_mT8_P12ihipStream_tbDpT10_ENKUlT_T0_E_clISt17integral_constantIbLb1EES16_EEDaS11_S12_EUlS11_E_NS1_11comp_targetILNS1_3genE2ELNS1_11target_archE906ELNS1_3gpuE6ELNS1_3repE0EEENS1_30default_config_static_selectorELNS0_4arch9wavefront6targetE0EEEvT1_
    .private_segment_fixed_size: 0
    .sgpr_count:     0
    .sgpr_spill_count: 0
    .symbol:         _ZN7rocprim17ROCPRIM_400000_NS6detail17trampoline_kernelINS0_14default_configENS1_25partition_config_selectorILNS1_17partition_subalgoE6EiNS0_10empty_typeEbEEZZNS1_14partition_implILS5_6ELb0ES3_mN6thrust23THRUST_200600_302600_NS6detail15normal_iteratorINSA_10device_ptrIiEEEEPS6_SG_NS0_5tupleIJSF_S6_EEENSH_IJSG_SG_EEES6_PlJ5mod_3IiEEEE10hipError_tPvRmT3_T4_T5_T6_T7_T9_mT8_P12ihipStream_tbDpT10_ENKUlT_T0_E_clISt17integral_constantIbLb1EES16_EEDaS11_S12_EUlS11_E_NS1_11comp_targetILNS1_3genE2ELNS1_11target_archE906ELNS1_3gpuE6ELNS1_3repE0EEENS1_30default_config_static_selectorELNS0_4arch9wavefront6targetE0EEEvT1_.kd
    .uniform_work_group_size: 1
    .uses_dynamic_stack: false
    .vgpr_count:     0
    .vgpr_spill_count: 0
    .wavefront_size: 32
    .workgroup_processor_mode: 1
  - .args:
      - .offset:         0
        .size:           128
        .value_kind:     by_value
    .group_segment_fixed_size: 0
    .kernarg_segment_align: 8
    .kernarg_segment_size: 128
    .language:       OpenCL C
    .language_version:
      - 2
      - 0
    .max_flat_workgroup_size: 384
    .name:           _ZN7rocprim17ROCPRIM_400000_NS6detail17trampoline_kernelINS0_14default_configENS1_25partition_config_selectorILNS1_17partition_subalgoE6EiNS0_10empty_typeEbEEZZNS1_14partition_implILS5_6ELb0ES3_mN6thrust23THRUST_200600_302600_NS6detail15normal_iteratorINSA_10device_ptrIiEEEEPS6_SG_NS0_5tupleIJSF_S6_EEENSH_IJSG_SG_EEES6_PlJ5mod_3IiEEEE10hipError_tPvRmT3_T4_T5_T6_T7_T9_mT8_P12ihipStream_tbDpT10_ENKUlT_T0_E_clISt17integral_constantIbLb1EES16_EEDaS11_S12_EUlS11_E_NS1_11comp_targetILNS1_3genE10ELNS1_11target_archE1200ELNS1_3gpuE4ELNS1_3repE0EEENS1_30default_config_static_selectorELNS0_4arch9wavefront6targetE0EEEvT1_
    .private_segment_fixed_size: 0
    .sgpr_count:     0
    .sgpr_spill_count: 0
    .symbol:         _ZN7rocprim17ROCPRIM_400000_NS6detail17trampoline_kernelINS0_14default_configENS1_25partition_config_selectorILNS1_17partition_subalgoE6EiNS0_10empty_typeEbEEZZNS1_14partition_implILS5_6ELb0ES3_mN6thrust23THRUST_200600_302600_NS6detail15normal_iteratorINSA_10device_ptrIiEEEEPS6_SG_NS0_5tupleIJSF_S6_EEENSH_IJSG_SG_EEES6_PlJ5mod_3IiEEEE10hipError_tPvRmT3_T4_T5_T6_T7_T9_mT8_P12ihipStream_tbDpT10_ENKUlT_T0_E_clISt17integral_constantIbLb1EES16_EEDaS11_S12_EUlS11_E_NS1_11comp_targetILNS1_3genE10ELNS1_11target_archE1200ELNS1_3gpuE4ELNS1_3repE0EEENS1_30default_config_static_selectorELNS0_4arch9wavefront6targetE0EEEvT1_.kd
    .uniform_work_group_size: 1
    .uses_dynamic_stack: false
    .vgpr_count:     0
    .vgpr_spill_count: 0
    .wavefront_size: 32
    .workgroup_processor_mode: 1
  - .args:
      - .offset:         0
        .size:           128
        .value_kind:     by_value
    .group_segment_fixed_size: 7184
    .kernarg_segment_align: 8
    .kernarg_segment_size: 128
    .language:       OpenCL C
    .language_version:
      - 2
      - 0
    .max_flat_workgroup_size: 128
    .name:           _ZN7rocprim17ROCPRIM_400000_NS6detail17trampoline_kernelINS0_14default_configENS1_25partition_config_selectorILNS1_17partition_subalgoE6EiNS0_10empty_typeEbEEZZNS1_14partition_implILS5_6ELb0ES3_mN6thrust23THRUST_200600_302600_NS6detail15normal_iteratorINSA_10device_ptrIiEEEEPS6_SG_NS0_5tupleIJSF_S6_EEENSH_IJSG_SG_EEES6_PlJ5mod_3IiEEEE10hipError_tPvRmT3_T4_T5_T6_T7_T9_mT8_P12ihipStream_tbDpT10_ENKUlT_T0_E_clISt17integral_constantIbLb1EES16_EEDaS11_S12_EUlS11_E_NS1_11comp_targetILNS1_3genE9ELNS1_11target_archE1100ELNS1_3gpuE3ELNS1_3repE0EEENS1_30default_config_static_selectorELNS0_4arch9wavefront6targetE0EEEvT1_
    .private_segment_fixed_size: 0
    .sgpr_count:     22
    .sgpr_spill_count: 0
    .symbol:         _ZN7rocprim17ROCPRIM_400000_NS6detail17trampoline_kernelINS0_14default_configENS1_25partition_config_selectorILNS1_17partition_subalgoE6EiNS0_10empty_typeEbEEZZNS1_14partition_implILS5_6ELb0ES3_mN6thrust23THRUST_200600_302600_NS6detail15normal_iteratorINSA_10device_ptrIiEEEEPS6_SG_NS0_5tupleIJSF_S6_EEENSH_IJSG_SG_EEES6_PlJ5mod_3IiEEEE10hipError_tPvRmT3_T4_T5_T6_T7_T9_mT8_P12ihipStream_tbDpT10_ENKUlT_T0_E_clISt17integral_constantIbLb1EES16_EEDaS11_S12_EUlS11_E_NS1_11comp_targetILNS1_3genE9ELNS1_11target_archE1100ELNS1_3gpuE3ELNS1_3repE0EEENS1_30default_config_static_selectorELNS0_4arch9wavefront6targetE0EEEvT1_.kd
    .uniform_work_group_size: 1
    .uses_dynamic_stack: false
    .vgpr_count:     76
    .vgpr_spill_count: 0
    .wavefront_size: 32
    .workgroup_processor_mode: 1
  - .args:
      - .offset:         0
        .size:           128
        .value_kind:     by_value
    .group_segment_fixed_size: 0
    .kernarg_segment_align: 8
    .kernarg_segment_size: 128
    .language:       OpenCL C
    .language_version:
      - 2
      - 0
    .max_flat_workgroup_size: 512
    .name:           _ZN7rocprim17ROCPRIM_400000_NS6detail17trampoline_kernelINS0_14default_configENS1_25partition_config_selectorILNS1_17partition_subalgoE6EiNS0_10empty_typeEbEEZZNS1_14partition_implILS5_6ELb0ES3_mN6thrust23THRUST_200600_302600_NS6detail15normal_iteratorINSA_10device_ptrIiEEEEPS6_SG_NS0_5tupleIJSF_S6_EEENSH_IJSG_SG_EEES6_PlJ5mod_3IiEEEE10hipError_tPvRmT3_T4_T5_T6_T7_T9_mT8_P12ihipStream_tbDpT10_ENKUlT_T0_E_clISt17integral_constantIbLb1EES16_EEDaS11_S12_EUlS11_E_NS1_11comp_targetILNS1_3genE8ELNS1_11target_archE1030ELNS1_3gpuE2ELNS1_3repE0EEENS1_30default_config_static_selectorELNS0_4arch9wavefront6targetE0EEEvT1_
    .private_segment_fixed_size: 0
    .sgpr_count:     0
    .sgpr_spill_count: 0
    .symbol:         _ZN7rocprim17ROCPRIM_400000_NS6detail17trampoline_kernelINS0_14default_configENS1_25partition_config_selectorILNS1_17partition_subalgoE6EiNS0_10empty_typeEbEEZZNS1_14partition_implILS5_6ELb0ES3_mN6thrust23THRUST_200600_302600_NS6detail15normal_iteratorINSA_10device_ptrIiEEEEPS6_SG_NS0_5tupleIJSF_S6_EEENSH_IJSG_SG_EEES6_PlJ5mod_3IiEEEE10hipError_tPvRmT3_T4_T5_T6_T7_T9_mT8_P12ihipStream_tbDpT10_ENKUlT_T0_E_clISt17integral_constantIbLb1EES16_EEDaS11_S12_EUlS11_E_NS1_11comp_targetILNS1_3genE8ELNS1_11target_archE1030ELNS1_3gpuE2ELNS1_3repE0EEENS1_30default_config_static_selectorELNS0_4arch9wavefront6targetE0EEEvT1_.kd
    .uniform_work_group_size: 1
    .uses_dynamic_stack: false
    .vgpr_count:     0
    .vgpr_spill_count: 0
    .wavefront_size: 32
    .workgroup_processor_mode: 1
  - .args:
      - .offset:         0
        .size:           112
        .value_kind:     by_value
    .group_segment_fixed_size: 0
    .kernarg_segment_align: 8
    .kernarg_segment_size: 112
    .language:       OpenCL C
    .language_version:
      - 2
      - 0
    .max_flat_workgroup_size: 256
    .name:           _ZN7rocprim17ROCPRIM_400000_NS6detail17trampoline_kernelINS0_14default_configENS1_25partition_config_selectorILNS1_17partition_subalgoE6EiNS0_10empty_typeEbEEZZNS1_14partition_implILS5_6ELb0ES3_mN6thrust23THRUST_200600_302600_NS6detail15normal_iteratorINSA_10device_ptrIiEEEEPS6_SG_NS0_5tupleIJSF_S6_EEENSH_IJSG_SG_EEES6_PlJ5mod_3IiEEEE10hipError_tPvRmT3_T4_T5_T6_T7_T9_mT8_P12ihipStream_tbDpT10_ENKUlT_T0_E_clISt17integral_constantIbLb1EES15_IbLb0EEEEDaS11_S12_EUlS11_E_NS1_11comp_targetILNS1_3genE0ELNS1_11target_archE4294967295ELNS1_3gpuE0ELNS1_3repE0EEENS1_30default_config_static_selectorELNS0_4arch9wavefront6targetE0EEEvT1_
    .private_segment_fixed_size: 0
    .sgpr_count:     0
    .sgpr_spill_count: 0
    .symbol:         _ZN7rocprim17ROCPRIM_400000_NS6detail17trampoline_kernelINS0_14default_configENS1_25partition_config_selectorILNS1_17partition_subalgoE6EiNS0_10empty_typeEbEEZZNS1_14partition_implILS5_6ELb0ES3_mN6thrust23THRUST_200600_302600_NS6detail15normal_iteratorINSA_10device_ptrIiEEEEPS6_SG_NS0_5tupleIJSF_S6_EEENSH_IJSG_SG_EEES6_PlJ5mod_3IiEEEE10hipError_tPvRmT3_T4_T5_T6_T7_T9_mT8_P12ihipStream_tbDpT10_ENKUlT_T0_E_clISt17integral_constantIbLb1EES15_IbLb0EEEEDaS11_S12_EUlS11_E_NS1_11comp_targetILNS1_3genE0ELNS1_11target_archE4294967295ELNS1_3gpuE0ELNS1_3repE0EEENS1_30default_config_static_selectorELNS0_4arch9wavefront6targetE0EEEvT1_.kd
    .uniform_work_group_size: 1
    .uses_dynamic_stack: false
    .vgpr_count:     0
    .vgpr_spill_count: 0
    .wavefront_size: 32
    .workgroup_processor_mode: 1
  - .args:
      - .offset:         0
        .size:           112
        .value_kind:     by_value
    .group_segment_fixed_size: 0
    .kernarg_segment_align: 8
    .kernarg_segment_size: 112
    .language:       OpenCL C
    .language_version:
      - 2
      - 0
    .max_flat_workgroup_size: 512
    .name:           _ZN7rocprim17ROCPRIM_400000_NS6detail17trampoline_kernelINS0_14default_configENS1_25partition_config_selectorILNS1_17partition_subalgoE6EiNS0_10empty_typeEbEEZZNS1_14partition_implILS5_6ELb0ES3_mN6thrust23THRUST_200600_302600_NS6detail15normal_iteratorINSA_10device_ptrIiEEEEPS6_SG_NS0_5tupleIJSF_S6_EEENSH_IJSG_SG_EEES6_PlJ5mod_3IiEEEE10hipError_tPvRmT3_T4_T5_T6_T7_T9_mT8_P12ihipStream_tbDpT10_ENKUlT_T0_E_clISt17integral_constantIbLb1EES15_IbLb0EEEEDaS11_S12_EUlS11_E_NS1_11comp_targetILNS1_3genE5ELNS1_11target_archE942ELNS1_3gpuE9ELNS1_3repE0EEENS1_30default_config_static_selectorELNS0_4arch9wavefront6targetE0EEEvT1_
    .private_segment_fixed_size: 0
    .sgpr_count:     0
    .sgpr_spill_count: 0
    .symbol:         _ZN7rocprim17ROCPRIM_400000_NS6detail17trampoline_kernelINS0_14default_configENS1_25partition_config_selectorILNS1_17partition_subalgoE6EiNS0_10empty_typeEbEEZZNS1_14partition_implILS5_6ELb0ES3_mN6thrust23THRUST_200600_302600_NS6detail15normal_iteratorINSA_10device_ptrIiEEEEPS6_SG_NS0_5tupleIJSF_S6_EEENSH_IJSG_SG_EEES6_PlJ5mod_3IiEEEE10hipError_tPvRmT3_T4_T5_T6_T7_T9_mT8_P12ihipStream_tbDpT10_ENKUlT_T0_E_clISt17integral_constantIbLb1EES15_IbLb0EEEEDaS11_S12_EUlS11_E_NS1_11comp_targetILNS1_3genE5ELNS1_11target_archE942ELNS1_3gpuE9ELNS1_3repE0EEENS1_30default_config_static_selectorELNS0_4arch9wavefront6targetE0EEEvT1_.kd
    .uniform_work_group_size: 1
    .uses_dynamic_stack: false
    .vgpr_count:     0
    .vgpr_spill_count: 0
    .wavefront_size: 32
    .workgroup_processor_mode: 1
  - .args:
      - .offset:         0
        .size:           112
        .value_kind:     by_value
    .group_segment_fixed_size: 0
    .kernarg_segment_align: 8
    .kernarg_segment_size: 112
    .language:       OpenCL C
    .language_version:
      - 2
      - 0
    .max_flat_workgroup_size: 512
    .name:           _ZN7rocprim17ROCPRIM_400000_NS6detail17trampoline_kernelINS0_14default_configENS1_25partition_config_selectorILNS1_17partition_subalgoE6EiNS0_10empty_typeEbEEZZNS1_14partition_implILS5_6ELb0ES3_mN6thrust23THRUST_200600_302600_NS6detail15normal_iteratorINSA_10device_ptrIiEEEEPS6_SG_NS0_5tupleIJSF_S6_EEENSH_IJSG_SG_EEES6_PlJ5mod_3IiEEEE10hipError_tPvRmT3_T4_T5_T6_T7_T9_mT8_P12ihipStream_tbDpT10_ENKUlT_T0_E_clISt17integral_constantIbLb1EES15_IbLb0EEEEDaS11_S12_EUlS11_E_NS1_11comp_targetILNS1_3genE4ELNS1_11target_archE910ELNS1_3gpuE8ELNS1_3repE0EEENS1_30default_config_static_selectorELNS0_4arch9wavefront6targetE0EEEvT1_
    .private_segment_fixed_size: 0
    .sgpr_count:     0
    .sgpr_spill_count: 0
    .symbol:         _ZN7rocprim17ROCPRIM_400000_NS6detail17trampoline_kernelINS0_14default_configENS1_25partition_config_selectorILNS1_17partition_subalgoE6EiNS0_10empty_typeEbEEZZNS1_14partition_implILS5_6ELb0ES3_mN6thrust23THRUST_200600_302600_NS6detail15normal_iteratorINSA_10device_ptrIiEEEEPS6_SG_NS0_5tupleIJSF_S6_EEENSH_IJSG_SG_EEES6_PlJ5mod_3IiEEEE10hipError_tPvRmT3_T4_T5_T6_T7_T9_mT8_P12ihipStream_tbDpT10_ENKUlT_T0_E_clISt17integral_constantIbLb1EES15_IbLb0EEEEDaS11_S12_EUlS11_E_NS1_11comp_targetILNS1_3genE4ELNS1_11target_archE910ELNS1_3gpuE8ELNS1_3repE0EEENS1_30default_config_static_selectorELNS0_4arch9wavefront6targetE0EEEvT1_.kd
    .uniform_work_group_size: 1
    .uses_dynamic_stack: false
    .vgpr_count:     0
    .vgpr_spill_count: 0
    .wavefront_size: 32
    .workgroup_processor_mode: 1
  - .args:
      - .offset:         0
        .size:           112
        .value_kind:     by_value
    .group_segment_fixed_size: 0
    .kernarg_segment_align: 8
    .kernarg_segment_size: 112
    .language:       OpenCL C
    .language_version:
      - 2
      - 0
    .max_flat_workgroup_size: 256
    .name:           _ZN7rocprim17ROCPRIM_400000_NS6detail17trampoline_kernelINS0_14default_configENS1_25partition_config_selectorILNS1_17partition_subalgoE6EiNS0_10empty_typeEbEEZZNS1_14partition_implILS5_6ELb0ES3_mN6thrust23THRUST_200600_302600_NS6detail15normal_iteratorINSA_10device_ptrIiEEEEPS6_SG_NS0_5tupleIJSF_S6_EEENSH_IJSG_SG_EEES6_PlJ5mod_3IiEEEE10hipError_tPvRmT3_T4_T5_T6_T7_T9_mT8_P12ihipStream_tbDpT10_ENKUlT_T0_E_clISt17integral_constantIbLb1EES15_IbLb0EEEEDaS11_S12_EUlS11_E_NS1_11comp_targetILNS1_3genE3ELNS1_11target_archE908ELNS1_3gpuE7ELNS1_3repE0EEENS1_30default_config_static_selectorELNS0_4arch9wavefront6targetE0EEEvT1_
    .private_segment_fixed_size: 0
    .sgpr_count:     0
    .sgpr_spill_count: 0
    .symbol:         _ZN7rocprim17ROCPRIM_400000_NS6detail17trampoline_kernelINS0_14default_configENS1_25partition_config_selectorILNS1_17partition_subalgoE6EiNS0_10empty_typeEbEEZZNS1_14partition_implILS5_6ELb0ES3_mN6thrust23THRUST_200600_302600_NS6detail15normal_iteratorINSA_10device_ptrIiEEEEPS6_SG_NS0_5tupleIJSF_S6_EEENSH_IJSG_SG_EEES6_PlJ5mod_3IiEEEE10hipError_tPvRmT3_T4_T5_T6_T7_T9_mT8_P12ihipStream_tbDpT10_ENKUlT_T0_E_clISt17integral_constantIbLb1EES15_IbLb0EEEEDaS11_S12_EUlS11_E_NS1_11comp_targetILNS1_3genE3ELNS1_11target_archE908ELNS1_3gpuE7ELNS1_3repE0EEENS1_30default_config_static_selectorELNS0_4arch9wavefront6targetE0EEEvT1_.kd
    .uniform_work_group_size: 1
    .uses_dynamic_stack: false
    .vgpr_count:     0
    .vgpr_spill_count: 0
    .wavefront_size: 32
    .workgroup_processor_mode: 1
  - .args:
      - .offset:         0
        .size:           112
        .value_kind:     by_value
    .group_segment_fixed_size: 0
    .kernarg_segment_align: 8
    .kernarg_segment_size: 112
    .language:       OpenCL C
    .language_version:
      - 2
      - 0
    .max_flat_workgroup_size: 192
    .name:           _ZN7rocprim17ROCPRIM_400000_NS6detail17trampoline_kernelINS0_14default_configENS1_25partition_config_selectorILNS1_17partition_subalgoE6EiNS0_10empty_typeEbEEZZNS1_14partition_implILS5_6ELb0ES3_mN6thrust23THRUST_200600_302600_NS6detail15normal_iteratorINSA_10device_ptrIiEEEEPS6_SG_NS0_5tupleIJSF_S6_EEENSH_IJSG_SG_EEES6_PlJ5mod_3IiEEEE10hipError_tPvRmT3_T4_T5_T6_T7_T9_mT8_P12ihipStream_tbDpT10_ENKUlT_T0_E_clISt17integral_constantIbLb1EES15_IbLb0EEEEDaS11_S12_EUlS11_E_NS1_11comp_targetILNS1_3genE2ELNS1_11target_archE906ELNS1_3gpuE6ELNS1_3repE0EEENS1_30default_config_static_selectorELNS0_4arch9wavefront6targetE0EEEvT1_
    .private_segment_fixed_size: 0
    .sgpr_count:     0
    .sgpr_spill_count: 0
    .symbol:         _ZN7rocprim17ROCPRIM_400000_NS6detail17trampoline_kernelINS0_14default_configENS1_25partition_config_selectorILNS1_17partition_subalgoE6EiNS0_10empty_typeEbEEZZNS1_14partition_implILS5_6ELb0ES3_mN6thrust23THRUST_200600_302600_NS6detail15normal_iteratorINSA_10device_ptrIiEEEEPS6_SG_NS0_5tupleIJSF_S6_EEENSH_IJSG_SG_EEES6_PlJ5mod_3IiEEEE10hipError_tPvRmT3_T4_T5_T6_T7_T9_mT8_P12ihipStream_tbDpT10_ENKUlT_T0_E_clISt17integral_constantIbLb1EES15_IbLb0EEEEDaS11_S12_EUlS11_E_NS1_11comp_targetILNS1_3genE2ELNS1_11target_archE906ELNS1_3gpuE6ELNS1_3repE0EEENS1_30default_config_static_selectorELNS0_4arch9wavefront6targetE0EEEvT1_.kd
    .uniform_work_group_size: 1
    .uses_dynamic_stack: false
    .vgpr_count:     0
    .vgpr_spill_count: 0
    .wavefront_size: 32
    .workgroup_processor_mode: 1
  - .args:
      - .offset:         0
        .size:           112
        .value_kind:     by_value
    .group_segment_fixed_size: 0
    .kernarg_segment_align: 8
    .kernarg_segment_size: 112
    .language:       OpenCL C
    .language_version:
      - 2
      - 0
    .max_flat_workgroup_size: 384
    .name:           _ZN7rocprim17ROCPRIM_400000_NS6detail17trampoline_kernelINS0_14default_configENS1_25partition_config_selectorILNS1_17partition_subalgoE6EiNS0_10empty_typeEbEEZZNS1_14partition_implILS5_6ELb0ES3_mN6thrust23THRUST_200600_302600_NS6detail15normal_iteratorINSA_10device_ptrIiEEEEPS6_SG_NS0_5tupleIJSF_S6_EEENSH_IJSG_SG_EEES6_PlJ5mod_3IiEEEE10hipError_tPvRmT3_T4_T5_T6_T7_T9_mT8_P12ihipStream_tbDpT10_ENKUlT_T0_E_clISt17integral_constantIbLb1EES15_IbLb0EEEEDaS11_S12_EUlS11_E_NS1_11comp_targetILNS1_3genE10ELNS1_11target_archE1200ELNS1_3gpuE4ELNS1_3repE0EEENS1_30default_config_static_selectorELNS0_4arch9wavefront6targetE0EEEvT1_
    .private_segment_fixed_size: 0
    .sgpr_count:     0
    .sgpr_spill_count: 0
    .symbol:         _ZN7rocprim17ROCPRIM_400000_NS6detail17trampoline_kernelINS0_14default_configENS1_25partition_config_selectorILNS1_17partition_subalgoE6EiNS0_10empty_typeEbEEZZNS1_14partition_implILS5_6ELb0ES3_mN6thrust23THRUST_200600_302600_NS6detail15normal_iteratorINSA_10device_ptrIiEEEEPS6_SG_NS0_5tupleIJSF_S6_EEENSH_IJSG_SG_EEES6_PlJ5mod_3IiEEEE10hipError_tPvRmT3_T4_T5_T6_T7_T9_mT8_P12ihipStream_tbDpT10_ENKUlT_T0_E_clISt17integral_constantIbLb1EES15_IbLb0EEEEDaS11_S12_EUlS11_E_NS1_11comp_targetILNS1_3genE10ELNS1_11target_archE1200ELNS1_3gpuE4ELNS1_3repE0EEENS1_30default_config_static_selectorELNS0_4arch9wavefront6targetE0EEEvT1_.kd
    .uniform_work_group_size: 1
    .uses_dynamic_stack: false
    .vgpr_count:     0
    .vgpr_spill_count: 0
    .wavefront_size: 32
    .workgroup_processor_mode: 1
  - .args:
      - .offset:         0
        .size:           112
        .value_kind:     by_value
    .group_segment_fixed_size: 7184
    .kernarg_segment_align: 8
    .kernarg_segment_size: 112
    .language:       OpenCL C
    .language_version:
      - 2
      - 0
    .max_flat_workgroup_size: 128
    .name:           _ZN7rocprim17ROCPRIM_400000_NS6detail17trampoline_kernelINS0_14default_configENS1_25partition_config_selectorILNS1_17partition_subalgoE6EiNS0_10empty_typeEbEEZZNS1_14partition_implILS5_6ELb0ES3_mN6thrust23THRUST_200600_302600_NS6detail15normal_iteratorINSA_10device_ptrIiEEEEPS6_SG_NS0_5tupleIJSF_S6_EEENSH_IJSG_SG_EEES6_PlJ5mod_3IiEEEE10hipError_tPvRmT3_T4_T5_T6_T7_T9_mT8_P12ihipStream_tbDpT10_ENKUlT_T0_E_clISt17integral_constantIbLb1EES15_IbLb0EEEEDaS11_S12_EUlS11_E_NS1_11comp_targetILNS1_3genE9ELNS1_11target_archE1100ELNS1_3gpuE3ELNS1_3repE0EEENS1_30default_config_static_selectorELNS0_4arch9wavefront6targetE0EEEvT1_
    .private_segment_fixed_size: 0
    .sgpr_count:     20
    .sgpr_spill_count: 0
    .symbol:         _ZN7rocprim17ROCPRIM_400000_NS6detail17trampoline_kernelINS0_14default_configENS1_25partition_config_selectorILNS1_17partition_subalgoE6EiNS0_10empty_typeEbEEZZNS1_14partition_implILS5_6ELb0ES3_mN6thrust23THRUST_200600_302600_NS6detail15normal_iteratorINSA_10device_ptrIiEEEEPS6_SG_NS0_5tupleIJSF_S6_EEENSH_IJSG_SG_EEES6_PlJ5mod_3IiEEEE10hipError_tPvRmT3_T4_T5_T6_T7_T9_mT8_P12ihipStream_tbDpT10_ENKUlT_T0_E_clISt17integral_constantIbLb1EES15_IbLb0EEEEDaS11_S12_EUlS11_E_NS1_11comp_targetILNS1_3genE9ELNS1_11target_archE1100ELNS1_3gpuE3ELNS1_3repE0EEENS1_30default_config_static_selectorELNS0_4arch9wavefront6targetE0EEEvT1_.kd
    .uniform_work_group_size: 1
    .uses_dynamic_stack: false
    .vgpr_count:     74
    .vgpr_spill_count: 0
    .wavefront_size: 32
    .workgroup_processor_mode: 1
  - .args:
      - .offset:         0
        .size:           112
        .value_kind:     by_value
    .group_segment_fixed_size: 0
    .kernarg_segment_align: 8
    .kernarg_segment_size: 112
    .language:       OpenCL C
    .language_version:
      - 2
      - 0
    .max_flat_workgroup_size: 512
    .name:           _ZN7rocprim17ROCPRIM_400000_NS6detail17trampoline_kernelINS0_14default_configENS1_25partition_config_selectorILNS1_17partition_subalgoE6EiNS0_10empty_typeEbEEZZNS1_14partition_implILS5_6ELb0ES3_mN6thrust23THRUST_200600_302600_NS6detail15normal_iteratorINSA_10device_ptrIiEEEEPS6_SG_NS0_5tupleIJSF_S6_EEENSH_IJSG_SG_EEES6_PlJ5mod_3IiEEEE10hipError_tPvRmT3_T4_T5_T6_T7_T9_mT8_P12ihipStream_tbDpT10_ENKUlT_T0_E_clISt17integral_constantIbLb1EES15_IbLb0EEEEDaS11_S12_EUlS11_E_NS1_11comp_targetILNS1_3genE8ELNS1_11target_archE1030ELNS1_3gpuE2ELNS1_3repE0EEENS1_30default_config_static_selectorELNS0_4arch9wavefront6targetE0EEEvT1_
    .private_segment_fixed_size: 0
    .sgpr_count:     0
    .sgpr_spill_count: 0
    .symbol:         _ZN7rocprim17ROCPRIM_400000_NS6detail17trampoline_kernelINS0_14default_configENS1_25partition_config_selectorILNS1_17partition_subalgoE6EiNS0_10empty_typeEbEEZZNS1_14partition_implILS5_6ELb0ES3_mN6thrust23THRUST_200600_302600_NS6detail15normal_iteratorINSA_10device_ptrIiEEEEPS6_SG_NS0_5tupleIJSF_S6_EEENSH_IJSG_SG_EEES6_PlJ5mod_3IiEEEE10hipError_tPvRmT3_T4_T5_T6_T7_T9_mT8_P12ihipStream_tbDpT10_ENKUlT_T0_E_clISt17integral_constantIbLb1EES15_IbLb0EEEEDaS11_S12_EUlS11_E_NS1_11comp_targetILNS1_3genE8ELNS1_11target_archE1030ELNS1_3gpuE2ELNS1_3repE0EEENS1_30default_config_static_selectorELNS0_4arch9wavefront6targetE0EEEvT1_.kd
    .uniform_work_group_size: 1
    .uses_dynamic_stack: false
    .vgpr_count:     0
    .vgpr_spill_count: 0
    .wavefront_size: 32
    .workgroup_processor_mode: 1
  - .args:
      - .offset:         0
        .size:           128
        .value_kind:     by_value
    .group_segment_fixed_size: 0
    .kernarg_segment_align: 8
    .kernarg_segment_size: 128
    .language:       OpenCL C
    .language_version:
      - 2
      - 0
    .max_flat_workgroup_size: 256
    .name:           _ZN7rocprim17ROCPRIM_400000_NS6detail17trampoline_kernelINS0_14default_configENS1_25partition_config_selectorILNS1_17partition_subalgoE6EiNS0_10empty_typeEbEEZZNS1_14partition_implILS5_6ELb0ES3_mN6thrust23THRUST_200600_302600_NS6detail15normal_iteratorINSA_10device_ptrIiEEEEPS6_SG_NS0_5tupleIJSF_S6_EEENSH_IJSG_SG_EEES6_PlJ5mod_3IiEEEE10hipError_tPvRmT3_T4_T5_T6_T7_T9_mT8_P12ihipStream_tbDpT10_ENKUlT_T0_E_clISt17integral_constantIbLb0EES15_IbLb1EEEEDaS11_S12_EUlS11_E_NS1_11comp_targetILNS1_3genE0ELNS1_11target_archE4294967295ELNS1_3gpuE0ELNS1_3repE0EEENS1_30default_config_static_selectorELNS0_4arch9wavefront6targetE0EEEvT1_
    .private_segment_fixed_size: 0
    .sgpr_count:     0
    .sgpr_spill_count: 0
    .symbol:         _ZN7rocprim17ROCPRIM_400000_NS6detail17trampoline_kernelINS0_14default_configENS1_25partition_config_selectorILNS1_17partition_subalgoE6EiNS0_10empty_typeEbEEZZNS1_14partition_implILS5_6ELb0ES3_mN6thrust23THRUST_200600_302600_NS6detail15normal_iteratorINSA_10device_ptrIiEEEEPS6_SG_NS0_5tupleIJSF_S6_EEENSH_IJSG_SG_EEES6_PlJ5mod_3IiEEEE10hipError_tPvRmT3_T4_T5_T6_T7_T9_mT8_P12ihipStream_tbDpT10_ENKUlT_T0_E_clISt17integral_constantIbLb0EES15_IbLb1EEEEDaS11_S12_EUlS11_E_NS1_11comp_targetILNS1_3genE0ELNS1_11target_archE4294967295ELNS1_3gpuE0ELNS1_3repE0EEENS1_30default_config_static_selectorELNS0_4arch9wavefront6targetE0EEEvT1_.kd
    .uniform_work_group_size: 1
    .uses_dynamic_stack: false
    .vgpr_count:     0
    .vgpr_spill_count: 0
    .wavefront_size: 32
    .workgroup_processor_mode: 1
  - .args:
      - .offset:         0
        .size:           128
        .value_kind:     by_value
    .group_segment_fixed_size: 0
    .kernarg_segment_align: 8
    .kernarg_segment_size: 128
    .language:       OpenCL C
    .language_version:
      - 2
      - 0
    .max_flat_workgroup_size: 512
    .name:           _ZN7rocprim17ROCPRIM_400000_NS6detail17trampoline_kernelINS0_14default_configENS1_25partition_config_selectorILNS1_17partition_subalgoE6EiNS0_10empty_typeEbEEZZNS1_14partition_implILS5_6ELb0ES3_mN6thrust23THRUST_200600_302600_NS6detail15normal_iteratorINSA_10device_ptrIiEEEEPS6_SG_NS0_5tupleIJSF_S6_EEENSH_IJSG_SG_EEES6_PlJ5mod_3IiEEEE10hipError_tPvRmT3_T4_T5_T6_T7_T9_mT8_P12ihipStream_tbDpT10_ENKUlT_T0_E_clISt17integral_constantIbLb0EES15_IbLb1EEEEDaS11_S12_EUlS11_E_NS1_11comp_targetILNS1_3genE5ELNS1_11target_archE942ELNS1_3gpuE9ELNS1_3repE0EEENS1_30default_config_static_selectorELNS0_4arch9wavefront6targetE0EEEvT1_
    .private_segment_fixed_size: 0
    .sgpr_count:     0
    .sgpr_spill_count: 0
    .symbol:         _ZN7rocprim17ROCPRIM_400000_NS6detail17trampoline_kernelINS0_14default_configENS1_25partition_config_selectorILNS1_17partition_subalgoE6EiNS0_10empty_typeEbEEZZNS1_14partition_implILS5_6ELb0ES3_mN6thrust23THRUST_200600_302600_NS6detail15normal_iteratorINSA_10device_ptrIiEEEEPS6_SG_NS0_5tupleIJSF_S6_EEENSH_IJSG_SG_EEES6_PlJ5mod_3IiEEEE10hipError_tPvRmT3_T4_T5_T6_T7_T9_mT8_P12ihipStream_tbDpT10_ENKUlT_T0_E_clISt17integral_constantIbLb0EES15_IbLb1EEEEDaS11_S12_EUlS11_E_NS1_11comp_targetILNS1_3genE5ELNS1_11target_archE942ELNS1_3gpuE9ELNS1_3repE0EEENS1_30default_config_static_selectorELNS0_4arch9wavefront6targetE0EEEvT1_.kd
    .uniform_work_group_size: 1
    .uses_dynamic_stack: false
    .vgpr_count:     0
    .vgpr_spill_count: 0
    .wavefront_size: 32
    .workgroup_processor_mode: 1
  - .args:
      - .offset:         0
        .size:           128
        .value_kind:     by_value
    .group_segment_fixed_size: 0
    .kernarg_segment_align: 8
    .kernarg_segment_size: 128
    .language:       OpenCL C
    .language_version:
      - 2
      - 0
    .max_flat_workgroup_size: 512
    .name:           _ZN7rocprim17ROCPRIM_400000_NS6detail17trampoline_kernelINS0_14default_configENS1_25partition_config_selectorILNS1_17partition_subalgoE6EiNS0_10empty_typeEbEEZZNS1_14partition_implILS5_6ELb0ES3_mN6thrust23THRUST_200600_302600_NS6detail15normal_iteratorINSA_10device_ptrIiEEEEPS6_SG_NS0_5tupleIJSF_S6_EEENSH_IJSG_SG_EEES6_PlJ5mod_3IiEEEE10hipError_tPvRmT3_T4_T5_T6_T7_T9_mT8_P12ihipStream_tbDpT10_ENKUlT_T0_E_clISt17integral_constantIbLb0EES15_IbLb1EEEEDaS11_S12_EUlS11_E_NS1_11comp_targetILNS1_3genE4ELNS1_11target_archE910ELNS1_3gpuE8ELNS1_3repE0EEENS1_30default_config_static_selectorELNS0_4arch9wavefront6targetE0EEEvT1_
    .private_segment_fixed_size: 0
    .sgpr_count:     0
    .sgpr_spill_count: 0
    .symbol:         _ZN7rocprim17ROCPRIM_400000_NS6detail17trampoline_kernelINS0_14default_configENS1_25partition_config_selectorILNS1_17partition_subalgoE6EiNS0_10empty_typeEbEEZZNS1_14partition_implILS5_6ELb0ES3_mN6thrust23THRUST_200600_302600_NS6detail15normal_iteratorINSA_10device_ptrIiEEEEPS6_SG_NS0_5tupleIJSF_S6_EEENSH_IJSG_SG_EEES6_PlJ5mod_3IiEEEE10hipError_tPvRmT3_T4_T5_T6_T7_T9_mT8_P12ihipStream_tbDpT10_ENKUlT_T0_E_clISt17integral_constantIbLb0EES15_IbLb1EEEEDaS11_S12_EUlS11_E_NS1_11comp_targetILNS1_3genE4ELNS1_11target_archE910ELNS1_3gpuE8ELNS1_3repE0EEENS1_30default_config_static_selectorELNS0_4arch9wavefront6targetE0EEEvT1_.kd
    .uniform_work_group_size: 1
    .uses_dynamic_stack: false
    .vgpr_count:     0
    .vgpr_spill_count: 0
    .wavefront_size: 32
    .workgroup_processor_mode: 1
  - .args:
      - .offset:         0
        .size:           128
        .value_kind:     by_value
    .group_segment_fixed_size: 0
    .kernarg_segment_align: 8
    .kernarg_segment_size: 128
    .language:       OpenCL C
    .language_version:
      - 2
      - 0
    .max_flat_workgroup_size: 256
    .name:           _ZN7rocprim17ROCPRIM_400000_NS6detail17trampoline_kernelINS0_14default_configENS1_25partition_config_selectorILNS1_17partition_subalgoE6EiNS0_10empty_typeEbEEZZNS1_14partition_implILS5_6ELb0ES3_mN6thrust23THRUST_200600_302600_NS6detail15normal_iteratorINSA_10device_ptrIiEEEEPS6_SG_NS0_5tupleIJSF_S6_EEENSH_IJSG_SG_EEES6_PlJ5mod_3IiEEEE10hipError_tPvRmT3_T4_T5_T6_T7_T9_mT8_P12ihipStream_tbDpT10_ENKUlT_T0_E_clISt17integral_constantIbLb0EES15_IbLb1EEEEDaS11_S12_EUlS11_E_NS1_11comp_targetILNS1_3genE3ELNS1_11target_archE908ELNS1_3gpuE7ELNS1_3repE0EEENS1_30default_config_static_selectorELNS0_4arch9wavefront6targetE0EEEvT1_
    .private_segment_fixed_size: 0
    .sgpr_count:     0
    .sgpr_spill_count: 0
    .symbol:         _ZN7rocprim17ROCPRIM_400000_NS6detail17trampoline_kernelINS0_14default_configENS1_25partition_config_selectorILNS1_17partition_subalgoE6EiNS0_10empty_typeEbEEZZNS1_14partition_implILS5_6ELb0ES3_mN6thrust23THRUST_200600_302600_NS6detail15normal_iteratorINSA_10device_ptrIiEEEEPS6_SG_NS0_5tupleIJSF_S6_EEENSH_IJSG_SG_EEES6_PlJ5mod_3IiEEEE10hipError_tPvRmT3_T4_T5_T6_T7_T9_mT8_P12ihipStream_tbDpT10_ENKUlT_T0_E_clISt17integral_constantIbLb0EES15_IbLb1EEEEDaS11_S12_EUlS11_E_NS1_11comp_targetILNS1_3genE3ELNS1_11target_archE908ELNS1_3gpuE7ELNS1_3repE0EEENS1_30default_config_static_selectorELNS0_4arch9wavefront6targetE0EEEvT1_.kd
    .uniform_work_group_size: 1
    .uses_dynamic_stack: false
    .vgpr_count:     0
    .vgpr_spill_count: 0
    .wavefront_size: 32
    .workgroup_processor_mode: 1
  - .args:
      - .offset:         0
        .size:           128
        .value_kind:     by_value
    .group_segment_fixed_size: 0
    .kernarg_segment_align: 8
    .kernarg_segment_size: 128
    .language:       OpenCL C
    .language_version:
      - 2
      - 0
    .max_flat_workgroup_size: 192
    .name:           _ZN7rocprim17ROCPRIM_400000_NS6detail17trampoline_kernelINS0_14default_configENS1_25partition_config_selectorILNS1_17partition_subalgoE6EiNS0_10empty_typeEbEEZZNS1_14partition_implILS5_6ELb0ES3_mN6thrust23THRUST_200600_302600_NS6detail15normal_iteratorINSA_10device_ptrIiEEEEPS6_SG_NS0_5tupleIJSF_S6_EEENSH_IJSG_SG_EEES6_PlJ5mod_3IiEEEE10hipError_tPvRmT3_T4_T5_T6_T7_T9_mT8_P12ihipStream_tbDpT10_ENKUlT_T0_E_clISt17integral_constantIbLb0EES15_IbLb1EEEEDaS11_S12_EUlS11_E_NS1_11comp_targetILNS1_3genE2ELNS1_11target_archE906ELNS1_3gpuE6ELNS1_3repE0EEENS1_30default_config_static_selectorELNS0_4arch9wavefront6targetE0EEEvT1_
    .private_segment_fixed_size: 0
    .sgpr_count:     0
    .sgpr_spill_count: 0
    .symbol:         _ZN7rocprim17ROCPRIM_400000_NS6detail17trampoline_kernelINS0_14default_configENS1_25partition_config_selectorILNS1_17partition_subalgoE6EiNS0_10empty_typeEbEEZZNS1_14partition_implILS5_6ELb0ES3_mN6thrust23THRUST_200600_302600_NS6detail15normal_iteratorINSA_10device_ptrIiEEEEPS6_SG_NS0_5tupleIJSF_S6_EEENSH_IJSG_SG_EEES6_PlJ5mod_3IiEEEE10hipError_tPvRmT3_T4_T5_T6_T7_T9_mT8_P12ihipStream_tbDpT10_ENKUlT_T0_E_clISt17integral_constantIbLb0EES15_IbLb1EEEEDaS11_S12_EUlS11_E_NS1_11comp_targetILNS1_3genE2ELNS1_11target_archE906ELNS1_3gpuE6ELNS1_3repE0EEENS1_30default_config_static_selectorELNS0_4arch9wavefront6targetE0EEEvT1_.kd
    .uniform_work_group_size: 1
    .uses_dynamic_stack: false
    .vgpr_count:     0
    .vgpr_spill_count: 0
    .wavefront_size: 32
    .workgroup_processor_mode: 1
  - .args:
      - .offset:         0
        .size:           128
        .value_kind:     by_value
    .group_segment_fixed_size: 0
    .kernarg_segment_align: 8
    .kernarg_segment_size: 128
    .language:       OpenCL C
    .language_version:
      - 2
      - 0
    .max_flat_workgroup_size: 384
    .name:           _ZN7rocprim17ROCPRIM_400000_NS6detail17trampoline_kernelINS0_14default_configENS1_25partition_config_selectorILNS1_17partition_subalgoE6EiNS0_10empty_typeEbEEZZNS1_14partition_implILS5_6ELb0ES3_mN6thrust23THRUST_200600_302600_NS6detail15normal_iteratorINSA_10device_ptrIiEEEEPS6_SG_NS0_5tupleIJSF_S6_EEENSH_IJSG_SG_EEES6_PlJ5mod_3IiEEEE10hipError_tPvRmT3_T4_T5_T6_T7_T9_mT8_P12ihipStream_tbDpT10_ENKUlT_T0_E_clISt17integral_constantIbLb0EES15_IbLb1EEEEDaS11_S12_EUlS11_E_NS1_11comp_targetILNS1_3genE10ELNS1_11target_archE1200ELNS1_3gpuE4ELNS1_3repE0EEENS1_30default_config_static_selectorELNS0_4arch9wavefront6targetE0EEEvT1_
    .private_segment_fixed_size: 0
    .sgpr_count:     0
    .sgpr_spill_count: 0
    .symbol:         _ZN7rocprim17ROCPRIM_400000_NS6detail17trampoline_kernelINS0_14default_configENS1_25partition_config_selectorILNS1_17partition_subalgoE6EiNS0_10empty_typeEbEEZZNS1_14partition_implILS5_6ELb0ES3_mN6thrust23THRUST_200600_302600_NS6detail15normal_iteratorINSA_10device_ptrIiEEEEPS6_SG_NS0_5tupleIJSF_S6_EEENSH_IJSG_SG_EEES6_PlJ5mod_3IiEEEE10hipError_tPvRmT3_T4_T5_T6_T7_T9_mT8_P12ihipStream_tbDpT10_ENKUlT_T0_E_clISt17integral_constantIbLb0EES15_IbLb1EEEEDaS11_S12_EUlS11_E_NS1_11comp_targetILNS1_3genE10ELNS1_11target_archE1200ELNS1_3gpuE4ELNS1_3repE0EEENS1_30default_config_static_selectorELNS0_4arch9wavefront6targetE0EEEvT1_.kd
    .uniform_work_group_size: 1
    .uses_dynamic_stack: false
    .vgpr_count:     0
    .vgpr_spill_count: 0
    .wavefront_size: 32
    .workgroup_processor_mode: 1
  - .args:
      - .offset:         0
        .size:           128
        .value_kind:     by_value
    .group_segment_fixed_size: 7184
    .kernarg_segment_align: 8
    .kernarg_segment_size: 128
    .language:       OpenCL C
    .language_version:
      - 2
      - 0
    .max_flat_workgroup_size: 128
    .name:           _ZN7rocprim17ROCPRIM_400000_NS6detail17trampoline_kernelINS0_14default_configENS1_25partition_config_selectorILNS1_17partition_subalgoE6EiNS0_10empty_typeEbEEZZNS1_14partition_implILS5_6ELb0ES3_mN6thrust23THRUST_200600_302600_NS6detail15normal_iteratorINSA_10device_ptrIiEEEEPS6_SG_NS0_5tupleIJSF_S6_EEENSH_IJSG_SG_EEES6_PlJ5mod_3IiEEEE10hipError_tPvRmT3_T4_T5_T6_T7_T9_mT8_P12ihipStream_tbDpT10_ENKUlT_T0_E_clISt17integral_constantIbLb0EES15_IbLb1EEEEDaS11_S12_EUlS11_E_NS1_11comp_targetILNS1_3genE9ELNS1_11target_archE1100ELNS1_3gpuE3ELNS1_3repE0EEENS1_30default_config_static_selectorELNS0_4arch9wavefront6targetE0EEEvT1_
    .private_segment_fixed_size: 0
    .sgpr_count:     22
    .sgpr_spill_count: 0
    .symbol:         _ZN7rocprim17ROCPRIM_400000_NS6detail17trampoline_kernelINS0_14default_configENS1_25partition_config_selectorILNS1_17partition_subalgoE6EiNS0_10empty_typeEbEEZZNS1_14partition_implILS5_6ELb0ES3_mN6thrust23THRUST_200600_302600_NS6detail15normal_iteratorINSA_10device_ptrIiEEEEPS6_SG_NS0_5tupleIJSF_S6_EEENSH_IJSG_SG_EEES6_PlJ5mod_3IiEEEE10hipError_tPvRmT3_T4_T5_T6_T7_T9_mT8_P12ihipStream_tbDpT10_ENKUlT_T0_E_clISt17integral_constantIbLb0EES15_IbLb1EEEEDaS11_S12_EUlS11_E_NS1_11comp_targetILNS1_3genE9ELNS1_11target_archE1100ELNS1_3gpuE3ELNS1_3repE0EEENS1_30default_config_static_selectorELNS0_4arch9wavefront6targetE0EEEvT1_.kd
    .uniform_work_group_size: 1
    .uses_dynamic_stack: false
    .vgpr_count:     76
    .vgpr_spill_count: 0
    .wavefront_size: 32
    .workgroup_processor_mode: 1
  - .args:
      - .offset:         0
        .size:           128
        .value_kind:     by_value
    .group_segment_fixed_size: 0
    .kernarg_segment_align: 8
    .kernarg_segment_size: 128
    .language:       OpenCL C
    .language_version:
      - 2
      - 0
    .max_flat_workgroup_size: 512
    .name:           _ZN7rocprim17ROCPRIM_400000_NS6detail17trampoline_kernelINS0_14default_configENS1_25partition_config_selectorILNS1_17partition_subalgoE6EiNS0_10empty_typeEbEEZZNS1_14partition_implILS5_6ELb0ES3_mN6thrust23THRUST_200600_302600_NS6detail15normal_iteratorINSA_10device_ptrIiEEEEPS6_SG_NS0_5tupleIJSF_S6_EEENSH_IJSG_SG_EEES6_PlJ5mod_3IiEEEE10hipError_tPvRmT3_T4_T5_T6_T7_T9_mT8_P12ihipStream_tbDpT10_ENKUlT_T0_E_clISt17integral_constantIbLb0EES15_IbLb1EEEEDaS11_S12_EUlS11_E_NS1_11comp_targetILNS1_3genE8ELNS1_11target_archE1030ELNS1_3gpuE2ELNS1_3repE0EEENS1_30default_config_static_selectorELNS0_4arch9wavefront6targetE0EEEvT1_
    .private_segment_fixed_size: 0
    .sgpr_count:     0
    .sgpr_spill_count: 0
    .symbol:         _ZN7rocprim17ROCPRIM_400000_NS6detail17trampoline_kernelINS0_14default_configENS1_25partition_config_selectorILNS1_17partition_subalgoE6EiNS0_10empty_typeEbEEZZNS1_14partition_implILS5_6ELb0ES3_mN6thrust23THRUST_200600_302600_NS6detail15normal_iteratorINSA_10device_ptrIiEEEEPS6_SG_NS0_5tupleIJSF_S6_EEENSH_IJSG_SG_EEES6_PlJ5mod_3IiEEEE10hipError_tPvRmT3_T4_T5_T6_T7_T9_mT8_P12ihipStream_tbDpT10_ENKUlT_T0_E_clISt17integral_constantIbLb0EES15_IbLb1EEEEDaS11_S12_EUlS11_E_NS1_11comp_targetILNS1_3genE8ELNS1_11target_archE1030ELNS1_3gpuE2ELNS1_3repE0EEENS1_30default_config_static_selectorELNS0_4arch9wavefront6targetE0EEEvT1_.kd
    .uniform_work_group_size: 1
    .uses_dynamic_stack: false
    .vgpr_count:     0
    .vgpr_spill_count: 0
    .wavefront_size: 32
    .workgroup_processor_mode: 1
  - .args:
      - .offset:         0
        .size:           112
        .value_kind:     by_value
    .group_segment_fixed_size: 0
    .kernarg_segment_align: 8
    .kernarg_segment_size: 112
    .language:       OpenCL C
    .language_version:
      - 2
      - 0
    .max_flat_workgroup_size: 256
    .name:           _ZN7rocprim17ROCPRIM_400000_NS6detail17trampoline_kernelINS0_14default_configENS1_25partition_config_selectorILNS1_17partition_subalgoE6EsNS0_10empty_typeEbEEZZNS1_14partition_implILS5_6ELb0ES3_mN6thrust23THRUST_200600_302600_NS6detail15normal_iteratorINSA_10device_ptrIsEEEEPS6_SG_NS0_5tupleIJSF_S6_EEENSH_IJSG_SG_EEES6_PlJ5mod_3IsEEEE10hipError_tPvRmT3_T4_T5_T6_T7_T9_mT8_P12ihipStream_tbDpT10_ENKUlT_T0_E_clISt17integral_constantIbLb0EES16_EEDaS11_S12_EUlS11_E_NS1_11comp_targetILNS1_3genE0ELNS1_11target_archE4294967295ELNS1_3gpuE0ELNS1_3repE0EEENS1_30default_config_static_selectorELNS0_4arch9wavefront6targetE0EEEvT1_
    .private_segment_fixed_size: 0
    .sgpr_count:     0
    .sgpr_spill_count: 0
    .symbol:         _ZN7rocprim17ROCPRIM_400000_NS6detail17trampoline_kernelINS0_14default_configENS1_25partition_config_selectorILNS1_17partition_subalgoE6EsNS0_10empty_typeEbEEZZNS1_14partition_implILS5_6ELb0ES3_mN6thrust23THRUST_200600_302600_NS6detail15normal_iteratorINSA_10device_ptrIsEEEEPS6_SG_NS0_5tupleIJSF_S6_EEENSH_IJSG_SG_EEES6_PlJ5mod_3IsEEEE10hipError_tPvRmT3_T4_T5_T6_T7_T9_mT8_P12ihipStream_tbDpT10_ENKUlT_T0_E_clISt17integral_constantIbLb0EES16_EEDaS11_S12_EUlS11_E_NS1_11comp_targetILNS1_3genE0ELNS1_11target_archE4294967295ELNS1_3gpuE0ELNS1_3repE0EEENS1_30default_config_static_selectorELNS0_4arch9wavefront6targetE0EEEvT1_.kd
    .uniform_work_group_size: 1
    .uses_dynamic_stack: false
    .vgpr_count:     0
    .vgpr_spill_count: 0
    .wavefront_size: 32
    .workgroup_processor_mode: 1
  - .args:
      - .offset:         0
        .size:           112
        .value_kind:     by_value
    .group_segment_fixed_size: 0
    .kernarg_segment_align: 8
    .kernarg_segment_size: 112
    .language:       OpenCL C
    .language_version:
      - 2
      - 0
    .max_flat_workgroup_size: 512
    .name:           _ZN7rocprim17ROCPRIM_400000_NS6detail17trampoline_kernelINS0_14default_configENS1_25partition_config_selectorILNS1_17partition_subalgoE6EsNS0_10empty_typeEbEEZZNS1_14partition_implILS5_6ELb0ES3_mN6thrust23THRUST_200600_302600_NS6detail15normal_iteratorINSA_10device_ptrIsEEEEPS6_SG_NS0_5tupleIJSF_S6_EEENSH_IJSG_SG_EEES6_PlJ5mod_3IsEEEE10hipError_tPvRmT3_T4_T5_T6_T7_T9_mT8_P12ihipStream_tbDpT10_ENKUlT_T0_E_clISt17integral_constantIbLb0EES16_EEDaS11_S12_EUlS11_E_NS1_11comp_targetILNS1_3genE5ELNS1_11target_archE942ELNS1_3gpuE9ELNS1_3repE0EEENS1_30default_config_static_selectorELNS0_4arch9wavefront6targetE0EEEvT1_
    .private_segment_fixed_size: 0
    .sgpr_count:     0
    .sgpr_spill_count: 0
    .symbol:         _ZN7rocprim17ROCPRIM_400000_NS6detail17trampoline_kernelINS0_14default_configENS1_25partition_config_selectorILNS1_17partition_subalgoE6EsNS0_10empty_typeEbEEZZNS1_14partition_implILS5_6ELb0ES3_mN6thrust23THRUST_200600_302600_NS6detail15normal_iteratorINSA_10device_ptrIsEEEEPS6_SG_NS0_5tupleIJSF_S6_EEENSH_IJSG_SG_EEES6_PlJ5mod_3IsEEEE10hipError_tPvRmT3_T4_T5_T6_T7_T9_mT8_P12ihipStream_tbDpT10_ENKUlT_T0_E_clISt17integral_constantIbLb0EES16_EEDaS11_S12_EUlS11_E_NS1_11comp_targetILNS1_3genE5ELNS1_11target_archE942ELNS1_3gpuE9ELNS1_3repE0EEENS1_30default_config_static_selectorELNS0_4arch9wavefront6targetE0EEEvT1_.kd
    .uniform_work_group_size: 1
    .uses_dynamic_stack: false
    .vgpr_count:     0
    .vgpr_spill_count: 0
    .wavefront_size: 32
    .workgroup_processor_mode: 1
  - .args:
      - .offset:         0
        .size:           112
        .value_kind:     by_value
    .group_segment_fixed_size: 0
    .kernarg_segment_align: 8
    .kernarg_segment_size: 112
    .language:       OpenCL C
    .language_version:
      - 2
      - 0
    .max_flat_workgroup_size: 256
    .name:           _ZN7rocprim17ROCPRIM_400000_NS6detail17trampoline_kernelINS0_14default_configENS1_25partition_config_selectorILNS1_17partition_subalgoE6EsNS0_10empty_typeEbEEZZNS1_14partition_implILS5_6ELb0ES3_mN6thrust23THRUST_200600_302600_NS6detail15normal_iteratorINSA_10device_ptrIsEEEEPS6_SG_NS0_5tupleIJSF_S6_EEENSH_IJSG_SG_EEES6_PlJ5mod_3IsEEEE10hipError_tPvRmT3_T4_T5_T6_T7_T9_mT8_P12ihipStream_tbDpT10_ENKUlT_T0_E_clISt17integral_constantIbLb0EES16_EEDaS11_S12_EUlS11_E_NS1_11comp_targetILNS1_3genE4ELNS1_11target_archE910ELNS1_3gpuE8ELNS1_3repE0EEENS1_30default_config_static_selectorELNS0_4arch9wavefront6targetE0EEEvT1_
    .private_segment_fixed_size: 0
    .sgpr_count:     0
    .sgpr_spill_count: 0
    .symbol:         _ZN7rocprim17ROCPRIM_400000_NS6detail17trampoline_kernelINS0_14default_configENS1_25partition_config_selectorILNS1_17partition_subalgoE6EsNS0_10empty_typeEbEEZZNS1_14partition_implILS5_6ELb0ES3_mN6thrust23THRUST_200600_302600_NS6detail15normal_iteratorINSA_10device_ptrIsEEEEPS6_SG_NS0_5tupleIJSF_S6_EEENSH_IJSG_SG_EEES6_PlJ5mod_3IsEEEE10hipError_tPvRmT3_T4_T5_T6_T7_T9_mT8_P12ihipStream_tbDpT10_ENKUlT_T0_E_clISt17integral_constantIbLb0EES16_EEDaS11_S12_EUlS11_E_NS1_11comp_targetILNS1_3genE4ELNS1_11target_archE910ELNS1_3gpuE8ELNS1_3repE0EEENS1_30default_config_static_selectorELNS0_4arch9wavefront6targetE0EEEvT1_.kd
    .uniform_work_group_size: 1
    .uses_dynamic_stack: false
    .vgpr_count:     0
    .vgpr_spill_count: 0
    .wavefront_size: 32
    .workgroup_processor_mode: 1
  - .args:
      - .offset:         0
        .size:           112
        .value_kind:     by_value
    .group_segment_fixed_size: 0
    .kernarg_segment_align: 8
    .kernarg_segment_size: 112
    .language:       OpenCL C
    .language_version:
      - 2
      - 0
    .max_flat_workgroup_size: 256
    .name:           _ZN7rocprim17ROCPRIM_400000_NS6detail17trampoline_kernelINS0_14default_configENS1_25partition_config_selectorILNS1_17partition_subalgoE6EsNS0_10empty_typeEbEEZZNS1_14partition_implILS5_6ELb0ES3_mN6thrust23THRUST_200600_302600_NS6detail15normal_iteratorINSA_10device_ptrIsEEEEPS6_SG_NS0_5tupleIJSF_S6_EEENSH_IJSG_SG_EEES6_PlJ5mod_3IsEEEE10hipError_tPvRmT3_T4_T5_T6_T7_T9_mT8_P12ihipStream_tbDpT10_ENKUlT_T0_E_clISt17integral_constantIbLb0EES16_EEDaS11_S12_EUlS11_E_NS1_11comp_targetILNS1_3genE3ELNS1_11target_archE908ELNS1_3gpuE7ELNS1_3repE0EEENS1_30default_config_static_selectorELNS0_4arch9wavefront6targetE0EEEvT1_
    .private_segment_fixed_size: 0
    .sgpr_count:     0
    .sgpr_spill_count: 0
    .symbol:         _ZN7rocprim17ROCPRIM_400000_NS6detail17trampoline_kernelINS0_14default_configENS1_25partition_config_selectorILNS1_17partition_subalgoE6EsNS0_10empty_typeEbEEZZNS1_14partition_implILS5_6ELb0ES3_mN6thrust23THRUST_200600_302600_NS6detail15normal_iteratorINSA_10device_ptrIsEEEEPS6_SG_NS0_5tupleIJSF_S6_EEENSH_IJSG_SG_EEES6_PlJ5mod_3IsEEEE10hipError_tPvRmT3_T4_T5_T6_T7_T9_mT8_P12ihipStream_tbDpT10_ENKUlT_T0_E_clISt17integral_constantIbLb0EES16_EEDaS11_S12_EUlS11_E_NS1_11comp_targetILNS1_3genE3ELNS1_11target_archE908ELNS1_3gpuE7ELNS1_3repE0EEENS1_30default_config_static_selectorELNS0_4arch9wavefront6targetE0EEEvT1_.kd
    .uniform_work_group_size: 1
    .uses_dynamic_stack: false
    .vgpr_count:     0
    .vgpr_spill_count: 0
    .wavefront_size: 32
    .workgroup_processor_mode: 1
  - .args:
      - .offset:         0
        .size:           112
        .value_kind:     by_value
    .group_segment_fixed_size: 0
    .kernarg_segment_align: 8
    .kernarg_segment_size: 112
    .language:       OpenCL C
    .language_version:
      - 2
      - 0
    .max_flat_workgroup_size: 256
    .name:           _ZN7rocprim17ROCPRIM_400000_NS6detail17trampoline_kernelINS0_14default_configENS1_25partition_config_selectorILNS1_17partition_subalgoE6EsNS0_10empty_typeEbEEZZNS1_14partition_implILS5_6ELb0ES3_mN6thrust23THRUST_200600_302600_NS6detail15normal_iteratorINSA_10device_ptrIsEEEEPS6_SG_NS0_5tupleIJSF_S6_EEENSH_IJSG_SG_EEES6_PlJ5mod_3IsEEEE10hipError_tPvRmT3_T4_T5_T6_T7_T9_mT8_P12ihipStream_tbDpT10_ENKUlT_T0_E_clISt17integral_constantIbLb0EES16_EEDaS11_S12_EUlS11_E_NS1_11comp_targetILNS1_3genE2ELNS1_11target_archE906ELNS1_3gpuE6ELNS1_3repE0EEENS1_30default_config_static_selectorELNS0_4arch9wavefront6targetE0EEEvT1_
    .private_segment_fixed_size: 0
    .sgpr_count:     0
    .sgpr_spill_count: 0
    .symbol:         _ZN7rocprim17ROCPRIM_400000_NS6detail17trampoline_kernelINS0_14default_configENS1_25partition_config_selectorILNS1_17partition_subalgoE6EsNS0_10empty_typeEbEEZZNS1_14partition_implILS5_6ELb0ES3_mN6thrust23THRUST_200600_302600_NS6detail15normal_iteratorINSA_10device_ptrIsEEEEPS6_SG_NS0_5tupleIJSF_S6_EEENSH_IJSG_SG_EEES6_PlJ5mod_3IsEEEE10hipError_tPvRmT3_T4_T5_T6_T7_T9_mT8_P12ihipStream_tbDpT10_ENKUlT_T0_E_clISt17integral_constantIbLb0EES16_EEDaS11_S12_EUlS11_E_NS1_11comp_targetILNS1_3genE2ELNS1_11target_archE906ELNS1_3gpuE6ELNS1_3repE0EEENS1_30default_config_static_selectorELNS0_4arch9wavefront6targetE0EEEvT1_.kd
    .uniform_work_group_size: 1
    .uses_dynamic_stack: false
    .vgpr_count:     0
    .vgpr_spill_count: 0
    .wavefront_size: 32
    .workgroup_processor_mode: 1
  - .args:
      - .offset:         0
        .size:           112
        .value_kind:     by_value
    .group_segment_fixed_size: 0
    .kernarg_segment_align: 8
    .kernarg_segment_size: 112
    .language:       OpenCL C
    .language_version:
      - 2
      - 0
    .max_flat_workgroup_size: 384
    .name:           _ZN7rocprim17ROCPRIM_400000_NS6detail17trampoline_kernelINS0_14default_configENS1_25partition_config_selectorILNS1_17partition_subalgoE6EsNS0_10empty_typeEbEEZZNS1_14partition_implILS5_6ELb0ES3_mN6thrust23THRUST_200600_302600_NS6detail15normal_iteratorINSA_10device_ptrIsEEEEPS6_SG_NS0_5tupleIJSF_S6_EEENSH_IJSG_SG_EEES6_PlJ5mod_3IsEEEE10hipError_tPvRmT3_T4_T5_T6_T7_T9_mT8_P12ihipStream_tbDpT10_ENKUlT_T0_E_clISt17integral_constantIbLb0EES16_EEDaS11_S12_EUlS11_E_NS1_11comp_targetILNS1_3genE10ELNS1_11target_archE1200ELNS1_3gpuE4ELNS1_3repE0EEENS1_30default_config_static_selectorELNS0_4arch9wavefront6targetE0EEEvT1_
    .private_segment_fixed_size: 0
    .sgpr_count:     0
    .sgpr_spill_count: 0
    .symbol:         _ZN7rocprim17ROCPRIM_400000_NS6detail17trampoline_kernelINS0_14default_configENS1_25partition_config_selectorILNS1_17partition_subalgoE6EsNS0_10empty_typeEbEEZZNS1_14partition_implILS5_6ELb0ES3_mN6thrust23THRUST_200600_302600_NS6detail15normal_iteratorINSA_10device_ptrIsEEEEPS6_SG_NS0_5tupleIJSF_S6_EEENSH_IJSG_SG_EEES6_PlJ5mod_3IsEEEE10hipError_tPvRmT3_T4_T5_T6_T7_T9_mT8_P12ihipStream_tbDpT10_ENKUlT_T0_E_clISt17integral_constantIbLb0EES16_EEDaS11_S12_EUlS11_E_NS1_11comp_targetILNS1_3genE10ELNS1_11target_archE1200ELNS1_3gpuE4ELNS1_3repE0EEENS1_30default_config_static_selectorELNS0_4arch9wavefront6targetE0EEEvT1_.kd
    .uniform_work_group_size: 1
    .uses_dynamic_stack: false
    .vgpr_count:     0
    .vgpr_spill_count: 0
    .wavefront_size: 32
    .workgroup_processor_mode: 1
  - .args:
      - .offset:         0
        .size:           112
        .value_kind:     by_value
    .group_segment_fixed_size: 7696
    .kernarg_segment_align: 8
    .kernarg_segment_size: 112
    .language:       OpenCL C
    .language_version:
      - 2
      - 0
    .max_flat_workgroup_size: 128
    .name:           _ZN7rocprim17ROCPRIM_400000_NS6detail17trampoline_kernelINS0_14default_configENS1_25partition_config_selectorILNS1_17partition_subalgoE6EsNS0_10empty_typeEbEEZZNS1_14partition_implILS5_6ELb0ES3_mN6thrust23THRUST_200600_302600_NS6detail15normal_iteratorINSA_10device_ptrIsEEEEPS6_SG_NS0_5tupleIJSF_S6_EEENSH_IJSG_SG_EEES6_PlJ5mod_3IsEEEE10hipError_tPvRmT3_T4_T5_T6_T7_T9_mT8_P12ihipStream_tbDpT10_ENKUlT_T0_E_clISt17integral_constantIbLb0EES16_EEDaS11_S12_EUlS11_E_NS1_11comp_targetILNS1_3genE9ELNS1_11target_archE1100ELNS1_3gpuE3ELNS1_3repE0EEENS1_30default_config_static_selectorELNS0_4arch9wavefront6targetE0EEEvT1_
    .private_segment_fixed_size: 0
    .sgpr_count:     22
    .sgpr_spill_count: 0
    .symbol:         _ZN7rocprim17ROCPRIM_400000_NS6detail17trampoline_kernelINS0_14default_configENS1_25partition_config_selectorILNS1_17partition_subalgoE6EsNS0_10empty_typeEbEEZZNS1_14partition_implILS5_6ELb0ES3_mN6thrust23THRUST_200600_302600_NS6detail15normal_iteratorINSA_10device_ptrIsEEEEPS6_SG_NS0_5tupleIJSF_S6_EEENSH_IJSG_SG_EEES6_PlJ5mod_3IsEEEE10hipError_tPvRmT3_T4_T5_T6_T7_T9_mT8_P12ihipStream_tbDpT10_ENKUlT_T0_E_clISt17integral_constantIbLb0EES16_EEDaS11_S12_EUlS11_E_NS1_11comp_targetILNS1_3genE9ELNS1_11target_archE1100ELNS1_3gpuE3ELNS1_3repE0EEENS1_30default_config_static_selectorELNS0_4arch9wavefront6targetE0EEEvT1_.kd
    .uniform_work_group_size: 1
    .uses_dynamic_stack: false
    .vgpr_count:     130
    .vgpr_spill_count: 0
    .wavefront_size: 32
    .workgroup_processor_mode: 1
  - .args:
      - .offset:         0
        .size:           112
        .value_kind:     by_value
    .group_segment_fixed_size: 0
    .kernarg_segment_align: 8
    .kernarg_segment_size: 112
    .language:       OpenCL C
    .language_version:
      - 2
      - 0
    .max_flat_workgroup_size: 256
    .name:           _ZN7rocprim17ROCPRIM_400000_NS6detail17trampoline_kernelINS0_14default_configENS1_25partition_config_selectorILNS1_17partition_subalgoE6EsNS0_10empty_typeEbEEZZNS1_14partition_implILS5_6ELb0ES3_mN6thrust23THRUST_200600_302600_NS6detail15normal_iteratorINSA_10device_ptrIsEEEEPS6_SG_NS0_5tupleIJSF_S6_EEENSH_IJSG_SG_EEES6_PlJ5mod_3IsEEEE10hipError_tPvRmT3_T4_T5_T6_T7_T9_mT8_P12ihipStream_tbDpT10_ENKUlT_T0_E_clISt17integral_constantIbLb0EES16_EEDaS11_S12_EUlS11_E_NS1_11comp_targetILNS1_3genE8ELNS1_11target_archE1030ELNS1_3gpuE2ELNS1_3repE0EEENS1_30default_config_static_selectorELNS0_4arch9wavefront6targetE0EEEvT1_
    .private_segment_fixed_size: 0
    .sgpr_count:     0
    .sgpr_spill_count: 0
    .symbol:         _ZN7rocprim17ROCPRIM_400000_NS6detail17trampoline_kernelINS0_14default_configENS1_25partition_config_selectorILNS1_17partition_subalgoE6EsNS0_10empty_typeEbEEZZNS1_14partition_implILS5_6ELb0ES3_mN6thrust23THRUST_200600_302600_NS6detail15normal_iteratorINSA_10device_ptrIsEEEEPS6_SG_NS0_5tupleIJSF_S6_EEENSH_IJSG_SG_EEES6_PlJ5mod_3IsEEEE10hipError_tPvRmT3_T4_T5_T6_T7_T9_mT8_P12ihipStream_tbDpT10_ENKUlT_T0_E_clISt17integral_constantIbLb0EES16_EEDaS11_S12_EUlS11_E_NS1_11comp_targetILNS1_3genE8ELNS1_11target_archE1030ELNS1_3gpuE2ELNS1_3repE0EEENS1_30default_config_static_selectorELNS0_4arch9wavefront6targetE0EEEvT1_.kd
    .uniform_work_group_size: 1
    .uses_dynamic_stack: false
    .vgpr_count:     0
    .vgpr_spill_count: 0
    .wavefront_size: 32
    .workgroup_processor_mode: 1
  - .args:
      - .offset:         0
        .size:           128
        .value_kind:     by_value
    .group_segment_fixed_size: 0
    .kernarg_segment_align: 8
    .kernarg_segment_size: 128
    .language:       OpenCL C
    .language_version:
      - 2
      - 0
    .max_flat_workgroup_size: 256
    .name:           _ZN7rocprim17ROCPRIM_400000_NS6detail17trampoline_kernelINS0_14default_configENS1_25partition_config_selectorILNS1_17partition_subalgoE6EsNS0_10empty_typeEbEEZZNS1_14partition_implILS5_6ELb0ES3_mN6thrust23THRUST_200600_302600_NS6detail15normal_iteratorINSA_10device_ptrIsEEEEPS6_SG_NS0_5tupleIJSF_S6_EEENSH_IJSG_SG_EEES6_PlJ5mod_3IsEEEE10hipError_tPvRmT3_T4_T5_T6_T7_T9_mT8_P12ihipStream_tbDpT10_ENKUlT_T0_E_clISt17integral_constantIbLb1EES16_EEDaS11_S12_EUlS11_E_NS1_11comp_targetILNS1_3genE0ELNS1_11target_archE4294967295ELNS1_3gpuE0ELNS1_3repE0EEENS1_30default_config_static_selectorELNS0_4arch9wavefront6targetE0EEEvT1_
    .private_segment_fixed_size: 0
    .sgpr_count:     0
    .sgpr_spill_count: 0
    .symbol:         _ZN7rocprim17ROCPRIM_400000_NS6detail17trampoline_kernelINS0_14default_configENS1_25partition_config_selectorILNS1_17partition_subalgoE6EsNS0_10empty_typeEbEEZZNS1_14partition_implILS5_6ELb0ES3_mN6thrust23THRUST_200600_302600_NS6detail15normal_iteratorINSA_10device_ptrIsEEEEPS6_SG_NS0_5tupleIJSF_S6_EEENSH_IJSG_SG_EEES6_PlJ5mod_3IsEEEE10hipError_tPvRmT3_T4_T5_T6_T7_T9_mT8_P12ihipStream_tbDpT10_ENKUlT_T0_E_clISt17integral_constantIbLb1EES16_EEDaS11_S12_EUlS11_E_NS1_11comp_targetILNS1_3genE0ELNS1_11target_archE4294967295ELNS1_3gpuE0ELNS1_3repE0EEENS1_30default_config_static_selectorELNS0_4arch9wavefront6targetE0EEEvT1_.kd
    .uniform_work_group_size: 1
    .uses_dynamic_stack: false
    .vgpr_count:     0
    .vgpr_spill_count: 0
    .wavefront_size: 32
    .workgroup_processor_mode: 1
  - .args:
      - .offset:         0
        .size:           128
        .value_kind:     by_value
    .group_segment_fixed_size: 0
    .kernarg_segment_align: 8
    .kernarg_segment_size: 128
    .language:       OpenCL C
    .language_version:
      - 2
      - 0
    .max_flat_workgroup_size: 512
    .name:           _ZN7rocprim17ROCPRIM_400000_NS6detail17trampoline_kernelINS0_14default_configENS1_25partition_config_selectorILNS1_17partition_subalgoE6EsNS0_10empty_typeEbEEZZNS1_14partition_implILS5_6ELb0ES3_mN6thrust23THRUST_200600_302600_NS6detail15normal_iteratorINSA_10device_ptrIsEEEEPS6_SG_NS0_5tupleIJSF_S6_EEENSH_IJSG_SG_EEES6_PlJ5mod_3IsEEEE10hipError_tPvRmT3_T4_T5_T6_T7_T9_mT8_P12ihipStream_tbDpT10_ENKUlT_T0_E_clISt17integral_constantIbLb1EES16_EEDaS11_S12_EUlS11_E_NS1_11comp_targetILNS1_3genE5ELNS1_11target_archE942ELNS1_3gpuE9ELNS1_3repE0EEENS1_30default_config_static_selectorELNS0_4arch9wavefront6targetE0EEEvT1_
    .private_segment_fixed_size: 0
    .sgpr_count:     0
    .sgpr_spill_count: 0
    .symbol:         _ZN7rocprim17ROCPRIM_400000_NS6detail17trampoline_kernelINS0_14default_configENS1_25partition_config_selectorILNS1_17partition_subalgoE6EsNS0_10empty_typeEbEEZZNS1_14partition_implILS5_6ELb0ES3_mN6thrust23THRUST_200600_302600_NS6detail15normal_iteratorINSA_10device_ptrIsEEEEPS6_SG_NS0_5tupleIJSF_S6_EEENSH_IJSG_SG_EEES6_PlJ5mod_3IsEEEE10hipError_tPvRmT3_T4_T5_T6_T7_T9_mT8_P12ihipStream_tbDpT10_ENKUlT_T0_E_clISt17integral_constantIbLb1EES16_EEDaS11_S12_EUlS11_E_NS1_11comp_targetILNS1_3genE5ELNS1_11target_archE942ELNS1_3gpuE9ELNS1_3repE0EEENS1_30default_config_static_selectorELNS0_4arch9wavefront6targetE0EEEvT1_.kd
    .uniform_work_group_size: 1
    .uses_dynamic_stack: false
    .vgpr_count:     0
    .vgpr_spill_count: 0
    .wavefront_size: 32
    .workgroup_processor_mode: 1
  - .args:
      - .offset:         0
        .size:           128
        .value_kind:     by_value
    .group_segment_fixed_size: 0
    .kernarg_segment_align: 8
    .kernarg_segment_size: 128
    .language:       OpenCL C
    .language_version:
      - 2
      - 0
    .max_flat_workgroup_size: 256
    .name:           _ZN7rocprim17ROCPRIM_400000_NS6detail17trampoline_kernelINS0_14default_configENS1_25partition_config_selectorILNS1_17partition_subalgoE6EsNS0_10empty_typeEbEEZZNS1_14partition_implILS5_6ELb0ES3_mN6thrust23THRUST_200600_302600_NS6detail15normal_iteratorINSA_10device_ptrIsEEEEPS6_SG_NS0_5tupleIJSF_S6_EEENSH_IJSG_SG_EEES6_PlJ5mod_3IsEEEE10hipError_tPvRmT3_T4_T5_T6_T7_T9_mT8_P12ihipStream_tbDpT10_ENKUlT_T0_E_clISt17integral_constantIbLb1EES16_EEDaS11_S12_EUlS11_E_NS1_11comp_targetILNS1_3genE4ELNS1_11target_archE910ELNS1_3gpuE8ELNS1_3repE0EEENS1_30default_config_static_selectorELNS0_4arch9wavefront6targetE0EEEvT1_
    .private_segment_fixed_size: 0
    .sgpr_count:     0
    .sgpr_spill_count: 0
    .symbol:         _ZN7rocprim17ROCPRIM_400000_NS6detail17trampoline_kernelINS0_14default_configENS1_25partition_config_selectorILNS1_17partition_subalgoE6EsNS0_10empty_typeEbEEZZNS1_14partition_implILS5_6ELb0ES3_mN6thrust23THRUST_200600_302600_NS6detail15normal_iteratorINSA_10device_ptrIsEEEEPS6_SG_NS0_5tupleIJSF_S6_EEENSH_IJSG_SG_EEES6_PlJ5mod_3IsEEEE10hipError_tPvRmT3_T4_T5_T6_T7_T9_mT8_P12ihipStream_tbDpT10_ENKUlT_T0_E_clISt17integral_constantIbLb1EES16_EEDaS11_S12_EUlS11_E_NS1_11comp_targetILNS1_3genE4ELNS1_11target_archE910ELNS1_3gpuE8ELNS1_3repE0EEENS1_30default_config_static_selectorELNS0_4arch9wavefront6targetE0EEEvT1_.kd
    .uniform_work_group_size: 1
    .uses_dynamic_stack: false
    .vgpr_count:     0
    .vgpr_spill_count: 0
    .wavefront_size: 32
    .workgroup_processor_mode: 1
  - .args:
      - .offset:         0
        .size:           128
        .value_kind:     by_value
    .group_segment_fixed_size: 0
    .kernarg_segment_align: 8
    .kernarg_segment_size: 128
    .language:       OpenCL C
    .language_version:
      - 2
      - 0
    .max_flat_workgroup_size: 256
    .name:           _ZN7rocprim17ROCPRIM_400000_NS6detail17trampoline_kernelINS0_14default_configENS1_25partition_config_selectorILNS1_17partition_subalgoE6EsNS0_10empty_typeEbEEZZNS1_14partition_implILS5_6ELb0ES3_mN6thrust23THRUST_200600_302600_NS6detail15normal_iteratorINSA_10device_ptrIsEEEEPS6_SG_NS0_5tupleIJSF_S6_EEENSH_IJSG_SG_EEES6_PlJ5mod_3IsEEEE10hipError_tPvRmT3_T4_T5_T6_T7_T9_mT8_P12ihipStream_tbDpT10_ENKUlT_T0_E_clISt17integral_constantIbLb1EES16_EEDaS11_S12_EUlS11_E_NS1_11comp_targetILNS1_3genE3ELNS1_11target_archE908ELNS1_3gpuE7ELNS1_3repE0EEENS1_30default_config_static_selectorELNS0_4arch9wavefront6targetE0EEEvT1_
    .private_segment_fixed_size: 0
    .sgpr_count:     0
    .sgpr_spill_count: 0
    .symbol:         _ZN7rocprim17ROCPRIM_400000_NS6detail17trampoline_kernelINS0_14default_configENS1_25partition_config_selectorILNS1_17partition_subalgoE6EsNS0_10empty_typeEbEEZZNS1_14partition_implILS5_6ELb0ES3_mN6thrust23THRUST_200600_302600_NS6detail15normal_iteratorINSA_10device_ptrIsEEEEPS6_SG_NS0_5tupleIJSF_S6_EEENSH_IJSG_SG_EEES6_PlJ5mod_3IsEEEE10hipError_tPvRmT3_T4_T5_T6_T7_T9_mT8_P12ihipStream_tbDpT10_ENKUlT_T0_E_clISt17integral_constantIbLb1EES16_EEDaS11_S12_EUlS11_E_NS1_11comp_targetILNS1_3genE3ELNS1_11target_archE908ELNS1_3gpuE7ELNS1_3repE0EEENS1_30default_config_static_selectorELNS0_4arch9wavefront6targetE0EEEvT1_.kd
    .uniform_work_group_size: 1
    .uses_dynamic_stack: false
    .vgpr_count:     0
    .vgpr_spill_count: 0
    .wavefront_size: 32
    .workgroup_processor_mode: 1
  - .args:
      - .offset:         0
        .size:           128
        .value_kind:     by_value
    .group_segment_fixed_size: 0
    .kernarg_segment_align: 8
    .kernarg_segment_size: 128
    .language:       OpenCL C
    .language_version:
      - 2
      - 0
    .max_flat_workgroup_size: 256
    .name:           _ZN7rocprim17ROCPRIM_400000_NS6detail17trampoline_kernelINS0_14default_configENS1_25partition_config_selectorILNS1_17partition_subalgoE6EsNS0_10empty_typeEbEEZZNS1_14partition_implILS5_6ELb0ES3_mN6thrust23THRUST_200600_302600_NS6detail15normal_iteratorINSA_10device_ptrIsEEEEPS6_SG_NS0_5tupleIJSF_S6_EEENSH_IJSG_SG_EEES6_PlJ5mod_3IsEEEE10hipError_tPvRmT3_T4_T5_T6_T7_T9_mT8_P12ihipStream_tbDpT10_ENKUlT_T0_E_clISt17integral_constantIbLb1EES16_EEDaS11_S12_EUlS11_E_NS1_11comp_targetILNS1_3genE2ELNS1_11target_archE906ELNS1_3gpuE6ELNS1_3repE0EEENS1_30default_config_static_selectorELNS0_4arch9wavefront6targetE0EEEvT1_
    .private_segment_fixed_size: 0
    .sgpr_count:     0
    .sgpr_spill_count: 0
    .symbol:         _ZN7rocprim17ROCPRIM_400000_NS6detail17trampoline_kernelINS0_14default_configENS1_25partition_config_selectorILNS1_17partition_subalgoE6EsNS0_10empty_typeEbEEZZNS1_14partition_implILS5_6ELb0ES3_mN6thrust23THRUST_200600_302600_NS6detail15normal_iteratorINSA_10device_ptrIsEEEEPS6_SG_NS0_5tupleIJSF_S6_EEENSH_IJSG_SG_EEES6_PlJ5mod_3IsEEEE10hipError_tPvRmT3_T4_T5_T6_T7_T9_mT8_P12ihipStream_tbDpT10_ENKUlT_T0_E_clISt17integral_constantIbLb1EES16_EEDaS11_S12_EUlS11_E_NS1_11comp_targetILNS1_3genE2ELNS1_11target_archE906ELNS1_3gpuE6ELNS1_3repE0EEENS1_30default_config_static_selectorELNS0_4arch9wavefront6targetE0EEEvT1_.kd
    .uniform_work_group_size: 1
    .uses_dynamic_stack: false
    .vgpr_count:     0
    .vgpr_spill_count: 0
    .wavefront_size: 32
    .workgroup_processor_mode: 1
  - .args:
      - .offset:         0
        .size:           128
        .value_kind:     by_value
    .group_segment_fixed_size: 0
    .kernarg_segment_align: 8
    .kernarg_segment_size: 128
    .language:       OpenCL C
    .language_version:
      - 2
      - 0
    .max_flat_workgroup_size: 384
    .name:           _ZN7rocprim17ROCPRIM_400000_NS6detail17trampoline_kernelINS0_14default_configENS1_25partition_config_selectorILNS1_17partition_subalgoE6EsNS0_10empty_typeEbEEZZNS1_14partition_implILS5_6ELb0ES3_mN6thrust23THRUST_200600_302600_NS6detail15normal_iteratorINSA_10device_ptrIsEEEEPS6_SG_NS0_5tupleIJSF_S6_EEENSH_IJSG_SG_EEES6_PlJ5mod_3IsEEEE10hipError_tPvRmT3_T4_T5_T6_T7_T9_mT8_P12ihipStream_tbDpT10_ENKUlT_T0_E_clISt17integral_constantIbLb1EES16_EEDaS11_S12_EUlS11_E_NS1_11comp_targetILNS1_3genE10ELNS1_11target_archE1200ELNS1_3gpuE4ELNS1_3repE0EEENS1_30default_config_static_selectorELNS0_4arch9wavefront6targetE0EEEvT1_
    .private_segment_fixed_size: 0
    .sgpr_count:     0
    .sgpr_spill_count: 0
    .symbol:         _ZN7rocprim17ROCPRIM_400000_NS6detail17trampoline_kernelINS0_14default_configENS1_25partition_config_selectorILNS1_17partition_subalgoE6EsNS0_10empty_typeEbEEZZNS1_14partition_implILS5_6ELb0ES3_mN6thrust23THRUST_200600_302600_NS6detail15normal_iteratorINSA_10device_ptrIsEEEEPS6_SG_NS0_5tupleIJSF_S6_EEENSH_IJSG_SG_EEES6_PlJ5mod_3IsEEEE10hipError_tPvRmT3_T4_T5_T6_T7_T9_mT8_P12ihipStream_tbDpT10_ENKUlT_T0_E_clISt17integral_constantIbLb1EES16_EEDaS11_S12_EUlS11_E_NS1_11comp_targetILNS1_3genE10ELNS1_11target_archE1200ELNS1_3gpuE4ELNS1_3repE0EEENS1_30default_config_static_selectorELNS0_4arch9wavefront6targetE0EEEvT1_.kd
    .uniform_work_group_size: 1
    .uses_dynamic_stack: false
    .vgpr_count:     0
    .vgpr_spill_count: 0
    .wavefront_size: 32
    .workgroup_processor_mode: 1
  - .args:
      - .offset:         0
        .size:           128
        .value_kind:     by_value
    .group_segment_fixed_size: 7696
    .kernarg_segment_align: 8
    .kernarg_segment_size: 128
    .language:       OpenCL C
    .language_version:
      - 2
      - 0
    .max_flat_workgroup_size: 128
    .name:           _ZN7rocprim17ROCPRIM_400000_NS6detail17trampoline_kernelINS0_14default_configENS1_25partition_config_selectorILNS1_17partition_subalgoE6EsNS0_10empty_typeEbEEZZNS1_14partition_implILS5_6ELb0ES3_mN6thrust23THRUST_200600_302600_NS6detail15normal_iteratorINSA_10device_ptrIsEEEEPS6_SG_NS0_5tupleIJSF_S6_EEENSH_IJSG_SG_EEES6_PlJ5mod_3IsEEEE10hipError_tPvRmT3_T4_T5_T6_T7_T9_mT8_P12ihipStream_tbDpT10_ENKUlT_T0_E_clISt17integral_constantIbLb1EES16_EEDaS11_S12_EUlS11_E_NS1_11comp_targetILNS1_3genE9ELNS1_11target_archE1100ELNS1_3gpuE3ELNS1_3repE0EEENS1_30default_config_static_selectorELNS0_4arch9wavefront6targetE0EEEvT1_
    .private_segment_fixed_size: 0
    .sgpr_count:     21
    .sgpr_spill_count: 0
    .symbol:         _ZN7rocprim17ROCPRIM_400000_NS6detail17trampoline_kernelINS0_14default_configENS1_25partition_config_selectorILNS1_17partition_subalgoE6EsNS0_10empty_typeEbEEZZNS1_14partition_implILS5_6ELb0ES3_mN6thrust23THRUST_200600_302600_NS6detail15normal_iteratorINSA_10device_ptrIsEEEEPS6_SG_NS0_5tupleIJSF_S6_EEENSH_IJSG_SG_EEES6_PlJ5mod_3IsEEEE10hipError_tPvRmT3_T4_T5_T6_T7_T9_mT8_P12ihipStream_tbDpT10_ENKUlT_T0_E_clISt17integral_constantIbLb1EES16_EEDaS11_S12_EUlS11_E_NS1_11comp_targetILNS1_3genE9ELNS1_11target_archE1100ELNS1_3gpuE3ELNS1_3repE0EEENS1_30default_config_static_selectorELNS0_4arch9wavefront6targetE0EEEvT1_.kd
    .uniform_work_group_size: 1
    .uses_dynamic_stack: false
    .vgpr_count:     133
    .vgpr_spill_count: 0
    .wavefront_size: 32
    .workgroup_processor_mode: 1
  - .args:
      - .offset:         0
        .size:           128
        .value_kind:     by_value
    .group_segment_fixed_size: 0
    .kernarg_segment_align: 8
    .kernarg_segment_size: 128
    .language:       OpenCL C
    .language_version:
      - 2
      - 0
    .max_flat_workgroup_size: 256
    .name:           _ZN7rocprim17ROCPRIM_400000_NS6detail17trampoline_kernelINS0_14default_configENS1_25partition_config_selectorILNS1_17partition_subalgoE6EsNS0_10empty_typeEbEEZZNS1_14partition_implILS5_6ELb0ES3_mN6thrust23THRUST_200600_302600_NS6detail15normal_iteratorINSA_10device_ptrIsEEEEPS6_SG_NS0_5tupleIJSF_S6_EEENSH_IJSG_SG_EEES6_PlJ5mod_3IsEEEE10hipError_tPvRmT3_T4_T5_T6_T7_T9_mT8_P12ihipStream_tbDpT10_ENKUlT_T0_E_clISt17integral_constantIbLb1EES16_EEDaS11_S12_EUlS11_E_NS1_11comp_targetILNS1_3genE8ELNS1_11target_archE1030ELNS1_3gpuE2ELNS1_3repE0EEENS1_30default_config_static_selectorELNS0_4arch9wavefront6targetE0EEEvT1_
    .private_segment_fixed_size: 0
    .sgpr_count:     0
    .sgpr_spill_count: 0
    .symbol:         _ZN7rocprim17ROCPRIM_400000_NS6detail17trampoline_kernelINS0_14default_configENS1_25partition_config_selectorILNS1_17partition_subalgoE6EsNS0_10empty_typeEbEEZZNS1_14partition_implILS5_6ELb0ES3_mN6thrust23THRUST_200600_302600_NS6detail15normal_iteratorINSA_10device_ptrIsEEEEPS6_SG_NS0_5tupleIJSF_S6_EEENSH_IJSG_SG_EEES6_PlJ5mod_3IsEEEE10hipError_tPvRmT3_T4_T5_T6_T7_T9_mT8_P12ihipStream_tbDpT10_ENKUlT_T0_E_clISt17integral_constantIbLb1EES16_EEDaS11_S12_EUlS11_E_NS1_11comp_targetILNS1_3genE8ELNS1_11target_archE1030ELNS1_3gpuE2ELNS1_3repE0EEENS1_30default_config_static_selectorELNS0_4arch9wavefront6targetE0EEEvT1_.kd
    .uniform_work_group_size: 1
    .uses_dynamic_stack: false
    .vgpr_count:     0
    .vgpr_spill_count: 0
    .wavefront_size: 32
    .workgroup_processor_mode: 1
  - .args:
      - .offset:         0
        .size:           112
        .value_kind:     by_value
    .group_segment_fixed_size: 0
    .kernarg_segment_align: 8
    .kernarg_segment_size: 112
    .language:       OpenCL C
    .language_version:
      - 2
      - 0
    .max_flat_workgroup_size: 256
    .name:           _ZN7rocprim17ROCPRIM_400000_NS6detail17trampoline_kernelINS0_14default_configENS1_25partition_config_selectorILNS1_17partition_subalgoE6EsNS0_10empty_typeEbEEZZNS1_14partition_implILS5_6ELb0ES3_mN6thrust23THRUST_200600_302600_NS6detail15normal_iteratorINSA_10device_ptrIsEEEEPS6_SG_NS0_5tupleIJSF_S6_EEENSH_IJSG_SG_EEES6_PlJ5mod_3IsEEEE10hipError_tPvRmT3_T4_T5_T6_T7_T9_mT8_P12ihipStream_tbDpT10_ENKUlT_T0_E_clISt17integral_constantIbLb1EES15_IbLb0EEEEDaS11_S12_EUlS11_E_NS1_11comp_targetILNS1_3genE0ELNS1_11target_archE4294967295ELNS1_3gpuE0ELNS1_3repE0EEENS1_30default_config_static_selectorELNS0_4arch9wavefront6targetE0EEEvT1_
    .private_segment_fixed_size: 0
    .sgpr_count:     0
    .sgpr_spill_count: 0
    .symbol:         _ZN7rocprim17ROCPRIM_400000_NS6detail17trampoline_kernelINS0_14default_configENS1_25partition_config_selectorILNS1_17partition_subalgoE6EsNS0_10empty_typeEbEEZZNS1_14partition_implILS5_6ELb0ES3_mN6thrust23THRUST_200600_302600_NS6detail15normal_iteratorINSA_10device_ptrIsEEEEPS6_SG_NS0_5tupleIJSF_S6_EEENSH_IJSG_SG_EEES6_PlJ5mod_3IsEEEE10hipError_tPvRmT3_T4_T5_T6_T7_T9_mT8_P12ihipStream_tbDpT10_ENKUlT_T0_E_clISt17integral_constantIbLb1EES15_IbLb0EEEEDaS11_S12_EUlS11_E_NS1_11comp_targetILNS1_3genE0ELNS1_11target_archE4294967295ELNS1_3gpuE0ELNS1_3repE0EEENS1_30default_config_static_selectorELNS0_4arch9wavefront6targetE0EEEvT1_.kd
    .uniform_work_group_size: 1
    .uses_dynamic_stack: false
    .vgpr_count:     0
    .vgpr_spill_count: 0
    .wavefront_size: 32
    .workgroup_processor_mode: 1
  - .args:
      - .offset:         0
        .size:           112
        .value_kind:     by_value
    .group_segment_fixed_size: 0
    .kernarg_segment_align: 8
    .kernarg_segment_size: 112
    .language:       OpenCL C
    .language_version:
      - 2
      - 0
    .max_flat_workgroup_size: 512
    .name:           _ZN7rocprim17ROCPRIM_400000_NS6detail17trampoline_kernelINS0_14default_configENS1_25partition_config_selectorILNS1_17partition_subalgoE6EsNS0_10empty_typeEbEEZZNS1_14partition_implILS5_6ELb0ES3_mN6thrust23THRUST_200600_302600_NS6detail15normal_iteratorINSA_10device_ptrIsEEEEPS6_SG_NS0_5tupleIJSF_S6_EEENSH_IJSG_SG_EEES6_PlJ5mod_3IsEEEE10hipError_tPvRmT3_T4_T5_T6_T7_T9_mT8_P12ihipStream_tbDpT10_ENKUlT_T0_E_clISt17integral_constantIbLb1EES15_IbLb0EEEEDaS11_S12_EUlS11_E_NS1_11comp_targetILNS1_3genE5ELNS1_11target_archE942ELNS1_3gpuE9ELNS1_3repE0EEENS1_30default_config_static_selectorELNS0_4arch9wavefront6targetE0EEEvT1_
    .private_segment_fixed_size: 0
    .sgpr_count:     0
    .sgpr_spill_count: 0
    .symbol:         _ZN7rocprim17ROCPRIM_400000_NS6detail17trampoline_kernelINS0_14default_configENS1_25partition_config_selectorILNS1_17partition_subalgoE6EsNS0_10empty_typeEbEEZZNS1_14partition_implILS5_6ELb0ES3_mN6thrust23THRUST_200600_302600_NS6detail15normal_iteratorINSA_10device_ptrIsEEEEPS6_SG_NS0_5tupleIJSF_S6_EEENSH_IJSG_SG_EEES6_PlJ5mod_3IsEEEE10hipError_tPvRmT3_T4_T5_T6_T7_T9_mT8_P12ihipStream_tbDpT10_ENKUlT_T0_E_clISt17integral_constantIbLb1EES15_IbLb0EEEEDaS11_S12_EUlS11_E_NS1_11comp_targetILNS1_3genE5ELNS1_11target_archE942ELNS1_3gpuE9ELNS1_3repE0EEENS1_30default_config_static_selectorELNS0_4arch9wavefront6targetE0EEEvT1_.kd
    .uniform_work_group_size: 1
    .uses_dynamic_stack: false
    .vgpr_count:     0
    .vgpr_spill_count: 0
    .wavefront_size: 32
    .workgroup_processor_mode: 1
  - .args:
      - .offset:         0
        .size:           112
        .value_kind:     by_value
    .group_segment_fixed_size: 0
    .kernarg_segment_align: 8
    .kernarg_segment_size: 112
    .language:       OpenCL C
    .language_version:
      - 2
      - 0
    .max_flat_workgroup_size: 256
    .name:           _ZN7rocprim17ROCPRIM_400000_NS6detail17trampoline_kernelINS0_14default_configENS1_25partition_config_selectorILNS1_17partition_subalgoE6EsNS0_10empty_typeEbEEZZNS1_14partition_implILS5_6ELb0ES3_mN6thrust23THRUST_200600_302600_NS6detail15normal_iteratorINSA_10device_ptrIsEEEEPS6_SG_NS0_5tupleIJSF_S6_EEENSH_IJSG_SG_EEES6_PlJ5mod_3IsEEEE10hipError_tPvRmT3_T4_T5_T6_T7_T9_mT8_P12ihipStream_tbDpT10_ENKUlT_T0_E_clISt17integral_constantIbLb1EES15_IbLb0EEEEDaS11_S12_EUlS11_E_NS1_11comp_targetILNS1_3genE4ELNS1_11target_archE910ELNS1_3gpuE8ELNS1_3repE0EEENS1_30default_config_static_selectorELNS0_4arch9wavefront6targetE0EEEvT1_
    .private_segment_fixed_size: 0
    .sgpr_count:     0
    .sgpr_spill_count: 0
    .symbol:         _ZN7rocprim17ROCPRIM_400000_NS6detail17trampoline_kernelINS0_14default_configENS1_25partition_config_selectorILNS1_17partition_subalgoE6EsNS0_10empty_typeEbEEZZNS1_14partition_implILS5_6ELb0ES3_mN6thrust23THRUST_200600_302600_NS6detail15normal_iteratorINSA_10device_ptrIsEEEEPS6_SG_NS0_5tupleIJSF_S6_EEENSH_IJSG_SG_EEES6_PlJ5mod_3IsEEEE10hipError_tPvRmT3_T4_T5_T6_T7_T9_mT8_P12ihipStream_tbDpT10_ENKUlT_T0_E_clISt17integral_constantIbLb1EES15_IbLb0EEEEDaS11_S12_EUlS11_E_NS1_11comp_targetILNS1_3genE4ELNS1_11target_archE910ELNS1_3gpuE8ELNS1_3repE0EEENS1_30default_config_static_selectorELNS0_4arch9wavefront6targetE0EEEvT1_.kd
    .uniform_work_group_size: 1
    .uses_dynamic_stack: false
    .vgpr_count:     0
    .vgpr_spill_count: 0
    .wavefront_size: 32
    .workgroup_processor_mode: 1
  - .args:
      - .offset:         0
        .size:           112
        .value_kind:     by_value
    .group_segment_fixed_size: 0
    .kernarg_segment_align: 8
    .kernarg_segment_size: 112
    .language:       OpenCL C
    .language_version:
      - 2
      - 0
    .max_flat_workgroup_size: 256
    .name:           _ZN7rocprim17ROCPRIM_400000_NS6detail17trampoline_kernelINS0_14default_configENS1_25partition_config_selectorILNS1_17partition_subalgoE6EsNS0_10empty_typeEbEEZZNS1_14partition_implILS5_6ELb0ES3_mN6thrust23THRUST_200600_302600_NS6detail15normal_iteratorINSA_10device_ptrIsEEEEPS6_SG_NS0_5tupleIJSF_S6_EEENSH_IJSG_SG_EEES6_PlJ5mod_3IsEEEE10hipError_tPvRmT3_T4_T5_T6_T7_T9_mT8_P12ihipStream_tbDpT10_ENKUlT_T0_E_clISt17integral_constantIbLb1EES15_IbLb0EEEEDaS11_S12_EUlS11_E_NS1_11comp_targetILNS1_3genE3ELNS1_11target_archE908ELNS1_3gpuE7ELNS1_3repE0EEENS1_30default_config_static_selectorELNS0_4arch9wavefront6targetE0EEEvT1_
    .private_segment_fixed_size: 0
    .sgpr_count:     0
    .sgpr_spill_count: 0
    .symbol:         _ZN7rocprim17ROCPRIM_400000_NS6detail17trampoline_kernelINS0_14default_configENS1_25partition_config_selectorILNS1_17partition_subalgoE6EsNS0_10empty_typeEbEEZZNS1_14partition_implILS5_6ELb0ES3_mN6thrust23THRUST_200600_302600_NS6detail15normal_iteratorINSA_10device_ptrIsEEEEPS6_SG_NS0_5tupleIJSF_S6_EEENSH_IJSG_SG_EEES6_PlJ5mod_3IsEEEE10hipError_tPvRmT3_T4_T5_T6_T7_T9_mT8_P12ihipStream_tbDpT10_ENKUlT_T0_E_clISt17integral_constantIbLb1EES15_IbLb0EEEEDaS11_S12_EUlS11_E_NS1_11comp_targetILNS1_3genE3ELNS1_11target_archE908ELNS1_3gpuE7ELNS1_3repE0EEENS1_30default_config_static_selectorELNS0_4arch9wavefront6targetE0EEEvT1_.kd
    .uniform_work_group_size: 1
    .uses_dynamic_stack: false
    .vgpr_count:     0
    .vgpr_spill_count: 0
    .wavefront_size: 32
    .workgroup_processor_mode: 1
  - .args:
      - .offset:         0
        .size:           112
        .value_kind:     by_value
    .group_segment_fixed_size: 0
    .kernarg_segment_align: 8
    .kernarg_segment_size: 112
    .language:       OpenCL C
    .language_version:
      - 2
      - 0
    .max_flat_workgroup_size: 256
    .name:           _ZN7rocprim17ROCPRIM_400000_NS6detail17trampoline_kernelINS0_14default_configENS1_25partition_config_selectorILNS1_17partition_subalgoE6EsNS0_10empty_typeEbEEZZNS1_14partition_implILS5_6ELb0ES3_mN6thrust23THRUST_200600_302600_NS6detail15normal_iteratorINSA_10device_ptrIsEEEEPS6_SG_NS0_5tupleIJSF_S6_EEENSH_IJSG_SG_EEES6_PlJ5mod_3IsEEEE10hipError_tPvRmT3_T4_T5_T6_T7_T9_mT8_P12ihipStream_tbDpT10_ENKUlT_T0_E_clISt17integral_constantIbLb1EES15_IbLb0EEEEDaS11_S12_EUlS11_E_NS1_11comp_targetILNS1_3genE2ELNS1_11target_archE906ELNS1_3gpuE6ELNS1_3repE0EEENS1_30default_config_static_selectorELNS0_4arch9wavefront6targetE0EEEvT1_
    .private_segment_fixed_size: 0
    .sgpr_count:     0
    .sgpr_spill_count: 0
    .symbol:         _ZN7rocprim17ROCPRIM_400000_NS6detail17trampoline_kernelINS0_14default_configENS1_25partition_config_selectorILNS1_17partition_subalgoE6EsNS0_10empty_typeEbEEZZNS1_14partition_implILS5_6ELb0ES3_mN6thrust23THRUST_200600_302600_NS6detail15normal_iteratorINSA_10device_ptrIsEEEEPS6_SG_NS0_5tupleIJSF_S6_EEENSH_IJSG_SG_EEES6_PlJ5mod_3IsEEEE10hipError_tPvRmT3_T4_T5_T6_T7_T9_mT8_P12ihipStream_tbDpT10_ENKUlT_T0_E_clISt17integral_constantIbLb1EES15_IbLb0EEEEDaS11_S12_EUlS11_E_NS1_11comp_targetILNS1_3genE2ELNS1_11target_archE906ELNS1_3gpuE6ELNS1_3repE0EEENS1_30default_config_static_selectorELNS0_4arch9wavefront6targetE0EEEvT1_.kd
    .uniform_work_group_size: 1
    .uses_dynamic_stack: false
    .vgpr_count:     0
    .vgpr_spill_count: 0
    .wavefront_size: 32
    .workgroup_processor_mode: 1
  - .args:
      - .offset:         0
        .size:           112
        .value_kind:     by_value
    .group_segment_fixed_size: 0
    .kernarg_segment_align: 8
    .kernarg_segment_size: 112
    .language:       OpenCL C
    .language_version:
      - 2
      - 0
    .max_flat_workgroup_size: 384
    .name:           _ZN7rocprim17ROCPRIM_400000_NS6detail17trampoline_kernelINS0_14default_configENS1_25partition_config_selectorILNS1_17partition_subalgoE6EsNS0_10empty_typeEbEEZZNS1_14partition_implILS5_6ELb0ES3_mN6thrust23THRUST_200600_302600_NS6detail15normal_iteratorINSA_10device_ptrIsEEEEPS6_SG_NS0_5tupleIJSF_S6_EEENSH_IJSG_SG_EEES6_PlJ5mod_3IsEEEE10hipError_tPvRmT3_T4_T5_T6_T7_T9_mT8_P12ihipStream_tbDpT10_ENKUlT_T0_E_clISt17integral_constantIbLb1EES15_IbLb0EEEEDaS11_S12_EUlS11_E_NS1_11comp_targetILNS1_3genE10ELNS1_11target_archE1200ELNS1_3gpuE4ELNS1_3repE0EEENS1_30default_config_static_selectorELNS0_4arch9wavefront6targetE0EEEvT1_
    .private_segment_fixed_size: 0
    .sgpr_count:     0
    .sgpr_spill_count: 0
    .symbol:         _ZN7rocprim17ROCPRIM_400000_NS6detail17trampoline_kernelINS0_14default_configENS1_25partition_config_selectorILNS1_17partition_subalgoE6EsNS0_10empty_typeEbEEZZNS1_14partition_implILS5_6ELb0ES3_mN6thrust23THRUST_200600_302600_NS6detail15normal_iteratorINSA_10device_ptrIsEEEEPS6_SG_NS0_5tupleIJSF_S6_EEENSH_IJSG_SG_EEES6_PlJ5mod_3IsEEEE10hipError_tPvRmT3_T4_T5_T6_T7_T9_mT8_P12ihipStream_tbDpT10_ENKUlT_T0_E_clISt17integral_constantIbLb1EES15_IbLb0EEEEDaS11_S12_EUlS11_E_NS1_11comp_targetILNS1_3genE10ELNS1_11target_archE1200ELNS1_3gpuE4ELNS1_3repE0EEENS1_30default_config_static_selectorELNS0_4arch9wavefront6targetE0EEEvT1_.kd
    .uniform_work_group_size: 1
    .uses_dynamic_stack: false
    .vgpr_count:     0
    .vgpr_spill_count: 0
    .wavefront_size: 32
    .workgroup_processor_mode: 1
  - .args:
      - .offset:         0
        .size:           112
        .value_kind:     by_value
    .group_segment_fixed_size: 7696
    .kernarg_segment_align: 8
    .kernarg_segment_size: 112
    .language:       OpenCL C
    .language_version:
      - 2
      - 0
    .max_flat_workgroup_size: 128
    .name:           _ZN7rocprim17ROCPRIM_400000_NS6detail17trampoline_kernelINS0_14default_configENS1_25partition_config_selectorILNS1_17partition_subalgoE6EsNS0_10empty_typeEbEEZZNS1_14partition_implILS5_6ELb0ES3_mN6thrust23THRUST_200600_302600_NS6detail15normal_iteratorINSA_10device_ptrIsEEEEPS6_SG_NS0_5tupleIJSF_S6_EEENSH_IJSG_SG_EEES6_PlJ5mod_3IsEEEE10hipError_tPvRmT3_T4_T5_T6_T7_T9_mT8_P12ihipStream_tbDpT10_ENKUlT_T0_E_clISt17integral_constantIbLb1EES15_IbLb0EEEEDaS11_S12_EUlS11_E_NS1_11comp_targetILNS1_3genE9ELNS1_11target_archE1100ELNS1_3gpuE3ELNS1_3repE0EEENS1_30default_config_static_selectorELNS0_4arch9wavefront6targetE0EEEvT1_
    .private_segment_fixed_size: 0
    .sgpr_count:     22
    .sgpr_spill_count: 0
    .symbol:         _ZN7rocprim17ROCPRIM_400000_NS6detail17trampoline_kernelINS0_14default_configENS1_25partition_config_selectorILNS1_17partition_subalgoE6EsNS0_10empty_typeEbEEZZNS1_14partition_implILS5_6ELb0ES3_mN6thrust23THRUST_200600_302600_NS6detail15normal_iteratorINSA_10device_ptrIsEEEEPS6_SG_NS0_5tupleIJSF_S6_EEENSH_IJSG_SG_EEES6_PlJ5mod_3IsEEEE10hipError_tPvRmT3_T4_T5_T6_T7_T9_mT8_P12ihipStream_tbDpT10_ENKUlT_T0_E_clISt17integral_constantIbLb1EES15_IbLb0EEEEDaS11_S12_EUlS11_E_NS1_11comp_targetILNS1_3genE9ELNS1_11target_archE1100ELNS1_3gpuE3ELNS1_3repE0EEENS1_30default_config_static_selectorELNS0_4arch9wavefront6targetE0EEEvT1_.kd
    .uniform_work_group_size: 1
    .uses_dynamic_stack: false
    .vgpr_count:     130
    .vgpr_spill_count: 0
    .wavefront_size: 32
    .workgroup_processor_mode: 1
  - .args:
      - .offset:         0
        .size:           112
        .value_kind:     by_value
    .group_segment_fixed_size: 0
    .kernarg_segment_align: 8
    .kernarg_segment_size: 112
    .language:       OpenCL C
    .language_version:
      - 2
      - 0
    .max_flat_workgroup_size: 256
    .name:           _ZN7rocprim17ROCPRIM_400000_NS6detail17trampoline_kernelINS0_14default_configENS1_25partition_config_selectorILNS1_17partition_subalgoE6EsNS0_10empty_typeEbEEZZNS1_14partition_implILS5_6ELb0ES3_mN6thrust23THRUST_200600_302600_NS6detail15normal_iteratorINSA_10device_ptrIsEEEEPS6_SG_NS0_5tupleIJSF_S6_EEENSH_IJSG_SG_EEES6_PlJ5mod_3IsEEEE10hipError_tPvRmT3_T4_T5_T6_T7_T9_mT8_P12ihipStream_tbDpT10_ENKUlT_T0_E_clISt17integral_constantIbLb1EES15_IbLb0EEEEDaS11_S12_EUlS11_E_NS1_11comp_targetILNS1_3genE8ELNS1_11target_archE1030ELNS1_3gpuE2ELNS1_3repE0EEENS1_30default_config_static_selectorELNS0_4arch9wavefront6targetE0EEEvT1_
    .private_segment_fixed_size: 0
    .sgpr_count:     0
    .sgpr_spill_count: 0
    .symbol:         _ZN7rocprim17ROCPRIM_400000_NS6detail17trampoline_kernelINS0_14default_configENS1_25partition_config_selectorILNS1_17partition_subalgoE6EsNS0_10empty_typeEbEEZZNS1_14partition_implILS5_6ELb0ES3_mN6thrust23THRUST_200600_302600_NS6detail15normal_iteratorINSA_10device_ptrIsEEEEPS6_SG_NS0_5tupleIJSF_S6_EEENSH_IJSG_SG_EEES6_PlJ5mod_3IsEEEE10hipError_tPvRmT3_T4_T5_T6_T7_T9_mT8_P12ihipStream_tbDpT10_ENKUlT_T0_E_clISt17integral_constantIbLb1EES15_IbLb0EEEEDaS11_S12_EUlS11_E_NS1_11comp_targetILNS1_3genE8ELNS1_11target_archE1030ELNS1_3gpuE2ELNS1_3repE0EEENS1_30default_config_static_selectorELNS0_4arch9wavefront6targetE0EEEvT1_.kd
    .uniform_work_group_size: 1
    .uses_dynamic_stack: false
    .vgpr_count:     0
    .vgpr_spill_count: 0
    .wavefront_size: 32
    .workgroup_processor_mode: 1
  - .args:
      - .offset:         0
        .size:           128
        .value_kind:     by_value
    .group_segment_fixed_size: 0
    .kernarg_segment_align: 8
    .kernarg_segment_size: 128
    .language:       OpenCL C
    .language_version:
      - 2
      - 0
    .max_flat_workgroup_size: 256
    .name:           _ZN7rocprim17ROCPRIM_400000_NS6detail17trampoline_kernelINS0_14default_configENS1_25partition_config_selectorILNS1_17partition_subalgoE6EsNS0_10empty_typeEbEEZZNS1_14partition_implILS5_6ELb0ES3_mN6thrust23THRUST_200600_302600_NS6detail15normal_iteratorINSA_10device_ptrIsEEEEPS6_SG_NS0_5tupleIJSF_S6_EEENSH_IJSG_SG_EEES6_PlJ5mod_3IsEEEE10hipError_tPvRmT3_T4_T5_T6_T7_T9_mT8_P12ihipStream_tbDpT10_ENKUlT_T0_E_clISt17integral_constantIbLb0EES15_IbLb1EEEEDaS11_S12_EUlS11_E_NS1_11comp_targetILNS1_3genE0ELNS1_11target_archE4294967295ELNS1_3gpuE0ELNS1_3repE0EEENS1_30default_config_static_selectorELNS0_4arch9wavefront6targetE0EEEvT1_
    .private_segment_fixed_size: 0
    .sgpr_count:     0
    .sgpr_spill_count: 0
    .symbol:         _ZN7rocprim17ROCPRIM_400000_NS6detail17trampoline_kernelINS0_14default_configENS1_25partition_config_selectorILNS1_17partition_subalgoE6EsNS0_10empty_typeEbEEZZNS1_14partition_implILS5_6ELb0ES3_mN6thrust23THRUST_200600_302600_NS6detail15normal_iteratorINSA_10device_ptrIsEEEEPS6_SG_NS0_5tupleIJSF_S6_EEENSH_IJSG_SG_EEES6_PlJ5mod_3IsEEEE10hipError_tPvRmT3_T4_T5_T6_T7_T9_mT8_P12ihipStream_tbDpT10_ENKUlT_T0_E_clISt17integral_constantIbLb0EES15_IbLb1EEEEDaS11_S12_EUlS11_E_NS1_11comp_targetILNS1_3genE0ELNS1_11target_archE4294967295ELNS1_3gpuE0ELNS1_3repE0EEENS1_30default_config_static_selectorELNS0_4arch9wavefront6targetE0EEEvT1_.kd
    .uniform_work_group_size: 1
    .uses_dynamic_stack: false
    .vgpr_count:     0
    .vgpr_spill_count: 0
    .wavefront_size: 32
    .workgroup_processor_mode: 1
  - .args:
      - .offset:         0
        .size:           128
        .value_kind:     by_value
    .group_segment_fixed_size: 0
    .kernarg_segment_align: 8
    .kernarg_segment_size: 128
    .language:       OpenCL C
    .language_version:
      - 2
      - 0
    .max_flat_workgroup_size: 512
    .name:           _ZN7rocprim17ROCPRIM_400000_NS6detail17trampoline_kernelINS0_14default_configENS1_25partition_config_selectorILNS1_17partition_subalgoE6EsNS0_10empty_typeEbEEZZNS1_14partition_implILS5_6ELb0ES3_mN6thrust23THRUST_200600_302600_NS6detail15normal_iteratorINSA_10device_ptrIsEEEEPS6_SG_NS0_5tupleIJSF_S6_EEENSH_IJSG_SG_EEES6_PlJ5mod_3IsEEEE10hipError_tPvRmT3_T4_T5_T6_T7_T9_mT8_P12ihipStream_tbDpT10_ENKUlT_T0_E_clISt17integral_constantIbLb0EES15_IbLb1EEEEDaS11_S12_EUlS11_E_NS1_11comp_targetILNS1_3genE5ELNS1_11target_archE942ELNS1_3gpuE9ELNS1_3repE0EEENS1_30default_config_static_selectorELNS0_4arch9wavefront6targetE0EEEvT1_
    .private_segment_fixed_size: 0
    .sgpr_count:     0
    .sgpr_spill_count: 0
    .symbol:         _ZN7rocprim17ROCPRIM_400000_NS6detail17trampoline_kernelINS0_14default_configENS1_25partition_config_selectorILNS1_17partition_subalgoE6EsNS0_10empty_typeEbEEZZNS1_14partition_implILS5_6ELb0ES3_mN6thrust23THRUST_200600_302600_NS6detail15normal_iteratorINSA_10device_ptrIsEEEEPS6_SG_NS0_5tupleIJSF_S6_EEENSH_IJSG_SG_EEES6_PlJ5mod_3IsEEEE10hipError_tPvRmT3_T4_T5_T6_T7_T9_mT8_P12ihipStream_tbDpT10_ENKUlT_T0_E_clISt17integral_constantIbLb0EES15_IbLb1EEEEDaS11_S12_EUlS11_E_NS1_11comp_targetILNS1_3genE5ELNS1_11target_archE942ELNS1_3gpuE9ELNS1_3repE0EEENS1_30default_config_static_selectorELNS0_4arch9wavefront6targetE0EEEvT1_.kd
    .uniform_work_group_size: 1
    .uses_dynamic_stack: false
    .vgpr_count:     0
    .vgpr_spill_count: 0
    .wavefront_size: 32
    .workgroup_processor_mode: 1
  - .args:
      - .offset:         0
        .size:           128
        .value_kind:     by_value
    .group_segment_fixed_size: 0
    .kernarg_segment_align: 8
    .kernarg_segment_size: 128
    .language:       OpenCL C
    .language_version:
      - 2
      - 0
    .max_flat_workgroup_size: 256
    .name:           _ZN7rocprim17ROCPRIM_400000_NS6detail17trampoline_kernelINS0_14default_configENS1_25partition_config_selectorILNS1_17partition_subalgoE6EsNS0_10empty_typeEbEEZZNS1_14partition_implILS5_6ELb0ES3_mN6thrust23THRUST_200600_302600_NS6detail15normal_iteratorINSA_10device_ptrIsEEEEPS6_SG_NS0_5tupleIJSF_S6_EEENSH_IJSG_SG_EEES6_PlJ5mod_3IsEEEE10hipError_tPvRmT3_T4_T5_T6_T7_T9_mT8_P12ihipStream_tbDpT10_ENKUlT_T0_E_clISt17integral_constantIbLb0EES15_IbLb1EEEEDaS11_S12_EUlS11_E_NS1_11comp_targetILNS1_3genE4ELNS1_11target_archE910ELNS1_3gpuE8ELNS1_3repE0EEENS1_30default_config_static_selectorELNS0_4arch9wavefront6targetE0EEEvT1_
    .private_segment_fixed_size: 0
    .sgpr_count:     0
    .sgpr_spill_count: 0
    .symbol:         _ZN7rocprim17ROCPRIM_400000_NS6detail17trampoline_kernelINS0_14default_configENS1_25partition_config_selectorILNS1_17partition_subalgoE6EsNS0_10empty_typeEbEEZZNS1_14partition_implILS5_6ELb0ES3_mN6thrust23THRUST_200600_302600_NS6detail15normal_iteratorINSA_10device_ptrIsEEEEPS6_SG_NS0_5tupleIJSF_S6_EEENSH_IJSG_SG_EEES6_PlJ5mod_3IsEEEE10hipError_tPvRmT3_T4_T5_T6_T7_T9_mT8_P12ihipStream_tbDpT10_ENKUlT_T0_E_clISt17integral_constantIbLb0EES15_IbLb1EEEEDaS11_S12_EUlS11_E_NS1_11comp_targetILNS1_3genE4ELNS1_11target_archE910ELNS1_3gpuE8ELNS1_3repE0EEENS1_30default_config_static_selectorELNS0_4arch9wavefront6targetE0EEEvT1_.kd
    .uniform_work_group_size: 1
    .uses_dynamic_stack: false
    .vgpr_count:     0
    .vgpr_spill_count: 0
    .wavefront_size: 32
    .workgroup_processor_mode: 1
  - .args:
      - .offset:         0
        .size:           128
        .value_kind:     by_value
    .group_segment_fixed_size: 0
    .kernarg_segment_align: 8
    .kernarg_segment_size: 128
    .language:       OpenCL C
    .language_version:
      - 2
      - 0
    .max_flat_workgroup_size: 256
    .name:           _ZN7rocprim17ROCPRIM_400000_NS6detail17trampoline_kernelINS0_14default_configENS1_25partition_config_selectorILNS1_17partition_subalgoE6EsNS0_10empty_typeEbEEZZNS1_14partition_implILS5_6ELb0ES3_mN6thrust23THRUST_200600_302600_NS6detail15normal_iteratorINSA_10device_ptrIsEEEEPS6_SG_NS0_5tupleIJSF_S6_EEENSH_IJSG_SG_EEES6_PlJ5mod_3IsEEEE10hipError_tPvRmT3_T4_T5_T6_T7_T9_mT8_P12ihipStream_tbDpT10_ENKUlT_T0_E_clISt17integral_constantIbLb0EES15_IbLb1EEEEDaS11_S12_EUlS11_E_NS1_11comp_targetILNS1_3genE3ELNS1_11target_archE908ELNS1_3gpuE7ELNS1_3repE0EEENS1_30default_config_static_selectorELNS0_4arch9wavefront6targetE0EEEvT1_
    .private_segment_fixed_size: 0
    .sgpr_count:     0
    .sgpr_spill_count: 0
    .symbol:         _ZN7rocprim17ROCPRIM_400000_NS6detail17trampoline_kernelINS0_14default_configENS1_25partition_config_selectorILNS1_17partition_subalgoE6EsNS0_10empty_typeEbEEZZNS1_14partition_implILS5_6ELb0ES3_mN6thrust23THRUST_200600_302600_NS6detail15normal_iteratorINSA_10device_ptrIsEEEEPS6_SG_NS0_5tupleIJSF_S6_EEENSH_IJSG_SG_EEES6_PlJ5mod_3IsEEEE10hipError_tPvRmT3_T4_T5_T6_T7_T9_mT8_P12ihipStream_tbDpT10_ENKUlT_T0_E_clISt17integral_constantIbLb0EES15_IbLb1EEEEDaS11_S12_EUlS11_E_NS1_11comp_targetILNS1_3genE3ELNS1_11target_archE908ELNS1_3gpuE7ELNS1_3repE0EEENS1_30default_config_static_selectorELNS0_4arch9wavefront6targetE0EEEvT1_.kd
    .uniform_work_group_size: 1
    .uses_dynamic_stack: false
    .vgpr_count:     0
    .vgpr_spill_count: 0
    .wavefront_size: 32
    .workgroup_processor_mode: 1
  - .args:
      - .offset:         0
        .size:           128
        .value_kind:     by_value
    .group_segment_fixed_size: 0
    .kernarg_segment_align: 8
    .kernarg_segment_size: 128
    .language:       OpenCL C
    .language_version:
      - 2
      - 0
    .max_flat_workgroup_size: 256
    .name:           _ZN7rocprim17ROCPRIM_400000_NS6detail17trampoline_kernelINS0_14default_configENS1_25partition_config_selectorILNS1_17partition_subalgoE6EsNS0_10empty_typeEbEEZZNS1_14partition_implILS5_6ELb0ES3_mN6thrust23THRUST_200600_302600_NS6detail15normal_iteratorINSA_10device_ptrIsEEEEPS6_SG_NS0_5tupleIJSF_S6_EEENSH_IJSG_SG_EEES6_PlJ5mod_3IsEEEE10hipError_tPvRmT3_T4_T5_T6_T7_T9_mT8_P12ihipStream_tbDpT10_ENKUlT_T0_E_clISt17integral_constantIbLb0EES15_IbLb1EEEEDaS11_S12_EUlS11_E_NS1_11comp_targetILNS1_3genE2ELNS1_11target_archE906ELNS1_3gpuE6ELNS1_3repE0EEENS1_30default_config_static_selectorELNS0_4arch9wavefront6targetE0EEEvT1_
    .private_segment_fixed_size: 0
    .sgpr_count:     0
    .sgpr_spill_count: 0
    .symbol:         _ZN7rocprim17ROCPRIM_400000_NS6detail17trampoline_kernelINS0_14default_configENS1_25partition_config_selectorILNS1_17partition_subalgoE6EsNS0_10empty_typeEbEEZZNS1_14partition_implILS5_6ELb0ES3_mN6thrust23THRUST_200600_302600_NS6detail15normal_iteratorINSA_10device_ptrIsEEEEPS6_SG_NS0_5tupleIJSF_S6_EEENSH_IJSG_SG_EEES6_PlJ5mod_3IsEEEE10hipError_tPvRmT3_T4_T5_T6_T7_T9_mT8_P12ihipStream_tbDpT10_ENKUlT_T0_E_clISt17integral_constantIbLb0EES15_IbLb1EEEEDaS11_S12_EUlS11_E_NS1_11comp_targetILNS1_3genE2ELNS1_11target_archE906ELNS1_3gpuE6ELNS1_3repE0EEENS1_30default_config_static_selectorELNS0_4arch9wavefront6targetE0EEEvT1_.kd
    .uniform_work_group_size: 1
    .uses_dynamic_stack: false
    .vgpr_count:     0
    .vgpr_spill_count: 0
    .wavefront_size: 32
    .workgroup_processor_mode: 1
  - .args:
      - .offset:         0
        .size:           128
        .value_kind:     by_value
    .group_segment_fixed_size: 0
    .kernarg_segment_align: 8
    .kernarg_segment_size: 128
    .language:       OpenCL C
    .language_version:
      - 2
      - 0
    .max_flat_workgroup_size: 384
    .name:           _ZN7rocprim17ROCPRIM_400000_NS6detail17trampoline_kernelINS0_14default_configENS1_25partition_config_selectorILNS1_17partition_subalgoE6EsNS0_10empty_typeEbEEZZNS1_14partition_implILS5_6ELb0ES3_mN6thrust23THRUST_200600_302600_NS6detail15normal_iteratorINSA_10device_ptrIsEEEEPS6_SG_NS0_5tupleIJSF_S6_EEENSH_IJSG_SG_EEES6_PlJ5mod_3IsEEEE10hipError_tPvRmT3_T4_T5_T6_T7_T9_mT8_P12ihipStream_tbDpT10_ENKUlT_T0_E_clISt17integral_constantIbLb0EES15_IbLb1EEEEDaS11_S12_EUlS11_E_NS1_11comp_targetILNS1_3genE10ELNS1_11target_archE1200ELNS1_3gpuE4ELNS1_3repE0EEENS1_30default_config_static_selectorELNS0_4arch9wavefront6targetE0EEEvT1_
    .private_segment_fixed_size: 0
    .sgpr_count:     0
    .sgpr_spill_count: 0
    .symbol:         _ZN7rocprim17ROCPRIM_400000_NS6detail17trampoline_kernelINS0_14default_configENS1_25partition_config_selectorILNS1_17partition_subalgoE6EsNS0_10empty_typeEbEEZZNS1_14partition_implILS5_6ELb0ES3_mN6thrust23THRUST_200600_302600_NS6detail15normal_iteratorINSA_10device_ptrIsEEEEPS6_SG_NS0_5tupleIJSF_S6_EEENSH_IJSG_SG_EEES6_PlJ5mod_3IsEEEE10hipError_tPvRmT3_T4_T5_T6_T7_T9_mT8_P12ihipStream_tbDpT10_ENKUlT_T0_E_clISt17integral_constantIbLb0EES15_IbLb1EEEEDaS11_S12_EUlS11_E_NS1_11comp_targetILNS1_3genE10ELNS1_11target_archE1200ELNS1_3gpuE4ELNS1_3repE0EEENS1_30default_config_static_selectorELNS0_4arch9wavefront6targetE0EEEvT1_.kd
    .uniform_work_group_size: 1
    .uses_dynamic_stack: false
    .vgpr_count:     0
    .vgpr_spill_count: 0
    .wavefront_size: 32
    .workgroup_processor_mode: 1
  - .args:
      - .offset:         0
        .size:           128
        .value_kind:     by_value
    .group_segment_fixed_size: 7696
    .kernarg_segment_align: 8
    .kernarg_segment_size: 128
    .language:       OpenCL C
    .language_version:
      - 2
      - 0
    .max_flat_workgroup_size: 128
    .name:           _ZN7rocprim17ROCPRIM_400000_NS6detail17trampoline_kernelINS0_14default_configENS1_25partition_config_selectorILNS1_17partition_subalgoE6EsNS0_10empty_typeEbEEZZNS1_14partition_implILS5_6ELb0ES3_mN6thrust23THRUST_200600_302600_NS6detail15normal_iteratorINSA_10device_ptrIsEEEEPS6_SG_NS0_5tupleIJSF_S6_EEENSH_IJSG_SG_EEES6_PlJ5mod_3IsEEEE10hipError_tPvRmT3_T4_T5_T6_T7_T9_mT8_P12ihipStream_tbDpT10_ENKUlT_T0_E_clISt17integral_constantIbLb0EES15_IbLb1EEEEDaS11_S12_EUlS11_E_NS1_11comp_targetILNS1_3genE9ELNS1_11target_archE1100ELNS1_3gpuE3ELNS1_3repE0EEENS1_30default_config_static_selectorELNS0_4arch9wavefront6targetE0EEEvT1_
    .private_segment_fixed_size: 0
    .sgpr_count:     21
    .sgpr_spill_count: 0
    .symbol:         _ZN7rocprim17ROCPRIM_400000_NS6detail17trampoline_kernelINS0_14default_configENS1_25partition_config_selectorILNS1_17partition_subalgoE6EsNS0_10empty_typeEbEEZZNS1_14partition_implILS5_6ELb0ES3_mN6thrust23THRUST_200600_302600_NS6detail15normal_iteratorINSA_10device_ptrIsEEEEPS6_SG_NS0_5tupleIJSF_S6_EEENSH_IJSG_SG_EEES6_PlJ5mod_3IsEEEE10hipError_tPvRmT3_T4_T5_T6_T7_T9_mT8_P12ihipStream_tbDpT10_ENKUlT_T0_E_clISt17integral_constantIbLb0EES15_IbLb1EEEEDaS11_S12_EUlS11_E_NS1_11comp_targetILNS1_3genE9ELNS1_11target_archE1100ELNS1_3gpuE3ELNS1_3repE0EEENS1_30default_config_static_selectorELNS0_4arch9wavefront6targetE0EEEvT1_.kd
    .uniform_work_group_size: 1
    .uses_dynamic_stack: false
    .vgpr_count:     133
    .vgpr_spill_count: 0
    .wavefront_size: 32
    .workgroup_processor_mode: 1
  - .args:
      - .offset:         0
        .size:           128
        .value_kind:     by_value
    .group_segment_fixed_size: 0
    .kernarg_segment_align: 8
    .kernarg_segment_size: 128
    .language:       OpenCL C
    .language_version:
      - 2
      - 0
    .max_flat_workgroup_size: 256
    .name:           _ZN7rocprim17ROCPRIM_400000_NS6detail17trampoline_kernelINS0_14default_configENS1_25partition_config_selectorILNS1_17partition_subalgoE6EsNS0_10empty_typeEbEEZZNS1_14partition_implILS5_6ELb0ES3_mN6thrust23THRUST_200600_302600_NS6detail15normal_iteratorINSA_10device_ptrIsEEEEPS6_SG_NS0_5tupleIJSF_S6_EEENSH_IJSG_SG_EEES6_PlJ5mod_3IsEEEE10hipError_tPvRmT3_T4_T5_T6_T7_T9_mT8_P12ihipStream_tbDpT10_ENKUlT_T0_E_clISt17integral_constantIbLb0EES15_IbLb1EEEEDaS11_S12_EUlS11_E_NS1_11comp_targetILNS1_3genE8ELNS1_11target_archE1030ELNS1_3gpuE2ELNS1_3repE0EEENS1_30default_config_static_selectorELNS0_4arch9wavefront6targetE0EEEvT1_
    .private_segment_fixed_size: 0
    .sgpr_count:     0
    .sgpr_spill_count: 0
    .symbol:         _ZN7rocprim17ROCPRIM_400000_NS6detail17trampoline_kernelINS0_14default_configENS1_25partition_config_selectorILNS1_17partition_subalgoE6EsNS0_10empty_typeEbEEZZNS1_14partition_implILS5_6ELb0ES3_mN6thrust23THRUST_200600_302600_NS6detail15normal_iteratorINSA_10device_ptrIsEEEEPS6_SG_NS0_5tupleIJSF_S6_EEENSH_IJSG_SG_EEES6_PlJ5mod_3IsEEEE10hipError_tPvRmT3_T4_T5_T6_T7_T9_mT8_P12ihipStream_tbDpT10_ENKUlT_T0_E_clISt17integral_constantIbLb0EES15_IbLb1EEEEDaS11_S12_EUlS11_E_NS1_11comp_targetILNS1_3genE8ELNS1_11target_archE1030ELNS1_3gpuE2ELNS1_3repE0EEENS1_30default_config_static_selectorELNS0_4arch9wavefront6targetE0EEEvT1_.kd
    .uniform_work_group_size: 1
    .uses_dynamic_stack: false
    .vgpr_count:     0
    .vgpr_spill_count: 0
    .wavefront_size: 32
    .workgroup_processor_mode: 1
  - .args:
      - .offset:         0
        .size:           16
        .value_kind:     by_value
      - .offset:         16
        .size:           8
        .value_kind:     by_value
      - .offset:         24
        .size:           8
        .value_kind:     by_value
    .group_segment_fixed_size: 0
    .kernarg_segment_align: 8
    .kernarg_segment_size: 32
    .language:       OpenCL C
    .language_version:
      - 2
      - 0
    .max_flat_workgroup_size: 256
    .name:           _ZN6thrust23THRUST_200600_302600_NS11hip_rocprim14__parallel_for6kernelILj256ENS1_10for_each_fINS0_10device_ptrI10large_dataEENS0_6detail16wrapped_functionINS8_23allocator_traits_detail24construct1_via_allocatorINS0_16device_allocatorIS6_EEEEvEEEEmLj1EEEvT0_T1_SI_
    .private_segment_fixed_size: 0
    .sgpr_count:     18
    .sgpr_spill_count: 0
    .symbol:         _ZN6thrust23THRUST_200600_302600_NS11hip_rocprim14__parallel_for6kernelILj256ENS1_10for_each_fINS0_10device_ptrI10large_dataEENS0_6detail16wrapped_functionINS8_23allocator_traits_detail24construct1_via_allocatorINS0_16device_allocatorIS6_EEEEvEEEEmLj1EEEvT0_T1_SI_.kd
    .uniform_work_group_size: 1
    .uses_dynamic_stack: false
    .vgpr_count:     4
    .vgpr_spill_count: 0
    .wavefront_size: 32
    .workgroup_processor_mode: 1
  - .args:
      - .offset:         0
        .size:           1032
        .value_kind:     by_value
      - .offset:         1032
        .size:           8
        .value_kind:     by_value
      - .offset:         1040
        .size:           8
        .value_kind:     by_value
    .group_segment_fixed_size: 0
    .kernarg_segment_align: 8
    .kernarg_segment_size: 1048
    .language:       OpenCL C
    .language_version:
      - 2
      - 0
    .max_flat_workgroup_size: 256
    .name:           _ZN6thrust23THRUST_200600_302600_NS11hip_rocprim14__parallel_for6kernelILj256ENS1_10__tabulate7functorINS0_6detail15normal_iteratorINS0_10device_ptrI10large_dataEEEENS0_6system6detail7generic6detail22compute_sequence_valueIS9_vEElEElLj1EEEvT0_T1_SK_
    .private_segment_fixed_size: 0
    .sgpr_count:     18
    .sgpr_spill_count: 0
    .symbol:         _ZN6thrust23THRUST_200600_302600_NS11hip_rocprim14__parallel_for6kernelILj256ENS1_10__tabulate7functorINS0_6detail15normal_iteratorINS0_10device_ptrI10large_dataEEEENS0_6system6detail7generic6detail22compute_sequence_valueIS9_vEElEElLj1EEEvT0_T1_SK_.kd
    .uniform_work_group_size: 1
    .uses_dynamic_stack: false
    .vgpr_count:     4
    .vgpr_spill_count: 0
    .wavefront_size: 32
    .workgroup_processor_mode: 1
  - .args:
      - .offset:         0
        .size:           120
        .value_kind:     by_value
    .group_segment_fixed_size: 0
    .kernarg_segment_align: 8
    .kernarg_segment_size: 120
    .language:       OpenCL C
    .language_version:
      - 2
      - 0
    .max_flat_workgroup_size: 256
    .name:           _ZN7rocprim17ROCPRIM_400000_NS6detail17trampoline_kernelINS0_14default_configENS1_25partition_config_selectorILNS1_17partition_subalgoE5E10large_dataNS0_10empty_typeEbEEZZNS1_14partition_implILS5_5ELb0ES3_mN6thrust23THRUST_200600_302600_NS6detail15normal_iteratorINSB_10device_ptrIS6_EEEEPS7_NSB_18transform_iteratorI7is_evenIS6_ESG_NSB_11use_defaultESL_EENS0_5tupleIJSG_S7_EEENSN_IJSH_SH_EEES7_PlJS7_EEE10hipError_tPvRmT3_T4_T5_T6_T7_T9_mT8_P12ihipStream_tbDpT10_ENKUlT_T0_E_clISt17integral_constantIbLb0EES1A_EEDaS15_S16_EUlS15_E_NS1_11comp_targetILNS1_3genE0ELNS1_11target_archE4294967295ELNS1_3gpuE0ELNS1_3repE0EEENS1_30default_config_static_selectorELNS0_4arch9wavefront6targetE0EEEvT1_
    .private_segment_fixed_size: 0
    .sgpr_count:     0
    .sgpr_spill_count: 0
    .symbol:         _ZN7rocprim17ROCPRIM_400000_NS6detail17trampoline_kernelINS0_14default_configENS1_25partition_config_selectorILNS1_17partition_subalgoE5E10large_dataNS0_10empty_typeEbEEZZNS1_14partition_implILS5_5ELb0ES3_mN6thrust23THRUST_200600_302600_NS6detail15normal_iteratorINSB_10device_ptrIS6_EEEEPS7_NSB_18transform_iteratorI7is_evenIS6_ESG_NSB_11use_defaultESL_EENS0_5tupleIJSG_S7_EEENSN_IJSH_SH_EEES7_PlJS7_EEE10hipError_tPvRmT3_T4_T5_T6_T7_T9_mT8_P12ihipStream_tbDpT10_ENKUlT_T0_E_clISt17integral_constantIbLb0EES1A_EEDaS15_S16_EUlS15_E_NS1_11comp_targetILNS1_3genE0ELNS1_11target_archE4294967295ELNS1_3gpuE0ELNS1_3repE0EEENS1_30default_config_static_selectorELNS0_4arch9wavefront6targetE0EEEvT1_.kd
    .uniform_work_group_size: 1
    .uses_dynamic_stack: false
    .vgpr_count:     0
    .vgpr_spill_count: 0
    .wavefront_size: 32
    .workgroup_processor_mode: 1
  - .args:
      - .offset:         0
        .size:           120
        .value_kind:     by_value
    .group_segment_fixed_size: 0
    .kernarg_segment_align: 8
    .kernarg_segment_size: 120
    .language:       OpenCL C
    .language_version:
      - 2
      - 0
    .max_flat_workgroup_size: 256
    .name:           _ZN7rocprim17ROCPRIM_400000_NS6detail17trampoline_kernelINS0_14default_configENS1_25partition_config_selectorILNS1_17partition_subalgoE5E10large_dataNS0_10empty_typeEbEEZZNS1_14partition_implILS5_5ELb0ES3_mN6thrust23THRUST_200600_302600_NS6detail15normal_iteratorINSB_10device_ptrIS6_EEEEPS7_NSB_18transform_iteratorI7is_evenIS6_ESG_NSB_11use_defaultESL_EENS0_5tupleIJSG_S7_EEENSN_IJSH_SH_EEES7_PlJS7_EEE10hipError_tPvRmT3_T4_T5_T6_T7_T9_mT8_P12ihipStream_tbDpT10_ENKUlT_T0_E_clISt17integral_constantIbLb0EES1A_EEDaS15_S16_EUlS15_E_NS1_11comp_targetILNS1_3genE5ELNS1_11target_archE942ELNS1_3gpuE9ELNS1_3repE0EEENS1_30default_config_static_selectorELNS0_4arch9wavefront6targetE0EEEvT1_
    .private_segment_fixed_size: 0
    .sgpr_count:     0
    .sgpr_spill_count: 0
    .symbol:         _ZN7rocprim17ROCPRIM_400000_NS6detail17trampoline_kernelINS0_14default_configENS1_25partition_config_selectorILNS1_17partition_subalgoE5E10large_dataNS0_10empty_typeEbEEZZNS1_14partition_implILS5_5ELb0ES3_mN6thrust23THRUST_200600_302600_NS6detail15normal_iteratorINSB_10device_ptrIS6_EEEEPS7_NSB_18transform_iteratorI7is_evenIS6_ESG_NSB_11use_defaultESL_EENS0_5tupleIJSG_S7_EEENSN_IJSH_SH_EEES7_PlJS7_EEE10hipError_tPvRmT3_T4_T5_T6_T7_T9_mT8_P12ihipStream_tbDpT10_ENKUlT_T0_E_clISt17integral_constantIbLb0EES1A_EEDaS15_S16_EUlS15_E_NS1_11comp_targetILNS1_3genE5ELNS1_11target_archE942ELNS1_3gpuE9ELNS1_3repE0EEENS1_30default_config_static_selectorELNS0_4arch9wavefront6targetE0EEEvT1_.kd
    .uniform_work_group_size: 1
    .uses_dynamic_stack: false
    .vgpr_count:     0
    .vgpr_spill_count: 0
    .wavefront_size: 32
    .workgroup_processor_mode: 1
  - .args:
      - .offset:         0
        .size:           120
        .value_kind:     by_value
    .group_segment_fixed_size: 0
    .kernarg_segment_align: 8
    .kernarg_segment_size: 120
    .language:       OpenCL C
    .language_version:
      - 2
      - 0
    .max_flat_workgroup_size: 256
    .name:           _ZN7rocprim17ROCPRIM_400000_NS6detail17trampoline_kernelINS0_14default_configENS1_25partition_config_selectorILNS1_17partition_subalgoE5E10large_dataNS0_10empty_typeEbEEZZNS1_14partition_implILS5_5ELb0ES3_mN6thrust23THRUST_200600_302600_NS6detail15normal_iteratorINSB_10device_ptrIS6_EEEEPS7_NSB_18transform_iteratorI7is_evenIS6_ESG_NSB_11use_defaultESL_EENS0_5tupleIJSG_S7_EEENSN_IJSH_SH_EEES7_PlJS7_EEE10hipError_tPvRmT3_T4_T5_T6_T7_T9_mT8_P12ihipStream_tbDpT10_ENKUlT_T0_E_clISt17integral_constantIbLb0EES1A_EEDaS15_S16_EUlS15_E_NS1_11comp_targetILNS1_3genE4ELNS1_11target_archE910ELNS1_3gpuE8ELNS1_3repE0EEENS1_30default_config_static_selectorELNS0_4arch9wavefront6targetE0EEEvT1_
    .private_segment_fixed_size: 0
    .sgpr_count:     0
    .sgpr_spill_count: 0
    .symbol:         _ZN7rocprim17ROCPRIM_400000_NS6detail17trampoline_kernelINS0_14default_configENS1_25partition_config_selectorILNS1_17partition_subalgoE5E10large_dataNS0_10empty_typeEbEEZZNS1_14partition_implILS5_5ELb0ES3_mN6thrust23THRUST_200600_302600_NS6detail15normal_iteratorINSB_10device_ptrIS6_EEEEPS7_NSB_18transform_iteratorI7is_evenIS6_ESG_NSB_11use_defaultESL_EENS0_5tupleIJSG_S7_EEENSN_IJSH_SH_EEES7_PlJS7_EEE10hipError_tPvRmT3_T4_T5_T6_T7_T9_mT8_P12ihipStream_tbDpT10_ENKUlT_T0_E_clISt17integral_constantIbLb0EES1A_EEDaS15_S16_EUlS15_E_NS1_11comp_targetILNS1_3genE4ELNS1_11target_archE910ELNS1_3gpuE8ELNS1_3repE0EEENS1_30default_config_static_selectorELNS0_4arch9wavefront6targetE0EEEvT1_.kd
    .uniform_work_group_size: 1
    .uses_dynamic_stack: false
    .vgpr_count:     0
    .vgpr_spill_count: 0
    .wavefront_size: 32
    .workgroup_processor_mode: 1
  - .args:
      - .offset:         0
        .size:           120
        .value_kind:     by_value
    .group_segment_fixed_size: 0
    .kernarg_segment_align: 8
    .kernarg_segment_size: 120
    .language:       OpenCL C
    .language_version:
      - 2
      - 0
    .max_flat_workgroup_size: 256
    .name:           _ZN7rocprim17ROCPRIM_400000_NS6detail17trampoline_kernelINS0_14default_configENS1_25partition_config_selectorILNS1_17partition_subalgoE5E10large_dataNS0_10empty_typeEbEEZZNS1_14partition_implILS5_5ELb0ES3_mN6thrust23THRUST_200600_302600_NS6detail15normal_iteratorINSB_10device_ptrIS6_EEEEPS7_NSB_18transform_iteratorI7is_evenIS6_ESG_NSB_11use_defaultESL_EENS0_5tupleIJSG_S7_EEENSN_IJSH_SH_EEES7_PlJS7_EEE10hipError_tPvRmT3_T4_T5_T6_T7_T9_mT8_P12ihipStream_tbDpT10_ENKUlT_T0_E_clISt17integral_constantIbLb0EES1A_EEDaS15_S16_EUlS15_E_NS1_11comp_targetILNS1_3genE3ELNS1_11target_archE908ELNS1_3gpuE7ELNS1_3repE0EEENS1_30default_config_static_selectorELNS0_4arch9wavefront6targetE0EEEvT1_
    .private_segment_fixed_size: 0
    .sgpr_count:     0
    .sgpr_spill_count: 0
    .symbol:         _ZN7rocprim17ROCPRIM_400000_NS6detail17trampoline_kernelINS0_14default_configENS1_25partition_config_selectorILNS1_17partition_subalgoE5E10large_dataNS0_10empty_typeEbEEZZNS1_14partition_implILS5_5ELb0ES3_mN6thrust23THRUST_200600_302600_NS6detail15normal_iteratorINSB_10device_ptrIS6_EEEEPS7_NSB_18transform_iteratorI7is_evenIS6_ESG_NSB_11use_defaultESL_EENS0_5tupleIJSG_S7_EEENSN_IJSH_SH_EEES7_PlJS7_EEE10hipError_tPvRmT3_T4_T5_T6_T7_T9_mT8_P12ihipStream_tbDpT10_ENKUlT_T0_E_clISt17integral_constantIbLb0EES1A_EEDaS15_S16_EUlS15_E_NS1_11comp_targetILNS1_3genE3ELNS1_11target_archE908ELNS1_3gpuE7ELNS1_3repE0EEENS1_30default_config_static_selectorELNS0_4arch9wavefront6targetE0EEEvT1_.kd
    .uniform_work_group_size: 1
    .uses_dynamic_stack: false
    .vgpr_count:     0
    .vgpr_spill_count: 0
    .wavefront_size: 32
    .workgroup_processor_mode: 1
  - .args:
      - .offset:         0
        .size:           120
        .value_kind:     by_value
    .group_segment_fixed_size: 0
    .kernarg_segment_align: 8
    .kernarg_segment_size: 120
    .language:       OpenCL C
    .language_version:
      - 2
      - 0
    .max_flat_workgroup_size: 256
    .name:           _ZN7rocprim17ROCPRIM_400000_NS6detail17trampoline_kernelINS0_14default_configENS1_25partition_config_selectorILNS1_17partition_subalgoE5E10large_dataNS0_10empty_typeEbEEZZNS1_14partition_implILS5_5ELb0ES3_mN6thrust23THRUST_200600_302600_NS6detail15normal_iteratorINSB_10device_ptrIS6_EEEEPS7_NSB_18transform_iteratorI7is_evenIS6_ESG_NSB_11use_defaultESL_EENS0_5tupleIJSG_S7_EEENSN_IJSH_SH_EEES7_PlJS7_EEE10hipError_tPvRmT3_T4_T5_T6_T7_T9_mT8_P12ihipStream_tbDpT10_ENKUlT_T0_E_clISt17integral_constantIbLb0EES1A_EEDaS15_S16_EUlS15_E_NS1_11comp_targetILNS1_3genE2ELNS1_11target_archE906ELNS1_3gpuE6ELNS1_3repE0EEENS1_30default_config_static_selectorELNS0_4arch9wavefront6targetE0EEEvT1_
    .private_segment_fixed_size: 0
    .sgpr_count:     0
    .sgpr_spill_count: 0
    .symbol:         _ZN7rocprim17ROCPRIM_400000_NS6detail17trampoline_kernelINS0_14default_configENS1_25partition_config_selectorILNS1_17partition_subalgoE5E10large_dataNS0_10empty_typeEbEEZZNS1_14partition_implILS5_5ELb0ES3_mN6thrust23THRUST_200600_302600_NS6detail15normal_iteratorINSB_10device_ptrIS6_EEEEPS7_NSB_18transform_iteratorI7is_evenIS6_ESG_NSB_11use_defaultESL_EENS0_5tupleIJSG_S7_EEENSN_IJSH_SH_EEES7_PlJS7_EEE10hipError_tPvRmT3_T4_T5_T6_T7_T9_mT8_P12ihipStream_tbDpT10_ENKUlT_T0_E_clISt17integral_constantIbLb0EES1A_EEDaS15_S16_EUlS15_E_NS1_11comp_targetILNS1_3genE2ELNS1_11target_archE906ELNS1_3gpuE6ELNS1_3repE0EEENS1_30default_config_static_selectorELNS0_4arch9wavefront6targetE0EEEvT1_.kd
    .uniform_work_group_size: 1
    .uses_dynamic_stack: false
    .vgpr_count:     0
    .vgpr_spill_count: 0
    .wavefront_size: 32
    .workgroup_processor_mode: 1
  - .args:
      - .offset:         0
        .size:           120
        .value_kind:     by_value
    .group_segment_fixed_size: 0
    .kernarg_segment_align: 8
    .kernarg_segment_size: 120
    .language:       OpenCL C
    .language_version:
      - 2
      - 0
    .max_flat_workgroup_size: 256
    .name:           _ZN7rocprim17ROCPRIM_400000_NS6detail17trampoline_kernelINS0_14default_configENS1_25partition_config_selectorILNS1_17partition_subalgoE5E10large_dataNS0_10empty_typeEbEEZZNS1_14partition_implILS5_5ELb0ES3_mN6thrust23THRUST_200600_302600_NS6detail15normal_iteratorINSB_10device_ptrIS6_EEEEPS7_NSB_18transform_iteratorI7is_evenIS6_ESG_NSB_11use_defaultESL_EENS0_5tupleIJSG_S7_EEENSN_IJSH_SH_EEES7_PlJS7_EEE10hipError_tPvRmT3_T4_T5_T6_T7_T9_mT8_P12ihipStream_tbDpT10_ENKUlT_T0_E_clISt17integral_constantIbLb0EES1A_EEDaS15_S16_EUlS15_E_NS1_11comp_targetILNS1_3genE10ELNS1_11target_archE1200ELNS1_3gpuE4ELNS1_3repE0EEENS1_30default_config_static_selectorELNS0_4arch9wavefront6targetE0EEEvT1_
    .private_segment_fixed_size: 0
    .sgpr_count:     0
    .sgpr_spill_count: 0
    .symbol:         _ZN7rocprim17ROCPRIM_400000_NS6detail17trampoline_kernelINS0_14default_configENS1_25partition_config_selectorILNS1_17partition_subalgoE5E10large_dataNS0_10empty_typeEbEEZZNS1_14partition_implILS5_5ELb0ES3_mN6thrust23THRUST_200600_302600_NS6detail15normal_iteratorINSB_10device_ptrIS6_EEEEPS7_NSB_18transform_iteratorI7is_evenIS6_ESG_NSB_11use_defaultESL_EENS0_5tupleIJSG_S7_EEENSN_IJSH_SH_EEES7_PlJS7_EEE10hipError_tPvRmT3_T4_T5_T6_T7_T9_mT8_P12ihipStream_tbDpT10_ENKUlT_T0_E_clISt17integral_constantIbLb0EES1A_EEDaS15_S16_EUlS15_E_NS1_11comp_targetILNS1_3genE10ELNS1_11target_archE1200ELNS1_3gpuE4ELNS1_3repE0EEENS1_30default_config_static_selectorELNS0_4arch9wavefront6targetE0EEEvT1_.kd
    .uniform_work_group_size: 1
    .uses_dynamic_stack: false
    .vgpr_count:     0
    .vgpr_spill_count: 0
    .wavefront_size: 32
    .workgroup_processor_mode: 1
  - .args:
      - .offset:         0
        .size:           120
        .value_kind:     by_value
    .group_segment_fixed_size: 16
    .kernarg_segment_align: 8
    .kernarg_segment_size: 120
    .language:       OpenCL C
    .language_version:
      - 2
      - 0
    .max_flat_workgroup_size: 256
    .name:           _ZN7rocprim17ROCPRIM_400000_NS6detail17trampoline_kernelINS0_14default_configENS1_25partition_config_selectorILNS1_17partition_subalgoE5E10large_dataNS0_10empty_typeEbEEZZNS1_14partition_implILS5_5ELb0ES3_mN6thrust23THRUST_200600_302600_NS6detail15normal_iteratorINSB_10device_ptrIS6_EEEEPS7_NSB_18transform_iteratorI7is_evenIS6_ESG_NSB_11use_defaultESL_EENS0_5tupleIJSG_S7_EEENSN_IJSH_SH_EEES7_PlJS7_EEE10hipError_tPvRmT3_T4_T5_T6_T7_T9_mT8_P12ihipStream_tbDpT10_ENKUlT_T0_E_clISt17integral_constantIbLb0EES1A_EEDaS15_S16_EUlS15_E_NS1_11comp_targetILNS1_3genE9ELNS1_11target_archE1100ELNS1_3gpuE3ELNS1_3repE0EEENS1_30default_config_static_selectorELNS0_4arch9wavefront6targetE0EEEvT1_
    .private_segment_fixed_size: 0
    .sgpr_count:     30
    .sgpr_spill_count: 0
    .symbol:         _ZN7rocprim17ROCPRIM_400000_NS6detail17trampoline_kernelINS0_14default_configENS1_25partition_config_selectorILNS1_17partition_subalgoE5E10large_dataNS0_10empty_typeEbEEZZNS1_14partition_implILS5_5ELb0ES3_mN6thrust23THRUST_200600_302600_NS6detail15normal_iteratorINSB_10device_ptrIS6_EEEEPS7_NSB_18transform_iteratorI7is_evenIS6_ESG_NSB_11use_defaultESL_EENS0_5tupleIJSG_S7_EEENSN_IJSH_SH_EEES7_PlJS7_EEE10hipError_tPvRmT3_T4_T5_T6_T7_T9_mT8_P12ihipStream_tbDpT10_ENKUlT_T0_E_clISt17integral_constantIbLb0EES1A_EEDaS15_S16_EUlS15_E_NS1_11comp_targetILNS1_3genE9ELNS1_11target_archE1100ELNS1_3gpuE3ELNS1_3repE0EEENS1_30default_config_static_selectorELNS0_4arch9wavefront6targetE0EEEvT1_.kd
    .uniform_work_group_size: 1
    .uses_dynamic_stack: false
    .vgpr_count:     34
    .vgpr_spill_count: 0
    .wavefront_size: 32
    .workgroup_processor_mode: 1
  - .args:
      - .offset:         0
        .size:           120
        .value_kind:     by_value
    .group_segment_fixed_size: 0
    .kernarg_segment_align: 8
    .kernarg_segment_size: 120
    .language:       OpenCL C
    .language_version:
      - 2
      - 0
    .max_flat_workgroup_size: 256
    .name:           _ZN7rocprim17ROCPRIM_400000_NS6detail17trampoline_kernelINS0_14default_configENS1_25partition_config_selectorILNS1_17partition_subalgoE5E10large_dataNS0_10empty_typeEbEEZZNS1_14partition_implILS5_5ELb0ES3_mN6thrust23THRUST_200600_302600_NS6detail15normal_iteratorINSB_10device_ptrIS6_EEEEPS7_NSB_18transform_iteratorI7is_evenIS6_ESG_NSB_11use_defaultESL_EENS0_5tupleIJSG_S7_EEENSN_IJSH_SH_EEES7_PlJS7_EEE10hipError_tPvRmT3_T4_T5_T6_T7_T9_mT8_P12ihipStream_tbDpT10_ENKUlT_T0_E_clISt17integral_constantIbLb0EES1A_EEDaS15_S16_EUlS15_E_NS1_11comp_targetILNS1_3genE8ELNS1_11target_archE1030ELNS1_3gpuE2ELNS1_3repE0EEENS1_30default_config_static_selectorELNS0_4arch9wavefront6targetE0EEEvT1_
    .private_segment_fixed_size: 0
    .sgpr_count:     0
    .sgpr_spill_count: 0
    .symbol:         _ZN7rocprim17ROCPRIM_400000_NS6detail17trampoline_kernelINS0_14default_configENS1_25partition_config_selectorILNS1_17partition_subalgoE5E10large_dataNS0_10empty_typeEbEEZZNS1_14partition_implILS5_5ELb0ES3_mN6thrust23THRUST_200600_302600_NS6detail15normal_iteratorINSB_10device_ptrIS6_EEEEPS7_NSB_18transform_iteratorI7is_evenIS6_ESG_NSB_11use_defaultESL_EENS0_5tupleIJSG_S7_EEENSN_IJSH_SH_EEES7_PlJS7_EEE10hipError_tPvRmT3_T4_T5_T6_T7_T9_mT8_P12ihipStream_tbDpT10_ENKUlT_T0_E_clISt17integral_constantIbLb0EES1A_EEDaS15_S16_EUlS15_E_NS1_11comp_targetILNS1_3genE8ELNS1_11target_archE1030ELNS1_3gpuE2ELNS1_3repE0EEENS1_30default_config_static_selectorELNS0_4arch9wavefront6targetE0EEEvT1_.kd
    .uniform_work_group_size: 1
    .uses_dynamic_stack: false
    .vgpr_count:     0
    .vgpr_spill_count: 0
    .wavefront_size: 32
    .workgroup_processor_mode: 1
  - .args:
      - .offset:         0
        .size:           136
        .value_kind:     by_value
    .group_segment_fixed_size: 0
    .kernarg_segment_align: 8
    .kernarg_segment_size: 136
    .language:       OpenCL C
    .language_version:
      - 2
      - 0
    .max_flat_workgroup_size: 256
    .name:           _ZN7rocprim17ROCPRIM_400000_NS6detail17trampoline_kernelINS0_14default_configENS1_25partition_config_selectorILNS1_17partition_subalgoE5E10large_dataNS0_10empty_typeEbEEZZNS1_14partition_implILS5_5ELb0ES3_mN6thrust23THRUST_200600_302600_NS6detail15normal_iteratorINSB_10device_ptrIS6_EEEEPS7_NSB_18transform_iteratorI7is_evenIS6_ESG_NSB_11use_defaultESL_EENS0_5tupleIJSG_S7_EEENSN_IJSH_SH_EEES7_PlJS7_EEE10hipError_tPvRmT3_T4_T5_T6_T7_T9_mT8_P12ihipStream_tbDpT10_ENKUlT_T0_E_clISt17integral_constantIbLb1EES1A_EEDaS15_S16_EUlS15_E_NS1_11comp_targetILNS1_3genE0ELNS1_11target_archE4294967295ELNS1_3gpuE0ELNS1_3repE0EEENS1_30default_config_static_selectorELNS0_4arch9wavefront6targetE0EEEvT1_
    .private_segment_fixed_size: 0
    .sgpr_count:     0
    .sgpr_spill_count: 0
    .symbol:         _ZN7rocprim17ROCPRIM_400000_NS6detail17trampoline_kernelINS0_14default_configENS1_25partition_config_selectorILNS1_17partition_subalgoE5E10large_dataNS0_10empty_typeEbEEZZNS1_14partition_implILS5_5ELb0ES3_mN6thrust23THRUST_200600_302600_NS6detail15normal_iteratorINSB_10device_ptrIS6_EEEEPS7_NSB_18transform_iteratorI7is_evenIS6_ESG_NSB_11use_defaultESL_EENS0_5tupleIJSG_S7_EEENSN_IJSH_SH_EEES7_PlJS7_EEE10hipError_tPvRmT3_T4_T5_T6_T7_T9_mT8_P12ihipStream_tbDpT10_ENKUlT_T0_E_clISt17integral_constantIbLb1EES1A_EEDaS15_S16_EUlS15_E_NS1_11comp_targetILNS1_3genE0ELNS1_11target_archE4294967295ELNS1_3gpuE0ELNS1_3repE0EEENS1_30default_config_static_selectorELNS0_4arch9wavefront6targetE0EEEvT1_.kd
    .uniform_work_group_size: 1
    .uses_dynamic_stack: false
    .vgpr_count:     0
    .vgpr_spill_count: 0
    .wavefront_size: 32
    .workgroup_processor_mode: 1
  - .args:
      - .offset:         0
        .size:           136
        .value_kind:     by_value
    .group_segment_fixed_size: 0
    .kernarg_segment_align: 8
    .kernarg_segment_size: 136
    .language:       OpenCL C
    .language_version:
      - 2
      - 0
    .max_flat_workgroup_size: 256
    .name:           _ZN7rocprim17ROCPRIM_400000_NS6detail17trampoline_kernelINS0_14default_configENS1_25partition_config_selectorILNS1_17partition_subalgoE5E10large_dataNS0_10empty_typeEbEEZZNS1_14partition_implILS5_5ELb0ES3_mN6thrust23THRUST_200600_302600_NS6detail15normal_iteratorINSB_10device_ptrIS6_EEEEPS7_NSB_18transform_iteratorI7is_evenIS6_ESG_NSB_11use_defaultESL_EENS0_5tupleIJSG_S7_EEENSN_IJSH_SH_EEES7_PlJS7_EEE10hipError_tPvRmT3_T4_T5_T6_T7_T9_mT8_P12ihipStream_tbDpT10_ENKUlT_T0_E_clISt17integral_constantIbLb1EES1A_EEDaS15_S16_EUlS15_E_NS1_11comp_targetILNS1_3genE5ELNS1_11target_archE942ELNS1_3gpuE9ELNS1_3repE0EEENS1_30default_config_static_selectorELNS0_4arch9wavefront6targetE0EEEvT1_
    .private_segment_fixed_size: 0
    .sgpr_count:     0
    .sgpr_spill_count: 0
    .symbol:         _ZN7rocprim17ROCPRIM_400000_NS6detail17trampoline_kernelINS0_14default_configENS1_25partition_config_selectorILNS1_17partition_subalgoE5E10large_dataNS0_10empty_typeEbEEZZNS1_14partition_implILS5_5ELb0ES3_mN6thrust23THRUST_200600_302600_NS6detail15normal_iteratorINSB_10device_ptrIS6_EEEEPS7_NSB_18transform_iteratorI7is_evenIS6_ESG_NSB_11use_defaultESL_EENS0_5tupleIJSG_S7_EEENSN_IJSH_SH_EEES7_PlJS7_EEE10hipError_tPvRmT3_T4_T5_T6_T7_T9_mT8_P12ihipStream_tbDpT10_ENKUlT_T0_E_clISt17integral_constantIbLb1EES1A_EEDaS15_S16_EUlS15_E_NS1_11comp_targetILNS1_3genE5ELNS1_11target_archE942ELNS1_3gpuE9ELNS1_3repE0EEENS1_30default_config_static_selectorELNS0_4arch9wavefront6targetE0EEEvT1_.kd
    .uniform_work_group_size: 1
    .uses_dynamic_stack: false
    .vgpr_count:     0
    .vgpr_spill_count: 0
    .wavefront_size: 32
    .workgroup_processor_mode: 1
  - .args:
      - .offset:         0
        .size:           136
        .value_kind:     by_value
    .group_segment_fixed_size: 0
    .kernarg_segment_align: 8
    .kernarg_segment_size: 136
    .language:       OpenCL C
    .language_version:
      - 2
      - 0
    .max_flat_workgroup_size: 256
    .name:           _ZN7rocprim17ROCPRIM_400000_NS6detail17trampoline_kernelINS0_14default_configENS1_25partition_config_selectorILNS1_17partition_subalgoE5E10large_dataNS0_10empty_typeEbEEZZNS1_14partition_implILS5_5ELb0ES3_mN6thrust23THRUST_200600_302600_NS6detail15normal_iteratorINSB_10device_ptrIS6_EEEEPS7_NSB_18transform_iteratorI7is_evenIS6_ESG_NSB_11use_defaultESL_EENS0_5tupleIJSG_S7_EEENSN_IJSH_SH_EEES7_PlJS7_EEE10hipError_tPvRmT3_T4_T5_T6_T7_T9_mT8_P12ihipStream_tbDpT10_ENKUlT_T0_E_clISt17integral_constantIbLb1EES1A_EEDaS15_S16_EUlS15_E_NS1_11comp_targetILNS1_3genE4ELNS1_11target_archE910ELNS1_3gpuE8ELNS1_3repE0EEENS1_30default_config_static_selectorELNS0_4arch9wavefront6targetE0EEEvT1_
    .private_segment_fixed_size: 0
    .sgpr_count:     0
    .sgpr_spill_count: 0
    .symbol:         _ZN7rocprim17ROCPRIM_400000_NS6detail17trampoline_kernelINS0_14default_configENS1_25partition_config_selectorILNS1_17partition_subalgoE5E10large_dataNS0_10empty_typeEbEEZZNS1_14partition_implILS5_5ELb0ES3_mN6thrust23THRUST_200600_302600_NS6detail15normal_iteratorINSB_10device_ptrIS6_EEEEPS7_NSB_18transform_iteratorI7is_evenIS6_ESG_NSB_11use_defaultESL_EENS0_5tupleIJSG_S7_EEENSN_IJSH_SH_EEES7_PlJS7_EEE10hipError_tPvRmT3_T4_T5_T6_T7_T9_mT8_P12ihipStream_tbDpT10_ENKUlT_T0_E_clISt17integral_constantIbLb1EES1A_EEDaS15_S16_EUlS15_E_NS1_11comp_targetILNS1_3genE4ELNS1_11target_archE910ELNS1_3gpuE8ELNS1_3repE0EEENS1_30default_config_static_selectorELNS0_4arch9wavefront6targetE0EEEvT1_.kd
    .uniform_work_group_size: 1
    .uses_dynamic_stack: false
    .vgpr_count:     0
    .vgpr_spill_count: 0
    .wavefront_size: 32
    .workgroup_processor_mode: 1
  - .args:
      - .offset:         0
        .size:           136
        .value_kind:     by_value
    .group_segment_fixed_size: 0
    .kernarg_segment_align: 8
    .kernarg_segment_size: 136
    .language:       OpenCL C
    .language_version:
      - 2
      - 0
    .max_flat_workgroup_size: 256
    .name:           _ZN7rocprim17ROCPRIM_400000_NS6detail17trampoline_kernelINS0_14default_configENS1_25partition_config_selectorILNS1_17partition_subalgoE5E10large_dataNS0_10empty_typeEbEEZZNS1_14partition_implILS5_5ELb0ES3_mN6thrust23THRUST_200600_302600_NS6detail15normal_iteratorINSB_10device_ptrIS6_EEEEPS7_NSB_18transform_iteratorI7is_evenIS6_ESG_NSB_11use_defaultESL_EENS0_5tupleIJSG_S7_EEENSN_IJSH_SH_EEES7_PlJS7_EEE10hipError_tPvRmT3_T4_T5_T6_T7_T9_mT8_P12ihipStream_tbDpT10_ENKUlT_T0_E_clISt17integral_constantIbLb1EES1A_EEDaS15_S16_EUlS15_E_NS1_11comp_targetILNS1_3genE3ELNS1_11target_archE908ELNS1_3gpuE7ELNS1_3repE0EEENS1_30default_config_static_selectorELNS0_4arch9wavefront6targetE0EEEvT1_
    .private_segment_fixed_size: 0
    .sgpr_count:     0
    .sgpr_spill_count: 0
    .symbol:         _ZN7rocprim17ROCPRIM_400000_NS6detail17trampoline_kernelINS0_14default_configENS1_25partition_config_selectorILNS1_17partition_subalgoE5E10large_dataNS0_10empty_typeEbEEZZNS1_14partition_implILS5_5ELb0ES3_mN6thrust23THRUST_200600_302600_NS6detail15normal_iteratorINSB_10device_ptrIS6_EEEEPS7_NSB_18transform_iteratorI7is_evenIS6_ESG_NSB_11use_defaultESL_EENS0_5tupleIJSG_S7_EEENSN_IJSH_SH_EEES7_PlJS7_EEE10hipError_tPvRmT3_T4_T5_T6_T7_T9_mT8_P12ihipStream_tbDpT10_ENKUlT_T0_E_clISt17integral_constantIbLb1EES1A_EEDaS15_S16_EUlS15_E_NS1_11comp_targetILNS1_3genE3ELNS1_11target_archE908ELNS1_3gpuE7ELNS1_3repE0EEENS1_30default_config_static_selectorELNS0_4arch9wavefront6targetE0EEEvT1_.kd
    .uniform_work_group_size: 1
    .uses_dynamic_stack: false
    .vgpr_count:     0
    .vgpr_spill_count: 0
    .wavefront_size: 32
    .workgroup_processor_mode: 1
  - .args:
      - .offset:         0
        .size:           136
        .value_kind:     by_value
    .group_segment_fixed_size: 0
    .kernarg_segment_align: 8
    .kernarg_segment_size: 136
    .language:       OpenCL C
    .language_version:
      - 2
      - 0
    .max_flat_workgroup_size: 256
    .name:           _ZN7rocprim17ROCPRIM_400000_NS6detail17trampoline_kernelINS0_14default_configENS1_25partition_config_selectorILNS1_17partition_subalgoE5E10large_dataNS0_10empty_typeEbEEZZNS1_14partition_implILS5_5ELb0ES3_mN6thrust23THRUST_200600_302600_NS6detail15normal_iteratorINSB_10device_ptrIS6_EEEEPS7_NSB_18transform_iteratorI7is_evenIS6_ESG_NSB_11use_defaultESL_EENS0_5tupleIJSG_S7_EEENSN_IJSH_SH_EEES7_PlJS7_EEE10hipError_tPvRmT3_T4_T5_T6_T7_T9_mT8_P12ihipStream_tbDpT10_ENKUlT_T0_E_clISt17integral_constantIbLb1EES1A_EEDaS15_S16_EUlS15_E_NS1_11comp_targetILNS1_3genE2ELNS1_11target_archE906ELNS1_3gpuE6ELNS1_3repE0EEENS1_30default_config_static_selectorELNS0_4arch9wavefront6targetE0EEEvT1_
    .private_segment_fixed_size: 0
    .sgpr_count:     0
    .sgpr_spill_count: 0
    .symbol:         _ZN7rocprim17ROCPRIM_400000_NS6detail17trampoline_kernelINS0_14default_configENS1_25partition_config_selectorILNS1_17partition_subalgoE5E10large_dataNS0_10empty_typeEbEEZZNS1_14partition_implILS5_5ELb0ES3_mN6thrust23THRUST_200600_302600_NS6detail15normal_iteratorINSB_10device_ptrIS6_EEEEPS7_NSB_18transform_iteratorI7is_evenIS6_ESG_NSB_11use_defaultESL_EENS0_5tupleIJSG_S7_EEENSN_IJSH_SH_EEES7_PlJS7_EEE10hipError_tPvRmT3_T4_T5_T6_T7_T9_mT8_P12ihipStream_tbDpT10_ENKUlT_T0_E_clISt17integral_constantIbLb1EES1A_EEDaS15_S16_EUlS15_E_NS1_11comp_targetILNS1_3genE2ELNS1_11target_archE906ELNS1_3gpuE6ELNS1_3repE0EEENS1_30default_config_static_selectorELNS0_4arch9wavefront6targetE0EEEvT1_.kd
    .uniform_work_group_size: 1
    .uses_dynamic_stack: false
    .vgpr_count:     0
    .vgpr_spill_count: 0
    .wavefront_size: 32
    .workgroup_processor_mode: 1
  - .args:
      - .offset:         0
        .size:           136
        .value_kind:     by_value
    .group_segment_fixed_size: 0
    .kernarg_segment_align: 8
    .kernarg_segment_size: 136
    .language:       OpenCL C
    .language_version:
      - 2
      - 0
    .max_flat_workgroup_size: 256
    .name:           _ZN7rocprim17ROCPRIM_400000_NS6detail17trampoline_kernelINS0_14default_configENS1_25partition_config_selectorILNS1_17partition_subalgoE5E10large_dataNS0_10empty_typeEbEEZZNS1_14partition_implILS5_5ELb0ES3_mN6thrust23THRUST_200600_302600_NS6detail15normal_iteratorINSB_10device_ptrIS6_EEEEPS7_NSB_18transform_iteratorI7is_evenIS6_ESG_NSB_11use_defaultESL_EENS0_5tupleIJSG_S7_EEENSN_IJSH_SH_EEES7_PlJS7_EEE10hipError_tPvRmT3_T4_T5_T6_T7_T9_mT8_P12ihipStream_tbDpT10_ENKUlT_T0_E_clISt17integral_constantIbLb1EES1A_EEDaS15_S16_EUlS15_E_NS1_11comp_targetILNS1_3genE10ELNS1_11target_archE1200ELNS1_3gpuE4ELNS1_3repE0EEENS1_30default_config_static_selectorELNS0_4arch9wavefront6targetE0EEEvT1_
    .private_segment_fixed_size: 0
    .sgpr_count:     0
    .sgpr_spill_count: 0
    .symbol:         _ZN7rocprim17ROCPRIM_400000_NS6detail17trampoline_kernelINS0_14default_configENS1_25partition_config_selectorILNS1_17partition_subalgoE5E10large_dataNS0_10empty_typeEbEEZZNS1_14partition_implILS5_5ELb0ES3_mN6thrust23THRUST_200600_302600_NS6detail15normal_iteratorINSB_10device_ptrIS6_EEEEPS7_NSB_18transform_iteratorI7is_evenIS6_ESG_NSB_11use_defaultESL_EENS0_5tupleIJSG_S7_EEENSN_IJSH_SH_EEES7_PlJS7_EEE10hipError_tPvRmT3_T4_T5_T6_T7_T9_mT8_P12ihipStream_tbDpT10_ENKUlT_T0_E_clISt17integral_constantIbLb1EES1A_EEDaS15_S16_EUlS15_E_NS1_11comp_targetILNS1_3genE10ELNS1_11target_archE1200ELNS1_3gpuE4ELNS1_3repE0EEENS1_30default_config_static_selectorELNS0_4arch9wavefront6targetE0EEEvT1_.kd
    .uniform_work_group_size: 1
    .uses_dynamic_stack: false
    .vgpr_count:     0
    .vgpr_spill_count: 0
    .wavefront_size: 32
    .workgroup_processor_mode: 1
  - .args:
      - .offset:         0
        .size:           136
        .value_kind:     by_value
    .group_segment_fixed_size: 16
    .kernarg_segment_align: 8
    .kernarg_segment_size: 136
    .language:       OpenCL C
    .language_version:
      - 2
      - 0
    .max_flat_workgroup_size: 256
    .name:           _ZN7rocprim17ROCPRIM_400000_NS6detail17trampoline_kernelINS0_14default_configENS1_25partition_config_selectorILNS1_17partition_subalgoE5E10large_dataNS0_10empty_typeEbEEZZNS1_14partition_implILS5_5ELb0ES3_mN6thrust23THRUST_200600_302600_NS6detail15normal_iteratorINSB_10device_ptrIS6_EEEEPS7_NSB_18transform_iteratorI7is_evenIS6_ESG_NSB_11use_defaultESL_EENS0_5tupleIJSG_S7_EEENSN_IJSH_SH_EEES7_PlJS7_EEE10hipError_tPvRmT3_T4_T5_T6_T7_T9_mT8_P12ihipStream_tbDpT10_ENKUlT_T0_E_clISt17integral_constantIbLb1EES1A_EEDaS15_S16_EUlS15_E_NS1_11comp_targetILNS1_3genE9ELNS1_11target_archE1100ELNS1_3gpuE3ELNS1_3repE0EEENS1_30default_config_static_selectorELNS0_4arch9wavefront6targetE0EEEvT1_
    .private_segment_fixed_size: 0
    .sgpr_count:     28
    .sgpr_spill_count: 0
    .symbol:         _ZN7rocprim17ROCPRIM_400000_NS6detail17trampoline_kernelINS0_14default_configENS1_25partition_config_selectorILNS1_17partition_subalgoE5E10large_dataNS0_10empty_typeEbEEZZNS1_14partition_implILS5_5ELb0ES3_mN6thrust23THRUST_200600_302600_NS6detail15normal_iteratorINSB_10device_ptrIS6_EEEEPS7_NSB_18transform_iteratorI7is_evenIS6_ESG_NSB_11use_defaultESL_EENS0_5tupleIJSG_S7_EEENSN_IJSH_SH_EEES7_PlJS7_EEE10hipError_tPvRmT3_T4_T5_T6_T7_T9_mT8_P12ihipStream_tbDpT10_ENKUlT_T0_E_clISt17integral_constantIbLb1EES1A_EEDaS15_S16_EUlS15_E_NS1_11comp_targetILNS1_3genE9ELNS1_11target_archE1100ELNS1_3gpuE3ELNS1_3repE0EEENS1_30default_config_static_selectorELNS0_4arch9wavefront6targetE0EEEvT1_.kd
    .uniform_work_group_size: 1
    .uses_dynamic_stack: false
    .vgpr_count:     36
    .vgpr_spill_count: 0
    .wavefront_size: 32
    .workgroup_processor_mode: 1
  - .args:
      - .offset:         0
        .size:           136
        .value_kind:     by_value
    .group_segment_fixed_size: 0
    .kernarg_segment_align: 8
    .kernarg_segment_size: 136
    .language:       OpenCL C
    .language_version:
      - 2
      - 0
    .max_flat_workgroup_size: 256
    .name:           _ZN7rocprim17ROCPRIM_400000_NS6detail17trampoline_kernelINS0_14default_configENS1_25partition_config_selectorILNS1_17partition_subalgoE5E10large_dataNS0_10empty_typeEbEEZZNS1_14partition_implILS5_5ELb0ES3_mN6thrust23THRUST_200600_302600_NS6detail15normal_iteratorINSB_10device_ptrIS6_EEEEPS7_NSB_18transform_iteratorI7is_evenIS6_ESG_NSB_11use_defaultESL_EENS0_5tupleIJSG_S7_EEENSN_IJSH_SH_EEES7_PlJS7_EEE10hipError_tPvRmT3_T4_T5_T6_T7_T9_mT8_P12ihipStream_tbDpT10_ENKUlT_T0_E_clISt17integral_constantIbLb1EES1A_EEDaS15_S16_EUlS15_E_NS1_11comp_targetILNS1_3genE8ELNS1_11target_archE1030ELNS1_3gpuE2ELNS1_3repE0EEENS1_30default_config_static_selectorELNS0_4arch9wavefront6targetE0EEEvT1_
    .private_segment_fixed_size: 0
    .sgpr_count:     0
    .sgpr_spill_count: 0
    .symbol:         _ZN7rocprim17ROCPRIM_400000_NS6detail17trampoline_kernelINS0_14default_configENS1_25partition_config_selectorILNS1_17partition_subalgoE5E10large_dataNS0_10empty_typeEbEEZZNS1_14partition_implILS5_5ELb0ES3_mN6thrust23THRUST_200600_302600_NS6detail15normal_iteratorINSB_10device_ptrIS6_EEEEPS7_NSB_18transform_iteratorI7is_evenIS6_ESG_NSB_11use_defaultESL_EENS0_5tupleIJSG_S7_EEENSN_IJSH_SH_EEES7_PlJS7_EEE10hipError_tPvRmT3_T4_T5_T6_T7_T9_mT8_P12ihipStream_tbDpT10_ENKUlT_T0_E_clISt17integral_constantIbLb1EES1A_EEDaS15_S16_EUlS15_E_NS1_11comp_targetILNS1_3genE8ELNS1_11target_archE1030ELNS1_3gpuE2ELNS1_3repE0EEENS1_30default_config_static_selectorELNS0_4arch9wavefront6targetE0EEEvT1_.kd
    .uniform_work_group_size: 1
    .uses_dynamic_stack: false
    .vgpr_count:     0
    .vgpr_spill_count: 0
    .wavefront_size: 32
    .workgroup_processor_mode: 1
  - .args:
      - .offset:         0
        .size:           120
        .value_kind:     by_value
    .group_segment_fixed_size: 0
    .kernarg_segment_align: 8
    .kernarg_segment_size: 120
    .language:       OpenCL C
    .language_version:
      - 2
      - 0
    .max_flat_workgroup_size: 256
    .name:           _ZN7rocprim17ROCPRIM_400000_NS6detail17trampoline_kernelINS0_14default_configENS1_25partition_config_selectorILNS1_17partition_subalgoE5E10large_dataNS0_10empty_typeEbEEZZNS1_14partition_implILS5_5ELb0ES3_mN6thrust23THRUST_200600_302600_NS6detail15normal_iteratorINSB_10device_ptrIS6_EEEEPS7_NSB_18transform_iteratorI7is_evenIS6_ESG_NSB_11use_defaultESL_EENS0_5tupleIJSG_S7_EEENSN_IJSH_SH_EEES7_PlJS7_EEE10hipError_tPvRmT3_T4_T5_T6_T7_T9_mT8_P12ihipStream_tbDpT10_ENKUlT_T0_E_clISt17integral_constantIbLb1EES19_IbLb0EEEEDaS15_S16_EUlS15_E_NS1_11comp_targetILNS1_3genE0ELNS1_11target_archE4294967295ELNS1_3gpuE0ELNS1_3repE0EEENS1_30default_config_static_selectorELNS0_4arch9wavefront6targetE0EEEvT1_
    .private_segment_fixed_size: 0
    .sgpr_count:     0
    .sgpr_spill_count: 0
    .symbol:         _ZN7rocprim17ROCPRIM_400000_NS6detail17trampoline_kernelINS0_14default_configENS1_25partition_config_selectorILNS1_17partition_subalgoE5E10large_dataNS0_10empty_typeEbEEZZNS1_14partition_implILS5_5ELb0ES3_mN6thrust23THRUST_200600_302600_NS6detail15normal_iteratorINSB_10device_ptrIS6_EEEEPS7_NSB_18transform_iteratorI7is_evenIS6_ESG_NSB_11use_defaultESL_EENS0_5tupleIJSG_S7_EEENSN_IJSH_SH_EEES7_PlJS7_EEE10hipError_tPvRmT3_T4_T5_T6_T7_T9_mT8_P12ihipStream_tbDpT10_ENKUlT_T0_E_clISt17integral_constantIbLb1EES19_IbLb0EEEEDaS15_S16_EUlS15_E_NS1_11comp_targetILNS1_3genE0ELNS1_11target_archE4294967295ELNS1_3gpuE0ELNS1_3repE0EEENS1_30default_config_static_selectorELNS0_4arch9wavefront6targetE0EEEvT1_.kd
    .uniform_work_group_size: 1
    .uses_dynamic_stack: false
    .vgpr_count:     0
    .vgpr_spill_count: 0
    .wavefront_size: 32
    .workgroup_processor_mode: 1
  - .args:
      - .offset:         0
        .size:           120
        .value_kind:     by_value
    .group_segment_fixed_size: 0
    .kernarg_segment_align: 8
    .kernarg_segment_size: 120
    .language:       OpenCL C
    .language_version:
      - 2
      - 0
    .max_flat_workgroup_size: 256
    .name:           _ZN7rocprim17ROCPRIM_400000_NS6detail17trampoline_kernelINS0_14default_configENS1_25partition_config_selectorILNS1_17partition_subalgoE5E10large_dataNS0_10empty_typeEbEEZZNS1_14partition_implILS5_5ELb0ES3_mN6thrust23THRUST_200600_302600_NS6detail15normal_iteratorINSB_10device_ptrIS6_EEEEPS7_NSB_18transform_iteratorI7is_evenIS6_ESG_NSB_11use_defaultESL_EENS0_5tupleIJSG_S7_EEENSN_IJSH_SH_EEES7_PlJS7_EEE10hipError_tPvRmT3_T4_T5_T6_T7_T9_mT8_P12ihipStream_tbDpT10_ENKUlT_T0_E_clISt17integral_constantIbLb1EES19_IbLb0EEEEDaS15_S16_EUlS15_E_NS1_11comp_targetILNS1_3genE5ELNS1_11target_archE942ELNS1_3gpuE9ELNS1_3repE0EEENS1_30default_config_static_selectorELNS0_4arch9wavefront6targetE0EEEvT1_
    .private_segment_fixed_size: 0
    .sgpr_count:     0
    .sgpr_spill_count: 0
    .symbol:         _ZN7rocprim17ROCPRIM_400000_NS6detail17trampoline_kernelINS0_14default_configENS1_25partition_config_selectorILNS1_17partition_subalgoE5E10large_dataNS0_10empty_typeEbEEZZNS1_14partition_implILS5_5ELb0ES3_mN6thrust23THRUST_200600_302600_NS6detail15normal_iteratorINSB_10device_ptrIS6_EEEEPS7_NSB_18transform_iteratorI7is_evenIS6_ESG_NSB_11use_defaultESL_EENS0_5tupleIJSG_S7_EEENSN_IJSH_SH_EEES7_PlJS7_EEE10hipError_tPvRmT3_T4_T5_T6_T7_T9_mT8_P12ihipStream_tbDpT10_ENKUlT_T0_E_clISt17integral_constantIbLb1EES19_IbLb0EEEEDaS15_S16_EUlS15_E_NS1_11comp_targetILNS1_3genE5ELNS1_11target_archE942ELNS1_3gpuE9ELNS1_3repE0EEENS1_30default_config_static_selectorELNS0_4arch9wavefront6targetE0EEEvT1_.kd
    .uniform_work_group_size: 1
    .uses_dynamic_stack: false
    .vgpr_count:     0
    .vgpr_spill_count: 0
    .wavefront_size: 32
    .workgroup_processor_mode: 1
  - .args:
      - .offset:         0
        .size:           120
        .value_kind:     by_value
    .group_segment_fixed_size: 0
    .kernarg_segment_align: 8
    .kernarg_segment_size: 120
    .language:       OpenCL C
    .language_version:
      - 2
      - 0
    .max_flat_workgroup_size: 256
    .name:           _ZN7rocprim17ROCPRIM_400000_NS6detail17trampoline_kernelINS0_14default_configENS1_25partition_config_selectorILNS1_17partition_subalgoE5E10large_dataNS0_10empty_typeEbEEZZNS1_14partition_implILS5_5ELb0ES3_mN6thrust23THRUST_200600_302600_NS6detail15normal_iteratorINSB_10device_ptrIS6_EEEEPS7_NSB_18transform_iteratorI7is_evenIS6_ESG_NSB_11use_defaultESL_EENS0_5tupleIJSG_S7_EEENSN_IJSH_SH_EEES7_PlJS7_EEE10hipError_tPvRmT3_T4_T5_T6_T7_T9_mT8_P12ihipStream_tbDpT10_ENKUlT_T0_E_clISt17integral_constantIbLb1EES19_IbLb0EEEEDaS15_S16_EUlS15_E_NS1_11comp_targetILNS1_3genE4ELNS1_11target_archE910ELNS1_3gpuE8ELNS1_3repE0EEENS1_30default_config_static_selectorELNS0_4arch9wavefront6targetE0EEEvT1_
    .private_segment_fixed_size: 0
    .sgpr_count:     0
    .sgpr_spill_count: 0
    .symbol:         _ZN7rocprim17ROCPRIM_400000_NS6detail17trampoline_kernelINS0_14default_configENS1_25partition_config_selectorILNS1_17partition_subalgoE5E10large_dataNS0_10empty_typeEbEEZZNS1_14partition_implILS5_5ELb0ES3_mN6thrust23THRUST_200600_302600_NS6detail15normal_iteratorINSB_10device_ptrIS6_EEEEPS7_NSB_18transform_iteratorI7is_evenIS6_ESG_NSB_11use_defaultESL_EENS0_5tupleIJSG_S7_EEENSN_IJSH_SH_EEES7_PlJS7_EEE10hipError_tPvRmT3_T4_T5_T6_T7_T9_mT8_P12ihipStream_tbDpT10_ENKUlT_T0_E_clISt17integral_constantIbLb1EES19_IbLb0EEEEDaS15_S16_EUlS15_E_NS1_11comp_targetILNS1_3genE4ELNS1_11target_archE910ELNS1_3gpuE8ELNS1_3repE0EEENS1_30default_config_static_selectorELNS0_4arch9wavefront6targetE0EEEvT1_.kd
    .uniform_work_group_size: 1
    .uses_dynamic_stack: false
    .vgpr_count:     0
    .vgpr_spill_count: 0
    .wavefront_size: 32
    .workgroup_processor_mode: 1
  - .args:
      - .offset:         0
        .size:           120
        .value_kind:     by_value
    .group_segment_fixed_size: 0
    .kernarg_segment_align: 8
    .kernarg_segment_size: 120
    .language:       OpenCL C
    .language_version:
      - 2
      - 0
    .max_flat_workgroup_size: 256
    .name:           _ZN7rocprim17ROCPRIM_400000_NS6detail17trampoline_kernelINS0_14default_configENS1_25partition_config_selectorILNS1_17partition_subalgoE5E10large_dataNS0_10empty_typeEbEEZZNS1_14partition_implILS5_5ELb0ES3_mN6thrust23THRUST_200600_302600_NS6detail15normal_iteratorINSB_10device_ptrIS6_EEEEPS7_NSB_18transform_iteratorI7is_evenIS6_ESG_NSB_11use_defaultESL_EENS0_5tupleIJSG_S7_EEENSN_IJSH_SH_EEES7_PlJS7_EEE10hipError_tPvRmT3_T4_T5_T6_T7_T9_mT8_P12ihipStream_tbDpT10_ENKUlT_T0_E_clISt17integral_constantIbLb1EES19_IbLb0EEEEDaS15_S16_EUlS15_E_NS1_11comp_targetILNS1_3genE3ELNS1_11target_archE908ELNS1_3gpuE7ELNS1_3repE0EEENS1_30default_config_static_selectorELNS0_4arch9wavefront6targetE0EEEvT1_
    .private_segment_fixed_size: 0
    .sgpr_count:     0
    .sgpr_spill_count: 0
    .symbol:         _ZN7rocprim17ROCPRIM_400000_NS6detail17trampoline_kernelINS0_14default_configENS1_25partition_config_selectorILNS1_17partition_subalgoE5E10large_dataNS0_10empty_typeEbEEZZNS1_14partition_implILS5_5ELb0ES3_mN6thrust23THRUST_200600_302600_NS6detail15normal_iteratorINSB_10device_ptrIS6_EEEEPS7_NSB_18transform_iteratorI7is_evenIS6_ESG_NSB_11use_defaultESL_EENS0_5tupleIJSG_S7_EEENSN_IJSH_SH_EEES7_PlJS7_EEE10hipError_tPvRmT3_T4_T5_T6_T7_T9_mT8_P12ihipStream_tbDpT10_ENKUlT_T0_E_clISt17integral_constantIbLb1EES19_IbLb0EEEEDaS15_S16_EUlS15_E_NS1_11comp_targetILNS1_3genE3ELNS1_11target_archE908ELNS1_3gpuE7ELNS1_3repE0EEENS1_30default_config_static_selectorELNS0_4arch9wavefront6targetE0EEEvT1_.kd
    .uniform_work_group_size: 1
    .uses_dynamic_stack: false
    .vgpr_count:     0
    .vgpr_spill_count: 0
    .wavefront_size: 32
    .workgroup_processor_mode: 1
  - .args:
      - .offset:         0
        .size:           120
        .value_kind:     by_value
    .group_segment_fixed_size: 0
    .kernarg_segment_align: 8
    .kernarg_segment_size: 120
    .language:       OpenCL C
    .language_version:
      - 2
      - 0
    .max_flat_workgroup_size: 256
    .name:           _ZN7rocprim17ROCPRIM_400000_NS6detail17trampoline_kernelINS0_14default_configENS1_25partition_config_selectorILNS1_17partition_subalgoE5E10large_dataNS0_10empty_typeEbEEZZNS1_14partition_implILS5_5ELb0ES3_mN6thrust23THRUST_200600_302600_NS6detail15normal_iteratorINSB_10device_ptrIS6_EEEEPS7_NSB_18transform_iteratorI7is_evenIS6_ESG_NSB_11use_defaultESL_EENS0_5tupleIJSG_S7_EEENSN_IJSH_SH_EEES7_PlJS7_EEE10hipError_tPvRmT3_T4_T5_T6_T7_T9_mT8_P12ihipStream_tbDpT10_ENKUlT_T0_E_clISt17integral_constantIbLb1EES19_IbLb0EEEEDaS15_S16_EUlS15_E_NS1_11comp_targetILNS1_3genE2ELNS1_11target_archE906ELNS1_3gpuE6ELNS1_3repE0EEENS1_30default_config_static_selectorELNS0_4arch9wavefront6targetE0EEEvT1_
    .private_segment_fixed_size: 0
    .sgpr_count:     0
    .sgpr_spill_count: 0
    .symbol:         _ZN7rocprim17ROCPRIM_400000_NS6detail17trampoline_kernelINS0_14default_configENS1_25partition_config_selectorILNS1_17partition_subalgoE5E10large_dataNS0_10empty_typeEbEEZZNS1_14partition_implILS5_5ELb0ES3_mN6thrust23THRUST_200600_302600_NS6detail15normal_iteratorINSB_10device_ptrIS6_EEEEPS7_NSB_18transform_iteratorI7is_evenIS6_ESG_NSB_11use_defaultESL_EENS0_5tupleIJSG_S7_EEENSN_IJSH_SH_EEES7_PlJS7_EEE10hipError_tPvRmT3_T4_T5_T6_T7_T9_mT8_P12ihipStream_tbDpT10_ENKUlT_T0_E_clISt17integral_constantIbLb1EES19_IbLb0EEEEDaS15_S16_EUlS15_E_NS1_11comp_targetILNS1_3genE2ELNS1_11target_archE906ELNS1_3gpuE6ELNS1_3repE0EEENS1_30default_config_static_selectorELNS0_4arch9wavefront6targetE0EEEvT1_.kd
    .uniform_work_group_size: 1
    .uses_dynamic_stack: false
    .vgpr_count:     0
    .vgpr_spill_count: 0
    .wavefront_size: 32
    .workgroup_processor_mode: 1
  - .args:
      - .offset:         0
        .size:           120
        .value_kind:     by_value
    .group_segment_fixed_size: 0
    .kernarg_segment_align: 8
    .kernarg_segment_size: 120
    .language:       OpenCL C
    .language_version:
      - 2
      - 0
    .max_flat_workgroup_size: 256
    .name:           _ZN7rocprim17ROCPRIM_400000_NS6detail17trampoline_kernelINS0_14default_configENS1_25partition_config_selectorILNS1_17partition_subalgoE5E10large_dataNS0_10empty_typeEbEEZZNS1_14partition_implILS5_5ELb0ES3_mN6thrust23THRUST_200600_302600_NS6detail15normal_iteratorINSB_10device_ptrIS6_EEEEPS7_NSB_18transform_iteratorI7is_evenIS6_ESG_NSB_11use_defaultESL_EENS0_5tupleIJSG_S7_EEENSN_IJSH_SH_EEES7_PlJS7_EEE10hipError_tPvRmT3_T4_T5_T6_T7_T9_mT8_P12ihipStream_tbDpT10_ENKUlT_T0_E_clISt17integral_constantIbLb1EES19_IbLb0EEEEDaS15_S16_EUlS15_E_NS1_11comp_targetILNS1_3genE10ELNS1_11target_archE1200ELNS1_3gpuE4ELNS1_3repE0EEENS1_30default_config_static_selectorELNS0_4arch9wavefront6targetE0EEEvT1_
    .private_segment_fixed_size: 0
    .sgpr_count:     0
    .sgpr_spill_count: 0
    .symbol:         _ZN7rocprim17ROCPRIM_400000_NS6detail17trampoline_kernelINS0_14default_configENS1_25partition_config_selectorILNS1_17partition_subalgoE5E10large_dataNS0_10empty_typeEbEEZZNS1_14partition_implILS5_5ELb0ES3_mN6thrust23THRUST_200600_302600_NS6detail15normal_iteratorINSB_10device_ptrIS6_EEEEPS7_NSB_18transform_iteratorI7is_evenIS6_ESG_NSB_11use_defaultESL_EENS0_5tupleIJSG_S7_EEENSN_IJSH_SH_EEES7_PlJS7_EEE10hipError_tPvRmT3_T4_T5_T6_T7_T9_mT8_P12ihipStream_tbDpT10_ENKUlT_T0_E_clISt17integral_constantIbLb1EES19_IbLb0EEEEDaS15_S16_EUlS15_E_NS1_11comp_targetILNS1_3genE10ELNS1_11target_archE1200ELNS1_3gpuE4ELNS1_3repE0EEENS1_30default_config_static_selectorELNS0_4arch9wavefront6targetE0EEEvT1_.kd
    .uniform_work_group_size: 1
    .uses_dynamic_stack: false
    .vgpr_count:     0
    .vgpr_spill_count: 0
    .wavefront_size: 32
    .workgroup_processor_mode: 1
  - .args:
      - .offset:         0
        .size:           120
        .value_kind:     by_value
    .group_segment_fixed_size: 16
    .kernarg_segment_align: 8
    .kernarg_segment_size: 120
    .language:       OpenCL C
    .language_version:
      - 2
      - 0
    .max_flat_workgroup_size: 256
    .name:           _ZN7rocprim17ROCPRIM_400000_NS6detail17trampoline_kernelINS0_14default_configENS1_25partition_config_selectorILNS1_17partition_subalgoE5E10large_dataNS0_10empty_typeEbEEZZNS1_14partition_implILS5_5ELb0ES3_mN6thrust23THRUST_200600_302600_NS6detail15normal_iteratorINSB_10device_ptrIS6_EEEEPS7_NSB_18transform_iteratorI7is_evenIS6_ESG_NSB_11use_defaultESL_EENS0_5tupleIJSG_S7_EEENSN_IJSH_SH_EEES7_PlJS7_EEE10hipError_tPvRmT3_T4_T5_T6_T7_T9_mT8_P12ihipStream_tbDpT10_ENKUlT_T0_E_clISt17integral_constantIbLb1EES19_IbLb0EEEEDaS15_S16_EUlS15_E_NS1_11comp_targetILNS1_3genE9ELNS1_11target_archE1100ELNS1_3gpuE3ELNS1_3repE0EEENS1_30default_config_static_selectorELNS0_4arch9wavefront6targetE0EEEvT1_
    .private_segment_fixed_size: 0
    .sgpr_count:     30
    .sgpr_spill_count: 0
    .symbol:         _ZN7rocprim17ROCPRIM_400000_NS6detail17trampoline_kernelINS0_14default_configENS1_25partition_config_selectorILNS1_17partition_subalgoE5E10large_dataNS0_10empty_typeEbEEZZNS1_14partition_implILS5_5ELb0ES3_mN6thrust23THRUST_200600_302600_NS6detail15normal_iteratorINSB_10device_ptrIS6_EEEEPS7_NSB_18transform_iteratorI7is_evenIS6_ESG_NSB_11use_defaultESL_EENS0_5tupleIJSG_S7_EEENSN_IJSH_SH_EEES7_PlJS7_EEE10hipError_tPvRmT3_T4_T5_T6_T7_T9_mT8_P12ihipStream_tbDpT10_ENKUlT_T0_E_clISt17integral_constantIbLb1EES19_IbLb0EEEEDaS15_S16_EUlS15_E_NS1_11comp_targetILNS1_3genE9ELNS1_11target_archE1100ELNS1_3gpuE3ELNS1_3repE0EEENS1_30default_config_static_selectorELNS0_4arch9wavefront6targetE0EEEvT1_.kd
    .uniform_work_group_size: 1
    .uses_dynamic_stack: false
    .vgpr_count:     34
    .vgpr_spill_count: 0
    .wavefront_size: 32
    .workgroup_processor_mode: 1
  - .args:
      - .offset:         0
        .size:           120
        .value_kind:     by_value
    .group_segment_fixed_size: 0
    .kernarg_segment_align: 8
    .kernarg_segment_size: 120
    .language:       OpenCL C
    .language_version:
      - 2
      - 0
    .max_flat_workgroup_size: 256
    .name:           _ZN7rocprim17ROCPRIM_400000_NS6detail17trampoline_kernelINS0_14default_configENS1_25partition_config_selectorILNS1_17partition_subalgoE5E10large_dataNS0_10empty_typeEbEEZZNS1_14partition_implILS5_5ELb0ES3_mN6thrust23THRUST_200600_302600_NS6detail15normal_iteratorINSB_10device_ptrIS6_EEEEPS7_NSB_18transform_iteratorI7is_evenIS6_ESG_NSB_11use_defaultESL_EENS0_5tupleIJSG_S7_EEENSN_IJSH_SH_EEES7_PlJS7_EEE10hipError_tPvRmT3_T4_T5_T6_T7_T9_mT8_P12ihipStream_tbDpT10_ENKUlT_T0_E_clISt17integral_constantIbLb1EES19_IbLb0EEEEDaS15_S16_EUlS15_E_NS1_11comp_targetILNS1_3genE8ELNS1_11target_archE1030ELNS1_3gpuE2ELNS1_3repE0EEENS1_30default_config_static_selectorELNS0_4arch9wavefront6targetE0EEEvT1_
    .private_segment_fixed_size: 0
    .sgpr_count:     0
    .sgpr_spill_count: 0
    .symbol:         _ZN7rocprim17ROCPRIM_400000_NS6detail17trampoline_kernelINS0_14default_configENS1_25partition_config_selectorILNS1_17partition_subalgoE5E10large_dataNS0_10empty_typeEbEEZZNS1_14partition_implILS5_5ELb0ES3_mN6thrust23THRUST_200600_302600_NS6detail15normal_iteratorINSB_10device_ptrIS6_EEEEPS7_NSB_18transform_iteratorI7is_evenIS6_ESG_NSB_11use_defaultESL_EENS0_5tupleIJSG_S7_EEENSN_IJSH_SH_EEES7_PlJS7_EEE10hipError_tPvRmT3_T4_T5_T6_T7_T9_mT8_P12ihipStream_tbDpT10_ENKUlT_T0_E_clISt17integral_constantIbLb1EES19_IbLb0EEEEDaS15_S16_EUlS15_E_NS1_11comp_targetILNS1_3genE8ELNS1_11target_archE1030ELNS1_3gpuE2ELNS1_3repE0EEENS1_30default_config_static_selectorELNS0_4arch9wavefront6targetE0EEEvT1_.kd
    .uniform_work_group_size: 1
    .uses_dynamic_stack: false
    .vgpr_count:     0
    .vgpr_spill_count: 0
    .wavefront_size: 32
    .workgroup_processor_mode: 1
  - .args:
      - .offset:         0
        .size:           136
        .value_kind:     by_value
    .group_segment_fixed_size: 0
    .kernarg_segment_align: 8
    .kernarg_segment_size: 136
    .language:       OpenCL C
    .language_version:
      - 2
      - 0
    .max_flat_workgroup_size: 256
    .name:           _ZN7rocprim17ROCPRIM_400000_NS6detail17trampoline_kernelINS0_14default_configENS1_25partition_config_selectorILNS1_17partition_subalgoE5E10large_dataNS0_10empty_typeEbEEZZNS1_14partition_implILS5_5ELb0ES3_mN6thrust23THRUST_200600_302600_NS6detail15normal_iteratorINSB_10device_ptrIS6_EEEEPS7_NSB_18transform_iteratorI7is_evenIS6_ESG_NSB_11use_defaultESL_EENS0_5tupleIJSG_S7_EEENSN_IJSH_SH_EEES7_PlJS7_EEE10hipError_tPvRmT3_T4_T5_T6_T7_T9_mT8_P12ihipStream_tbDpT10_ENKUlT_T0_E_clISt17integral_constantIbLb0EES19_IbLb1EEEEDaS15_S16_EUlS15_E_NS1_11comp_targetILNS1_3genE0ELNS1_11target_archE4294967295ELNS1_3gpuE0ELNS1_3repE0EEENS1_30default_config_static_selectorELNS0_4arch9wavefront6targetE0EEEvT1_
    .private_segment_fixed_size: 0
    .sgpr_count:     0
    .sgpr_spill_count: 0
    .symbol:         _ZN7rocprim17ROCPRIM_400000_NS6detail17trampoline_kernelINS0_14default_configENS1_25partition_config_selectorILNS1_17partition_subalgoE5E10large_dataNS0_10empty_typeEbEEZZNS1_14partition_implILS5_5ELb0ES3_mN6thrust23THRUST_200600_302600_NS6detail15normal_iteratorINSB_10device_ptrIS6_EEEEPS7_NSB_18transform_iteratorI7is_evenIS6_ESG_NSB_11use_defaultESL_EENS0_5tupleIJSG_S7_EEENSN_IJSH_SH_EEES7_PlJS7_EEE10hipError_tPvRmT3_T4_T5_T6_T7_T9_mT8_P12ihipStream_tbDpT10_ENKUlT_T0_E_clISt17integral_constantIbLb0EES19_IbLb1EEEEDaS15_S16_EUlS15_E_NS1_11comp_targetILNS1_3genE0ELNS1_11target_archE4294967295ELNS1_3gpuE0ELNS1_3repE0EEENS1_30default_config_static_selectorELNS0_4arch9wavefront6targetE0EEEvT1_.kd
    .uniform_work_group_size: 1
    .uses_dynamic_stack: false
    .vgpr_count:     0
    .vgpr_spill_count: 0
    .wavefront_size: 32
    .workgroup_processor_mode: 1
  - .args:
      - .offset:         0
        .size:           136
        .value_kind:     by_value
    .group_segment_fixed_size: 0
    .kernarg_segment_align: 8
    .kernarg_segment_size: 136
    .language:       OpenCL C
    .language_version:
      - 2
      - 0
    .max_flat_workgroup_size: 256
    .name:           _ZN7rocprim17ROCPRIM_400000_NS6detail17trampoline_kernelINS0_14default_configENS1_25partition_config_selectorILNS1_17partition_subalgoE5E10large_dataNS0_10empty_typeEbEEZZNS1_14partition_implILS5_5ELb0ES3_mN6thrust23THRUST_200600_302600_NS6detail15normal_iteratorINSB_10device_ptrIS6_EEEEPS7_NSB_18transform_iteratorI7is_evenIS6_ESG_NSB_11use_defaultESL_EENS0_5tupleIJSG_S7_EEENSN_IJSH_SH_EEES7_PlJS7_EEE10hipError_tPvRmT3_T4_T5_T6_T7_T9_mT8_P12ihipStream_tbDpT10_ENKUlT_T0_E_clISt17integral_constantIbLb0EES19_IbLb1EEEEDaS15_S16_EUlS15_E_NS1_11comp_targetILNS1_3genE5ELNS1_11target_archE942ELNS1_3gpuE9ELNS1_3repE0EEENS1_30default_config_static_selectorELNS0_4arch9wavefront6targetE0EEEvT1_
    .private_segment_fixed_size: 0
    .sgpr_count:     0
    .sgpr_spill_count: 0
    .symbol:         _ZN7rocprim17ROCPRIM_400000_NS6detail17trampoline_kernelINS0_14default_configENS1_25partition_config_selectorILNS1_17partition_subalgoE5E10large_dataNS0_10empty_typeEbEEZZNS1_14partition_implILS5_5ELb0ES3_mN6thrust23THRUST_200600_302600_NS6detail15normal_iteratorINSB_10device_ptrIS6_EEEEPS7_NSB_18transform_iteratorI7is_evenIS6_ESG_NSB_11use_defaultESL_EENS0_5tupleIJSG_S7_EEENSN_IJSH_SH_EEES7_PlJS7_EEE10hipError_tPvRmT3_T4_T5_T6_T7_T9_mT8_P12ihipStream_tbDpT10_ENKUlT_T0_E_clISt17integral_constantIbLb0EES19_IbLb1EEEEDaS15_S16_EUlS15_E_NS1_11comp_targetILNS1_3genE5ELNS1_11target_archE942ELNS1_3gpuE9ELNS1_3repE0EEENS1_30default_config_static_selectorELNS0_4arch9wavefront6targetE0EEEvT1_.kd
    .uniform_work_group_size: 1
    .uses_dynamic_stack: false
    .vgpr_count:     0
    .vgpr_spill_count: 0
    .wavefront_size: 32
    .workgroup_processor_mode: 1
  - .args:
      - .offset:         0
        .size:           136
        .value_kind:     by_value
    .group_segment_fixed_size: 0
    .kernarg_segment_align: 8
    .kernarg_segment_size: 136
    .language:       OpenCL C
    .language_version:
      - 2
      - 0
    .max_flat_workgroup_size: 256
    .name:           _ZN7rocprim17ROCPRIM_400000_NS6detail17trampoline_kernelINS0_14default_configENS1_25partition_config_selectorILNS1_17partition_subalgoE5E10large_dataNS0_10empty_typeEbEEZZNS1_14partition_implILS5_5ELb0ES3_mN6thrust23THRUST_200600_302600_NS6detail15normal_iteratorINSB_10device_ptrIS6_EEEEPS7_NSB_18transform_iteratorI7is_evenIS6_ESG_NSB_11use_defaultESL_EENS0_5tupleIJSG_S7_EEENSN_IJSH_SH_EEES7_PlJS7_EEE10hipError_tPvRmT3_T4_T5_T6_T7_T9_mT8_P12ihipStream_tbDpT10_ENKUlT_T0_E_clISt17integral_constantIbLb0EES19_IbLb1EEEEDaS15_S16_EUlS15_E_NS1_11comp_targetILNS1_3genE4ELNS1_11target_archE910ELNS1_3gpuE8ELNS1_3repE0EEENS1_30default_config_static_selectorELNS0_4arch9wavefront6targetE0EEEvT1_
    .private_segment_fixed_size: 0
    .sgpr_count:     0
    .sgpr_spill_count: 0
    .symbol:         _ZN7rocprim17ROCPRIM_400000_NS6detail17trampoline_kernelINS0_14default_configENS1_25partition_config_selectorILNS1_17partition_subalgoE5E10large_dataNS0_10empty_typeEbEEZZNS1_14partition_implILS5_5ELb0ES3_mN6thrust23THRUST_200600_302600_NS6detail15normal_iteratorINSB_10device_ptrIS6_EEEEPS7_NSB_18transform_iteratorI7is_evenIS6_ESG_NSB_11use_defaultESL_EENS0_5tupleIJSG_S7_EEENSN_IJSH_SH_EEES7_PlJS7_EEE10hipError_tPvRmT3_T4_T5_T6_T7_T9_mT8_P12ihipStream_tbDpT10_ENKUlT_T0_E_clISt17integral_constantIbLb0EES19_IbLb1EEEEDaS15_S16_EUlS15_E_NS1_11comp_targetILNS1_3genE4ELNS1_11target_archE910ELNS1_3gpuE8ELNS1_3repE0EEENS1_30default_config_static_selectorELNS0_4arch9wavefront6targetE0EEEvT1_.kd
    .uniform_work_group_size: 1
    .uses_dynamic_stack: false
    .vgpr_count:     0
    .vgpr_spill_count: 0
    .wavefront_size: 32
    .workgroup_processor_mode: 1
  - .args:
      - .offset:         0
        .size:           136
        .value_kind:     by_value
    .group_segment_fixed_size: 0
    .kernarg_segment_align: 8
    .kernarg_segment_size: 136
    .language:       OpenCL C
    .language_version:
      - 2
      - 0
    .max_flat_workgroup_size: 256
    .name:           _ZN7rocprim17ROCPRIM_400000_NS6detail17trampoline_kernelINS0_14default_configENS1_25partition_config_selectorILNS1_17partition_subalgoE5E10large_dataNS0_10empty_typeEbEEZZNS1_14partition_implILS5_5ELb0ES3_mN6thrust23THRUST_200600_302600_NS6detail15normal_iteratorINSB_10device_ptrIS6_EEEEPS7_NSB_18transform_iteratorI7is_evenIS6_ESG_NSB_11use_defaultESL_EENS0_5tupleIJSG_S7_EEENSN_IJSH_SH_EEES7_PlJS7_EEE10hipError_tPvRmT3_T4_T5_T6_T7_T9_mT8_P12ihipStream_tbDpT10_ENKUlT_T0_E_clISt17integral_constantIbLb0EES19_IbLb1EEEEDaS15_S16_EUlS15_E_NS1_11comp_targetILNS1_3genE3ELNS1_11target_archE908ELNS1_3gpuE7ELNS1_3repE0EEENS1_30default_config_static_selectorELNS0_4arch9wavefront6targetE0EEEvT1_
    .private_segment_fixed_size: 0
    .sgpr_count:     0
    .sgpr_spill_count: 0
    .symbol:         _ZN7rocprim17ROCPRIM_400000_NS6detail17trampoline_kernelINS0_14default_configENS1_25partition_config_selectorILNS1_17partition_subalgoE5E10large_dataNS0_10empty_typeEbEEZZNS1_14partition_implILS5_5ELb0ES3_mN6thrust23THRUST_200600_302600_NS6detail15normal_iteratorINSB_10device_ptrIS6_EEEEPS7_NSB_18transform_iteratorI7is_evenIS6_ESG_NSB_11use_defaultESL_EENS0_5tupleIJSG_S7_EEENSN_IJSH_SH_EEES7_PlJS7_EEE10hipError_tPvRmT3_T4_T5_T6_T7_T9_mT8_P12ihipStream_tbDpT10_ENKUlT_T0_E_clISt17integral_constantIbLb0EES19_IbLb1EEEEDaS15_S16_EUlS15_E_NS1_11comp_targetILNS1_3genE3ELNS1_11target_archE908ELNS1_3gpuE7ELNS1_3repE0EEENS1_30default_config_static_selectorELNS0_4arch9wavefront6targetE0EEEvT1_.kd
    .uniform_work_group_size: 1
    .uses_dynamic_stack: false
    .vgpr_count:     0
    .vgpr_spill_count: 0
    .wavefront_size: 32
    .workgroup_processor_mode: 1
  - .args:
      - .offset:         0
        .size:           136
        .value_kind:     by_value
    .group_segment_fixed_size: 0
    .kernarg_segment_align: 8
    .kernarg_segment_size: 136
    .language:       OpenCL C
    .language_version:
      - 2
      - 0
    .max_flat_workgroup_size: 256
    .name:           _ZN7rocprim17ROCPRIM_400000_NS6detail17trampoline_kernelINS0_14default_configENS1_25partition_config_selectorILNS1_17partition_subalgoE5E10large_dataNS0_10empty_typeEbEEZZNS1_14partition_implILS5_5ELb0ES3_mN6thrust23THRUST_200600_302600_NS6detail15normal_iteratorINSB_10device_ptrIS6_EEEEPS7_NSB_18transform_iteratorI7is_evenIS6_ESG_NSB_11use_defaultESL_EENS0_5tupleIJSG_S7_EEENSN_IJSH_SH_EEES7_PlJS7_EEE10hipError_tPvRmT3_T4_T5_T6_T7_T9_mT8_P12ihipStream_tbDpT10_ENKUlT_T0_E_clISt17integral_constantIbLb0EES19_IbLb1EEEEDaS15_S16_EUlS15_E_NS1_11comp_targetILNS1_3genE2ELNS1_11target_archE906ELNS1_3gpuE6ELNS1_3repE0EEENS1_30default_config_static_selectorELNS0_4arch9wavefront6targetE0EEEvT1_
    .private_segment_fixed_size: 0
    .sgpr_count:     0
    .sgpr_spill_count: 0
    .symbol:         _ZN7rocprim17ROCPRIM_400000_NS6detail17trampoline_kernelINS0_14default_configENS1_25partition_config_selectorILNS1_17partition_subalgoE5E10large_dataNS0_10empty_typeEbEEZZNS1_14partition_implILS5_5ELb0ES3_mN6thrust23THRUST_200600_302600_NS6detail15normal_iteratorINSB_10device_ptrIS6_EEEEPS7_NSB_18transform_iteratorI7is_evenIS6_ESG_NSB_11use_defaultESL_EENS0_5tupleIJSG_S7_EEENSN_IJSH_SH_EEES7_PlJS7_EEE10hipError_tPvRmT3_T4_T5_T6_T7_T9_mT8_P12ihipStream_tbDpT10_ENKUlT_T0_E_clISt17integral_constantIbLb0EES19_IbLb1EEEEDaS15_S16_EUlS15_E_NS1_11comp_targetILNS1_3genE2ELNS1_11target_archE906ELNS1_3gpuE6ELNS1_3repE0EEENS1_30default_config_static_selectorELNS0_4arch9wavefront6targetE0EEEvT1_.kd
    .uniform_work_group_size: 1
    .uses_dynamic_stack: false
    .vgpr_count:     0
    .vgpr_spill_count: 0
    .wavefront_size: 32
    .workgroup_processor_mode: 1
  - .args:
      - .offset:         0
        .size:           136
        .value_kind:     by_value
    .group_segment_fixed_size: 0
    .kernarg_segment_align: 8
    .kernarg_segment_size: 136
    .language:       OpenCL C
    .language_version:
      - 2
      - 0
    .max_flat_workgroup_size: 256
    .name:           _ZN7rocprim17ROCPRIM_400000_NS6detail17trampoline_kernelINS0_14default_configENS1_25partition_config_selectorILNS1_17partition_subalgoE5E10large_dataNS0_10empty_typeEbEEZZNS1_14partition_implILS5_5ELb0ES3_mN6thrust23THRUST_200600_302600_NS6detail15normal_iteratorINSB_10device_ptrIS6_EEEEPS7_NSB_18transform_iteratorI7is_evenIS6_ESG_NSB_11use_defaultESL_EENS0_5tupleIJSG_S7_EEENSN_IJSH_SH_EEES7_PlJS7_EEE10hipError_tPvRmT3_T4_T5_T6_T7_T9_mT8_P12ihipStream_tbDpT10_ENKUlT_T0_E_clISt17integral_constantIbLb0EES19_IbLb1EEEEDaS15_S16_EUlS15_E_NS1_11comp_targetILNS1_3genE10ELNS1_11target_archE1200ELNS1_3gpuE4ELNS1_3repE0EEENS1_30default_config_static_selectorELNS0_4arch9wavefront6targetE0EEEvT1_
    .private_segment_fixed_size: 0
    .sgpr_count:     0
    .sgpr_spill_count: 0
    .symbol:         _ZN7rocprim17ROCPRIM_400000_NS6detail17trampoline_kernelINS0_14default_configENS1_25partition_config_selectorILNS1_17partition_subalgoE5E10large_dataNS0_10empty_typeEbEEZZNS1_14partition_implILS5_5ELb0ES3_mN6thrust23THRUST_200600_302600_NS6detail15normal_iteratorINSB_10device_ptrIS6_EEEEPS7_NSB_18transform_iteratorI7is_evenIS6_ESG_NSB_11use_defaultESL_EENS0_5tupleIJSG_S7_EEENSN_IJSH_SH_EEES7_PlJS7_EEE10hipError_tPvRmT3_T4_T5_T6_T7_T9_mT8_P12ihipStream_tbDpT10_ENKUlT_T0_E_clISt17integral_constantIbLb0EES19_IbLb1EEEEDaS15_S16_EUlS15_E_NS1_11comp_targetILNS1_3genE10ELNS1_11target_archE1200ELNS1_3gpuE4ELNS1_3repE0EEENS1_30default_config_static_selectorELNS0_4arch9wavefront6targetE0EEEvT1_.kd
    .uniform_work_group_size: 1
    .uses_dynamic_stack: false
    .vgpr_count:     0
    .vgpr_spill_count: 0
    .wavefront_size: 32
    .workgroup_processor_mode: 1
  - .args:
      - .offset:         0
        .size:           136
        .value_kind:     by_value
    .group_segment_fixed_size: 16
    .kernarg_segment_align: 8
    .kernarg_segment_size: 136
    .language:       OpenCL C
    .language_version:
      - 2
      - 0
    .max_flat_workgroup_size: 256
    .name:           _ZN7rocprim17ROCPRIM_400000_NS6detail17trampoline_kernelINS0_14default_configENS1_25partition_config_selectorILNS1_17partition_subalgoE5E10large_dataNS0_10empty_typeEbEEZZNS1_14partition_implILS5_5ELb0ES3_mN6thrust23THRUST_200600_302600_NS6detail15normal_iteratorINSB_10device_ptrIS6_EEEEPS7_NSB_18transform_iteratorI7is_evenIS6_ESG_NSB_11use_defaultESL_EENS0_5tupleIJSG_S7_EEENSN_IJSH_SH_EEES7_PlJS7_EEE10hipError_tPvRmT3_T4_T5_T6_T7_T9_mT8_P12ihipStream_tbDpT10_ENKUlT_T0_E_clISt17integral_constantIbLb0EES19_IbLb1EEEEDaS15_S16_EUlS15_E_NS1_11comp_targetILNS1_3genE9ELNS1_11target_archE1100ELNS1_3gpuE3ELNS1_3repE0EEENS1_30default_config_static_selectorELNS0_4arch9wavefront6targetE0EEEvT1_
    .private_segment_fixed_size: 0
    .sgpr_count:     28
    .sgpr_spill_count: 0
    .symbol:         _ZN7rocprim17ROCPRIM_400000_NS6detail17trampoline_kernelINS0_14default_configENS1_25partition_config_selectorILNS1_17partition_subalgoE5E10large_dataNS0_10empty_typeEbEEZZNS1_14partition_implILS5_5ELb0ES3_mN6thrust23THRUST_200600_302600_NS6detail15normal_iteratorINSB_10device_ptrIS6_EEEEPS7_NSB_18transform_iteratorI7is_evenIS6_ESG_NSB_11use_defaultESL_EENS0_5tupleIJSG_S7_EEENSN_IJSH_SH_EEES7_PlJS7_EEE10hipError_tPvRmT3_T4_T5_T6_T7_T9_mT8_P12ihipStream_tbDpT10_ENKUlT_T0_E_clISt17integral_constantIbLb0EES19_IbLb1EEEEDaS15_S16_EUlS15_E_NS1_11comp_targetILNS1_3genE9ELNS1_11target_archE1100ELNS1_3gpuE3ELNS1_3repE0EEENS1_30default_config_static_selectorELNS0_4arch9wavefront6targetE0EEEvT1_.kd
    .uniform_work_group_size: 1
    .uses_dynamic_stack: false
    .vgpr_count:     36
    .vgpr_spill_count: 0
    .wavefront_size: 32
    .workgroup_processor_mode: 1
  - .args:
      - .offset:         0
        .size:           136
        .value_kind:     by_value
    .group_segment_fixed_size: 0
    .kernarg_segment_align: 8
    .kernarg_segment_size: 136
    .language:       OpenCL C
    .language_version:
      - 2
      - 0
    .max_flat_workgroup_size: 256
    .name:           _ZN7rocprim17ROCPRIM_400000_NS6detail17trampoline_kernelINS0_14default_configENS1_25partition_config_selectorILNS1_17partition_subalgoE5E10large_dataNS0_10empty_typeEbEEZZNS1_14partition_implILS5_5ELb0ES3_mN6thrust23THRUST_200600_302600_NS6detail15normal_iteratorINSB_10device_ptrIS6_EEEEPS7_NSB_18transform_iteratorI7is_evenIS6_ESG_NSB_11use_defaultESL_EENS0_5tupleIJSG_S7_EEENSN_IJSH_SH_EEES7_PlJS7_EEE10hipError_tPvRmT3_T4_T5_T6_T7_T9_mT8_P12ihipStream_tbDpT10_ENKUlT_T0_E_clISt17integral_constantIbLb0EES19_IbLb1EEEEDaS15_S16_EUlS15_E_NS1_11comp_targetILNS1_3genE8ELNS1_11target_archE1030ELNS1_3gpuE2ELNS1_3repE0EEENS1_30default_config_static_selectorELNS0_4arch9wavefront6targetE0EEEvT1_
    .private_segment_fixed_size: 0
    .sgpr_count:     0
    .sgpr_spill_count: 0
    .symbol:         _ZN7rocprim17ROCPRIM_400000_NS6detail17trampoline_kernelINS0_14default_configENS1_25partition_config_selectorILNS1_17partition_subalgoE5E10large_dataNS0_10empty_typeEbEEZZNS1_14partition_implILS5_5ELb0ES3_mN6thrust23THRUST_200600_302600_NS6detail15normal_iteratorINSB_10device_ptrIS6_EEEEPS7_NSB_18transform_iteratorI7is_evenIS6_ESG_NSB_11use_defaultESL_EENS0_5tupleIJSG_S7_EEENSN_IJSH_SH_EEES7_PlJS7_EEE10hipError_tPvRmT3_T4_T5_T6_T7_T9_mT8_P12ihipStream_tbDpT10_ENKUlT_T0_E_clISt17integral_constantIbLb0EES19_IbLb1EEEEDaS15_S16_EUlS15_E_NS1_11comp_targetILNS1_3genE8ELNS1_11target_archE1030ELNS1_3gpuE2ELNS1_3repE0EEENS1_30default_config_static_selectorELNS0_4arch9wavefront6targetE0EEEvT1_.kd
    .uniform_work_group_size: 1
    .uses_dynamic_stack: false
    .vgpr_count:     0
    .vgpr_spill_count: 0
    .wavefront_size: 32
    .workgroup_processor_mode: 1
  - .args:
      - .offset:         0
        .size:           24
        .value_kind:     by_value
      - .offset:         24
        .size:           8
        .value_kind:     by_value
      - .offset:         32
        .size:           8
        .value_kind:     by_value
    .group_segment_fixed_size: 0
    .kernarg_segment_align: 8
    .kernarg_segment_size: 40
    .language:       OpenCL C
    .language_version:
      - 2
      - 0
    .max_flat_workgroup_size: 256
    .name:           _ZN6thrust23THRUST_200600_302600_NS11hip_rocprim14__parallel_for6kernelILj256ENS1_10for_each_fINS0_12zip_iteratorINS0_5tupleINS0_6detail15normal_iteratorINS0_10device_ptrI10large_dataEEEENS0_7pointerISA_NS1_3tagENS0_11use_defaultESF_EENS0_9null_typeESH_SH_SH_SH_SH_SH_SH_EEEENS7_16wrapped_functionINS7_23allocator_traits_detail29copy_construct_with_allocatorINS7_18no_throw_allocatorINS7_19temporary_allocatorISA_SE_EEEESA_SA_EEvEEEElLj1EEEvT0_T1_SV_
    .private_segment_fixed_size: 0
    .sgpr_count:     18
    .sgpr_spill_count: 0
    .symbol:         _ZN6thrust23THRUST_200600_302600_NS11hip_rocprim14__parallel_for6kernelILj256ENS1_10for_each_fINS0_12zip_iteratorINS0_5tupleINS0_6detail15normal_iteratorINS0_10device_ptrI10large_dataEEEENS0_7pointerISA_NS1_3tagENS0_11use_defaultESF_EENS0_9null_typeESH_SH_SH_SH_SH_SH_SH_EEEENS7_16wrapped_functionINS7_23allocator_traits_detail29copy_construct_with_allocatorINS7_18no_throw_allocatorINS7_19temporary_allocatorISA_SE_EEEESA_SA_EEvEEEElLj1EEEvT0_T1_SV_.kd
    .uniform_work_group_size: 1
    .uses_dynamic_stack: false
    .vgpr_count:     4
    .vgpr_spill_count: 0
    .wavefront_size: 32
    .workgroup_processor_mode: 1
  - .args:
      - .offset:         0
        .size:           24
        .value_kind:     by_value
      - .offset:         24
        .size:           8
        .value_kind:     by_value
      - .offset:         32
        .size:           8
        .value_kind:     by_value
    .group_segment_fixed_size: 0
    .kernarg_segment_align: 8
    .kernarg_segment_size: 40
    .language:       OpenCL C
    .language_version:
      - 2
      - 0
    .max_flat_workgroup_size: 256
    .name:           _ZN6thrust23THRUST_200600_302600_NS11hip_rocprim14__parallel_for6kernelILj256ENS1_11__transform17unary_transform_fINS0_6detail15normal_iteratorINS0_7pointerI10large_dataNS1_3tagENS0_11use_defaultESB_EEEENS7_INS0_10device_ptrIS9_EEEENS4_14no_stencil_tagENS0_8identityIS9_EENS4_21always_true_predicateEEElLj1EEEvT0_T1_SN_
    .private_segment_fixed_size: 0
    .sgpr_count:     18
    .sgpr_spill_count: 0
    .symbol:         _ZN6thrust23THRUST_200600_302600_NS11hip_rocprim14__parallel_for6kernelILj256ENS1_11__transform17unary_transform_fINS0_6detail15normal_iteratorINS0_7pointerI10large_dataNS1_3tagENS0_11use_defaultESB_EEEENS7_INS0_10device_ptrIS9_EEEENS4_14no_stencil_tagENS0_8identityIS9_EENS4_21always_true_predicateEEElLj1EEEvT0_T1_SN_.kd
    .uniform_work_group_size: 1
    .uses_dynamic_stack: false
    .vgpr_count:     5
    .vgpr_spill_count: 0
    .wavefront_size: 32
    .workgroup_processor_mode: 1
  - .args:
      - .offset:         0
        .size:           24
        .value_kind:     by_value
      - .offset:         24
        .size:           8
        .value_kind:     by_value
      - .offset:         32
        .size:           8
        .value_kind:     by_value
    .group_segment_fixed_size: 0
    .kernarg_segment_align: 8
    .kernarg_segment_size: 40
    .language:       OpenCL C
    .language_version:
      - 2
      - 0
    .max_flat_workgroup_size: 256
    .name:           _ZN6thrust23THRUST_200600_302600_NS11hip_rocprim14__parallel_for6kernelILj256ENS1_10for_each_fINS0_12zip_iteratorINS0_5tupleINS0_6detail15normal_iteratorINS0_10device_ptrI10large_dataEEEESB_NS0_9null_typeESD_SD_SD_SD_SD_SD_SD_EEEENS7_16wrapped_functionINS7_23allocator_traits_detail29copy_construct_with_allocatorINS0_16device_allocatorISA_EESA_SA_EEvEEEElLj1EEEvT0_T1_SP_
    .private_segment_fixed_size: 0
    .sgpr_count:     18
    .sgpr_spill_count: 0
    .symbol:         _ZN6thrust23THRUST_200600_302600_NS11hip_rocprim14__parallel_for6kernelILj256ENS1_10for_each_fINS0_12zip_iteratorINS0_5tupleINS0_6detail15normal_iteratorINS0_10device_ptrI10large_dataEEEESB_NS0_9null_typeESD_SD_SD_SD_SD_SD_SD_EEEENS7_16wrapped_functionINS7_23allocator_traits_detail29copy_construct_with_allocatorINS0_16device_allocatorISA_EESA_SA_EEvEEEElLj1EEEvT0_T1_SP_.kd
    .uniform_work_group_size: 1
    .uses_dynamic_stack: false
    .vgpr_count:     4
    .vgpr_spill_count: 0
    .wavefront_size: 32
    .workgroup_processor_mode: 1
  - .args:
      - .offset:         0
        .size:           16
        .value_kind:     by_value
      - .offset:         16
        .size:           8
        .value_kind:     by_value
      - .offset:         24
        .size:           8
        .value_kind:     by_value
    .group_segment_fixed_size: 0
    .kernarg_segment_align: 8
    .kernarg_segment_size: 32
    .language:       OpenCL C
    .language_version:
      - 2
      - 0
    .max_flat_workgroup_size: 256
    .name:           _ZN6thrust23THRUST_200600_302600_NS11hip_rocprim14__parallel_for6kernelILj256ENS1_20__uninitialized_copy7functorINS0_6detail15normal_iteratorINS0_10device_ptrIK10large_dataEEEENS0_7pointerIS9_NS1_3tagENS0_11use_defaultESF_EEEEmLj1EEEvT0_T1_SJ_
    .private_segment_fixed_size: 0
    .sgpr_count:     18
    .sgpr_spill_count: 0
    .symbol:         _ZN6thrust23THRUST_200600_302600_NS11hip_rocprim14__parallel_for6kernelILj256ENS1_20__uninitialized_copy7functorINS0_6detail15normal_iteratorINS0_10device_ptrIK10large_dataEEEENS0_7pointerIS9_NS1_3tagENS0_11use_defaultESF_EEEEmLj1EEEvT0_T1_SJ_.kd
    .uniform_work_group_size: 1
    .uses_dynamic_stack: false
    .vgpr_count:     5
    .vgpr_spill_count: 0
    .wavefront_size: 32
    .workgroup_processor_mode: 1
  - .args:
      - .offset:         0
        .size:           16
        .value_kind:     by_value
      - .offset:         16
        .size:           8
        .value_kind:     by_value
      - .offset:         24
        .size:           8
        .value_kind:     by_value
    .group_segment_fixed_size: 0
    .kernarg_segment_align: 8
    .kernarg_segment_size: 32
    .language:       OpenCL C
    .language_version:
      - 2
      - 0
    .max_flat_workgroup_size: 256
    .name:           _ZN6thrust23THRUST_200600_302600_NS11hip_rocprim14__parallel_for6kernelILj256ENS1_20__uninitialized_copy7functorINS0_10device_ptrIK10large_dataEENS0_7pointerIS7_NS1_3tagENS0_11use_defaultESC_EEEEmLj1EEEvT0_T1_SG_
    .private_segment_fixed_size: 0
    .sgpr_count:     18
    .sgpr_spill_count: 0
    .symbol:         _ZN6thrust23THRUST_200600_302600_NS11hip_rocprim14__parallel_for6kernelILj256ENS1_20__uninitialized_copy7functorINS0_10device_ptrIK10large_dataEENS0_7pointerIS7_NS1_3tagENS0_11use_defaultESC_EEEEmLj1EEEvT0_T1_SG_.kd
    .uniform_work_group_size: 1
    .uses_dynamic_stack: false
    .vgpr_count:     5
    .vgpr_spill_count: 0
    .wavefront_size: 32
    .workgroup_processor_mode: 1
  - .args:
      - .offset:         0
        .size:           120
        .value_kind:     by_value
    .group_segment_fixed_size: 0
    .kernarg_segment_align: 8
    .kernarg_segment_size: 120
    .language:       OpenCL C
    .language_version:
      - 2
      - 0
    .max_flat_workgroup_size: 256
    .name:           _ZN7rocprim17ROCPRIM_400000_NS6detail17trampoline_kernelINS0_14default_configENS1_25partition_config_selectorILNS1_17partition_subalgoE5E10large_dataNS0_10empty_typeEbEEZZNS1_14partition_implILS5_5ELb0ES3_mN6thrust23THRUST_200600_302600_NS6detail15normal_iteratorINSB_10device_ptrIS6_EEEEPS7_NSB_18transform_iteratorI5mod_3IS6_ESG_NSB_11use_defaultESL_EENS0_5tupleIJSG_S7_EEENSN_IJSH_SH_EEES7_PlJS7_EEE10hipError_tPvRmT3_T4_T5_T6_T7_T9_mT8_P12ihipStream_tbDpT10_ENKUlT_T0_E_clISt17integral_constantIbLb0EES1A_EEDaS15_S16_EUlS15_E_NS1_11comp_targetILNS1_3genE0ELNS1_11target_archE4294967295ELNS1_3gpuE0ELNS1_3repE0EEENS1_30default_config_static_selectorELNS0_4arch9wavefront6targetE0EEEvT1_
    .private_segment_fixed_size: 0
    .sgpr_count:     0
    .sgpr_spill_count: 0
    .symbol:         _ZN7rocprim17ROCPRIM_400000_NS6detail17trampoline_kernelINS0_14default_configENS1_25partition_config_selectorILNS1_17partition_subalgoE5E10large_dataNS0_10empty_typeEbEEZZNS1_14partition_implILS5_5ELb0ES3_mN6thrust23THRUST_200600_302600_NS6detail15normal_iteratorINSB_10device_ptrIS6_EEEEPS7_NSB_18transform_iteratorI5mod_3IS6_ESG_NSB_11use_defaultESL_EENS0_5tupleIJSG_S7_EEENSN_IJSH_SH_EEES7_PlJS7_EEE10hipError_tPvRmT3_T4_T5_T6_T7_T9_mT8_P12ihipStream_tbDpT10_ENKUlT_T0_E_clISt17integral_constantIbLb0EES1A_EEDaS15_S16_EUlS15_E_NS1_11comp_targetILNS1_3genE0ELNS1_11target_archE4294967295ELNS1_3gpuE0ELNS1_3repE0EEENS1_30default_config_static_selectorELNS0_4arch9wavefront6targetE0EEEvT1_.kd
    .uniform_work_group_size: 1
    .uses_dynamic_stack: false
    .vgpr_count:     0
    .vgpr_spill_count: 0
    .wavefront_size: 32
    .workgroup_processor_mode: 1
  - .args:
      - .offset:         0
        .size:           120
        .value_kind:     by_value
    .group_segment_fixed_size: 0
    .kernarg_segment_align: 8
    .kernarg_segment_size: 120
    .language:       OpenCL C
    .language_version:
      - 2
      - 0
    .max_flat_workgroup_size: 256
    .name:           _ZN7rocprim17ROCPRIM_400000_NS6detail17trampoline_kernelINS0_14default_configENS1_25partition_config_selectorILNS1_17partition_subalgoE5E10large_dataNS0_10empty_typeEbEEZZNS1_14partition_implILS5_5ELb0ES3_mN6thrust23THRUST_200600_302600_NS6detail15normal_iteratorINSB_10device_ptrIS6_EEEEPS7_NSB_18transform_iteratorI5mod_3IS6_ESG_NSB_11use_defaultESL_EENS0_5tupleIJSG_S7_EEENSN_IJSH_SH_EEES7_PlJS7_EEE10hipError_tPvRmT3_T4_T5_T6_T7_T9_mT8_P12ihipStream_tbDpT10_ENKUlT_T0_E_clISt17integral_constantIbLb0EES1A_EEDaS15_S16_EUlS15_E_NS1_11comp_targetILNS1_3genE5ELNS1_11target_archE942ELNS1_3gpuE9ELNS1_3repE0EEENS1_30default_config_static_selectorELNS0_4arch9wavefront6targetE0EEEvT1_
    .private_segment_fixed_size: 0
    .sgpr_count:     0
    .sgpr_spill_count: 0
    .symbol:         _ZN7rocprim17ROCPRIM_400000_NS6detail17trampoline_kernelINS0_14default_configENS1_25partition_config_selectorILNS1_17partition_subalgoE5E10large_dataNS0_10empty_typeEbEEZZNS1_14partition_implILS5_5ELb0ES3_mN6thrust23THRUST_200600_302600_NS6detail15normal_iteratorINSB_10device_ptrIS6_EEEEPS7_NSB_18transform_iteratorI5mod_3IS6_ESG_NSB_11use_defaultESL_EENS0_5tupleIJSG_S7_EEENSN_IJSH_SH_EEES7_PlJS7_EEE10hipError_tPvRmT3_T4_T5_T6_T7_T9_mT8_P12ihipStream_tbDpT10_ENKUlT_T0_E_clISt17integral_constantIbLb0EES1A_EEDaS15_S16_EUlS15_E_NS1_11comp_targetILNS1_3genE5ELNS1_11target_archE942ELNS1_3gpuE9ELNS1_3repE0EEENS1_30default_config_static_selectorELNS0_4arch9wavefront6targetE0EEEvT1_.kd
    .uniform_work_group_size: 1
    .uses_dynamic_stack: false
    .vgpr_count:     0
    .vgpr_spill_count: 0
    .wavefront_size: 32
    .workgroup_processor_mode: 1
  - .args:
      - .offset:         0
        .size:           120
        .value_kind:     by_value
    .group_segment_fixed_size: 0
    .kernarg_segment_align: 8
    .kernarg_segment_size: 120
    .language:       OpenCL C
    .language_version:
      - 2
      - 0
    .max_flat_workgroup_size: 256
    .name:           _ZN7rocprim17ROCPRIM_400000_NS6detail17trampoline_kernelINS0_14default_configENS1_25partition_config_selectorILNS1_17partition_subalgoE5E10large_dataNS0_10empty_typeEbEEZZNS1_14partition_implILS5_5ELb0ES3_mN6thrust23THRUST_200600_302600_NS6detail15normal_iteratorINSB_10device_ptrIS6_EEEEPS7_NSB_18transform_iteratorI5mod_3IS6_ESG_NSB_11use_defaultESL_EENS0_5tupleIJSG_S7_EEENSN_IJSH_SH_EEES7_PlJS7_EEE10hipError_tPvRmT3_T4_T5_T6_T7_T9_mT8_P12ihipStream_tbDpT10_ENKUlT_T0_E_clISt17integral_constantIbLb0EES1A_EEDaS15_S16_EUlS15_E_NS1_11comp_targetILNS1_3genE4ELNS1_11target_archE910ELNS1_3gpuE8ELNS1_3repE0EEENS1_30default_config_static_selectorELNS0_4arch9wavefront6targetE0EEEvT1_
    .private_segment_fixed_size: 0
    .sgpr_count:     0
    .sgpr_spill_count: 0
    .symbol:         _ZN7rocprim17ROCPRIM_400000_NS6detail17trampoline_kernelINS0_14default_configENS1_25partition_config_selectorILNS1_17partition_subalgoE5E10large_dataNS0_10empty_typeEbEEZZNS1_14partition_implILS5_5ELb0ES3_mN6thrust23THRUST_200600_302600_NS6detail15normal_iteratorINSB_10device_ptrIS6_EEEEPS7_NSB_18transform_iteratorI5mod_3IS6_ESG_NSB_11use_defaultESL_EENS0_5tupleIJSG_S7_EEENSN_IJSH_SH_EEES7_PlJS7_EEE10hipError_tPvRmT3_T4_T5_T6_T7_T9_mT8_P12ihipStream_tbDpT10_ENKUlT_T0_E_clISt17integral_constantIbLb0EES1A_EEDaS15_S16_EUlS15_E_NS1_11comp_targetILNS1_3genE4ELNS1_11target_archE910ELNS1_3gpuE8ELNS1_3repE0EEENS1_30default_config_static_selectorELNS0_4arch9wavefront6targetE0EEEvT1_.kd
    .uniform_work_group_size: 1
    .uses_dynamic_stack: false
    .vgpr_count:     0
    .vgpr_spill_count: 0
    .wavefront_size: 32
    .workgroup_processor_mode: 1
  - .args:
      - .offset:         0
        .size:           120
        .value_kind:     by_value
    .group_segment_fixed_size: 0
    .kernarg_segment_align: 8
    .kernarg_segment_size: 120
    .language:       OpenCL C
    .language_version:
      - 2
      - 0
    .max_flat_workgroup_size: 256
    .name:           _ZN7rocprim17ROCPRIM_400000_NS6detail17trampoline_kernelINS0_14default_configENS1_25partition_config_selectorILNS1_17partition_subalgoE5E10large_dataNS0_10empty_typeEbEEZZNS1_14partition_implILS5_5ELb0ES3_mN6thrust23THRUST_200600_302600_NS6detail15normal_iteratorINSB_10device_ptrIS6_EEEEPS7_NSB_18transform_iteratorI5mod_3IS6_ESG_NSB_11use_defaultESL_EENS0_5tupleIJSG_S7_EEENSN_IJSH_SH_EEES7_PlJS7_EEE10hipError_tPvRmT3_T4_T5_T6_T7_T9_mT8_P12ihipStream_tbDpT10_ENKUlT_T0_E_clISt17integral_constantIbLb0EES1A_EEDaS15_S16_EUlS15_E_NS1_11comp_targetILNS1_3genE3ELNS1_11target_archE908ELNS1_3gpuE7ELNS1_3repE0EEENS1_30default_config_static_selectorELNS0_4arch9wavefront6targetE0EEEvT1_
    .private_segment_fixed_size: 0
    .sgpr_count:     0
    .sgpr_spill_count: 0
    .symbol:         _ZN7rocprim17ROCPRIM_400000_NS6detail17trampoline_kernelINS0_14default_configENS1_25partition_config_selectorILNS1_17partition_subalgoE5E10large_dataNS0_10empty_typeEbEEZZNS1_14partition_implILS5_5ELb0ES3_mN6thrust23THRUST_200600_302600_NS6detail15normal_iteratorINSB_10device_ptrIS6_EEEEPS7_NSB_18transform_iteratorI5mod_3IS6_ESG_NSB_11use_defaultESL_EENS0_5tupleIJSG_S7_EEENSN_IJSH_SH_EEES7_PlJS7_EEE10hipError_tPvRmT3_T4_T5_T6_T7_T9_mT8_P12ihipStream_tbDpT10_ENKUlT_T0_E_clISt17integral_constantIbLb0EES1A_EEDaS15_S16_EUlS15_E_NS1_11comp_targetILNS1_3genE3ELNS1_11target_archE908ELNS1_3gpuE7ELNS1_3repE0EEENS1_30default_config_static_selectorELNS0_4arch9wavefront6targetE0EEEvT1_.kd
    .uniform_work_group_size: 1
    .uses_dynamic_stack: false
    .vgpr_count:     0
    .vgpr_spill_count: 0
    .wavefront_size: 32
    .workgroup_processor_mode: 1
  - .args:
      - .offset:         0
        .size:           120
        .value_kind:     by_value
    .group_segment_fixed_size: 0
    .kernarg_segment_align: 8
    .kernarg_segment_size: 120
    .language:       OpenCL C
    .language_version:
      - 2
      - 0
    .max_flat_workgroup_size: 256
    .name:           _ZN7rocprim17ROCPRIM_400000_NS6detail17trampoline_kernelINS0_14default_configENS1_25partition_config_selectorILNS1_17partition_subalgoE5E10large_dataNS0_10empty_typeEbEEZZNS1_14partition_implILS5_5ELb0ES3_mN6thrust23THRUST_200600_302600_NS6detail15normal_iteratorINSB_10device_ptrIS6_EEEEPS7_NSB_18transform_iteratorI5mod_3IS6_ESG_NSB_11use_defaultESL_EENS0_5tupleIJSG_S7_EEENSN_IJSH_SH_EEES7_PlJS7_EEE10hipError_tPvRmT3_T4_T5_T6_T7_T9_mT8_P12ihipStream_tbDpT10_ENKUlT_T0_E_clISt17integral_constantIbLb0EES1A_EEDaS15_S16_EUlS15_E_NS1_11comp_targetILNS1_3genE2ELNS1_11target_archE906ELNS1_3gpuE6ELNS1_3repE0EEENS1_30default_config_static_selectorELNS0_4arch9wavefront6targetE0EEEvT1_
    .private_segment_fixed_size: 0
    .sgpr_count:     0
    .sgpr_spill_count: 0
    .symbol:         _ZN7rocprim17ROCPRIM_400000_NS6detail17trampoline_kernelINS0_14default_configENS1_25partition_config_selectorILNS1_17partition_subalgoE5E10large_dataNS0_10empty_typeEbEEZZNS1_14partition_implILS5_5ELb0ES3_mN6thrust23THRUST_200600_302600_NS6detail15normal_iteratorINSB_10device_ptrIS6_EEEEPS7_NSB_18transform_iteratorI5mod_3IS6_ESG_NSB_11use_defaultESL_EENS0_5tupleIJSG_S7_EEENSN_IJSH_SH_EEES7_PlJS7_EEE10hipError_tPvRmT3_T4_T5_T6_T7_T9_mT8_P12ihipStream_tbDpT10_ENKUlT_T0_E_clISt17integral_constantIbLb0EES1A_EEDaS15_S16_EUlS15_E_NS1_11comp_targetILNS1_3genE2ELNS1_11target_archE906ELNS1_3gpuE6ELNS1_3repE0EEENS1_30default_config_static_selectorELNS0_4arch9wavefront6targetE0EEEvT1_.kd
    .uniform_work_group_size: 1
    .uses_dynamic_stack: false
    .vgpr_count:     0
    .vgpr_spill_count: 0
    .wavefront_size: 32
    .workgroup_processor_mode: 1
  - .args:
      - .offset:         0
        .size:           120
        .value_kind:     by_value
    .group_segment_fixed_size: 0
    .kernarg_segment_align: 8
    .kernarg_segment_size: 120
    .language:       OpenCL C
    .language_version:
      - 2
      - 0
    .max_flat_workgroup_size: 256
    .name:           _ZN7rocprim17ROCPRIM_400000_NS6detail17trampoline_kernelINS0_14default_configENS1_25partition_config_selectorILNS1_17partition_subalgoE5E10large_dataNS0_10empty_typeEbEEZZNS1_14partition_implILS5_5ELb0ES3_mN6thrust23THRUST_200600_302600_NS6detail15normal_iteratorINSB_10device_ptrIS6_EEEEPS7_NSB_18transform_iteratorI5mod_3IS6_ESG_NSB_11use_defaultESL_EENS0_5tupleIJSG_S7_EEENSN_IJSH_SH_EEES7_PlJS7_EEE10hipError_tPvRmT3_T4_T5_T6_T7_T9_mT8_P12ihipStream_tbDpT10_ENKUlT_T0_E_clISt17integral_constantIbLb0EES1A_EEDaS15_S16_EUlS15_E_NS1_11comp_targetILNS1_3genE10ELNS1_11target_archE1200ELNS1_3gpuE4ELNS1_3repE0EEENS1_30default_config_static_selectorELNS0_4arch9wavefront6targetE0EEEvT1_
    .private_segment_fixed_size: 0
    .sgpr_count:     0
    .sgpr_spill_count: 0
    .symbol:         _ZN7rocprim17ROCPRIM_400000_NS6detail17trampoline_kernelINS0_14default_configENS1_25partition_config_selectorILNS1_17partition_subalgoE5E10large_dataNS0_10empty_typeEbEEZZNS1_14partition_implILS5_5ELb0ES3_mN6thrust23THRUST_200600_302600_NS6detail15normal_iteratorINSB_10device_ptrIS6_EEEEPS7_NSB_18transform_iteratorI5mod_3IS6_ESG_NSB_11use_defaultESL_EENS0_5tupleIJSG_S7_EEENSN_IJSH_SH_EEES7_PlJS7_EEE10hipError_tPvRmT3_T4_T5_T6_T7_T9_mT8_P12ihipStream_tbDpT10_ENKUlT_T0_E_clISt17integral_constantIbLb0EES1A_EEDaS15_S16_EUlS15_E_NS1_11comp_targetILNS1_3genE10ELNS1_11target_archE1200ELNS1_3gpuE4ELNS1_3repE0EEENS1_30default_config_static_selectorELNS0_4arch9wavefront6targetE0EEEvT1_.kd
    .uniform_work_group_size: 1
    .uses_dynamic_stack: false
    .vgpr_count:     0
    .vgpr_spill_count: 0
    .wavefront_size: 32
    .workgroup_processor_mode: 1
  - .args:
      - .offset:         0
        .size:           120
        .value_kind:     by_value
    .group_segment_fixed_size: 16
    .kernarg_segment_align: 8
    .kernarg_segment_size: 120
    .language:       OpenCL C
    .language_version:
      - 2
      - 0
    .max_flat_workgroup_size: 256
    .name:           _ZN7rocprim17ROCPRIM_400000_NS6detail17trampoline_kernelINS0_14default_configENS1_25partition_config_selectorILNS1_17partition_subalgoE5E10large_dataNS0_10empty_typeEbEEZZNS1_14partition_implILS5_5ELb0ES3_mN6thrust23THRUST_200600_302600_NS6detail15normal_iteratorINSB_10device_ptrIS6_EEEEPS7_NSB_18transform_iteratorI5mod_3IS6_ESG_NSB_11use_defaultESL_EENS0_5tupleIJSG_S7_EEENSN_IJSH_SH_EEES7_PlJS7_EEE10hipError_tPvRmT3_T4_T5_T6_T7_T9_mT8_P12ihipStream_tbDpT10_ENKUlT_T0_E_clISt17integral_constantIbLb0EES1A_EEDaS15_S16_EUlS15_E_NS1_11comp_targetILNS1_3genE9ELNS1_11target_archE1100ELNS1_3gpuE3ELNS1_3repE0EEENS1_30default_config_static_selectorELNS0_4arch9wavefront6targetE0EEEvT1_
    .private_segment_fixed_size: 0
    .sgpr_count:     30
    .sgpr_spill_count: 0
    .symbol:         _ZN7rocprim17ROCPRIM_400000_NS6detail17trampoline_kernelINS0_14default_configENS1_25partition_config_selectorILNS1_17partition_subalgoE5E10large_dataNS0_10empty_typeEbEEZZNS1_14partition_implILS5_5ELb0ES3_mN6thrust23THRUST_200600_302600_NS6detail15normal_iteratorINSB_10device_ptrIS6_EEEEPS7_NSB_18transform_iteratorI5mod_3IS6_ESG_NSB_11use_defaultESL_EENS0_5tupleIJSG_S7_EEENSN_IJSH_SH_EEES7_PlJS7_EEE10hipError_tPvRmT3_T4_T5_T6_T7_T9_mT8_P12ihipStream_tbDpT10_ENKUlT_T0_E_clISt17integral_constantIbLb0EES1A_EEDaS15_S16_EUlS15_E_NS1_11comp_targetILNS1_3genE9ELNS1_11target_archE1100ELNS1_3gpuE3ELNS1_3repE0EEENS1_30default_config_static_selectorELNS0_4arch9wavefront6targetE0EEEvT1_.kd
    .uniform_work_group_size: 1
    .uses_dynamic_stack: false
    .vgpr_count:     34
    .vgpr_spill_count: 0
    .wavefront_size: 32
    .workgroup_processor_mode: 1
  - .args:
      - .offset:         0
        .size:           120
        .value_kind:     by_value
    .group_segment_fixed_size: 0
    .kernarg_segment_align: 8
    .kernarg_segment_size: 120
    .language:       OpenCL C
    .language_version:
      - 2
      - 0
    .max_flat_workgroup_size: 256
    .name:           _ZN7rocprim17ROCPRIM_400000_NS6detail17trampoline_kernelINS0_14default_configENS1_25partition_config_selectorILNS1_17partition_subalgoE5E10large_dataNS0_10empty_typeEbEEZZNS1_14partition_implILS5_5ELb0ES3_mN6thrust23THRUST_200600_302600_NS6detail15normal_iteratorINSB_10device_ptrIS6_EEEEPS7_NSB_18transform_iteratorI5mod_3IS6_ESG_NSB_11use_defaultESL_EENS0_5tupleIJSG_S7_EEENSN_IJSH_SH_EEES7_PlJS7_EEE10hipError_tPvRmT3_T4_T5_T6_T7_T9_mT8_P12ihipStream_tbDpT10_ENKUlT_T0_E_clISt17integral_constantIbLb0EES1A_EEDaS15_S16_EUlS15_E_NS1_11comp_targetILNS1_3genE8ELNS1_11target_archE1030ELNS1_3gpuE2ELNS1_3repE0EEENS1_30default_config_static_selectorELNS0_4arch9wavefront6targetE0EEEvT1_
    .private_segment_fixed_size: 0
    .sgpr_count:     0
    .sgpr_spill_count: 0
    .symbol:         _ZN7rocprim17ROCPRIM_400000_NS6detail17trampoline_kernelINS0_14default_configENS1_25partition_config_selectorILNS1_17partition_subalgoE5E10large_dataNS0_10empty_typeEbEEZZNS1_14partition_implILS5_5ELb0ES3_mN6thrust23THRUST_200600_302600_NS6detail15normal_iteratorINSB_10device_ptrIS6_EEEEPS7_NSB_18transform_iteratorI5mod_3IS6_ESG_NSB_11use_defaultESL_EENS0_5tupleIJSG_S7_EEENSN_IJSH_SH_EEES7_PlJS7_EEE10hipError_tPvRmT3_T4_T5_T6_T7_T9_mT8_P12ihipStream_tbDpT10_ENKUlT_T0_E_clISt17integral_constantIbLb0EES1A_EEDaS15_S16_EUlS15_E_NS1_11comp_targetILNS1_3genE8ELNS1_11target_archE1030ELNS1_3gpuE2ELNS1_3repE0EEENS1_30default_config_static_selectorELNS0_4arch9wavefront6targetE0EEEvT1_.kd
    .uniform_work_group_size: 1
    .uses_dynamic_stack: false
    .vgpr_count:     0
    .vgpr_spill_count: 0
    .wavefront_size: 32
    .workgroup_processor_mode: 1
  - .args:
      - .offset:         0
        .size:           136
        .value_kind:     by_value
    .group_segment_fixed_size: 0
    .kernarg_segment_align: 8
    .kernarg_segment_size: 136
    .language:       OpenCL C
    .language_version:
      - 2
      - 0
    .max_flat_workgroup_size: 256
    .name:           _ZN7rocprim17ROCPRIM_400000_NS6detail17trampoline_kernelINS0_14default_configENS1_25partition_config_selectorILNS1_17partition_subalgoE5E10large_dataNS0_10empty_typeEbEEZZNS1_14partition_implILS5_5ELb0ES3_mN6thrust23THRUST_200600_302600_NS6detail15normal_iteratorINSB_10device_ptrIS6_EEEEPS7_NSB_18transform_iteratorI5mod_3IS6_ESG_NSB_11use_defaultESL_EENS0_5tupleIJSG_S7_EEENSN_IJSH_SH_EEES7_PlJS7_EEE10hipError_tPvRmT3_T4_T5_T6_T7_T9_mT8_P12ihipStream_tbDpT10_ENKUlT_T0_E_clISt17integral_constantIbLb1EES1A_EEDaS15_S16_EUlS15_E_NS1_11comp_targetILNS1_3genE0ELNS1_11target_archE4294967295ELNS1_3gpuE0ELNS1_3repE0EEENS1_30default_config_static_selectorELNS0_4arch9wavefront6targetE0EEEvT1_
    .private_segment_fixed_size: 0
    .sgpr_count:     0
    .sgpr_spill_count: 0
    .symbol:         _ZN7rocprim17ROCPRIM_400000_NS6detail17trampoline_kernelINS0_14default_configENS1_25partition_config_selectorILNS1_17partition_subalgoE5E10large_dataNS0_10empty_typeEbEEZZNS1_14partition_implILS5_5ELb0ES3_mN6thrust23THRUST_200600_302600_NS6detail15normal_iteratorINSB_10device_ptrIS6_EEEEPS7_NSB_18transform_iteratorI5mod_3IS6_ESG_NSB_11use_defaultESL_EENS0_5tupleIJSG_S7_EEENSN_IJSH_SH_EEES7_PlJS7_EEE10hipError_tPvRmT3_T4_T5_T6_T7_T9_mT8_P12ihipStream_tbDpT10_ENKUlT_T0_E_clISt17integral_constantIbLb1EES1A_EEDaS15_S16_EUlS15_E_NS1_11comp_targetILNS1_3genE0ELNS1_11target_archE4294967295ELNS1_3gpuE0ELNS1_3repE0EEENS1_30default_config_static_selectorELNS0_4arch9wavefront6targetE0EEEvT1_.kd
    .uniform_work_group_size: 1
    .uses_dynamic_stack: false
    .vgpr_count:     0
    .vgpr_spill_count: 0
    .wavefront_size: 32
    .workgroup_processor_mode: 1
  - .args:
      - .offset:         0
        .size:           136
        .value_kind:     by_value
    .group_segment_fixed_size: 0
    .kernarg_segment_align: 8
    .kernarg_segment_size: 136
    .language:       OpenCL C
    .language_version:
      - 2
      - 0
    .max_flat_workgroup_size: 256
    .name:           _ZN7rocprim17ROCPRIM_400000_NS6detail17trampoline_kernelINS0_14default_configENS1_25partition_config_selectorILNS1_17partition_subalgoE5E10large_dataNS0_10empty_typeEbEEZZNS1_14partition_implILS5_5ELb0ES3_mN6thrust23THRUST_200600_302600_NS6detail15normal_iteratorINSB_10device_ptrIS6_EEEEPS7_NSB_18transform_iteratorI5mod_3IS6_ESG_NSB_11use_defaultESL_EENS0_5tupleIJSG_S7_EEENSN_IJSH_SH_EEES7_PlJS7_EEE10hipError_tPvRmT3_T4_T5_T6_T7_T9_mT8_P12ihipStream_tbDpT10_ENKUlT_T0_E_clISt17integral_constantIbLb1EES1A_EEDaS15_S16_EUlS15_E_NS1_11comp_targetILNS1_3genE5ELNS1_11target_archE942ELNS1_3gpuE9ELNS1_3repE0EEENS1_30default_config_static_selectorELNS0_4arch9wavefront6targetE0EEEvT1_
    .private_segment_fixed_size: 0
    .sgpr_count:     0
    .sgpr_spill_count: 0
    .symbol:         _ZN7rocprim17ROCPRIM_400000_NS6detail17trampoline_kernelINS0_14default_configENS1_25partition_config_selectorILNS1_17partition_subalgoE5E10large_dataNS0_10empty_typeEbEEZZNS1_14partition_implILS5_5ELb0ES3_mN6thrust23THRUST_200600_302600_NS6detail15normal_iteratorINSB_10device_ptrIS6_EEEEPS7_NSB_18transform_iteratorI5mod_3IS6_ESG_NSB_11use_defaultESL_EENS0_5tupleIJSG_S7_EEENSN_IJSH_SH_EEES7_PlJS7_EEE10hipError_tPvRmT3_T4_T5_T6_T7_T9_mT8_P12ihipStream_tbDpT10_ENKUlT_T0_E_clISt17integral_constantIbLb1EES1A_EEDaS15_S16_EUlS15_E_NS1_11comp_targetILNS1_3genE5ELNS1_11target_archE942ELNS1_3gpuE9ELNS1_3repE0EEENS1_30default_config_static_selectorELNS0_4arch9wavefront6targetE0EEEvT1_.kd
    .uniform_work_group_size: 1
    .uses_dynamic_stack: false
    .vgpr_count:     0
    .vgpr_spill_count: 0
    .wavefront_size: 32
    .workgroup_processor_mode: 1
  - .args:
      - .offset:         0
        .size:           136
        .value_kind:     by_value
    .group_segment_fixed_size: 0
    .kernarg_segment_align: 8
    .kernarg_segment_size: 136
    .language:       OpenCL C
    .language_version:
      - 2
      - 0
    .max_flat_workgroup_size: 256
    .name:           _ZN7rocprim17ROCPRIM_400000_NS6detail17trampoline_kernelINS0_14default_configENS1_25partition_config_selectorILNS1_17partition_subalgoE5E10large_dataNS0_10empty_typeEbEEZZNS1_14partition_implILS5_5ELb0ES3_mN6thrust23THRUST_200600_302600_NS6detail15normal_iteratorINSB_10device_ptrIS6_EEEEPS7_NSB_18transform_iteratorI5mod_3IS6_ESG_NSB_11use_defaultESL_EENS0_5tupleIJSG_S7_EEENSN_IJSH_SH_EEES7_PlJS7_EEE10hipError_tPvRmT3_T4_T5_T6_T7_T9_mT8_P12ihipStream_tbDpT10_ENKUlT_T0_E_clISt17integral_constantIbLb1EES1A_EEDaS15_S16_EUlS15_E_NS1_11comp_targetILNS1_3genE4ELNS1_11target_archE910ELNS1_3gpuE8ELNS1_3repE0EEENS1_30default_config_static_selectorELNS0_4arch9wavefront6targetE0EEEvT1_
    .private_segment_fixed_size: 0
    .sgpr_count:     0
    .sgpr_spill_count: 0
    .symbol:         _ZN7rocprim17ROCPRIM_400000_NS6detail17trampoline_kernelINS0_14default_configENS1_25partition_config_selectorILNS1_17partition_subalgoE5E10large_dataNS0_10empty_typeEbEEZZNS1_14partition_implILS5_5ELb0ES3_mN6thrust23THRUST_200600_302600_NS6detail15normal_iteratorINSB_10device_ptrIS6_EEEEPS7_NSB_18transform_iteratorI5mod_3IS6_ESG_NSB_11use_defaultESL_EENS0_5tupleIJSG_S7_EEENSN_IJSH_SH_EEES7_PlJS7_EEE10hipError_tPvRmT3_T4_T5_T6_T7_T9_mT8_P12ihipStream_tbDpT10_ENKUlT_T0_E_clISt17integral_constantIbLb1EES1A_EEDaS15_S16_EUlS15_E_NS1_11comp_targetILNS1_3genE4ELNS1_11target_archE910ELNS1_3gpuE8ELNS1_3repE0EEENS1_30default_config_static_selectorELNS0_4arch9wavefront6targetE0EEEvT1_.kd
    .uniform_work_group_size: 1
    .uses_dynamic_stack: false
    .vgpr_count:     0
    .vgpr_spill_count: 0
    .wavefront_size: 32
    .workgroup_processor_mode: 1
  - .args:
      - .offset:         0
        .size:           136
        .value_kind:     by_value
    .group_segment_fixed_size: 0
    .kernarg_segment_align: 8
    .kernarg_segment_size: 136
    .language:       OpenCL C
    .language_version:
      - 2
      - 0
    .max_flat_workgroup_size: 256
    .name:           _ZN7rocprim17ROCPRIM_400000_NS6detail17trampoline_kernelINS0_14default_configENS1_25partition_config_selectorILNS1_17partition_subalgoE5E10large_dataNS0_10empty_typeEbEEZZNS1_14partition_implILS5_5ELb0ES3_mN6thrust23THRUST_200600_302600_NS6detail15normal_iteratorINSB_10device_ptrIS6_EEEEPS7_NSB_18transform_iteratorI5mod_3IS6_ESG_NSB_11use_defaultESL_EENS0_5tupleIJSG_S7_EEENSN_IJSH_SH_EEES7_PlJS7_EEE10hipError_tPvRmT3_T4_T5_T6_T7_T9_mT8_P12ihipStream_tbDpT10_ENKUlT_T0_E_clISt17integral_constantIbLb1EES1A_EEDaS15_S16_EUlS15_E_NS1_11comp_targetILNS1_3genE3ELNS1_11target_archE908ELNS1_3gpuE7ELNS1_3repE0EEENS1_30default_config_static_selectorELNS0_4arch9wavefront6targetE0EEEvT1_
    .private_segment_fixed_size: 0
    .sgpr_count:     0
    .sgpr_spill_count: 0
    .symbol:         _ZN7rocprim17ROCPRIM_400000_NS6detail17trampoline_kernelINS0_14default_configENS1_25partition_config_selectorILNS1_17partition_subalgoE5E10large_dataNS0_10empty_typeEbEEZZNS1_14partition_implILS5_5ELb0ES3_mN6thrust23THRUST_200600_302600_NS6detail15normal_iteratorINSB_10device_ptrIS6_EEEEPS7_NSB_18transform_iteratorI5mod_3IS6_ESG_NSB_11use_defaultESL_EENS0_5tupleIJSG_S7_EEENSN_IJSH_SH_EEES7_PlJS7_EEE10hipError_tPvRmT3_T4_T5_T6_T7_T9_mT8_P12ihipStream_tbDpT10_ENKUlT_T0_E_clISt17integral_constantIbLb1EES1A_EEDaS15_S16_EUlS15_E_NS1_11comp_targetILNS1_3genE3ELNS1_11target_archE908ELNS1_3gpuE7ELNS1_3repE0EEENS1_30default_config_static_selectorELNS0_4arch9wavefront6targetE0EEEvT1_.kd
    .uniform_work_group_size: 1
    .uses_dynamic_stack: false
    .vgpr_count:     0
    .vgpr_spill_count: 0
    .wavefront_size: 32
    .workgroup_processor_mode: 1
  - .args:
      - .offset:         0
        .size:           136
        .value_kind:     by_value
    .group_segment_fixed_size: 0
    .kernarg_segment_align: 8
    .kernarg_segment_size: 136
    .language:       OpenCL C
    .language_version:
      - 2
      - 0
    .max_flat_workgroup_size: 256
    .name:           _ZN7rocprim17ROCPRIM_400000_NS6detail17trampoline_kernelINS0_14default_configENS1_25partition_config_selectorILNS1_17partition_subalgoE5E10large_dataNS0_10empty_typeEbEEZZNS1_14partition_implILS5_5ELb0ES3_mN6thrust23THRUST_200600_302600_NS6detail15normal_iteratorINSB_10device_ptrIS6_EEEEPS7_NSB_18transform_iteratorI5mod_3IS6_ESG_NSB_11use_defaultESL_EENS0_5tupleIJSG_S7_EEENSN_IJSH_SH_EEES7_PlJS7_EEE10hipError_tPvRmT3_T4_T5_T6_T7_T9_mT8_P12ihipStream_tbDpT10_ENKUlT_T0_E_clISt17integral_constantIbLb1EES1A_EEDaS15_S16_EUlS15_E_NS1_11comp_targetILNS1_3genE2ELNS1_11target_archE906ELNS1_3gpuE6ELNS1_3repE0EEENS1_30default_config_static_selectorELNS0_4arch9wavefront6targetE0EEEvT1_
    .private_segment_fixed_size: 0
    .sgpr_count:     0
    .sgpr_spill_count: 0
    .symbol:         _ZN7rocprim17ROCPRIM_400000_NS6detail17trampoline_kernelINS0_14default_configENS1_25partition_config_selectorILNS1_17partition_subalgoE5E10large_dataNS0_10empty_typeEbEEZZNS1_14partition_implILS5_5ELb0ES3_mN6thrust23THRUST_200600_302600_NS6detail15normal_iteratorINSB_10device_ptrIS6_EEEEPS7_NSB_18transform_iteratorI5mod_3IS6_ESG_NSB_11use_defaultESL_EENS0_5tupleIJSG_S7_EEENSN_IJSH_SH_EEES7_PlJS7_EEE10hipError_tPvRmT3_T4_T5_T6_T7_T9_mT8_P12ihipStream_tbDpT10_ENKUlT_T0_E_clISt17integral_constantIbLb1EES1A_EEDaS15_S16_EUlS15_E_NS1_11comp_targetILNS1_3genE2ELNS1_11target_archE906ELNS1_3gpuE6ELNS1_3repE0EEENS1_30default_config_static_selectorELNS0_4arch9wavefront6targetE0EEEvT1_.kd
    .uniform_work_group_size: 1
    .uses_dynamic_stack: false
    .vgpr_count:     0
    .vgpr_spill_count: 0
    .wavefront_size: 32
    .workgroup_processor_mode: 1
  - .args:
      - .offset:         0
        .size:           136
        .value_kind:     by_value
    .group_segment_fixed_size: 0
    .kernarg_segment_align: 8
    .kernarg_segment_size: 136
    .language:       OpenCL C
    .language_version:
      - 2
      - 0
    .max_flat_workgroup_size: 256
    .name:           _ZN7rocprim17ROCPRIM_400000_NS6detail17trampoline_kernelINS0_14default_configENS1_25partition_config_selectorILNS1_17partition_subalgoE5E10large_dataNS0_10empty_typeEbEEZZNS1_14partition_implILS5_5ELb0ES3_mN6thrust23THRUST_200600_302600_NS6detail15normal_iteratorINSB_10device_ptrIS6_EEEEPS7_NSB_18transform_iteratorI5mod_3IS6_ESG_NSB_11use_defaultESL_EENS0_5tupleIJSG_S7_EEENSN_IJSH_SH_EEES7_PlJS7_EEE10hipError_tPvRmT3_T4_T5_T6_T7_T9_mT8_P12ihipStream_tbDpT10_ENKUlT_T0_E_clISt17integral_constantIbLb1EES1A_EEDaS15_S16_EUlS15_E_NS1_11comp_targetILNS1_3genE10ELNS1_11target_archE1200ELNS1_3gpuE4ELNS1_3repE0EEENS1_30default_config_static_selectorELNS0_4arch9wavefront6targetE0EEEvT1_
    .private_segment_fixed_size: 0
    .sgpr_count:     0
    .sgpr_spill_count: 0
    .symbol:         _ZN7rocprim17ROCPRIM_400000_NS6detail17trampoline_kernelINS0_14default_configENS1_25partition_config_selectorILNS1_17partition_subalgoE5E10large_dataNS0_10empty_typeEbEEZZNS1_14partition_implILS5_5ELb0ES3_mN6thrust23THRUST_200600_302600_NS6detail15normal_iteratorINSB_10device_ptrIS6_EEEEPS7_NSB_18transform_iteratorI5mod_3IS6_ESG_NSB_11use_defaultESL_EENS0_5tupleIJSG_S7_EEENSN_IJSH_SH_EEES7_PlJS7_EEE10hipError_tPvRmT3_T4_T5_T6_T7_T9_mT8_P12ihipStream_tbDpT10_ENKUlT_T0_E_clISt17integral_constantIbLb1EES1A_EEDaS15_S16_EUlS15_E_NS1_11comp_targetILNS1_3genE10ELNS1_11target_archE1200ELNS1_3gpuE4ELNS1_3repE0EEENS1_30default_config_static_selectorELNS0_4arch9wavefront6targetE0EEEvT1_.kd
    .uniform_work_group_size: 1
    .uses_dynamic_stack: false
    .vgpr_count:     0
    .vgpr_spill_count: 0
    .wavefront_size: 32
    .workgroup_processor_mode: 1
  - .args:
      - .offset:         0
        .size:           136
        .value_kind:     by_value
    .group_segment_fixed_size: 16
    .kernarg_segment_align: 8
    .kernarg_segment_size: 136
    .language:       OpenCL C
    .language_version:
      - 2
      - 0
    .max_flat_workgroup_size: 256
    .name:           _ZN7rocprim17ROCPRIM_400000_NS6detail17trampoline_kernelINS0_14default_configENS1_25partition_config_selectorILNS1_17partition_subalgoE5E10large_dataNS0_10empty_typeEbEEZZNS1_14partition_implILS5_5ELb0ES3_mN6thrust23THRUST_200600_302600_NS6detail15normal_iteratorINSB_10device_ptrIS6_EEEEPS7_NSB_18transform_iteratorI5mod_3IS6_ESG_NSB_11use_defaultESL_EENS0_5tupleIJSG_S7_EEENSN_IJSH_SH_EEES7_PlJS7_EEE10hipError_tPvRmT3_T4_T5_T6_T7_T9_mT8_P12ihipStream_tbDpT10_ENKUlT_T0_E_clISt17integral_constantIbLb1EES1A_EEDaS15_S16_EUlS15_E_NS1_11comp_targetILNS1_3genE9ELNS1_11target_archE1100ELNS1_3gpuE3ELNS1_3repE0EEENS1_30default_config_static_selectorELNS0_4arch9wavefront6targetE0EEEvT1_
    .private_segment_fixed_size: 0
    .sgpr_count:     28
    .sgpr_spill_count: 0
    .symbol:         _ZN7rocprim17ROCPRIM_400000_NS6detail17trampoline_kernelINS0_14default_configENS1_25partition_config_selectorILNS1_17partition_subalgoE5E10large_dataNS0_10empty_typeEbEEZZNS1_14partition_implILS5_5ELb0ES3_mN6thrust23THRUST_200600_302600_NS6detail15normal_iteratorINSB_10device_ptrIS6_EEEEPS7_NSB_18transform_iteratorI5mod_3IS6_ESG_NSB_11use_defaultESL_EENS0_5tupleIJSG_S7_EEENSN_IJSH_SH_EEES7_PlJS7_EEE10hipError_tPvRmT3_T4_T5_T6_T7_T9_mT8_P12ihipStream_tbDpT10_ENKUlT_T0_E_clISt17integral_constantIbLb1EES1A_EEDaS15_S16_EUlS15_E_NS1_11comp_targetILNS1_3genE9ELNS1_11target_archE1100ELNS1_3gpuE3ELNS1_3repE0EEENS1_30default_config_static_selectorELNS0_4arch9wavefront6targetE0EEEvT1_.kd
    .uniform_work_group_size: 1
    .uses_dynamic_stack: false
    .vgpr_count:     36
    .vgpr_spill_count: 0
    .wavefront_size: 32
    .workgroup_processor_mode: 1
  - .args:
      - .offset:         0
        .size:           136
        .value_kind:     by_value
    .group_segment_fixed_size: 0
    .kernarg_segment_align: 8
    .kernarg_segment_size: 136
    .language:       OpenCL C
    .language_version:
      - 2
      - 0
    .max_flat_workgroup_size: 256
    .name:           _ZN7rocprim17ROCPRIM_400000_NS6detail17trampoline_kernelINS0_14default_configENS1_25partition_config_selectorILNS1_17partition_subalgoE5E10large_dataNS0_10empty_typeEbEEZZNS1_14partition_implILS5_5ELb0ES3_mN6thrust23THRUST_200600_302600_NS6detail15normal_iteratorINSB_10device_ptrIS6_EEEEPS7_NSB_18transform_iteratorI5mod_3IS6_ESG_NSB_11use_defaultESL_EENS0_5tupleIJSG_S7_EEENSN_IJSH_SH_EEES7_PlJS7_EEE10hipError_tPvRmT3_T4_T5_T6_T7_T9_mT8_P12ihipStream_tbDpT10_ENKUlT_T0_E_clISt17integral_constantIbLb1EES1A_EEDaS15_S16_EUlS15_E_NS1_11comp_targetILNS1_3genE8ELNS1_11target_archE1030ELNS1_3gpuE2ELNS1_3repE0EEENS1_30default_config_static_selectorELNS0_4arch9wavefront6targetE0EEEvT1_
    .private_segment_fixed_size: 0
    .sgpr_count:     0
    .sgpr_spill_count: 0
    .symbol:         _ZN7rocprim17ROCPRIM_400000_NS6detail17trampoline_kernelINS0_14default_configENS1_25partition_config_selectorILNS1_17partition_subalgoE5E10large_dataNS0_10empty_typeEbEEZZNS1_14partition_implILS5_5ELb0ES3_mN6thrust23THRUST_200600_302600_NS6detail15normal_iteratorINSB_10device_ptrIS6_EEEEPS7_NSB_18transform_iteratorI5mod_3IS6_ESG_NSB_11use_defaultESL_EENS0_5tupleIJSG_S7_EEENSN_IJSH_SH_EEES7_PlJS7_EEE10hipError_tPvRmT3_T4_T5_T6_T7_T9_mT8_P12ihipStream_tbDpT10_ENKUlT_T0_E_clISt17integral_constantIbLb1EES1A_EEDaS15_S16_EUlS15_E_NS1_11comp_targetILNS1_3genE8ELNS1_11target_archE1030ELNS1_3gpuE2ELNS1_3repE0EEENS1_30default_config_static_selectorELNS0_4arch9wavefront6targetE0EEEvT1_.kd
    .uniform_work_group_size: 1
    .uses_dynamic_stack: false
    .vgpr_count:     0
    .vgpr_spill_count: 0
    .wavefront_size: 32
    .workgroup_processor_mode: 1
  - .args:
      - .offset:         0
        .size:           120
        .value_kind:     by_value
    .group_segment_fixed_size: 0
    .kernarg_segment_align: 8
    .kernarg_segment_size: 120
    .language:       OpenCL C
    .language_version:
      - 2
      - 0
    .max_flat_workgroup_size: 256
    .name:           _ZN7rocprim17ROCPRIM_400000_NS6detail17trampoline_kernelINS0_14default_configENS1_25partition_config_selectorILNS1_17partition_subalgoE5E10large_dataNS0_10empty_typeEbEEZZNS1_14partition_implILS5_5ELb0ES3_mN6thrust23THRUST_200600_302600_NS6detail15normal_iteratorINSB_10device_ptrIS6_EEEEPS7_NSB_18transform_iteratorI5mod_3IS6_ESG_NSB_11use_defaultESL_EENS0_5tupleIJSG_S7_EEENSN_IJSH_SH_EEES7_PlJS7_EEE10hipError_tPvRmT3_T4_T5_T6_T7_T9_mT8_P12ihipStream_tbDpT10_ENKUlT_T0_E_clISt17integral_constantIbLb1EES19_IbLb0EEEEDaS15_S16_EUlS15_E_NS1_11comp_targetILNS1_3genE0ELNS1_11target_archE4294967295ELNS1_3gpuE0ELNS1_3repE0EEENS1_30default_config_static_selectorELNS0_4arch9wavefront6targetE0EEEvT1_
    .private_segment_fixed_size: 0
    .sgpr_count:     0
    .sgpr_spill_count: 0
    .symbol:         _ZN7rocprim17ROCPRIM_400000_NS6detail17trampoline_kernelINS0_14default_configENS1_25partition_config_selectorILNS1_17partition_subalgoE5E10large_dataNS0_10empty_typeEbEEZZNS1_14partition_implILS5_5ELb0ES3_mN6thrust23THRUST_200600_302600_NS6detail15normal_iteratorINSB_10device_ptrIS6_EEEEPS7_NSB_18transform_iteratorI5mod_3IS6_ESG_NSB_11use_defaultESL_EENS0_5tupleIJSG_S7_EEENSN_IJSH_SH_EEES7_PlJS7_EEE10hipError_tPvRmT3_T4_T5_T6_T7_T9_mT8_P12ihipStream_tbDpT10_ENKUlT_T0_E_clISt17integral_constantIbLb1EES19_IbLb0EEEEDaS15_S16_EUlS15_E_NS1_11comp_targetILNS1_3genE0ELNS1_11target_archE4294967295ELNS1_3gpuE0ELNS1_3repE0EEENS1_30default_config_static_selectorELNS0_4arch9wavefront6targetE0EEEvT1_.kd
    .uniform_work_group_size: 1
    .uses_dynamic_stack: false
    .vgpr_count:     0
    .vgpr_spill_count: 0
    .wavefront_size: 32
    .workgroup_processor_mode: 1
  - .args:
      - .offset:         0
        .size:           120
        .value_kind:     by_value
    .group_segment_fixed_size: 0
    .kernarg_segment_align: 8
    .kernarg_segment_size: 120
    .language:       OpenCL C
    .language_version:
      - 2
      - 0
    .max_flat_workgroup_size: 256
    .name:           _ZN7rocprim17ROCPRIM_400000_NS6detail17trampoline_kernelINS0_14default_configENS1_25partition_config_selectorILNS1_17partition_subalgoE5E10large_dataNS0_10empty_typeEbEEZZNS1_14partition_implILS5_5ELb0ES3_mN6thrust23THRUST_200600_302600_NS6detail15normal_iteratorINSB_10device_ptrIS6_EEEEPS7_NSB_18transform_iteratorI5mod_3IS6_ESG_NSB_11use_defaultESL_EENS0_5tupleIJSG_S7_EEENSN_IJSH_SH_EEES7_PlJS7_EEE10hipError_tPvRmT3_T4_T5_T6_T7_T9_mT8_P12ihipStream_tbDpT10_ENKUlT_T0_E_clISt17integral_constantIbLb1EES19_IbLb0EEEEDaS15_S16_EUlS15_E_NS1_11comp_targetILNS1_3genE5ELNS1_11target_archE942ELNS1_3gpuE9ELNS1_3repE0EEENS1_30default_config_static_selectorELNS0_4arch9wavefront6targetE0EEEvT1_
    .private_segment_fixed_size: 0
    .sgpr_count:     0
    .sgpr_spill_count: 0
    .symbol:         _ZN7rocprim17ROCPRIM_400000_NS6detail17trampoline_kernelINS0_14default_configENS1_25partition_config_selectorILNS1_17partition_subalgoE5E10large_dataNS0_10empty_typeEbEEZZNS1_14partition_implILS5_5ELb0ES3_mN6thrust23THRUST_200600_302600_NS6detail15normal_iteratorINSB_10device_ptrIS6_EEEEPS7_NSB_18transform_iteratorI5mod_3IS6_ESG_NSB_11use_defaultESL_EENS0_5tupleIJSG_S7_EEENSN_IJSH_SH_EEES7_PlJS7_EEE10hipError_tPvRmT3_T4_T5_T6_T7_T9_mT8_P12ihipStream_tbDpT10_ENKUlT_T0_E_clISt17integral_constantIbLb1EES19_IbLb0EEEEDaS15_S16_EUlS15_E_NS1_11comp_targetILNS1_3genE5ELNS1_11target_archE942ELNS1_3gpuE9ELNS1_3repE0EEENS1_30default_config_static_selectorELNS0_4arch9wavefront6targetE0EEEvT1_.kd
    .uniform_work_group_size: 1
    .uses_dynamic_stack: false
    .vgpr_count:     0
    .vgpr_spill_count: 0
    .wavefront_size: 32
    .workgroup_processor_mode: 1
  - .args:
      - .offset:         0
        .size:           120
        .value_kind:     by_value
    .group_segment_fixed_size: 0
    .kernarg_segment_align: 8
    .kernarg_segment_size: 120
    .language:       OpenCL C
    .language_version:
      - 2
      - 0
    .max_flat_workgroup_size: 256
    .name:           _ZN7rocprim17ROCPRIM_400000_NS6detail17trampoline_kernelINS0_14default_configENS1_25partition_config_selectorILNS1_17partition_subalgoE5E10large_dataNS0_10empty_typeEbEEZZNS1_14partition_implILS5_5ELb0ES3_mN6thrust23THRUST_200600_302600_NS6detail15normal_iteratorINSB_10device_ptrIS6_EEEEPS7_NSB_18transform_iteratorI5mod_3IS6_ESG_NSB_11use_defaultESL_EENS0_5tupleIJSG_S7_EEENSN_IJSH_SH_EEES7_PlJS7_EEE10hipError_tPvRmT3_T4_T5_T6_T7_T9_mT8_P12ihipStream_tbDpT10_ENKUlT_T0_E_clISt17integral_constantIbLb1EES19_IbLb0EEEEDaS15_S16_EUlS15_E_NS1_11comp_targetILNS1_3genE4ELNS1_11target_archE910ELNS1_3gpuE8ELNS1_3repE0EEENS1_30default_config_static_selectorELNS0_4arch9wavefront6targetE0EEEvT1_
    .private_segment_fixed_size: 0
    .sgpr_count:     0
    .sgpr_spill_count: 0
    .symbol:         _ZN7rocprim17ROCPRIM_400000_NS6detail17trampoline_kernelINS0_14default_configENS1_25partition_config_selectorILNS1_17partition_subalgoE5E10large_dataNS0_10empty_typeEbEEZZNS1_14partition_implILS5_5ELb0ES3_mN6thrust23THRUST_200600_302600_NS6detail15normal_iteratorINSB_10device_ptrIS6_EEEEPS7_NSB_18transform_iteratorI5mod_3IS6_ESG_NSB_11use_defaultESL_EENS0_5tupleIJSG_S7_EEENSN_IJSH_SH_EEES7_PlJS7_EEE10hipError_tPvRmT3_T4_T5_T6_T7_T9_mT8_P12ihipStream_tbDpT10_ENKUlT_T0_E_clISt17integral_constantIbLb1EES19_IbLb0EEEEDaS15_S16_EUlS15_E_NS1_11comp_targetILNS1_3genE4ELNS1_11target_archE910ELNS1_3gpuE8ELNS1_3repE0EEENS1_30default_config_static_selectorELNS0_4arch9wavefront6targetE0EEEvT1_.kd
    .uniform_work_group_size: 1
    .uses_dynamic_stack: false
    .vgpr_count:     0
    .vgpr_spill_count: 0
    .wavefront_size: 32
    .workgroup_processor_mode: 1
  - .args:
      - .offset:         0
        .size:           120
        .value_kind:     by_value
    .group_segment_fixed_size: 0
    .kernarg_segment_align: 8
    .kernarg_segment_size: 120
    .language:       OpenCL C
    .language_version:
      - 2
      - 0
    .max_flat_workgroup_size: 256
    .name:           _ZN7rocprim17ROCPRIM_400000_NS6detail17trampoline_kernelINS0_14default_configENS1_25partition_config_selectorILNS1_17partition_subalgoE5E10large_dataNS0_10empty_typeEbEEZZNS1_14partition_implILS5_5ELb0ES3_mN6thrust23THRUST_200600_302600_NS6detail15normal_iteratorINSB_10device_ptrIS6_EEEEPS7_NSB_18transform_iteratorI5mod_3IS6_ESG_NSB_11use_defaultESL_EENS0_5tupleIJSG_S7_EEENSN_IJSH_SH_EEES7_PlJS7_EEE10hipError_tPvRmT3_T4_T5_T6_T7_T9_mT8_P12ihipStream_tbDpT10_ENKUlT_T0_E_clISt17integral_constantIbLb1EES19_IbLb0EEEEDaS15_S16_EUlS15_E_NS1_11comp_targetILNS1_3genE3ELNS1_11target_archE908ELNS1_3gpuE7ELNS1_3repE0EEENS1_30default_config_static_selectorELNS0_4arch9wavefront6targetE0EEEvT1_
    .private_segment_fixed_size: 0
    .sgpr_count:     0
    .sgpr_spill_count: 0
    .symbol:         _ZN7rocprim17ROCPRIM_400000_NS6detail17trampoline_kernelINS0_14default_configENS1_25partition_config_selectorILNS1_17partition_subalgoE5E10large_dataNS0_10empty_typeEbEEZZNS1_14partition_implILS5_5ELb0ES3_mN6thrust23THRUST_200600_302600_NS6detail15normal_iteratorINSB_10device_ptrIS6_EEEEPS7_NSB_18transform_iteratorI5mod_3IS6_ESG_NSB_11use_defaultESL_EENS0_5tupleIJSG_S7_EEENSN_IJSH_SH_EEES7_PlJS7_EEE10hipError_tPvRmT3_T4_T5_T6_T7_T9_mT8_P12ihipStream_tbDpT10_ENKUlT_T0_E_clISt17integral_constantIbLb1EES19_IbLb0EEEEDaS15_S16_EUlS15_E_NS1_11comp_targetILNS1_3genE3ELNS1_11target_archE908ELNS1_3gpuE7ELNS1_3repE0EEENS1_30default_config_static_selectorELNS0_4arch9wavefront6targetE0EEEvT1_.kd
    .uniform_work_group_size: 1
    .uses_dynamic_stack: false
    .vgpr_count:     0
    .vgpr_spill_count: 0
    .wavefront_size: 32
    .workgroup_processor_mode: 1
  - .args:
      - .offset:         0
        .size:           120
        .value_kind:     by_value
    .group_segment_fixed_size: 0
    .kernarg_segment_align: 8
    .kernarg_segment_size: 120
    .language:       OpenCL C
    .language_version:
      - 2
      - 0
    .max_flat_workgroup_size: 256
    .name:           _ZN7rocprim17ROCPRIM_400000_NS6detail17trampoline_kernelINS0_14default_configENS1_25partition_config_selectorILNS1_17partition_subalgoE5E10large_dataNS0_10empty_typeEbEEZZNS1_14partition_implILS5_5ELb0ES3_mN6thrust23THRUST_200600_302600_NS6detail15normal_iteratorINSB_10device_ptrIS6_EEEEPS7_NSB_18transform_iteratorI5mod_3IS6_ESG_NSB_11use_defaultESL_EENS0_5tupleIJSG_S7_EEENSN_IJSH_SH_EEES7_PlJS7_EEE10hipError_tPvRmT3_T4_T5_T6_T7_T9_mT8_P12ihipStream_tbDpT10_ENKUlT_T0_E_clISt17integral_constantIbLb1EES19_IbLb0EEEEDaS15_S16_EUlS15_E_NS1_11comp_targetILNS1_3genE2ELNS1_11target_archE906ELNS1_3gpuE6ELNS1_3repE0EEENS1_30default_config_static_selectorELNS0_4arch9wavefront6targetE0EEEvT1_
    .private_segment_fixed_size: 0
    .sgpr_count:     0
    .sgpr_spill_count: 0
    .symbol:         _ZN7rocprim17ROCPRIM_400000_NS6detail17trampoline_kernelINS0_14default_configENS1_25partition_config_selectorILNS1_17partition_subalgoE5E10large_dataNS0_10empty_typeEbEEZZNS1_14partition_implILS5_5ELb0ES3_mN6thrust23THRUST_200600_302600_NS6detail15normal_iteratorINSB_10device_ptrIS6_EEEEPS7_NSB_18transform_iteratorI5mod_3IS6_ESG_NSB_11use_defaultESL_EENS0_5tupleIJSG_S7_EEENSN_IJSH_SH_EEES7_PlJS7_EEE10hipError_tPvRmT3_T4_T5_T6_T7_T9_mT8_P12ihipStream_tbDpT10_ENKUlT_T0_E_clISt17integral_constantIbLb1EES19_IbLb0EEEEDaS15_S16_EUlS15_E_NS1_11comp_targetILNS1_3genE2ELNS1_11target_archE906ELNS1_3gpuE6ELNS1_3repE0EEENS1_30default_config_static_selectorELNS0_4arch9wavefront6targetE0EEEvT1_.kd
    .uniform_work_group_size: 1
    .uses_dynamic_stack: false
    .vgpr_count:     0
    .vgpr_spill_count: 0
    .wavefront_size: 32
    .workgroup_processor_mode: 1
  - .args:
      - .offset:         0
        .size:           120
        .value_kind:     by_value
    .group_segment_fixed_size: 0
    .kernarg_segment_align: 8
    .kernarg_segment_size: 120
    .language:       OpenCL C
    .language_version:
      - 2
      - 0
    .max_flat_workgroup_size: 256
    .name:           _ZN7rocprim17ROCPRIM_400000_NS6detail17trampoline_kernelINS0_14default_configENS1_25partition_config_selectorILNS1_17partition_subalgoE5E10large_dataNS0_10empty_typeEbEEZZNS1_14partition_implILS5_5ELb0ES3_mN6thrust23THRUST_200600_302600_NS6detail15normal_iteratorINSB_10device_ptrIS6_EEEEPS7_NSB_18transform_iteratorI5mod_3IS6_ESG_NSB_11use_defaultESL_EENS0_5tupleIJSG_S7_EEENSN_IJSH_SH_EEES7_PlJS7_EEE10hipError_tPvRmT3_T4_T5_T6_T7_T9_mT8_P12ihipStream_tbDpT10_ENKUlT_T0_E_clISt17integral_constantIbLb1EES19_IbLb0EEEEDaS15_S16_EUlS15_E_NS1_11comp_targetILNS1_3genE10ELNS1_11target_archE1200ELNS1_3gpuE4ELNS1_3repE0EEENS1_30default_config_static_selectorELNS0_4arch9wavefront6targetE0EEEvT1_
    .private_segment_fixed_size: 0
    .sgpr_count:     0
    .sgpr_spill_count: 0
    .symbol:         _ZN7rocprim17ROCPRIM_400000_NS6detail17trampoline_kernelINS0_14default_configENS1_25partition_config_selectorILNS1_17partition_subalgoE5E10large_dataNS0_10empty_typeEbEEZZNS1_14partition_implILS5_5ELb0ES3_mN6thrust23THRUST_200600_302600_NS6detail15normal_iteratorINSB_10device_ptrIS6_EEEEPS7_NSB_18transform_iteratorI5mod_3IS6_ESG_NSB_11use_defaultESL_EENS0_5tupleIJSG_S7_EEENSN_IJSH_SH_EEES7_PlJS7_EEE10hipError_tPvRmT3_T4_T5_T6_T7_T9_mT8_P12ihipStream_tbDpT10_ENKUlT_T0_E_clISt17integral_constantIbLb1EES19_IbLb0EEEEDaS15_S16_EUlS15_E_NS1_11comp_targetILNS1_3genE10ELNS1_11target_archE1200ELNS1_3gpuE4ELNS1_3repE0EEENS1_30default_config_static_selectorELNS0_4arch9wavefront6targetE0EEEvT1_.kd
    .uniform_work_group_size: 1
    .uses_dynamic_stack: false
    .vgpr_count:     0
    .vgpr_spill_count: 0
    .wavefront_size: 32
    .workgroup_processor_mode: 1
  - .args:
      - .offset:         0
        .size:           120
        .value_kind:     by_value
    .group_segment_fixed_size: 16
    .kernarg_segment_align: 8
    .kernarg_segment_size: 120
    .language:       OpenCL C
    .language_version:
      - 2
      - 0
    .max_flat_workgroup_size: 256
    .name:           _ZN7rocprim17ROCPRIM_400000_NS6detail17trampoline_kernelINS0_14default_configENS1_25partition_config_selectorILNS1_17partition_subalgoE5E10large_dataNS0_10empty_typeEbEEZZNS1_14partition_implILS5_5ELb0ES3_mN6thrust23THRUST_200600_302600_NS6detail15normal_iteratorINSB_10device_ptrIS6_EEEEPS7_NSB_18transform_iteratorI5mod_3IS6_ESG_NSB_11use_defaultESL_EENS0_5tupleIJSG_S7_EEENSN_IJSH_SH_EEES7_PlJS7_EEE10hipError_tPvRmT3_T4_T5_T6_T7_T9_mT8_P12ihipStream_tbDpT10_ENKUlT_T0_E_clISt17integral_constantIbLb1EES19_IbLb0EEEEDaS15_S16_EUlS15_E_NS1_11comp_targetILNS1_3genE9ELNS1_11target_archE1100ELNS1_3gpuE3ELNS1_3repE0EEENS1_30default_config_static_selectorELNS0_4arch9wavefront6targetE0EEEvT1_
    .private_segment_fixed_size: 0
    .sgpr_count:     30
    .sgpr_spill_count: 0
    .symbol:         _ZN7rocprim17ROCPRIM_400000_NS6detail17trampoline_kernelINS0_14default_configENS1_25partition_config_selectorILNS1_17partition_subalgoE5E10large_dataNS0_10empty_typeEbEEZZNS1_14partition_implILS5_5ELb0ES3_mN6thrust23THRUST_200600_302600_NS6detail15normal_iteratorINSB_10device_ptrIS6_EEEEPS7_NSB_18transform_iteratorI5mod_3IS6_ESG_NSB_11use_defaultESL_EENS0_5tupleIJSG_S7_EEENSN_IJSH_SH_EEES7_PlJS7_EEE10hipError_tPvRmT3_T4_T5_T6_T7_T9_mT8_P12ihipStream_tbDpT10_ENKUlT_T0_E_clISt17integral_constantIbLb1EES19_IbLb0EEEEDaS15_S16_EUlS15_E_NS1_11comp_targetILNS1_3genE9ELNS1_11target_archE1100ELNS1_3gpuE3ELNS1_3repE0EEENS1_30default_config_static_selectorELNS0_4arch9wavefront6targetE0EEEvT1_.kd
    .uniform_work_group_size: 1
    .uses_dynamic_stack: false
    .vgpr_count:     34
    .vgpr_spill_count: 0
    .wavefront_size: 32
    .workgroup_processor_mode: 1
  - .args:
      - .offset:         0
        .size:           120
        .value_kind:     by_value
    .group_segment_fixed_size: 0
    .kernarg_segment_align: 8
    .kernarg_segment_size: 120
    .language:       OpenCL C
    .language_version:
      - 2
      - 0
    .max_flat_workgroup_size: 256
    .name:           _ZN7rocprim17ROCPRIM_400000_NS6detail17trampoline_kernelINS0_14default_configENS1_25partition_config_selectorILNS1_17partition_subalgoE5E10large_dataNS0_10empty_typeEbEEZZNS1_14partition_implILS5_5ELb0ES3_mN6thrust23THRUST_200600_302600_NS6detail15normal_iteratorINSB_10device_ptrIS6_EEEEPS7_NSB_18transform_iteratorI5mod_3IS6_ESG_NSB_11use_defaultESL_EENS0_5tupleIJSG_S7_EEENSN_IJSH_SH_EEES7_PlJS7_EEE10hipError_tPvRmT3_T4_T5_T6_T7_T9_mT8_P12ihipStream_tbDpT10_ENKUlT_T0_E_clISt17integral_constantIbLb1EES19_IbLb0EEEEDaS15_S16_EUlS15_E_NS1_11comp_targetILNS1_3genE8ELNS1_11target_archE1030ELNS1_3gpuE2ELNS1_3repE0EEENS1_30default_config_static_selectorELNS0_4arch9wavefront6targetE0EEEvT1_
    .private_segment_fixed_size: 0
    .sgpr_count:     0
    .sgpr_spill_count: 0
    .symbol:         _ZN7rocprim17ROCPRIM_400000_NS6detail17trampoline_kernelINS0_14default_configENS1_25partition_config_selectorILNS1_17partition_subalgoE5E10large_dataNS0_10empty_typeEbEEZZNS1_14partition_implILS5_5ELb0ES3_mN6thrust23THRUST_200600_302600_NS6detail15normal_iteratorINSB_10device_ptrIS6_EEEEPS7_NSB_18transform_iteratorI5mod_3IS6_ESG_NSB_11use_defaultESL_EENS0_5tupleIJSG_S7_EEENSN_IJSH_SH_EEES7_PlJS7_EEE10hipError_tPvRmT3_T4_T5_T6_T7_T9_mT8_P12ihipStream_tbDpT10_ENKUlT_T0_E_clISt17integral_constantIbLb1EES19_IbLb0EEEEDaS15_S16_EUlS15_E_NS1_11comp_targetILNS1_3genE8ELNS1_11target_archE1030ELNS1_3gpuE2ELNS1_3repE0EEENS1_30default_config_static_selectorELNS0_4arch9wavefront6targetE0EEEvT1_.kd
    .uniform_work_group_size: 1
    .uses_dynamic_stack: false
    .vgpr_count:     0
    .vgpr_spill_count: 0
    .wavefront_size: 32
    .workgroup_processor_mode: 1
  - .args:
      - .offset:         0
        .size:           136
        .value_kind:     by_value
    .group_segment_fixed_size: 0
    .kernarg_segment_align: 8
    .kernarg_segment_size: 136
    .language:       OpenCL C
    .language_version:
      - 2
      - 0
    .max_flat_workgroup_size: 256
    .name:           _ZN7rocprim17ROCPRIM_400000_NS6detail17trampoline_kernelINS0_14default_configENS1_25partition_config_selectorILNS1_17partition_subalgoE5E10large_dataNS0_10empty_typeEbEEZZNS1_14partition_implILS5_5ELb0ES3_mN6thrust23THRUST_200600_302600_NS6detail15normal_iteratorINSB_10device_ptrIS6_EEEEPS7_NSB_18transform_iteratorI5mod_3IS6_ESG_NSB_11use_defaultESL_EENS0_5tupleIJSG_S7_EEENSN_IJSH_SH_EEES7_PlJS7_EEE10hipError_tPvRmT3_T4_T5_T6_T7_T9_mT8_P12ihipStream_tbDpT10_ENKUlT_T0_E_clISt17integral_constantIbLb0EES19_IbLb1EEEEDaS15_S16_EUlS15_E_NS1_11comp_targetILNS1_3genE0ELNS1_11target_archE4294967295ELNS1_3gpuE0ELNS1_3repE0EEENS1_30default_config_static_selectorELNS0_4arch9wavefront6targetE0EEEvT1_
    .private_segment_fixed_size: 0
    .sgpr_count:     0
    .sgpr_spill_count: 0
    .symbol:         _ZN7rocprim17ROCPRIM_400000_NS6detail17trampoline_kernelINS0_14default_configENS1_25partition_config_selectorILNS1_17partition_subalgoE5E10large_dataNS0_10empty_typeEbEEZZNS1_14partition_implILS5_5ELb0ES3_mN6thrust23THRUST_200600_302600_NS6detail15normal_iteratorINSB_10device_ptrIS6_EEEEPS7_NSB_18transform_iteratorI5mod_3IS6_ESG_NSB_11use_defaultESL_EENS0_5tupleIJSG_S7_EEENSN_IJSH_SH_EEES7_PlJS7_EEE10hipError_tPvRmT3_T4_T5_T6_T7_T9_mT8_P12ihipStream_tbDpT10_ENKUlT_T0_E_clISt17integral_constantIbLb0EES19_IbLb1EEEEDaS15_S16_EUlS15_E_NS1_11comp_targetILNS1_3genE0ELNS1_11target_archE4294967295ELNS1_3gpuE0ELNS1_3repE0EEENS1_30default_config_static_selectorELNS0_4arch9wavefront6targetE0EEEvT1_.kd
    .uniform_work_group_size: 1
    .uses_dynamic_stack: false
    .vgpr_count:     0
    .vgpr_spill_count: 0
    .wavefront_size: 32
    .workgroup_processor_mode: 1
  - .args:
      - .offset:         0
        .size:           136
        .value_kind:     by_value
    .group_segment_fixed_size: 0
    .kernarg_segment_align: 8
    .kernarg_segment_size: 136
    .language:       OpenCL C
    .language_version:
      - 2
      - 0
    .max_flat_workgroup_size: 256
    .name:           _ZN7rocprim17ROCPRIM_400000_NS6detail17trampoline_kernelINS0_14default_configENS1_25partition_config_selectorILNS1_17partition_subalgoE5E10large_dataNS0_10empty_typeEbEEZZNS1_14partition_implILS5_5ELb0ES3_mN6thrust23THRUST_200600_302600_NS6detail15normal_iteratorINSB_10device_ptrIS6_EEEEPS7_NSB_18transform_iteratorI5mod_3IS6_ESG_NSB_11use_defaultESL_EENS0_5tupleIJSG_S7_EEENSN_IJSH_SH_EEES7_PlJS7_EEE10hipError_tPvRmT3_T4_T5_T6_T7_T9_mT8_P12ihipStream_tbDpT10_ENKUlT_T0_E_clISt17integral_constantIbLb0EES19_IbLb1EEEEDaS15_S16_EUlS15_E_NS1_11comp_targetILNS1_3genE5ELNS1_11target_archE942ELNS1_3gpuE9ELNS1_3repE0EEENS1_30default_config_static_selectorELNS0_4arch9wavefront6targetE0EEEvT1_
    .private_segment_fixed_size: 0
    .sgpr_count:     0
    .sgpr_spill_count: 0
    .symbol:         _ZN7rocprim17ROCPRIM_400000_NS6detail17trampoline_kernelINS0_14default_configENS1_25partition_config_selectorILNS1_17partition_subalgoE5E10large_dataNS0_10empty_typeEbEEZZNS1_14partition_implILS5_5ELb0ES3_mN6thrust23THRUST_200600_302600_NS6detail15normal_iteratorINSB_10device_ptrIS6_EEEEPS7_NSB_18transform_iteratorI5mod_3IS6_ESG_NSB_11use_defaultESL_EENS0_5tupleIJSG_S7_EEENSN_IJSH_SH_EEES7_PlJS7_EEE10hipError_tPvRmT3_T4_T5_T6_T7_T9_mT8_P12ihipStream_tbDpT10_ENKUlT_T0_E_clISt17integral_constantIbLb0EES19_IbLb1EEEEDaS15_S16_EUlS15_E_NS1_11comp_targetILNS1_3genE5ELNS1_11target_archE942ELNS1_3gpuE9ELNS1_3repE0EEENS1_30default_config_static_selectorELNS0_4arch9wavefront6targetE0EEEvT1_.kd
    .uniform_work_group_size: 1
    .uses_dynamic_stack: false
    .vgpr_count:     0
    .vgpr_spill_count: 0
    .wavefront_size: 32
    .workgroup_processor_mode: 1
  - .args:
      - .offset:         0
        .size:           136
        .value_kind:     by_value
    .group_segment_fixed_size: 0
    .kernarg_segment_align: 8
    .kernarg_segment_size: 136
    .language:       OpenCL C
    .language_version:
      - 2
      - 0
    .max_flat_workgroup_size: 256
    .name:           _ZN7rocprim17ROCPRIM_400000_NS6detail17trampoline_kernelINS0_14default_configENS1_25partition_config_selectorILNS1_17partition_subalgoE5E10large_dataNS0_10empty_typeEbEEZZNS1_14partition_implILS5_5ELb0ES3_mN6thrust23THRUST_200600_302600_NS6detail15normal_iteratorINSB_10device_ptrIS6_EEEEPS7_NSB_18transform_iteratorI5mod_3IS6_ESG_NSB_11use_defaultESL_EENS0_5tupleIJSG_S7_EEENSN_IJSH_SH_EEES7_PlJS7_EEE10hipError_tPvRmT3_T4_T5_T6_T7_T9_mT8_P12ihipStream_tbDpT10_ENKUlT_T0_E_clISt17integral_constantIbLb0EES19_IbLb1EEEEDaS15_S16_EUlS15_E_NS1_11comp_targetILNS1_3genE4ELNS1_11target_archE910ELNS1_3gpuE8ELNS1_3repE0EEENS1_30default_config_static_selectorELNS0_4arch9wavefront6targetE0EEEvT1_
    .private_segment_fixed_size: 0
    .sgpr_count:     0
    .sgpr_spill_count: 0
    .symbol:         _ZN7rocprim17ROCPRIM_400000_NS6detail17trampoline_kernelINS0_14default_configENS1_25partition_config_selectorILNS1_17partition_subalgoE5E10large_dataNS0_10empty_typeEbEEZZNS1_14partition_implILS5_5ELb0ES3_mN6thrust23THRUST_200600_302600_NS6detail15normal_iteratorINSB_10device_ptrIS6_EEEEPS7_NSB_18transform_iteratorI5mod_3IS6_ESG_NSB_11use_defaultESL_EENS0_5tupleIJSG_S7_EEENSN_IJSH_SH_EEES7_PlJS7_EEE10hipError_tPvRmT3_T4_T5_T6_T7_T9_mT8_P12ihipStream_tbDpT10_ENKUlT_T0_E_clISt17integral_constantIbLb0EES19_IbLb1EEEEDaS15_S16_EUlS15_E_NS1_11comp_targetILNS1_3genE4ELNS1_11target_archE910ELNS1_3gpuE8ELNS1_3repE0EEENS1_30default_config_static_selectorELNS0_4arch9wavefront6targetE0EEEvT1_.kd
    .uniform_work_group_size: 1
    .uses_dynamic_stack: false
    .vgpr_count:     0
    .vgpr_spill_count: 0
    .wavefront_size: 32
    .workgroup_processor_mode: 1
  - .args:
      - .offset:         0
        .size:           136
        .value_kind:     by_value
    .group_segment_fixed_size: 0
    .kernarg_segment_align: 8
    .kernarg_segment_size: 136
    .language:       OpenCL C
    .language_version:
      - 2
      - 0
    .max_flat_workgroup_size: 256
    .name:           _ZN7rocprim17ROCPRIM_400000_NS6detail17trampoline_kernelINS0_14default_configENS1_25partition_config_selectorILNS1_17partition_subalgoE5E10large_dataNS0_10empty_typeEbEEZZNS1_14partition_implILS5_5ELb0ES3_mN6thrust23THRUST_200600_302600_NS6detail15normal_iteratorINSB_10device_ptrIS6_EEEEPS7_NSB_18transform_iteratorI5mod_3IS6_ESG_NSB_11use_defaultESL_EENS0_5tupleIJSG_S7_EEENSN_IJSH_SH_EEES7_PlJS7_EEE10hipError_tPvRmT3_T4_T5_T6_T7_T9_mT8_P12ihipStream_tbDpT10_ENKUlT_T0_E_clISt17integral_constantIbLb0EES19_IbLb1EEEEDaS15_S16_EUlS15_E_NS1_11comp_targetILNS1_3genE3ELNS1_11target_archE908ELNS1_3gpuE7ELNS1_3repE0EEENS1_30default_config_static_selectorELNS0_4arch9wavefront6targetE0EEEvT1_
    .private_segment_fixed_size: 0
    .sgpr_count:     0
    .sgpr_spill_count: 0
    .symbol:         _ZN7rocprim17ROCPRIM_400000_NS6detail17trampoline_kernelINS0_14default_configENS1_25partition_config_selectorILNS1_17partition_subalgoE5E10large_dataNS0_10empty_typeEbEEZZNS1_14partition_implILS5_5ELb0ES3_mN6thrust23THRUST_200600_302600_NS6detail15normal_iteratorINSB_10device_ptrIS6_EEEEPS7_NSB_18transform_iteratorI5mod_3IS6_ESG_NSB_11use_defaultESL_EENS0_5tupleIJSG_S7_EEENSN_IJSH_SH_EEES7_PlJS7_EEE10hipError_tPvRmT3_T4_T5_T6_T7_T9_mT8_P12ihipStream_tbDpT10_ENKUlT_T0_E_clISt17integral_constantIbLb0EES19_IbLb1EEEEDaS15_S16_EUlS15_E_NS1_11comp_targetILNS1_3genE3ELNS1_11target_archE908ELNS1_3gpuE7ELNS1_3repE0EEENS1_30default_config_static_selectorELNS0_4arch9wavefront6targetE0EEEvT1_.kd
    .uniform_work_group_size: 1
    .uses_dynamic_stack: false
    .vgpr_count:     0
    .vgpr_spill_count: 0
    .wavefront_size: 32
    .workgroup_processor_mode: 1
  - .args:
      - .offset:         0
        .size:           136
        .value_kind:     by_value
    .group_segment_fixed_size: 0
    .kernarg_segment_align: 8
    .kernarg_segment_size: 136
    .language:       OpenCL C
    .language_version:
      - 2
      - 0
    .max_flat_workgroup_size: 256
    .name:           _ZN7rocprim17ROCPRIM_400000_NS6detail17trampoline_kernelINS0_14default_configENS1_25partition_config_selectorILNS1_17partition_subalgoE5E10large_dataNS0_10empty_typeEbEEZZNS1_14partition_implILS5_5ELb0ES3_mN6thrust23THRUST_200600_302600_NS6detail15normal_iteratorINSB_10device_ptrIS6_EEEEPS7_NSB_18transform_iteratorI5mod_3IS6_ESG_NSB_11use_defaultESL_EENS0_5tupleIJSG_S7_EEENSN_IJSH_SH_EEES7_PlJS7_EEE10hipError_tPvRmT3_T4_T5_T6_T7_T9_mT8_P12ihipStream_tbDpT10_ENKUlT_T0_E_clISt17integral_constantIbLb0EES19_IbLb1EEEEDaS15_S16_EUlS15_E_NS1_11comp_targetILNS1_3genE2ELNS1_11target_archE906ELNS1_3gpuE6ELNS1_3repE0EEENS1_30default_config_static_selectorELNS0_4arch9wavefront6targetE0EEEvT1_
    .private_segment_fixed_size: 0
    .sgpr_count:     0
    .sgpr_spill_count: 0
    .symbol:         _ZN7rocprim17ROCPRIM_400000_NS6detail17trampoline_kernelINS0_14default_configENS1_25partition_config_selectorILNS1_17partition_subalgoE5E10large_dataNS0_10empty_typeEbEEZZNS1_14partition_implILS5_5ELb0ES3_mN6thrust23THRUST_200600_302600_NS6detail15normal_iteratorINSB_10device_ptrIS6_EEEEPS7_NSB_18transform_iteratorI5mod_3IS6_ESG_NSB_11use_defaultESL_EENS0_5tupleIJSG_S7_EEENSN_IJSH_SH_EEES7_PlJS7_EEE10hipError_tPvRmT3_T4_T5_T6_T7_T9_mT8_P12ihipStream_tbDpT10_ENKUlT_T0_E_clISt17integral_constantIbLb0EES19_IbLb1EEEEDaS15_S16_EUlS15_E_NS1_11comp_targetILNS1_3genE2ELNS1_11target_archE906ELNS1_3gpuE6ELNS1_3repE0EEENS1_30default_config_static_selectorELNS0_4arch9wavefront6targetE0EEEvT1_.kd
    .uniform_work_group_size: 1
    .uses_dynamic_stack: false
    .vgpr_count:     0
    .vgpr_spill_count: 0
    .wavefront_size: 32
    .workgroup_processor_mode: 1
  - .args:
      - .offset:         0
        .size:           136
        .value_kind:     by_value
    .group_segment_fixed_size: 0
    .kernarg_segment_align: 8
    .kernarg_segment_size: 136
    .language:       OpenCL C
    .language_version:
      - 2
      - 0
    .max_flat_workgroup_size: 256
    .name:           _ZN7rocprim17ROCPRIM_400000_NS6detail17trampoline_kernelINS0_14default_configENS1_25partition_config_selectorILNS1_17partition_subalgoE5E10large_dataNS0_10empty_typeEbEEZZNS1_14partition_implILS5_5ELb0ES3_mN6thrust23THRUST_200600_302600_NS6detail15normal_iteratorINSB_10device_ptrIS6_EEEEPS7_NSB_18transform_iteratorI5mod_3IS6_ESG_NSB_11use_defaultESL_EENS0_5tupleIJSG_S7_EEENSN_IJSH_SH_EEES7_PlJS7_EEE10hipError_tPvRmT3_T4_T5_T6_T7_T9_mT8_P12ihipStream_tbDpT10_ENKUlT_T0_E_clISt17integral_constantIbLb0EES19_IbLb1EEEEDaS15_S16_EUlS15_E_NS1_11comp_targetILNS1_3genE10ELNS1_11target_archE1200ELNS1_3gpuE4ELNS1_3repE0EEENS1_30default_config_static_selectorELNS0_4arch9wavefront6targetE0EEEvT1_
    .private_segment_fixed_size: 0
    .sgpr_count:     0
    .sgpr_spill_count: 0
    .symbol:         _ZN7rocprim17ROCPRIM_400000_NS6detail17trampoline_kernelINS0_14default_configENS1_25partition_config_selectorILNS1_17partition_subalgoE5E10large_dataNS0_10empty_typeEbEEZZNS1_14partition_implILS5_5ELb0ES3_mN6thrust23THRUST_200600_302600_NS6detail15normal_iteratorINSB_10device_ptrIS6_EEEEPS7_NSB_18transform_iteratorI5mod_3IS6_ESG_NSB_11use_defaultESL_EENS0_5tupleIJSG_S7_EEENSN_IJSH_SH_EEES7_PlJS7_EEE10hipError_tPvRmT3_T4_T5_T6_T7_T9_mT8_P12ihipStream_tbDpT10_ENKUlT_T0_E_clISt17integral_constantIbLb0EES19_IbLb1EEEEDaS15_S16_EUlS15_E_NS1_11comp_targetILNS1_3genE10ELNS1_11target_archE1200ELNS1_3gpuE4ELNS1_3repE0EEENS1_30default_config_static_selectorELNS0_4arch9wavefront6targetE0EEEvT1_.kd
    .uniform_work_group_size: 1
    .uses_dynamic_stack: false
    .vgpr_count:     0
    .vgpr_spill_count: 0
    .wavefront_size: 32
    .workgroup_processor_mode: 1
  - .args:
      - .offset:         0
        .size:           136
        .value_kind:     by_value
    .group_segment_fixed_size: 16
    .kernarg_segment_align: 8
    .kernarg_segment_size: 136
    .language:       OpenCL C
    .language_version:
      - 2
      - 0
    .max_flat_workgroup_size: 256
    .name:           _ZN7rocprim17ROCPRIM_400000_NS6detail17trampoline_kernelINS0_14default_configENS1_25partition_config_selectorILNS1_17partition_subalgoE5E10large_dataNS0_10empty_typeEbEEZZNS1_14partition_implILS5_5ELb0ES3_mN6thrust23THRUST_200600_302600_NS6detail15normal_iteratorINSB_10device_ptrIS6_EEEEPS7_NSB_18transform_iteratorI5mod_3IS6_ESG_NSB_11use_defaultESL_EENS0_5tupleIJSG_S7_EEENSN_IJSH_SH_EEES7_PlJS7_EEE10hipError_tPvRmT3_T4_T5_T6_T7_T9_mT8_P12ihipStream_tbDpT10_ENKUlT_T0_E_clISt17integral_constantIbLb0EES19_IbLb1EEEEDaS15_S16_EUlS15_E_NS1_11comp_targetILNS1_3genE9ELNS1_11target_archE1100ELNS1_3gpuE3ELNS1_3repE0EEENS1_30default_config_static_selectorELNS0_4arch9wavefront6targetE0EEEvT1_
    .private_segment_fixed_size: 0
    .sgpr_count:     28
    .sgpr_spill_count: 0
    .symbol:         _ZN7rocprim17ROCPRIM_400000_NS6detail17trampoline_kernelINS0_14default_configENS1_25partition_config_selectorILNS1_17partition_subalgoE5E10large_dataNS0_10empty_typeEbEEZZNS1_14partition_implILS5_5ELb0ES3_mN6thrust23THRUST_200600_302600_NS6detail15normal_iteratorINSB_10device_ptrIS6_EEEEPS7_NSB_18transform_iteratorI5mod_3IS6_ESG_NSB_11use_defaultESL_EENS0_5tupleIJSG_S7_EEENSN_IJSH_SH_EEES7_PlJS7_EEE10hipError_tPvRmT3_T4_T5_T6_T7_T9_mT8_P12ihipStream_tbDpT10_ENKUlT_T0_E_clISt17integral_constantIbLb0EES19_IbLb1EEEEDaS15_S16_EUlS15_E_NS1_11comp_targetILNS1_3genE9ELNS1_11target_archE1100ELNS1_3gpuE3ELNS1_3repE0EEENS1_30default_config_static_selectorELNS0_4arch9wavefront6targetE0EEEvT1_.kd
    .uniform_work_group_size: 1
    .uses_dynamic_stack: false
    .vgpr_count:     36
    .vgpr_spill_count: 0
    .wavefront_size: 32
    .workgroup_processor_mode: 1
  - .args:
      - .offset:         0
        .size:           136
        .value_kind:     by_value
    .group_segment_fixed_size: 0
    .kernarg_segment_align: 8
    .kernarg_segment_size: 136
    .language:       OpenCL C
    .language_version:
      - 2
      - 0
    .max_flat_workgroup_size: 256
    .name:           _ZN7rocprim17ROCPRIM_400000_NS6detail17trampoline_kernelINS0_14default_configENS1_25partition_config_selectorILNS1_17partition_subalgoE5E10large_dataNS0_10empty_typeEbEEZZNS1_14partition_implILS5_5ELb0ES3_mN6thrust23THRUST_200600_302600_NS6detail15normal_iteratorINSB_10device_ptrIS6_EEEEPS7_NSB_18transform_iteratorI5mod_3IS6_ESG_NSB_11use_defaultESL_EENS0_5tupleIJSG_S7_EEENSN_IJSH_SH_EEES7_PlJS7_EEE10hipError_tPvRmT3_T4_T5_T6_T7_T9_mT8_P12ihipStream_tbDpT10_ENKUlT_T0_E_clISt17integral_constantIbLb0EES19_IbLb1EEEEDaS15_S16_EUlS15_E_NS1_11comp_targetILNS1_3genE8ELNS1_11target_archE1030ELNS1_3gpuE2ELNS1_3repE0EEENS1_30default_config_static_selectorELNS0_4arch9wavefront6targetE0EEEvT1_
    .private_segment_fixed_size: 0
    .sgpr_count:     0
    .sgpr_spill_count: 0
    .symbol:         _ZN7rocprim17ROCPRIM_400000_NS6detail17trampoline_kernelINS0_14default_configENS1_25partition_config_selectorILNS1_17partition_subalgoE5E10large_dataNS0_10empty_typeEbEEZZNS1_14partition_implILS5_5ELb0ES3_mN6thrust23THRUST_200600_302600_NS6detail15normal_iteratorINSB_10device_ptrIS6_EEEEPS7_NSB_18transform_iteratorI5mod_3IS6_ESG_NSB_11use_defaultESL_EENS0_5tupleIJSG_S7_EEENSN_IJSH_SH_EEES7_PlJS7_EEE10hipError_tPvRmT3_T4_T5_T6_T7_T9_mT8_P12ihipStream_tbDpT10_ENKUlT_T0_E_clISt17integral_constantIbLb0EES19_IbLb1EEEEDaS15_S16_EUlS15_E_NS1_11comp_targetILNS1_3genE8ELNS1_11target_archE1030ELNS1_3gpuE2ELNS1_3repE0EEENS1_30default_config_static_selectorELNS0_4arch9wavefront6targetE0EEEvT1_.kd
    .uniform_work_group_size: 1
    .uses_dynamic_stack: false
    .vgpr_count:     0
    .vgpr_spill_count: 0
    .wavefront_size: 32
    .workgroup_processor_mode: 1
  - .args:
      - .offset:         0
        .size:           24
        .value_kind:     by_value
      - .offset:         24
        .size:           8
        .value_kind:     by_value
      - .offset:         32
        .size:           8
        .value_kind:     by_value
    .group_segment_fixed_size: 0
    .kernarg_segment_align: 8
    .kernarg_segment_size: 40
    .language:       OpenCL C
    .language_version:
      - 2
      - 0
    .max_flat_workgroup_size: 256
    .name:           _ZN6thrust23THRUST_200600_302600_NS11hip_rocprim14__parallel_for6kernelILj256ENS1_10__tabulate7functorINS0_6detail15normal_iteratorINS0_10device_ptrIyEEEENS0_6system6detail7generic6detail22compute_sequence_valueIyvEElEElLj1EEEvT0_T1_SJ_
    .private_segment_fixed_size: 0
    .sgpr_count:     18
    .sgpr_spill_count: 0
    .symbol:         _ZN6thrust23THRUST_200600_302600_NS11hip_rocprim14__parallel_for6kernelILj256ENS1_10__tabulate7functorINS0_6detail15normal_iteratorINS0_10device_ptrIyEEEENS0_6system6detail7generic6detail22compute_sequence_valueIyvEElEElLj1EEEvT0_T1_SJ_.kd
    .uniform_work_group_size: 1
    .uses_dynamic_stack: false
    .vgpr_count:     6
    .vgpr_spill_count: 0
    .wavefront_size: 32
    .workgroup_processor_mode: 1
  - .args:
      - .offset:         0
        .size:           16
        .value_kind:     by_value
      - .offset:         16
        .size:           8
        .value_kind:     by_value
      - .offset:         24
        .size:           8
        .value_kind:     by_value
    .group_segment_fixed_size: 0
    .kernarg_segment_align: 8
    .kernarg_segment_size: 32
    .language:       OpenCL C
    .language_version:
      - 2
      - 0
    .max_flat_workgroup_size: 256
    .name:           _ZN6thrust23THRUST_200600_302600_NS11hip_rocprim14__parallel_for6kernelILj256ENS1_10__tabulate7functorINS0_6detail15normal_iteratorINS0_10device_ptrIjEEEENS0_6system6detail7generic6detail22compute_sequence_valueIjvEElEElLj1EEEvT0_T1_SJ_
    .private_segment_fixed_size: 0
    .sgpr_count:     18
    .sgpr_spill_count: 0
    .symbol:         _ZN6thrust23THRUST_200600_302600_NS11hip_rocprim14__parallel_for6kernelILj256ENS1_10__tabulate7functorINS0_6detail15normal_iteratorINS0_10device_ptrIjEEEENS0_6system6detail7generic6detail22compute_sequence_valueIjvEElEElLj1EEEvT0_T1_SJ_.kd
    .uniform_work_group_size: 1
    .uses_dynamic_stack: false
    .vgpr_count:     5
    .vgpr_spill_count: 0
    .wavefront_size: 32
    .workgroup_processor_mode: 1
  - .args:
      - .offset:         0
        .size:           16
        .value_kind:     by_value
      - .offset:         16
        .size:           8
        .value_kind:     by_value
      - .offset:         24
        .size:           8
        .value_kind:     by_value
    .group_segment_fixed_size: 0
    .kernarg_segment_align: 8
    .kernarg_segment_size: 32
    .language:       OpenCL C
    .language_version:
      - 2
      - 0
    .max_flat_workgroup_size: 256
    .name:           _ZN6thrust23THRUST_200600_302600_NS11hip_rocprim14__parallel_for6kernelILj256ENS1_10__tabulate7functorINS0_6detail15normal_iteratorINS0_10device_ptrItEEEENS0_6system6detail7generic6detail22compute_sequence_valueItvEElEElLj1EEEvT0_T1_SJ_
    .private_segment_fixed_size: 0
    .sgpr_count:     18
    .sgpr_spill_count: 0
    .symbol:         _ZN6thrust23THRUST_200600_302600_NS11hip_rocprim14__parallel_for6kernelILj256ENS1_10__tabulate7functorINS0_6detail15normal_iteratorINS0_10device_ptrItEEEENS0_6system6detail7generic6detail22compute_sequence_valueItvEElEElLj1EEEvT0_T1_SJ_.kd
    .uniform_work_group_size: 1
    .uses_dynamic_stack: false
    .vgpr_count:     4
    .vgpr_spill_count: 0
    .wavefront_size: 32
    .workgroup_processor_mode: 1
  - .args:
      - .offset:         0
        .size:           24
        .value_kind:     by_value
      - .offset:         24
        .size:           8
        .value_kind:     by_value
      - .offset:         32
        .size:           8
        .value_kind:     by_value
    .group_segment_fixed_size: 0
    .kernarg_segment_align: 8
    .kernarg_segment_size: 40
    .language:       OpenCL C
    .language_version:
      - 2
      - 0
    .max_flat_workgroup_size: 256
    .name:           _ZN6thrust23THRUST_200600_302600_NS11hip_rocprim14__parallel_for6kernelILj256ENS1_10__tabulate7functorINS0_6detail15normal_iteratorINS0_10device_ptrIxEEEENS0_6system6detail7generic6detail22compute_sequence_valueIxvEElEElLj1EEEvT0_T1_SJ_
    .private_segment_fixed_size: 0
    .sgpr_count:     18
    .sgpr_spill_count: 0
    .symbol:         _ZN6thrust23THRUST_200600_302600_NS11hip_rocprim14__parallel_for6kernelILj256ENS1_10__tabulate7functorINS0_6detail15normal_iteratorINS0_10device_ptrIxEEEENS0_6system6detail7generic6detail22compute_sequence_valueIxvEElEElLj1EEEvT0_T1_SJ_.kd
    .uniform_work_group_size: 1
    .uses_dynamic_stack: false
    .vgpr_count:     6
    .vgpr_spill_count: 0
    .wavefront_size: 32
    .workgroup_processor_mode: 1
  - .args:
      - .offset:         0
        .size:           16
        .value_kind:     by_value
      - .offset:         16
        .size:           8
        .value_kind:     by_value
      - .offset:         24
        .size:           8
        .value_kind:     by_value
    .group_segment_fixed_size: 0
    .kernarg_segment_align: 8
    .kernarg_segment_size: 32
    .language:       OpenCL C
    .language_version:
      - 2
      - 0
    .max_flat_workgroup_size: 256
    .name:           _ZN6thrust23THRUST_200600_302600_NS11hip_rocprim14__parallel_for6kernelILj256ENS1_10__tabulate7functorINS0_6detail15normal_iteratorINS0_10device_ptrIiEEEENS0_6system6detail7generic6detail22compute_sequence_valueIivEElEElLj1EEEvT0_T1_SJ_
    .private_segment_fixed_size: 0
    .sgpr_count:     18
    .sgpr_spill_count: 0
    .symbol:         _ZN6thrust23THRUST_200600_302600_NS11hip_rocprim14__parallel_for6kernelILj256ENS1_10__tabulate7functorINS0_6detail15normal_iteratorINS0_10device_ptrIiEEEENS0_6system6detail7generic6detail22compute_sequence_valueIivEElEElLj1EEEvT0_T1_SJ_.kd
    .uniform_work_group_size: 1
    .uses_dynamic_stack: false
    .vgpr_count:     5
    .vgpr_spill_count: 0
    .wavefront_size: 32
    .workgroup_processor_mode: 1
  - .args:
      - .offset:         0
        .size:           16
        .value_kind:     by_value
      - .offset:         16
        .size:           8
        .value_kind:     by_value
      - .offset:         24
        .size:           8
        .value_kind:     by_value
    .group_segment_fixed_size: 0
    .kernarg_segment_align: 8
    .kernarg_segment_size: 32
    .language:       OpenCL C
    .language_version:
      - 2
      - 0
    .max_flat_workgroup_size: 256
    .name:           _ZN6thrust23THRUST_200600_302600_NS11hip_rocprim14__parallel_for6kernelILj256ENS1_10__tabulate7functorINS0_6detail15normal_iteratorINS0_10device_ptrIsEEEENS0_6system6detail7generic6detail22compute_sequence_valueIsvEElEElLj1EEEvT0_T1_SJ_
    .private_segment_fixed_size: 0
    .sgpr_count:     18
    .sgpr_spill_count: 0
    .symbol:         _ZN6thrust23THRUST_200600_302600_NS11hip_rocprim14__parallel_for6kernelILj256ENS1_10__tabulate7functorINS0_6detail15normal_iteratorINS0_10device_ptrIsEEEENS0_6system6detail7generic6detail22compute_sequence_valueIsvEElEElLj1EEEvT0_T1_SJ_.kd
    .uniform_work_group_size: 1
    .uses_dynamic_stack: false
    .vgpr_count:     4
    .vgpr_spill_count: 0
    .wavefront_size: 32
    .workgroup_processor_mode: 1
  - .args:
      - .offset:         0
        .size:           528
        .value_kind:     by_value
      - .offset:         528
        .size:           8
        .value_kind:     by_value
      - .offset:         536
        .size:           8
        .value_kind:     by_value
    .group_segment_fixed_size: 0
    .kernarg_segment_align: 8
    .kernarg_segment_size: 544
    .language:       OpenCL C
    .language_version:
      - 2
      - 0
    .max_flat_workgroup_size: 256
    .name:           _ZN6thrust23THRUST_200600_302600_NS11hip_rocprim14__parallel_for6kernelILj256ENS1_11__transform17unary_transform_fINS0_17counting_iteratorI10large_dataNS0_11use_defaultES8_S8_EENS0_6detail15normal_iteratorINS0_10device_ptrIS7_EEEENS4_14no_stencil_tagENS0_8identityIS7_EENS4_21always_true_predicateEEElLj1EEEvT0_T1_SL_
    .private_segment_fixed_size: 0
    .sgpr_count:     18
    .sgpr_spill_count: 0
    .symbol:         _ZN6thrust23THRUST_200600_302600_NS11hip_rocprim14__parallel_for6kernelILj256ENS1_11__transform17unary_transform_fINS0_17counting_iteratorI10large_dataNS0_11use_defaultES8_S8_EENS0_6detail15normal_iteratorINS0_10device_ptrIS7_EEEENS4_14no_stencil_tagENS0_8identityIS7_EENS4_21always_true_predicateEEElLj1EEEvT0_T1_SL_.kd
    .uniform_work_group_size: 1
    .uses_dynamic_stack: false
    .vgpr_count:     4
    .vgpr_spill_count: 0
    .wavefront_size: 32
    .workgroup_processor_mode: 1
  - .args:
      - .offset:         0
        .size:           24
        .value_kind:     by_value
      - .offset:         24
        .size:           8
        .value_kind:     by_value
      - .offset:         32
        .size:           8
        .value_kind:     by_value
    .group_segment_fixed_size: 0
    .kernarg_segment_align: 8
    .kernarg_segment_size: 40
    .language:       OpenCL C
    .language_version:
      - 2
      - 0
    .max_flat_workgroup_size: 256
    .name:           _ZN6thrust23THRUST_200600_302600_NS11hip_rocprim14__parallel_for6kernelILj256ENS1_11__transform17unary_transform_fINS0_17counting_iteratorIdNS0_11use_defaultES7_S7_EENS0_6detail15normal_iteratorINS0_10device_ptrIdEEEENS4_14no_stencil_tagENS0_8identityIdEENS4_21always_true_predicateEEElLj1EEEvT0_T1_SK_
    .private_segment_fixed_size: 0
    .sgpr_count:     18
    .sgpr_spill_count: 0
    .symbol:         _ZN6thrust23THRUST_200600_302600_NS11hip_rocprim14__parallel_for6kernelILj256ENS1_11__transform17unary_transform_fINS0_17counting_iteratorIdNS0_11use_defaultES7_S7_EENS0_6detail15normal_iteratorINS0_10device_ptrIdEEEENS4_14no_stencil_tagENS0_8identityIdEENS4_21always_true_predicateEEElLj1EEEvT0_T1_SK_.kd
    .uniform_work_group_size: 1
    .uses_dynamic_stack: false
    .vgpr_count:     6
    .vgpr_spill_count: 0
    .wavefront_size: 32
    .workgroup_processor_mode: 1
  - .args:
      - .offset:         0
        .size:           24
        .value_kind:     by_value
      - .offset:         24
        .size:           8
        .value_kind:     by_value
      - .offset:         32
        .size:           8
        .value_kind:     by_value
    .group_segment_fixed_size: 0
    .kernarg_segment_align: 8
    .kernarg_segment_size: 40
    .language:       OpenCL C
    .language_version:
      - 2
      - 0
    .max_flat_workgroup_size: 256
    .name:           _ZN6thrust23THRUST_200600_302600_NS11hip_rocprim14__parallel_for6kernelILj256ENS1_11__transform17unary_transform_fINS0_17counting_iteratorIfNS0_11use_defaultES7_S7_EENS0_6detail15normal_iteratorINS0_10device_ptrIfEEEENS4_14no_stencil_tagENS0_8identityIfEENS4_21always_true_predicateEEElLj1EEEvT0_T1_SK_
    .private_segment_fixed_size: 0
    .sgpr_count:     18
    .sgpr_spill_count: 0
    .symbol:         _ZN6thrust23THRUST_200600_302600_NS11hip_rocprim14__parallel_for6kernelILj256ENS1_11__transform17unary_transform_fINS0_17counting_iteratorIfNS0_11use_defaultES7_S7_EENS0_6detail15normal_iteratorINS0_10device_ptrIfEEEENS4_14no_stencil_tagENS0_8identityIfEENS4_21always_true_predicateEEElLj1EEEvT0_T1_SK_.kd
    .uniform_work_group_size: 1
    .uses_dynamic_stack: false
    .vgpr_count:     6
    .vgpr_spill_count: 0
    .wavefront_size: 32
    .workgroup_processor_mode: 1
  - .args:
      - .offset:         0
        .size:           24
        .value_kind:     by_value
      - .offset:         24
        .size:           8
        .value_kind:     by_value
      - .offset:         32
        .size:           8
        .value_kind:     by_value
    .group_segment_fixed_size: 0
    .kernarg_segment_align: 8
    .kernarg_segment_size: 40
    .language:       OpenCL C
    .language_version:
      - 2
      - 0
    .max_flat_workgroup_size: 256
    .name:           _ZN6thrust23THRUST_200600_302600_NS11hip_rocprim14__parallel_for6kernelILj256ENS1_11__transform17unary_transform_fINS0_17counting_iteratorIyNS0_11use_defaultES7_S7_EENS0_6detail15normal_iteratorINS0_10device_ptrIyEEEENS4_14no_stencil_tagENS0_8identityIyEENS4_21always_true_predicateEEExLj1EEEvT0_T1_SK_
    .private_segment_fixed_size: 0
    .sgpr_count:     18
    .sgpr_spill_count: 0
    .symbol:         _ZN6thrust23THRUST_200600_302600_NS11hip_rocprim14__parallel_for6kernelILj256ENS1_11__transform17unary_transform_fINS0_17counting_iteratorIyNS0_11use_defaultES7_S7_EENS0_6detail15normal_iteratorINS0_10device_ptrIyEEEENS4_14no_stencil_tagENS0_8identityIyEENS4_21always_true_predicateEEExLj1EEEvT0_T1_SK_.kd
    .uniform_work_group_size: 1
    .uses_dynamic_stack: false
    .vgpr_count:     5
    .vgpr_spill_count: 0
    .wavefront_size: 32
    .workgroup_processor_mode: 1
  - .args:
      - .offset:         0
        .size:           24
        .value_kind:     by_value
      - .offset:         24
        .size:           8
        .value_kind:     by_value
      - .offset:         32
        .size:           8
        .value_kind:     by_value
    .group_segment_fixed_size: 0
    .kernarg_segment_align: 8
    .kernarg_segment_size: 40
    .language:       OpenCL C
    .language_version:
      - 2
      - 0
    .max_flat_workgroup_size: 256
    .name:           _ZN6thrust23THRUST_200600_302600_NS11hip_rocprim14__parallel_for6kernelILj256ENS1_11__transform17unary_transform_fINS0_17counting_iteratorIjNS0_11use_defaultES7_S7_EENS0_6detail15normal_iteratorINS0_10device_ptrIjEEEENS4_14no_stencil_tagENS0_8identityIjEENS4_21always_true_predicateEEElLj1EEEvT0_T1_SK_
    .private_segment_fixed_size: 0
    .sgpr_count:     18
    .sgpr_spill_count: 0
    .symbol:         _ZN6thrust23THRUST_200600_302600_NS11hip_rocprim14__parallel_for6kernelILj256ENS1_11__transform17unary_transform_fINS0_17counting_iteratorIjNS0_11use_defaultES7_S7_EENS0_6detail15normal_iteratorINS0_10device_ptrIjEEEENS4_14no_stencil_tagENS0_8identityIjEENS4_21always_true_predicateEEElLj1EEEvT0_T1_SK_.kd
    .uniform_work_group_size: 1
    .uses_dynamic_stack: false
    .vgpr_count:     4
    .vgpr_spill_count: 0
    .wavefront_size: 32
    .workgroup_processor_mode: 1
  - .args:
      - .offset:         0
        .size:           24
        .value_kind:     by_value
      - .offset:         24
        .size:           4
        .value_kind:     by_value
      - .offset:         28
        .size:           4
        .value_kind:     by_value
    .group_segment_fixed_size: 0
    .kernarg_segment_align: 8
    .kernarg_segment_size: 32
    .language:       OpenCL C
    .language_version:
      - 2
      - 0
    .max_flat_workgroup_size: 256
    .name:           _ZN6thrust23THRUST_200600_302600_NS11hip_rocprim14__parallel_for6kernelILj256ENS1_11__transform17unary_transform_fINS0_17counting_iteratorItNS0_11use_defaultES7_S7_EENS0_6detail15normal_iteratorINS0_10device_ptrItEEEENS4_14no_stencil_tagENS0_8identityItEENS4_21always_true_predicateEEEiLj1EEEvT0_T1_SK_
    .private_segment_fixed_size: 0
    .sgpr_count:     18
    .sgpr_spill_count: 0
    .symbol:         _ZN6thrust23THRUST_200600_302600_NS11hip_rocprim14__parallel_for6kernelILj256ENS1_11__transform17unary_transform_fINS0_17counting_iteratorItNS0_11use_defaultES7_S7_EENS0_6detail15normal_iteratorINS0_10device_ptrItEEEENS4_14no_stencil_tagENS0_8identityItEENS4_21always_true_predicateEEEiLj1EEEvT0_T1_SK_.kd
    .uniform_work_group_size: 1
    .uses_dynamic_stack: false
    .vgpr_count:     4
    .vgpr_spill_count: 0
    .wavefront_size: 32
    .workgroup_processor_mode: 1
  - .args:
      - .offset:         0
        .size:           24
        .value_kind:     by_value
      - .offset:         24
        .size:           8
        .value_kind:     by_value
      - .offset:         32
        .size:           8
        .value_kind:     by_value
    .group_segment_fixed_size: 0
    .kernarg_segment_align: 8
    .kernarg_segment_size: 40
    .language:       OpenCL C
    .language_version:
      - 2
      - 0
    .max_flat_workgroup_size: 256
    .name:           _ZN6thrust23THRUST_200600_302600_NS11hip_rocprim14__parallel_for6kernelILj256ENS1_11__transform17unary_transform_fINS0_17counting_iteratorIxNS0_11use_defaultES7_S7_EENS0_6detail15normal_iteratorINS0_10device_ptrIxEEEENS4_14no_stencil_tagENS0_8identityIxEENS4_21always_true_predicateEEExLj1EEEvT0_T1_SK_
    .private_segment_fixed_size: 0
    .sgpr_count:     18
    .sgpr_spill_count: 0
    .symbol:         _ZN6thrust23THRUST_200600_302600_NS11hip_rocprim14__parallel_for6kernelILj256ENS1_11__transform17unary_transform_fINS0_17counting_iteratorIxNS0_11use_defaultES7_S7_EENS0_6detail15normal_iteratorINS0_10device_ptrIxEEEENS4_14no_stencil_tagENS0_8identityIxEENS4_21always_true_predicateEEExLj1EEEvT0_T1_SK_.kd
    .uniform_work_group_size: 1
    .uses_dynamic_stack: false
    .vgpr_count:     5
    .vgpr_spill_count: 0
    .wavefront_size: 32
    .workgroup_processor_mode: 1
  - .args:
      - .offset:         0
        .size:           24
        .value_kind:     by_value
      - .offset:         24
        .size:           8
        .value_kind:     by_value
      - .offset:         32
        .size:           8
        .value_kind:     by_value
    .group_segment_fixed_size: 0
    .kernarg_segment_align: 8
    .kernarg_segment_size: 40
    .language:       OpenCL C
    .language_version:
      - 2
      - 0
    .max_flat_workgroup_size: 256
    .name:           _ZN6thrust23THRUST_200600_302600_NS11hip_rocprim14__parallel_for6kernelILj256ENS1_11__transform17unary_transform_fINS0_17counting_iteratorIiNS0_11use_defaultES7_S7_EENS0_6detail15normal_iteratorINS0_10device_ptrIiEEEENS4_14no_stencil_tagENS0_8identityIiEENS4_21always_true_predicateEEElLj1EEEvT0_T1_SK_
    .private_segment_fixed_size: 0
    .sgpr_count:     18
    .sgpr_spill_count: 0
    .symbol:         _ZN6thrust23THRUST_200600_302600_NS11hip_rocprim14__parallel_for6kernelILj256ENS1_11__transform17unary_transform_fINS0_17counting_iteratorIiNS0_11use_defaultES7_S7_EENS0_6detail15normal_iteratorINS0_10device_ptrIiEEEENS4_14no_stencil_tagENS0_8identityIiEENS4_21always_true_predicateEEElLj1EEEvT0_T1_SK_.kd
    .uniform_work_group_size: 1
    .uses_dynamic_stack: false
    .vgpr_count:     4
    .vgpr_spill_count: 0
    .wavefront_size: 32
    .workgroup_processor_mode: 1
  - .args:
      - .offset:         0
        .size:           24
        .value_kind:     by_value
      - .offset:         24
        .size:           4
        .value_kind:     by_value
      - .offset:         28
        .size:           4
        .value_kind:     by_value
    .group_segment_fixed_size: 0
    .kernarg_segment_align: 8
    .kernarg_segment_size: 32
    .language:       OpenCL C
    .language_version:
      - 2
      - 0
    .max_flat_workgroup_size: 256
    .name:           _ZN6thrust23THRUST_200600_302600_NS11hip_rocprim14__parallel_for6kernelILj256ENS1_11__transform17unary_transform_fINS0_17counting_iteratorIsNS0_11use_defaultES7_S7_EENS0_6detail15normal_iteratorINS0_10device_ptrIsEEEENS4_14no_stencil_tagENS0_8identityIsEENS4_21always_true_predicateEEEiLj1EEEvT0_T1_SK_
    .private_segment_fixed_size: 0
    .sgpr_count:     18
    .sgpr_spill_count: 0
    .symbol:         _ZN6thrust23THRUST_200600_302600_NS11hip_rocprim14__parallel_for6kernelILj256ENS1_11__transform17unary_transform_fINS0_17counting_iteratorIsNS0_11use_defaultES7_S7_EENS0_6detail15normal_iteratorINS0_10device_ptrIsEEEENS4_14no_stencil_tagENS0_8identityIsEENS4_21always_true_predicateEEEiLj1EEEvT0_T1_SK_.kd
    .uniform_work_group_size: 1
    .uses_dynamic_stack: false
    .vgpr_count:     4
    .vgpr_spill_count: 0
    .wavefront_size: 32
    .workgroup_processor_mode: 1
  - .args:
      - .offset:         0
        .size:           40
        .value_kind:     by_value
      - .offset:         40
        .size:           8
        .value_kind:     by_value
      - .offset:         48
        .size:           8
        .value_kind:     by_value
    .group_segment_fixed_size: 0
    .kernarg_segment_align: 8
    .kernarg_segment_size: 56
    .language:       OpenCL C
    .language_version:
      - 2
      - 0
    .max_flat_workgroup_size: 256
    .name:           _ZN6thrust23THRUST_200600_302600_NS11hip_rocprim14__parallel_for6kernelILj256ENS1_11__transform17unary_transform_fINS0_12zip_iteratorINS0_5tupleINS0_6detail15normal_iteratorINS0_10device_ptrI10large_dataEEEESD_NS0_9null_typeESE_SE_SE_SE_SE_SE_SE_EEEESG_NS4_14no_stencil_tagENS0_8identityINS7_ISB_SB_SE_SE_SE_SE_SE_SE_SE_SE_EEEENS4_21always_true_predicateEEElLj1EEEvT0_T1_SO_
    .private_segment_fixed_size: 0
    .sgpr_count:     22
    .sgpr_spill_count: 0
    .symbol:         _ZN6thrust23THRUST_200600_302600_NS11hip_rocprim14__parallel_for6kernelILj256ENS1_11__transform17unary_transform_fINS0_12zip_iteratorINS0_5tupleINS0_6detail15normal_iteratorINS0_10device_ptrI10large_dataEEEESD_NS0_9null_typeESE_SE_SE_SE_SE_SE_SE_EEEESG_NS4_14no_stencil_tagENS0_8identityINS7_ISB_SB_SE_SE_SE_SE_SE_SE_SE_SE_EEEENS4_21always_true_predicateEEElLj1EEEvT0_T1_SO_.kd
    .uniform_work_group_size: 1
    .uses_dynamic_stack: false
    .vgpr_count:     8
    .vgpr_spill_count: 0
    .wavefront_size: 32
    .workgroup_processor_mode: 1
  - .args:
      - .offset:         0
        .size:           104
        .value_kind:     by_value
    .group_segment_fixed_size: 0
    .kernarg_segment_align: 8
    .kernarg_segment_size: 104
    .language:       OpenCL C
    .language_version:
      - 2
      - 0
    .max_flat_workgroup_size: 128
    .name:           _ZN7rocprim17ROCPRIM_400000_NS6detail17trampoline_kernelINS0_14default_configENS1_22reduce_config_selectorIN6thrust23THRUST_200600_302600_NS5tupleIblNS6_9null_typeES8_S8_S8_S8_S8_S8_S8_EEEEZNS1_11reduce_implILb1ES3_NS6_12zip_iteratorINS7_INS6_11hip_rocprim26transform_input_iterator_tIbNSD_35transform_pair_of_input_iterators_tIbNS6_6detail15normal_iteratorINS6_10device_ptrIK10large_dataEEEESM_NS6_8equal_toISJ_EEEENSG_9not_fun_tINSD_8identityEEEEENSD_19counting_iterator_tIlEES8_S8_S8_S8_S8_S8_S8_S8_EEEEPS9_S9_NSD_9__find_if7functorIS9_EEEE10hipError_tPvRmT1_T2_T3_mT4_P12ihipStream_tbEUlT_E0_NS1_11comp_targetILNS1_3genE0ELNS1_11target_archE4294967295ELNS1_3gpuE0ELNS1_3repE0EEENS1_30default_config_static_selectorELNS0_4arch9wavefront6targetE0EEEvS15_
    .private_segment_fixed_size: 0
    .sgpr_count:     0
    .sgpr_spill_count: 0
    .symbol:         _ZN7rocprim17ROCPRIM_400000_NS6detail17trampoline_kernelINS0_14default_configENS1_22reduce_config_selectorIN6thrust23THRUST_200600_302600_NS5tupleIblNS6_9null_typeES8_S8_S8_S8_S8_S8_S8_EEEEZNS1_11reduce_implILb1ES3_NS6_12zip_iteratorINS7_INS6_11hip_rocprim26transform_input_iterator_tIbNSD_35transform_pair_of_input_iterators_tIbNS6_6detail15normal_iteratorINS6_10device_ptrIK10large_dataEEEESM_NS6_8equal_toISJ_EEEENSG_9not_fun_tINSD_8identityEEEEENSD_19counting_iterator_tIlEES8_S8_S8_S8_S8_S8_S8_S8_EEEEPS9_S9_NSD_9__find_if7functorIS9_EEEE10hipError_tPvRmT1_T2_T3_mT4_P12ihipStream_tbEUlT_E0_NS1_11comp_targetILNS1_3genE0ELNS1_11target_archE4294967295ELNS1_3gpuE0ELNS1_3repE0EEENS1_30default_config_static_selectorELNS0_4arch9wavefront6targetE0EEEvS15_.kd
    .uniform_work_group_size: 1
    .uses_dynamic_stack: false
    .vgpr_count:     0
    .vgpr_spill_count: 0
    .wavefront_size: 32
    .workgroup_processor_mode: 1
  - .args:
      - .offset:         0
        .size:           104
        .value_kind:     by_value
    .group_segment_fixed_size: 0
    .kernarg_segment_align: 8
    .kernarg_segment_size: 104
    .language:       OpenCL C
    .language_version:
      - 2
      - 0
    .max_flat_workgroup_size: 256
    .name:           _ZN7rocprim17ROCPRIM_400000_NS6detail17trampoline_kernelINS0_14default_configENS1_22reduce_config_selectorIN6thrust23THRUST_200600_302600_NS5tupleIblNS6_9null_typeES8_S8_S8_S8_S8_S8_S8_EEEEZNS1_11reduce_implILb1ES3_NS6_12zip_iteratorINS7_INS6_11hip_rocprim26transform_input_iterator_tIbNSD_35transform_pair_of_input_iterators_tIbNS6_6detail15normal_iteratorINS6_10device_ptrIK10large_dataEEEESM_NS6_8equal_toISJ_EEEENSG_9not_fun_tINSD_8identityEEEEENSD_19counting_iterator_tIlEES8_S8_S8_S8_S8_S8_S8_S8_EEEEPS9_S9_NSD_9__find_if7functorIS9_EEEE10hipError_tPvRmT1_T2_T3_mT4_P12ihipStream_tbEUlT_E0_NS1_11comp_targetILNS1_3genE5ELNS1_11target_archE942ELNS1_3gpuE9ELNS1_3repE0EEENS1_30default_config_static_selectorELNS0_4arch9wavefront6targetE0EEEvS15_
    .private_segment_fixed_size: 0
    .sgpr_count:     0
    .sgpr_spill_count: 0
    .symbol:         _ZN7rocprim17ROCPRIM_400000_NS6detail17trampoline_kernelINS0_14default_configENS1_22reduce_config_selectorIN6thrust23THRUST_200600_302600_NS5tupleIblNS6_9null_typeES8_S8_S8_S8_S8_S8_S8_EEEEZNS1_11reduce_implILb1ES3_NS6_12zip_iteratorINS7_INS6_11hip_rocprim26transform_input_iterator_tIbNSD_35transform_pair_of_input_iterators_tIbNS6_6detail15normal_iteratorINS6_10device_ptrIK10large_dataEEEESM_NS6_8equal_toISJ_EEEENSG_9not_fun_tINSD_8identityEEEEENSD_19counting_iterator_tIlEES8_S8_S8_S8_S8_S8_S8_S8_EEEEPS9_S9_NSD_9__find_if7functorIS9_EEEE10hipError_tPvRmT1_T2_T3_mT4_P12ihipStream_tbEUlT_E0_NS1_11comp_targetILNS1_3genE5ELNS1_11target_archE942ELNS1_3gpuE9ELNS1_3repE0EEENS1_30default_config_static_selectorELNS0_4arch9wavefront6targetE0EEEvS15_.kd
    .uniform_work_group_size: 1
    .uses_dynamic_stack: false
    .vgpr_count:     0
    .vgpr_spill_count: 0
    .wavefront_size: 32
    .workgroup_processor_mode: 1
  - .args:
      - .offset:         0
        .size:           104
        .value_kind:     by_value
    .group_segment_fixed_size: 0
    .kernarg_segment_align: 8
    .kernarg_segment_size: 104
    .language:       OpenCL C
    .language_version:
      - 2
      - 0
    .max_flat_workgroup_size: 256
    .name:           _ZN7rocprim17ROCPRIM_400000_NS6detail17trampoline_kernelINS0_14default_configENS1_22reduce_config_selectorIN6thrust23THRUST_200600_302600_NS5tupleIblNS6_9null_typeES8_S8_S8_S8_S8_S8_S8_EEEEZNS1_11reduce_implILb1ES3_NS6_12zip_iteratorINS7_INS6_11hip_rocprim26transform_input_iterator_tIbNSD_35transform_pair_of_input_iterators_tIbNS6_6detail15normal_iteratorINS6_10device_ptrIK10large_dataEEEESM_NS6_8equal_toISJ_EEEENSG_9not_fun_tINSD_8identityEEEEENSD_19counting_iterator_tIlEES8_S8_S8_S8_S8_S8_S8_S8_EEEEPS9_S9_NSD_9__find_if7functorIS9_EEEE10hipError_tPvRmT1_T2_T3_mT4_P12ihipStream_tbEUlT_E0_NS1_11comp_targetILNS1_3genE4ELNS1_11target_archE910ELNS1_3gpuE8ELNS1_3repE0EEENS1_30default_config_static_selectorELNS0_4arch9wavefront6targetE0EEEvS15_
    .private_segment_fixed_size: 0
    .sgpr_count:     0
    .sgpr_spill_count: 0
    .symbol:         _ZN7rocprim17ROCPRIM_400000_NS6detail17trampoline_kernelINS0_14default_configENS1_22reduce_config_selectorIN6thrust23THRUST_200600_302600_NS5tupleIblNS6_9null_typeES8_S8_S8_S8_S8_S8_S8_EEEEZNS1_11reduce_implILb1ES3_NS6_12zip_iteratorINS7_INS6_11hip_rocprim26transform_input_iterator_tIbNSD_35transform_pair_of_input_iterators_tIbNS6_6detail15normal_iteratorINS6_10device_ptrIK10large_dataEEEESM_NS6_8equal_toISJ_EEEENSG_9not_fun_tINSD_8identityEEEEENSD_19counting_iterator_tIlEES8_S8_S8_S8_S8_S8_S8_S8_EEEEPS9_S9_NSD_9__find_if7functorIS9_EEEE10hipError_tPvRmT1_T2_T3_mT4_P12ihipStream_tbEUlT_E0_NS1_11comp_targetILNS1_3genE4ELNS1_11target_archE910ELNS1_3gpuE8ELNS1_3repE0EEENS1_30default_config_static_selectorELNS0_4arch9wavefront6targetE0EEEvS15_.kd
    .uniform_work_group_size: 1
    .uses_dynamic_stack: false
    .vgpr_count:     0
    .vgpr_spill_count: 0
    .wavefront_size: 32
    .workgroup_processor_mode: 1
  - .args:
      - .offset:         0
        .size:           104
        .value_kind:     by_value
    .group_segment_fixed_size: 0
    .kernarg_segment_align: 8
    .kernarg_segment_size: 104
    .language:       OpenCL C
    .language_version:
      - 2
      - 0
    .max_flat_workgroup_size: 128
    .name:           _ZN7rocprim17ROCPRIM_400000_NS6detail17trampoline_kernelINS0_14default_configENS1_22reduce_config_selectorIN6thrust23THRUST_200600_302600_NS5tupleIblNS6_9null_typeES8_S8_S8_S8_S8_S8_S8_EEEEZNS1_11reduce_implILb1ES3_NS6_12zip_iteratorINS7_INS6_11hip_rocprim26transform_input_iterator_tIbNSD_35transform_pair_of_input_iterators_tIbNS6_6detail15normal_iteratorINS6_10device_ptrIK10large_dataEEEESM_NS6_8equal_toISJ_EEEENSG_9not_fun_tINSD_8identityEEEEENSD_19counting_iterator_tIlEES8_S8_S8_S8_S8_S8_S8_S8_EEEEPS9_S9_NSD_9__find_if7functorIS9_EEEE10hipError_tPvRmT1_T2_T3_mT4_P12ihipStream_tbEUlT_E0_NS1_11comp_targetILNS1_3genE3ELNS1_11target_archE908ELNS1_3gpuE7ELNS1_3repE0EEENS1_30default_config_static_selectorELNS0_4arch9wavefront6targetE0EEEvS15_
    .private_segment_fixed_size: 0
    .sgpr_count:     0
    .sgpr_spill_count: 0
    .symbol:         _ZN7rocprim17ROCPRIM_400000_NS6detail17trampoline_kernelINS0_14default_configENS1_22reduce_config_selectorIN6thrust23THRUST_200600_302600_NS5tupleIblNS6_9null_typeES8_S8_S8_S8_S8_S8_S8_EEEEZNS1_11reduce_implILb1ES3_NS6_12zip_iteratorINS7_INS6_11hip_rocprim26transform_input_iterator_tIbNSD_35transform_pair_of_input_iterators_tIbNS6_6detail15normal_iteratorINS6_10device_ptrIK10large_dataEEEESM_NS6_8equal_toISJ_EEEENSG_9not_fun_tINSD_8identityEEEEENSD_19counting_iterator_tIlEES8_S8_S8_S8_S8_S8_S8_S8_EEEEPS9_S9_NSD_9__find_if7functorIS9_EEEE10hipError_tPvRmT1_T2_T3_mT4_P12ihipStream_tbEUlT_E0_NS1_11comp_targetILNS1_3genE3ELNS1_11target_archE908ELNS1_3gpuE7ELNS1_3repE0EEENS1_30default_config_static_selectorELNS0_4arch9wavefront6targetE0EEEvS15_.kd
    .uniform_work_group_size: 1
    .uses_dynamic_stack: false
    .vgpr_count:     0
    .vgpr_spill_count: 0
    .wavefront_size: 32
    .workgroup_processor_mode: 1
  - .args:
      - .offset:         0
        .size:           104
        .value_kind:     by_value
    .group_segment_fixed_size: 0
    .kernarg_segment_align: 8
    .kernarg_segment_size: 104
    .language:       OpenCL C
    .language_version:
      - 2
      - 0
    .max_flat_workgroup_size: 128
    .name:           _ZN7rocprim17ROCPRIM_400000_NS6detail17trampoline_kernelINS0_14default_configENS1_22reduce_config_selectorIN6thrust23THRUST_200600_302600_NS5tupleIblNS6_9null_typeES8_S8_S8_S8_S8_S8_S8_EEEEZNS1_11reduce_implILb1ES3_NS6_12zip_iteratorINS7_INS6_11hip_rocprim26transform_input_iterator_tIbNSD_35transform_pair_of_input_iterators_tIbNS6_6detail15normal_iteratorINS6_10device_ptrIK10large_dataEEEESM_NS6_8equal_toISJ_EEEENSG_9not_fun_tINSD_8identityEEEEENSD_19counting_iterator_tIlEES8_S8_S8_S8_S8_S8_S8_S8_EEEEPS9_S9_NSD_9__find_if7functorIS9_EEEE10hipError_tPvRmT1_T2_T3_mT4_P12ihipStream_tbEUlT_E0_NS1_11comp_targetILNS1_3genE2ELNS1_11target_archE906ELNS1_3gpuE6ELNS1_3repE0EEENS1_30default_config_static_selectorELNS0_4arch9wavefront6targetE0EEEvS15_
    .private_segment_fixed_size: 0
    .sgpr_count:     0
    .sgpr_spill_count: 0
    .symbol:         _ZN7rocprim17ROCPRIM_400000_NS6detail17trampoline_kernelINS0_14default_configENS1_22reduce_config_selectorIN6thrust23THRUST_200600_302600_NS5tupleIblNS6_9null_typeES8_S8_S8_S8_S8_S8_S8_EEEEZNS1_11reduce_implILb1ES3_NS6_12zip_iteratorINS7_INS6_11hip_rocprim26transform_input_iterator_tIbNSD_35transform_pair_of_input_iterators_tIbNS6_6detail15normal_iteratorINS6_10device_ptrIK10large_dataEEEESM_NS6_8equal_toISJ_EEEENSG_9not_fun_tINSD_8identityEEEEENSD_19counting_iterator_tIlEES8_S8_S8_S8_S8_S8_S8_S8_EEEEPS9_S9_NSD_9__find_if7functorIS9_EEEE10hipError_tPvRmT1_T2_T3_mT4_P12ihipStream_tbEUlT_E0_NS1_11comp_targetILNS1_3genE2ELNS1_11target_archE906ELNS1_3gpuE6ELNS1_3repE0EEENS1_30default_config_static_selectorELNS0_4arch9wavefront6targetE0EEEvS15_.kd
    .uniform_work_group_size: 1
    .uses_dynamic_stack: false
    .vgpr_count:     0
    .vgpr_spill_count: 0
    .wavefront_size: 32
    .workgroup_processor_mode: 1
  - .args:
      - .offset:         0
        .size:           104
        .value_kind:     by_value
    .group_segment_fixed_size: 0
    .kernarg_segment_align: 8
    .kernarg_segment_size: 104
    .language:       OpenCL C
    .language_version:
      - 2
      - 0
    .max_flat_workgroup_size: 256
    .name:           _ZN7rocprim17ROCPRIM_400000_NS6detail17trampoline_kernelINS0_14default_configENS1_22reduce_config_selectorIN6thrust23THRUST_200600_302600_NS5tupleIblNS6_9null_typeES8_S8_S8_S8_S8_S8_S8_EEEEZNS1_11reduce_implILb1ES3_NS6_12zip_iteratorINS7_INS6_11hip_rocprim26transform_input_iterator_tIbNSD_35transform_pair_of_input_iterators_tIbNS6_6detail15normal_iteratorINS6_10device_ptrIK10large_dataEEEESM_NS6_8equal_toISJ_EEEENSG_9not_fun_tINSD_8identityEEEEENSD_19counting_iterator_tIlEES8_S8_S8_S8_S8_S8_S8_S8_EEEEPS9_S9_NSD_9__find_if7functorIS9_EEEE10hipError_tPvRmT1_T2_T3_mT4_P12ihipStream_tbEUlT_E0_NS1_11comp_targetILNS1_3genE10ELNS1_11target_archE1201ELNS1_3gpuE5ELNS1_3repE0EEENS1_30default_config_static_selectorELNS0_4arch9wavefront6targetE0EEEvS15_
    .private_segment_fixed_size: 0
    .sgpr_count:     0
    .sgpr_spill_count: 0
    .symbol:         _ZN7rocprim17ROCPRIM_400000_NS6detail17trampoline_kernelINS0_14default_configENS1_22reduce_config_selectorIN6thrust23THRUST_200600_302600_NS5tupleIblNS6_9null_typeES8_S8_S8_S8_S8_S8_S8_EEEEZNS1_11reduce_implILb1ES3_NS6_12zip_iteratorINS7_INS6_11hip_rocprim26transform_input_iterator_tIbNSD_35transform_pair_of_input_iterators_tIbNS6_6detail15normal_iteratorINS6_10device_ptrIK10large_dataEEEESM_NS6_8equal_toISJ_EEEENSG_9not_fun_tINSD_8identityEEEEENSD_19counting_iterator_tIlEES8_S8_S8_S8_S8_S8_S8_S8_EEEEPS9_S9_NSD_9__find_if7functorIS9_EEEE10hipError_tPvRmT1_T2_T3_mT4_P12ihipStream_tbEUlT_E0_NS1_11comp_targetILNS1_3genE10ELNS1_11target_archE1201ELNS1_3gpuE5ELNS1_3repE0EEENS1_30default_config_static_selectorELNS0_4arch9wavefront6targetE0EEEvS15_.kd
    .uniform_work_group_size: 1
    .uses_dynamic_stack: false
    .vgpr_count:     0
    .vgpr_spill_count: 0
    .wavefront_size: 32
    .workgroup_processor_mode: 1
  - .args:
      - .offset:         0
        .size:           104
        .value_kind:     by_value
    .group_segment_fixed_size: 0
    .kernarg_segment_align: 8
    .kernarg_segment_size: 104
    .language:       OpenCL C
    .language_version:
      - 2
      - 0
    .max_flat_workgroup_size: 256
    .name:           _ZN7rocprim17ROCPRIM_400000_NS6detail17trampoline_kernelINS0_14default_configENS1_22reduce_config_selectorIN6thrust23THRUST_200600_302600_NS5tupleIblNS6_9null_typeES8_S8_S8_S8_S8_S8_S8_EEEEZNS1_11reduce_implILb1ES3_NS6_12zip_iteratorINS7_INS6_11hip_rocprim26transform_input_iterator_tIbNSD_35transform_pair_of_input_iterators_tIbNS6_6detail15normal_iteratorINS6_10device_ptrIK10large_dataEEEESM_NS6_8equal_toISJ_EEEENSG_9not_fun_tINSD_8identityEEEEENSD_19counting_iterator_tIlEES8_S8_S8_S8_S8_S8_S8_S8_EEEEPS9_S9_NSD_9__find_if7functorIS9_EEEE10hipError_tPvRmT1_T2_T3_mT4_P12ihipStream_tbEUlT_E0_NS1_11comp_targetILNS1_3genE10ELNS1_11target_archE1200ELNS1_3gpuE4ELNS1_3repE0EEENS1_30default_config_static_selectorELNS0_4arch9wavefront6targetE0EEEvS15_
    .private_segment_fixed_size: 0
    .sgpr_count:     0
    .sgpr_spill_count: 0
    .symbol:         _ZN7rocprim17ROCPRIM_400000_NS6detail17trampoline_kernelINS0_14default_configENS1_22reduce_config_selectorIN6thrust23THRUST_200600_302600_NS5tupleIblNS6_9null_typeES8_S8_S8_S8_S8_S8_S8_EEEEZNS1_11reduce_implILb1ES3_NS6_12zip_iteratorINS7_INS6_11hip_rocprim26transform_input_iterator_tIbNSD_35transform_pair_of_input_iterators_tIbNS6_6detail15normal_iteratorINS6_10device_ptrIK10large_dataEEEESM_NS6_8equal_toISJ_EEEENSG_9not_fun_tINSD_8identityEEEEENSD_19counting_iterator_tIlEES8_S8_S8_S8_S8_S8_S8_S8_EEEEPS9_S9_NSD_9__find_if7functorIS9_EEEE10hipError_tPvRmT1_T2_T3_mT4_P12ihipStream_tbEUlT_E0_NS1_11comp_targetILNS1_3genE10ELNS1_11target_archE1200ELNS1_3gpuE4ELNS1_3repE0EEENS1_30default_config_static_selectorELNS0_4arch9wavefront6targetE0EEEvS15_.kd
    .uniform_work_group_size: 1
    .uses_dynamic_stack: false
    .vgpr_count:     0
    .vgpr_spill_count: 0
    .wavefront_size: 32
    .workgroup_processor_mode: 1
  - .args:
      - .offset:         0
        .size:           104
        .value_kind:     by_value
    .group_segment_fixed_size: 256
    .kernarg_segment_align: 8
    .kernarg_segment_size: 104
    .language:       OpenCL C
    .language_version:
      - 2
      - 0
    .max_flat_workgroup_size: 256
    .name:           _ZN7rocprim17ROCPRIM_400000_NS6detail17trampoline_kernelINS0_14default_configENS1_22reduce_config_selectorIN6thrust23THRUST_200600_302600_NS5tupleIblNS6_9null_typeES8_S8_S8_S8_S8_S8_S8_EEEEZNS1_11reduce_implILb1ES3_NS6_12zip_iteratorINS7_INS6_11hip_rocprim26transform_input_iterator_tIbNSD_35transform_pair_of_input_iterators_tIbNS6_6detail15normal_iteratorINS6_10device_ptrIK10large_dataEEEESM_NS6_8equal_toISJ_EEEENSG_9not_fun_tINSD_8identityEEEEENSD_19counting_iterator_tIlEES8_S8_S8_S8_S8_S8_S8_S8_EEEEPS9_S9_NSD_9__find_if7functorIS9_EEEE10hipError_tPvRmT1_T2_T3_mT4_P12ihipStream_tbEUlT_E0_NS1_11comp_targetILNS1_3genE9ELNS1_11target_archE1100ELNS1_3gpuE3ELNS1_3repE0EEENS1_30default_config_static_selectorELNS0_4arch9wavefront6targetE0EEEvS15_
    .private_segment_fixed_size: 0
    .sgpr_count:     30
    .sgpr_spill_count: 0
    .symbol:         _ZN7rocprim17ROCPRIM_400000_NS6detail17trampoline_kernelINS0_14default_configENS1_22reduce_config_selectorIN6thrust23THRUST_200600_302600_NS5tupleIblNS6_9null_typeES8_S8_S8_S8_S8_S8_S8_EEEEZNS1_11reduce_implILb1ES3_NS6_12zip_iteratorINS7_INS6_11hip_rocprim26transform_input_iterator_tIbNSD_35transform_pair_of_input_iterators_tIbNS6_6detail15normal_iteratorINS6_10device_ptrIK10large_dataEEEESM_NS6_8equal_toISJ_EEEENSG_9not_fun_tINSD_8identityEEEEENSD_19counting_iterator_tIlEES8_S8_S8_S8_S8_S8_S8_S8_EEEEPS9_S9_NSD_9__find_if7functorIS9_EEEE10hipError_tPvRmT1_T2_T3_mT4_P12ihipStream_tbEUlT_E0_NS1_11comp_targetILNS1_3genE9ELNS1_11target_archE1100ELNS1_3gpuE3ELNS1_3repE0EEENS1_30default_config_static_selectorELNS0_4arch9wavefront6targetE0EEEvS15_.kd
    .uniform_work_group_size: 1
    .uses_dynamic_stack: false
    .vgpr_count:     15
    .vgpr_spill_count: 0
    .wavefront_size: 32
    .workgroup_processor_mode: 1
  - .args:
      - .offset:         0
        .size:           104
        .value_kind:     by_value
    .group_segment_fixed_size: 0
    .kernarg_segment_align: 8
    .kernarg_segment_size: 104
    .language:       OpenCL C
    .language_version:
      - 2
      - 0
    .max_flat_workgroup_size: 256
    .name:           _ZN7rocprim17ROCPRIM_400000_NS6detail17trampoline_kernelINS0_14default_configENS1_22reduce_config_selectorIN6thrust23THRUST_200600_302600_NS5tupleIblNS6_9null_typeES8_S8_S8_S8_S8_S8_S8_EEEEZNS1_11reduce_implILb1ES3_NS6_12zip_iteratorINS7_INS6_11hip_rocprim26transform_input_iterator_tIbNSD_35transform_pair_of_input_iterators_tIbNS6_6detail15normal_iteratorINS6_10device_ptrIK10large_dataEEEESM_NS6_8equal_toISJ_EEEENSG_9not_fun_tINSD_8identityEEEEENSD_19counting_iterator_tIlEES8_S8_S8_S8_S8_S8_S8_S8_EEEEPS9_S9_NSD_9__find_if7functorIS9_EEEE10hipError_tPvRmT1_T2_T3_mT4_P12ihipStream_tbEUlT_E0_NS1_11comp_targetILNS1_3genE8ELNS1_11target_archE1030ELNS1_3gpuE2ELNS1_3repE0EEENS1_30default_config_static_selectorELNS0_4arch9wavefront6targetE0EEEvS15_
    .private_segment_fixed_size: 0
    .sgpr_count:     0
    .sgpr_spill_count: 0
    .symbol:         _ZN7rocprim17ROCPRIM_400000_NS6detail17trampoline_kernelINS0_14default_configENS1_22reduce_config_selectorIN6thrust23THRUST_200600_302600_NS5tupleIblNS6_9null_typeES8_S8_S8_S8_S8_S8_S8_EEEEZNS1_11reduce_implILb1ES3_NS6_12zip_iteratorINS7_INS6_11hip_rocprim26transform_input_iterator_tIbNSD_35transform_pair_of_input_iterators_tIbNS6_6detail15normal_iteratorINS6_10device_ptrIK10large_dataEEEESM_NS6_8equal_toISJ_EEEENSG_9not_fun_tINSD_8identityEEEEENSD_19counting_iterator_tIlEES8_S8_S8_S8_S8_S8_S8_S8_EEEEPS9_S9_NSD_9__find_if7functorIS9_EEEE10hipError_tPvRmT1_T2_T3_mT4_P12ihipStream_tbEUlT_E0_NS1_11comp_targetILNS1_3genE8ELNS1_11target_archE1030ELNS1_3gpuE2ELNS1_3repE0EEENS1_30default_config_static_selectorELNS0_4arch9wavefront6targetE0EEEvS15_.kd
    .uniform_work_group_size: 1
    .uses_dynamic_stack: false
    .vgpr_count:     0
    .vgpr_spill_count: 0
    .wavefront_size: 32
    .workgroup_processor_mode: 1
  - .args:
      - .offset:         0
        .size:           88
        .value_kind:     by_value
    .group_segment_fixed_size: 0
    .kernarg_segment_align: 8
    .kernarg_segment_size: 88
    .language:       OpenCL C
    .language_version:
      - 2
      - 0
    .max_flat_workgroup_size: 128
    .name:           _ZN7rocprim17ROCPRIM_400000_NS6detail17trampoline_kernelINS0_14default_configENS1_22reduce_config_selectorIN6thrust23THRUST_200600_302600_NS5tupleIblNS6_9null_typeES8_S8_S8_S8_S8_S8_S8_EEEEZNS1_11reduce_implILb1ES3_NS6_12zip_iteratorINS7_INS6_11hip_rocprim26transform_input_iterator_tIbNSD_35transform_pair_of_input_iterators_tIbNS6_6detail15normal_iteratorINS6_10device_ptrIK10large_dataEEEESM_NS6_8equal_toISJ_EEEENSG_9not_fun_tINSD_8identityEEEEENSD_19counting_iterator_tIlEES8_S8_S8_S8_S8_S8_S8_S8_EEEEPS9_S9_NSD_9__find_if7functorIS9_EEEE10hipError_tPvRmT1_T2_T3_mT4_P12ihipStream_tbEUlT_E1_NS1_11comp_targetILNS1_3genE0ELNS1_11target_archE4294967295ELNS1_3gpuE0ELNS1_3repE0EEENS1_30default_config_static_selectorELNS0_4arch9wavefront6targetE0EEEvS15_
    .private_segment_fixed_size: 0
    .sgpr_count:     0
    .sgpr_spill_count: 0
    .symbol:         _ZN7rocprim17ROCPRIM_400000_NS6detail17trampoline_kernelINS0_14default_configENS1_22reduce_config_selectorIN6thrust23THRUST_200600_302600_NS5tupleIblNS6_9null_typeES8_S8_S8_S8_S8_S8_S8_EEEEZNS1_11reduce_implILb1ES3_NS6_12zip_iteratorINS7_INS6_11hip_rocprim26transform_input_iterator_tIbNSD_35transform_pair_of_input_iterators_tIbNS6_6detail15normal_iteratorINS6_10device_ptrIK10large_dataEEEESM_NS6_8equal_toISJ_EEEENSG_9not_fun_tINSD_8identityEEEEENSD_19counting_iterator_tIlEES8_S8_S8_S8_S8_S8_S8_S8_EEEEPS9_S9_NSD_9__find_if7functorIS9_EEEE10hipError_tPvRmT1_T2_T3_mT4_P12ihipStream_tbEUlT_E1_NS1_11comp_targetILNS1_3genE0ELNS1_11target_archE4294967295ELNS1_3gpuE0ELNS1_3repE0EEENS1_30default_config_static_selectorELNS0_4arch9wavefront6targetE0EEEvS15_.kd
    .uniform_work_group_size: 1
    .uses_dynamic_stack: false
    .vgpr_count:     0
    .vgpr_spill_count: 0
    .wavefront_size: 32
    .workgroup_processor_mode: 1
  - .args:
      - .offset:         0
        .size:           88
        .value_kind:     by_value
    .group_segment_fixed_size: 0
    .kernarg_segment_align: 8
    .kernarg_segment_size: 88
    .language:       OpenCL C
    .language_version:
      - 2
      - 0
    .max_flat_workgroup_size: 256
    .name:           _ZN7rocprim17ROCPRIM_400000_NS6detail17trampoline_kernelINS0_14default_configENS1_22reduce_config_selectorIN6thrust23THRUST_200600_302600_NS5tupleIblNS6_9null_typeES8_S8_S8_S8_S8_S8_S8_EEEEZNS1_11reduce_implILb1ES3_NS6_12zip_iteratorINS7_INS6_11hip_rocprim26transform_input_iterator_tIbNSD_35transform_pair_of_input_iterators_tIbNS6_6detail15normal_iteratorINS6_10device_ptrIK10large_dataEEEESM_NS6_8equal_toISJ_EEEENSG_9not_fun_tINSD_8identityEEEEENSD_19counting_iterator_tIlEES8_S8_S8_S8_S8_S8_S8_S8_EEEEPS9_S9_NSD_9__find_if7functorIS9_EEEE10hipError_tPvRmT1_T2_T3_mT4_P12ihipStream_tbEUlT_E1_NS1_11comp_targetILNS1_3genE5ELNS1_11target_archE942ELNS1_3gpuE9ELNS1_3repE0EEENS1_30default_config_static_selectorELNS0_4arch9wavefront6targetE0EEEvS15_
    .private_segment_fixed_size: 0
    .sgpr_count:     0
    .sgpr_spill_count: 0
    .symbol:         _ZN7rocprim17ROCPRIM_400000_NS6detail17trampoline_kernelINS0_14default_configENS1_22reduce_config_selectorIN6thrust23THRUST_200600_302600_NS5tupleIblNS6_9null_typeES8_S8_S8_S8_S8_S8_S8_EEEEZNS1_11reduce_implILb1ES3_NS6_12zip_iteratorINS7_INS6_11hip_rocprim26transform_input_iterator_tIbNSD_35transform_pair_of_input_iterators_tIbNS6_6detail15normal_iteratorINS6_10device_ptrIK10large_dataEEEESM_NS6_8equal_toISJ_EEEENSG_9not_fun_tINSD_8identityEEEEENSD_19counting_iterator_tIlEES8_S8_S8_S8_S8_S8_S8_S8_EEEEPS9_S9_NSD_9__find_if7functorIS9_EEEE10hipError_tPvRmT1_T2_T3_mT4_P12ihipStream_tbEUlT_E1_NS1_11comp_targetILNS1_3genE5ELNS1_11target_archE942ELNS1_3gpuE9ELNS1_3repE0EEENS1_30default_config_static_selectorELNS0_4arch9wavefront6targetE0EEEvS15_.kd
    .uniform_work_group_size: 1
    .uses_dynamic_stack: false
    .vgpr_count:     0
    .vgpr_spill_count: 0
    .wavefront_size: 32
    .workgroup_processor_mode: 1
  - .args:
      - .offset:         0
        .size:           88
        .value_kind:     by_value
    .group_segment_fixed_size: 0
    .kernarg_segment_align: 8
    .kernarg_segment_size: 88
    .language:       OpenCL C
    .language_version:
      - 2
      - 0
    .max_flat_workgroup_size: 256
    .name:           _ZN7rocprim17ROCPRIM_400000_NS6detail17trampoline_kernelINS0_14default_configENS1_22reduce_config_selectorIN6thrust23THRUST_200600_302600_NS5tupleIblNS6_9null_typeES8_S8_S8_S8_S8_S8_S8_EEEEZNS1_11reduce_implILb1ES3_NS6_12zip_iteratorINS7_INS6_11hip_rocprim26transform_input_iterator_tIbNSD_35transform_pair_of_input_iterators_tIbNS6_6detail15normal_iteratorINS6_10device_ptrIK10large_dataEEEESM_NS6_8equal_toISJ_EEEENSG_9not_fun_tINSD_8identityEEEEENSD_19counting_iterator_tIlEES8_S8_S8_S8_S8_S8_S8_S8_EEEEPS9_S9_NSD_9__find_if7functorIS9_EEEE10hipError_tPvRmT1_T2_T3_mT4_P12ihipStream_tbEUlT_E1_NS1_11comp_targetILNS1_3genE4ELNS1_11target_archE910ELNS1_3gpuE8ELNS1_3repE0EEENS1_30default_config_static_selectorELNS0_4arch9wavefront6targetE0EEEvS15_
    .private_segment_fixed_size: 0
    .sgpr_count:     0
    .sgpr_spill_count: 0
    .symbol:         _ZN7rocprim17ROCPRIM_400000_NS6detail17trampoline_kernelINS0_14default_configENS1_22reduce_config_selectorIN6thrust23THRUST_200600_302600_NS5tupleIblNS6_9null_typeES8_S8_S8_S8_S8_S8_S8_EEEEZNS1_11reduce_implILb1ES3_NS6_12zip_iteratorINS7_INS6_11hip_rocprim26transform_input_iterator_tIbNSD_35transform_pair_of_input_iterators_tIbNS6_6detail15normal_iteratorINS6_10device_ptrIK10large_dataEEEESM_NS6_8equal_toISJ_EEEENSG_9not_fun_tINSD_8identityEEEEENSD_19counting_iterator_tIlEES8_S8_S8_S8_S8_S8_S8_S8_EEEEPS9_S9_NSD_9__find_if7functorIS9_EEEE10hipError_tPvRmT1_T2_T3_mT4_P12ihipStream_tbEUlT_E1_NS1_11comp_targetILNS1_3genE4ELNS1_11target_archE910ELNS1_3gpuE8ELNS1_3repE0EEENS1_30default_config_static_selectorELNS0_4arch9wavefront6targetE0EEEvS15_.kd
    .uniform_work_group_size: 1
    .uses_dynamic_stack: false
    .vgpr_count:     0
    .vgpr_spill_count: 0
    .wavefront_size: 32
    .workgroup_processor_mode: 1
  - .args:
      - .offset:         0
        .size:           88
        .value_kind:     by_value
    .group_segment_fixed_size: 0
    .kernarg_segment_align: 8
    .kernarg_segment_size: 88
    .language:       OpenCL C
    .language_version:
      - 2
      - 0
    .max_flat_workgroup_size: 128
    .name:           _ZN7rocprim17ROCPRIM_400000_NS6detail17trampoline_kernelINS0_14default_configENS1_22reduce_config_selectorIN6thrust23THRUST_200600_302600_NS5tupleIblNS6_9null_typeES8_S8_S8_S8_S8_S8_S8_EEEEZNS1_11reduce_implILb1ES3_NS6_12zip_iteratorINS7_INS6_11hip_rocprim26transform_input_iterator_tIbNSD_35transform_pair_of_input_iterators_tIbNS6_6detail15normal_iteratorINS6_10device_ptrIK10large_dataEEEESM_NS6_8equal_toISJ_EEEENSG_9not_fun_tINSD_8identityEEEEENSD_19counting_iterator_tIlEES8_S8_S8_S8_S8_S8_S8_S8_EEEEPS9_S9_NSD_9__find_if7functorIS9_EEEE10hipError_tPvRmT1_T2_T3_mT4_P12ihipStream_tbEUlT_E1_NS1_11comp_targetILNS1_3genE3ELNS1_11target_archE908ELNS1_3gpuE7ELNS1_3repE0EEENS1_30default_config_static_selectorELNS0_4arch9wavefront6targetE0EEEvS15_
    .private_segment_fixed_size: 0
    .sgpr_count:     0
    .sgpr_spill_count: 0
    .symbol:         _ZN7rocprim17ROCPRIM_400000_NS6detail17trampoline_kernelINS0_14default_configENS1_22reduce_config_selectorIN6thrust23THRUST_200600_302600_NS5tupleIblNS6_9null_typeES8_S8_S8_S8_S8_S8_S8_EEEEZNS1_11reduce_implILb1ES3_NS6_12zip_iteratorINS7_INS6_11hip_rocprim26transform_input_iterator_tIbNSD_35transform_pair_of_input_iterators_tIbNS6_6detail15normal_iteratorINS6_10device_ptrIK10large_dataEEEESM_NS6_8equal_toISJ_EEEENSG_9not_fun_tINSD_8identityEEEEENSD_19counting_iterator_tIlEES8_S8_S8_S8_S8_S8_S8_S8_EEEEPS9_S9_NSD_9__find_if7functorIS9_EEEE10hipError_tPvRmT1_T2_T3_mT4_P12ihipStream_tbEUlT_E1_NS1_11comp_targetILNS1_3genE3ELNS1_11target_archE908ELNS1_3gpuE7ELNS1_3repE0EEENS1_30default_config_static_selectorELNS0_4arch9wavefront6targetE0EEEvS15_.kd
    .uniform_work_group_size: 1
    .uses_dynamic_stack: false
    .vgpr_count:     0
    .vgpr_spill_count: 0
    .wavefront_size: 32
    .workgroup_processor_mode: 1
  - .args:
      - .offset:         0
        .size:           88
        .value_kind:     by_value
    .group_segment_fixed_size: 0
    .kernarg_segment_align: 8
    .kernarg_segment_size: 88
    .language:       OpenCL C
    .language_version:
      - 2
      - 0
    .max_flat_workgroup_size: 128
    .name:           _ZN7rocprim17ROCPRIM_400000_NS6detail17trampoline_kernelINS0_14default_configENS1_22reduce_config_selectorIN6thrust23THRUST_200600_302600_NS5tupleIblNS6_9null_typeES8_S8_S8_S8_S8_S8_S8_EEEEZNS1_11reduce_implILb1ES3_NS6_12zip_iteratorINS7_INS6_11hip_rocprim26transform_input_iterator_tIbNSD_35transform_pair_of_input_iterators_tIbNS6_6detail15normal_iteratorINS6_10device_ptrIK10large_dataEEEESM_NS6_8equal_toISJ_EEEENSG_9not_fun_tINSD_8identityEEEEENSD_19counting_iterator_tIlEES8_S8_S8_S8_S8_S8_S8_S8_EEEEPS9_S9_NSD_9__find_if7functorIS9_EEEE10hipError_tPvRmT1_T2_T3_mT4_P12ihipStream_tbEUlT_E1_NS1_11comp_targetILNS1_3genE2ELNS1_11target_archE906ELNS1_3gpuE6ELNS1_3repE0EEENS1_30default_config_static_selectorELNS0_4arch9wavefront6targetE0EEEvS15_
    .private_segment_fixed_size: 0
    .sgpr_count:     0
    .sgpr_spill_count: 0
    .symbol:         _ZN7rocprim17ROCPRIM_400000_NS6detail17trampoline_kernelINS0_14default_configENS1_22reduce_config_selectorIN6thrust23THRUST_200600_302600_NS5tupleIblNS6_9null_typeES8_S8_S8_S8_S8_S8_S8_EEEEZNS1_11reduce_implILb1ES3_NS6_12zip_iteratorINS7_INS6_11hip_rocprim26transform_input_iterator_tIbNSD_35transform_pair_of_input_iterators_tIbNS6_6detail15normal_iteratorINS6_10device_ptrIK10large_dataEEEESM_NS6_8equal_toISJ_EEEENSG_9not_fun_tINSD_8identityEEEEENSD_19counting_iterator_tIlEES8_S8_S8_S8_S8_S8_S8_S8_EEEEPS9_S9_NSD_9__find_if7functorIS9_EEEE10hipError_tPvRmT1_T2_T3_mT4_P12ihipStream_tbEUlT_E1_NS1_11comp_targetILNS1_3genE2ELNS1_11target_archE906ELNS1_3gpuE6ELNS1_3repE0EEENS1_30default_config_static_selectorELNS0_4arch9wavefront6targetE0EEEvS15_.kd
    .uniform_work_group_size: 1
    .uses_dynamic_stack: false
    .vgpr_count:     0
    .vgpr_spill_count: 0
    .wavefront_size: 32
    .workgroup_processor_mode: 1
  - .args:
      - .offset:         0
        .size:           88
        .value_kind:     by_value
    .group_segment_fixed_size: 0
    .kernarg_segment_align: 8
    .kernarg_segment_size: 88
    .language:       OpenCL C
    .language_version:
      - 2
      - 0
    .max_flat_workgroup_size: 256
    .name:           _ZN7rocprim17ROCPRIM_400000_NS6detail17trampoline_kernelINS0_14default_configENS1_22reduce_config_selectorIN6thrust23THRUST_200600_302600_NS5tupleIblNS6_9null_typeES8_S8_S8_S8_S8_S8_S8_EEEEZNS1_11reduce_implILb1ES3_NS6_12zip_iteratorINS7_INS6_11hip_rocprim26transform_input_iterator_tIbNSD_35transform_pair_of_input_iterators_tIbNS6_6detail15normal_iteratorINS6_10device_ptrIK10large_dataEEEESM_NS6_8equal_toISJ_EEEENSG_9not_fun_tINSD_8identityEEEEENSD_19counting_iterator_tIlEES8_S8_S8_S8_S8_S8_S8_S8_EEEEPS9_S9_NSD_9__find_if7functorIS9_EEEE10hipError_tPvRmT1_T2_T3_mT4_P12ihipStream_tbEUlT_E1_NS1_11comp_targetILNS1_3genE10ELNS1_11target_archE1201ELNS1_3gpuE5ELNS1_3repE0EEENS1_30default_config_static_selectorELNS0_4arch9wavefront6targetE0EEEvS15_
    .private_segment_fixed_size: 0
    .sgpr_count:     0
    .sgpr_spill_count: 0
    .symbol:         _ZN7rocprim17ROCPRIM_400000_NS6detail17trampoline_kernelINS0_14default_configENS1_22reduce_config_selectorIN6thrust23THRUST_200600_302600_NS5tupleIblNS6_9null_typeES8_S8_S8_S8_S8_S8_S8_EEEEZNS1_11reduce_implILb1ES3_NS6_12zip_iteratorINS7_INS6_11hip_rocprim26transform_input_iterator_tIbNSD_35transform_pair_of_input_iterators_tIbNS6_6detail15normal_iteratorINS6_10device_ptrIK10large_dataEEEESM_NS6_8equal_toISJ_EEEENSG_9not_fun_tINSD_8identityEEEEENSD_19counting_iterator_tIlEES8_S8_S8_S8_S8_S8_S8_S8_EEEEPS9_S9_NSD_9__find_if7functorIS9_EEEE10hipError_tPvRmT1_T2_T3_mT4_P12ihipStream_tbEUlT_E1_NS1_11comp_targetILNS1_3genE10ELNS1_11target_archE1201ELNS1_3gpuE5ELNS1_3repE0EEENS1_30default_config_static_selectorELNS0_4arch9wavefront6targetE0EEEvS15_.kd
    .uniform_work_group_size: 1
    .uses_dynamic_stack: false
    .vgpr_count:     0
    .vgpr_spill_count: 0
    .wavefront_size: 32
    .workgroup_processor_mode: 1
  - .args:
      - .offset:         0
        .size:           88
        .value_kind:     by_value
    .group_segment_fixed_size: 0
    .kernarg_segment_align: 8
    .kernarg_segment_size: 88
    .language:       OpenCL C
    .language_version:
      - 2
      - 0
    .max_flat_workgroup_size: 256
    .name:           _ZN7rocprim17ROCPRIM_400000_NS6detail17trampoline_kernelINS0_14default_configENS1_22reduce_config_selectorIN6thrust23THRUST_200600_302600_NS5tupleIblNS6_9null_typeES8_S8_S8_S8_S8_S8_S8_EEEEZNS1_11reduce_implILb1ES3_NS6_12zip_iteratorINS7_INS6_11hip_rocprim26transform_input_iterator_tIbNSD_35transform_pair_of_input_iterators_tIbNS6_6detail15normal_iteratorINS6_10device_ptrIK10large_dataEEEESM_NS6_8equal_toISJ_EEEENSG_9not_fun_tINSD_8identityEEEEENSD_19counting_iterator_tIlEES8_S8_S8_S8_S8_S8_S8_S8_EEEEPS9_S9_NSD_9__find_if7functorIS9_EEEE10hipError_tPvRmT1_T2_T3_mT4_P12ihipStream_tbEUlT_E1_NS1_11comp_targetILNS1_3genE10ELNS1_11target_archE1200ELNS1_3gpuE4ELNS1_3repE0EEENS1_30default_config_static_selectorELNS0_4arch9wavefront6targetE0EEEvS15_
    .private_segment_fixed_size: 0
    .sgpr_count:     0
    .sgpr_spill_count: 0
    .symbol:         _ZN7rocprim17ROCPRIM_400000_NS6detail17trampoline_kernelINS0_14default_configENS1_22reduce_config_selectorIN6thrust23THRUST_200600_302600_NS5tupleIblNS6_9null_typeES8_S8_S8_S8_S8_S8_S8_EEEEZNS1_11reduce_implILb1ES3_NS6_12zip_iteratorINS7_INS6_11hip_rocprim26transform_input_iterator_tIbNSD_35transform_pair_of_input_iterators_tIbNS6_6detail15normal_iteratorINS6_10device_ptrIK10large_dataEEEESM_NS6_8equal_toISJ_EEEENSG_9not_fun_tINSD_8identityEEEEENSD_19counting_iterator_tIlEES8_S8_S8_S8_S8_S8_S8_S8_EEEEPS9_S9_NSD_9__find_if7functorIS9_EEEE10hipError_tPvRmT1_T2_T3_mT4_P12ihipStream_tbEUlT_E1_NS1_11comp_targetILNS1_3genE10ELNS1_11target_archE1200ELNS1_3gpuE4ELNS1_3repE0EEENS1_30default_config_static_selectorELNS0_4arch9wavefront6targetE0EEEvS15_.kd
    .uniform_work_group_size: 1
    .uses_dynamic_stack: false
    .vgpr_count:     0
    .vgpr_spill_count: 0
    .wavefront_size: 32
    .workgroup_processor_mode: 1
  - .args:
      - .offset:         0
        .size:           88
        .value_kind:     by_value
    .group_segment_fixed_size: 640
    .kernarg_segment_align: 8
    .kernarg_segment_size: 88
    .language:       OpenCL C
    .language_version:
      - 2
      - 0
    .max_flat_workgroup_size: 256
    .name:           _ZN7rocprim17ROCPRIM_400000_NS6detail17trampoline_kernelINS0_14default_configENS1_22reduce_config_selectorIN6thrust23THRUST_200600_302600_NS5tupleIblNS6_9null_typeES8_S8_S8_S8_S8_S8_S8_EEEEZNS1_11reduce_implILb1ES3_NS6_12zip_iteratorINS7_INS6_11hip_rocprim26transform_input_iterator_tIbNSD_35transform_pair_of_input_iterators_tIbNS6_6detail15normal_iteratorINS6_10device_ptrIK10large_dataEEEESM_NS6_8equal_toISJ_EEEENSG_9not_fun_tINSD_8identityEEEEENSD_19counting_iterator_tIlEES8_S8_S8_S8_S8_S8_S8_S8_EEEEPS9_S9_NSD_9__find_if7functorIS9_EEEE10hipError_tPvRmT1_T2_T3_mT4_P12ihipStream_tbEUlT_E1_NS1_11comp_targetILNS1_3genE9ELNS1_11target_archE1100ELNS1_3gpuE3ELNS1_3repE0EEENS1_30default_config_static_selectorELNS0_4arch9wavefront6targetE0EEEvS15_
    .private_segment_fixed_size: 0
    .sgpr_count:     34
    .sgpr_spill_count: 0
    .symbol:         _ZN7rocprim17ROCPRIM_400000_NS6detail17trampoline_kernelINS0_14default_configENS1_22reduce_config_selectorIN6thrust23THRUST_200600_302600_NS5tupleIblNS6_9null_typeES8_S8_S8_S8_S8_S8_S8_EEEEZNS1_11reduce_implILb1ES3_NS6_12zip_iteratorINS7_INS6_11hip_rocprim26transform_input_iterator_tIbNSD_35transform_pair_of_input_iterators_tIbNS6_6detail15normal_iteratorINS6_10device_ptrIK10large_dataEEEESM_NS6_8equal_toISJ_EEEENSG_9not_fun_tINSD_8identityEEEEENSD_19counting_iterator_tIlEES8_S8_S8_S8_S8_S8_S8_S8_EEEEPS9_S9_NSD_9__find_if7functorIS9_EEEE10hipError_tPvRmT1_T2_T3_mT4_P12ihipStream_tbEUlT_E1_NS1_11comp_targetILNS1_3genE9ELNS1_11target_archE1100ELNS1_3gpuE3ELNS1_3repE0EEENS1_30default_config_static_selectorELNS0_4arch9wavefront6targetE0EEEvS15_.kd
    .uniform_work_group_size: 1
    .uses_dynamic_stack: false
    .vgpr_count:     27
    .vgpr_spill_count: 0
    .wavefront_size: 32
    .workgroup_processor_mode: 1
  - .args:
      - .offset:         0
        .size:           88
        .value_kind:     by_value
    .group_segment_fixed_size: 0
    .kernarg_segment_align: 8
    .kernarg_segment_size: 88
    .language:       OpenCL C
    .language_version:
      - 2
      - 0
    .max_flat_workgroup_size: 256
    .name:           _ZN7rocprim17ROCPRIM_400000_NS6detail17trampoline_kernelINS0_14default_configENS1_22reduce_config_selectorIN6thrust23THRUST_200600_302600_NS5tupleIblNS6_9null_typeES8_S8_S8_S8_S8_S8_S8_EEEEZNS1_11reduce_implILb1ES3_NS6_12zip_iteratorINS7_INS6_11hip_rocprim26transform_input_iterator_tIbNSD_35transform_pair_of_input_iterators_tIbNS6_6detail15normal_iteratorINS6_10device_ptrIK10large_dataEEEESM_NS6_8equal_toISJ_EEEENSG_9not_fun_tINSD_8identityEEEEENSD_19counting_iterator_tIlEES8_S8_S8_S8_S8_S8_S8_S8_EEEEPS9_S9_NSD_9__find_if7functorIS9_EEEE10hipError_tPvRmT1_T2_T3_mT4_P12ihipStream_tbEUlT_E1_NS1_11comp_targetILNS1_3genE8ELNS1_11target_archE1030ELNS1_3gpuE2ELNS1_3repE0EEENS1_30default_config_static_selectorELNS0_4arch9wavefront6targetE0EEEvS15_
    .private_segment_fixed_size: 0
    .sgpr_count:     0
    .sgpr_spill_count: 0
    .symbol:         _ZN7rocprim17ROCPRIM_400000_NS6detail17trampoline_kernelINS0_14default_configENS1_22reduce_config_selectorIN6thrust23THRUST_200600_302600_NS5tupleIblNS6_9null_typeES8_S8_S8_S8_S8_S8_S8_EEEEZNS1_11reduce_implILb1ES3_NS6_12zip_iteratorINS7_INS6_11hip_rocprim26transform_input_iterator_tIbNSD_35transform_pair_of_input_iterators_tIbNS6_6detail15normal_iteratorINS6_10device_ptrIK10large_dataEEEESM_NS6_8equal_toISJ_EEEENSG_9not_fun_tINSD_8identityEEEEENSD_19counting_iterator_tIlEES8_S8_S8_S8_S8_S8_S8_S8_EEEEPS9_S9_NSD_9__find_if7functorIS9_EEEE10hipError_tPvRmT1_T2_T3_mT4_P12ihipStream_tbEUlT_E1_NS1_11comp_targetILNS1_3genE8ELNS1_11target_archE1030ELNS1_3gpuE2ELNS1_3repE0EEENS1_30default_config_static_selectorELNS0_4arch9wavefront6targetE0EEEvS15_.kd
    .uniform_work_group_size: 1
    .uses_dynamic_stack: false
    .vgpr_count:     0
    .vgpr_spill_count: 0
    .wavefront_size: 32
    .workgroup_processor_mode: 1
  - .args:
      - .offset:         0
        .size:           40
        .value_kind:     by_value
      - .offset:         40
        .size:           8
        .value_kind:     by_value
      - .offset:         48
        .size:           8
        .value_kind:     by_value
    .group_segment_fixed_size: 0
    .kernarg_segment_align: 8
    .kernarg_segment_size: 56
    .language:       OpenCL C
    .language_version:
      - 2
      - 0
    .max_flat_workgroup_size: 256
    .name:           _ZN6thrust23THRUST_200600_302600_NS11hip_rocprim14__parallel_for6kernelILj256ENS1_11__transform17unary_transform_fINS0_12zip_iteratorINS0_5tupleINS0_6detail15normal_iteratorINS0_10device_ptrIdEEEESC_NS0_9null_typeESD_SD_SD_SD_SD_SD_SD_EEEESF_NS4_14no_stencil_tagENS0_8identityINS7_IddSD_SD_SD_SD_SD_SD_SD_SD_EEEENS4_21always_true_predicateEEElLj1EEEvT0_T1_SN_
    .private_segment_fixed_size: 0
    .sgpr_count:     22
    .sgpr_spill_count: 0
    .symbol:         _ZN6thrust23THRUST_200600_302600_NS11hip_rocprim14__parallel_for6kernelILj256ENS1_11__transform17unary_transform_fINS0_12zip_iteratorINS0_5tupleINS0_6detail15normal_iteratorINS0_10device_ptrIdEEEESC_NS0_9null_typeESD_SD_SD_SD_SD_SD_SD_EEEESF_NS4_14no_stencil_tagENS0_8identityINS7_IddSD_SD_SD_SD_SD_SD_SD_SD_EEEENS4_21always_true_predicateEEElLj1EEEvT0_T1_SN_.kd
    .uniform_work_group_size: 1
    .uses_dynamic_stack: false
    .vgpr_count:     9
    .vgpr_spill_count: 0
    .wavefront_size: 32
    .workgroup_processor_mode: 1
  - .args:
      - .offset:         0
        .size:           104
        .value_kind:     by_value
    .group_segment_fixed_size: 0
    .kernarg_segment_align: 8
    .kernarg_segment_size: 104
    .language:       OpenCL C
    .language_version:
      - 2
      - 0
    .max_flat_workgroup_size: 128
    .name:           _ZN7rocprim17ROCPRIM_400000_NS6detail17trampoline_kernelINS0_14default_configENS1_22reduce_config_selectorIN6thrust23THRUST_200600_302600_NS5tupleIblNS6_9null_typeES8_S8_S8_S8_S8_S8_S8_EEEEZNS1_11reduce_implILb1ES3_NS6_12zip_iteratorINS7_INS6_11hip_rocprim26transform_input_iterator_tIbNSD_35transform_pair_of_input_iterators_tIbNS6_6detail15normal_iteratorINS6_10device_ptrIKdEEEESL_NS6_8equal_toIdEEEENSG_9not_fun_tINSD_8identityEEEEENSD_19counting_iterator_tIlEES8_S8_S8_S8_S8_S8_S8_S8_EEEEPS9_S9_NSD_9__find_if7functorIS9_EEEE10hipError_tPvRmT1_T2_T3_mT4_P12ihipStream_tbEUlT_E0_NS1_11comp_targetILNS1_3genE0ELNS1_11target_archE4294967295ELNS1_3gpuE0ELNS1_3repE0EEENS1_30default_config_static_selectorELNS0_4arch9wavefront6targetE0EEEvS14_
    .private_segment_fixed_size: 0
    .sgpr_count:     0
    .sgpr_spill_count: 0
    .symbol:         _ZN7rocprim17ROCPRIM_400000_NS6detail17trampoline_kernelINS0_14default_configENS1_22reduce_config_selectorIN6thrust23THRUST_200600_302600_NS5tupleIblNS6_9null_typeES8_S8_S8_S8_S8_S8_S8_EEEEZNS1_11reduce_implILb1ES3_NS6_12zip_iteratorINS7_INS6_11hip_rocprim26transform_input_iterator_tIbNSD_35transform_pair_of_input_iterators_tIbNS6_6detail15normal_iteratorINS6_10device_ptrIKdEEEESL_NS6_8equal_toIdEEEENSG_9not_fun_tINSD_8identityEEEEENSD_19counting_iterator_tIlEES8_S8_S8_S8_S8_S8_S8_S8_EEEEPS9_S9_NSD_9__find_if7functorIS9_EEEE10hipError_tPvRmT1_T2_T3_mT4_P12ihipStream_tbEUlT_E0_NS1_11comp_targetILNS1_3genE0ELNS1_11target_archE4294967295ELNS1_3gpuE0ELNS1_3repE0EEENS1_30default_config_static_selectorELNS0_4arch9wavefront6targetE0EEEvS14_.kd
    .uniform_work_group_size: 1
    .uses_dynamic_stack: false
    .vgpr_count:     0
    .vgpr_spill_count: 0
    .wavefront_size: 32
    .workgroup_processor_mode: 1
  - .args:
      - .offset:         0
        .size:           104
        .value_kind:     by_value
    .group_segment_fixed_size: 0
    .kernarg_segment_align: 8
    .kernarg_segment_size: 104
    .language:       OpenCL C
    .language_version:
      - 2
      - 0
    .max_flat_workgroup_size: 256
    .name:           _ZN7rocprim17ROCPRIM_400000_NS6detail17trampoline_kernelINS0_14default_configENS1_22reduce_config_selectorIN6thrust23THRUST_200600_302600_NS5tupleIblNS6_9null_typeES8_S8_S8_S8_S8_S8_S8_EEEEZNS1_11reduce_implILb1ES3_NS6_12zip_iteratorINS7_INS6_11hip_rocprim26transform_input_iterator_tIbNSD_35transform_pair_of_input_iterators_tIbNS6_6detail15normal_iteratorINS6_10device_ptrIKdEEEESL_NS6_8equal_toIdEEEENSG_9not_fun_tINSD_8identityEEEEENSD_19counting_iterator_tIlEES8_S8_S8_S8_S8_S8_S8_S8_EEEEPS9_S9_NSD_9__find_if7functorIS9_EEEE10hipError_tPvRmT1_T2_T3_mT4_P12ihipStream_tbEUlT_E0_NS1_11comp_targetILNS1_3genE5ELNS1_11target_archE942ELNS1_3gpuE9ELNS1_3repE0EEENS1_30default_config_static_selectorELNS0_4arch9wavefront6targetE0EEEvS14_
    .private_segment_fixed_size: 0
    .sgpr_count:     0
    .sgpr_spill_count: 0
    .symbol:         _ZN7rocprim17ROCPRIM_400000_NS6detail17trampoline_kernelINS0_14default_configENS1_22reduce_config_selectorIN6thrust23THRUST_200600_302600_NS5tupleIblNS6_9null_typeES8_S8_S8_S8_S8_S8_S8_EEEEZNS1_11reduce_implILb1ES3_NS6_12zip_iteratorINS7_INS6_11hip_rocprim26transform_input_iterator_tIbNSD_35transform_pair_of_input_iterators_tIbNS6_6detail15normal_iteratorINS6_10device_ptrIKdEEEESL_NS6_8equal_toIdEEEENSG_9not_fun_tINSD_8identityEEEEENSD_19counting_iterator_tIlEES8_S8_S8_S8_S8_S8_S8_S8_EEEEPS9_S9_NSD_9__find_if7functorIS9_EEEE10hipError_tPvRmT1_T2_T3_mT4_P12ihipStream_tbEUlT_E0_NS1_11comp_targetILNS1_3genE5ELNS1_11target_archE942ELNS1_3gpuE9ELNS1_3repE0EEENS1_30default_config_static_selectorELNS0_4arch9wavefront6targetE0EEEvS14_.kd
    .uniform_work_group_size: 1
    .uses_dynamic_stack: false
    .vgpr_count:     0
    .vgpr_spill_count: 0
    .wavefront_size: 32
    .workgroup_processor_mode: 1
  - .args:
      - .offset:         0
        .size:           104
        .value_kind:     by_value
    .group_segment_fixed_size: 0
    .kernarg_segment_align: 8
    .kernarg_segment_size: 104
    .language:       OpenCL C
    .language_version:
      - 2
      - 0
    .max_flat_workgroup_size: 256
    .name:           _ZN7rocprim17ROCPRIM_400000_NS6detail17trampoline_kernelINS0_14default_configENS1_22reduce_config_selectorIN6thrust23THRUST_200600_302600_NS5tupleIblNS6_9null_typeES8_S8_S8_S8_S8_S8_S8_EEEEZNS1_11reduce_implILb1ES3_NS6_12zip_iteratorINS7_INS6_11hip_rocprim26transform_input_iterator_tIbNSD_35transform_pair_of_input_iterators_tIbNS6_6detail15normal_iteratorINS6_10device_ptrIKdEEEESL_NS6_8equal_toIdEEEENSG_9not_fun_tINSD_8identityEEEEENSD_19counting_iterator_tIlEES8_S8_S8_S8_S8_S8_S8_S8_EEEEPS9_S9_NSD_9__find_if7functorIS9_EEEE10hipError_tPvRmT1_T2_T3_mT4_P12ihipStream_tbEUlT_E0_NS1_11comp_targetILNS1_3genE4ELNS1_11target_archE910ELNS1_3gpuE8ELNS1_3repE0EEENS1_30default_config_static_selectorELNS0_4arch9wavefront6targetE0EEEvS14_
    .private_segment_fixed_size: 0
    .sgpr_count:     0
    .sgpr_spill_count: 0
    .symbol:         _ZN7rocprim17ROCPRIM_400000_NS6detail17trampoline_kernelINS0_14default_configENS1_22reduce_config_selectorIN6thrust23THRUST_200600_302600_NS5tupleIblNS6_9null_typeES8_S8_S8_S8_S8_S8_S8_EEEEZNS1_11reduce_implILb1ES3_NS6_12zip_iteratorINS7_INS6_11hip_rocprim26transform_input_iterator_tIbNSD_35transform_pair_of_input_iterators_tIbNS6_6detail15normal_iteratorINS6_10device_ptrIKdEEEESL_NS6_8equal_toIdEEEENSG_9not_fun_tINSD_8identityEEEEENSD_19counting_iterator_tIlEES8_S8_S8_S8_S8_S8_S8_S8_EEEEPS9_S9_NSD_9__find_if7functorIS9_EEEE10hipError_tPvRmT1_T2_T3_mT4_P12ihipStream_tbEUlT_E0_NS1_11comp_targetILNS1_3genE4ELNS1_11target_archE910ELNS1_3gpuE8ELNS1_3repE0EEENS1_30default_config_static_selectorELNS0_4arch9wavefront6targetE0EEEvS14_.kd
    .uniform_work_group_size: 1
    .uses_dynamic_stack: false
    .vgpr_count:     0
    .vgpr_spill_count: 0
    .wavefront_size: 32
    .workgroup_processor_mode: 1
  - .args:
      - .offset:         0
        .size:           104
        .value_kind:     by_value
    .group_segment_fixed_size: 0
    .kernarg_segment_align: 8
    .kernarg_segment_size: 104
    .language:       OpenCL C
    .language_version:
      - 2
      - 0
    .max_flat_workgroup_size: 128
    .name:           _ZN7rocprim17ROCPRIM_400000_NS6detail17trampoline_kernelINS0_14default_configENS1_22reduce_config_selectorIN6thrust23THRUST_200600_302600_NS5tupleIblNS6_9null_typeES8_S8_S8_S8_S8_S8_S8_EEEEZNS1_11reduce_implILb1ES3_NS6_12zip_iteratorINS7_INS6_11hip_rocprim26transform_input_iterator_tIbNSD_35transform_pair_of_input_iterators_tIbNS6_6detail15normal_iteratorINS6_10device_ptrIKdEEEESL_NS6_8equal_toIdEEEENSG_9not_fun_tINSD_8identityEEEEENSD_19counting_iterator_tIlEES8_S8_S8_S8_S8_S8_S8_S8_EEEEPS9_S9_NSD_9__find_if7functorIS9_EEEE10hipError_tPvRmT1_T2_T3_mT4_P12ihipStream_tbEUlT_E0_NS1_11comp_targetILNS1_3genE3ELNS1_11target_archE908ELNS1_3gpuE7ELNS1_3repE0EEENS1_30default_config_static_selectorELNS0_4arch9wavefront6targetE0EEEvS14_
    .private_segment_fixed_size: 0
    .sgpr_count:     0
    .sgpr_spill_count: 0
    .symbol:         _ZN7rocprim17ROCPRIM_400000_NS6detail17trampoline_kernelINS0_14default_configENS1_22reduce_config_selectorIN6thrust23THRUST_200600_302600_NS5tupleIblNS6_9null_typeES8_S8_S8_S8_S8_S8_S8_EEEEZNS1_11reduce_implILb1ES3_NS6_12zip_iteratorINS7_INS6_11hip_rocprim26transform_input_iterator_tIbNSD_35transform_pair_of_input_iterators_tIbNS6_6detail15normal_iteratorINS6_10device_ptrIKdEEEESL_NS6_8equal_toIdEEEENSG_9not_fun_tINSD_8identityEEEEENSD_19counting_iterator_tIlEES8_S8_S8_S8_S8_S8_S8_S8_EEEEPS9_S9_NSD_9__find_if7functorIS9_EEEE10hipError_tPvRmT1_T2_T3_mT4_P12ihipStream_tbEUlT_E0_NS1_11comp_targetILNS1_3genE3ELNS1_11target_archE908ELNS1_3gpuE7ELNS1_3repE0EEENS1_30default_config_static_selectorELNS0_4arch9wavefront6targetE0EEEvS14_.kd
    .uniform_work_group_size: 1
    .uses_dynamic_stack: false
    .vgpr_count:     0
    .vgpr_spill_count: 0
    .wavefront_size: 32
    .workgroup_processor_mode: 1
  - .args:
      - .offset:         0
        .size:           104
        .value_kind:     by_value
    .group_segment_fixed_size: 0
    .kernarg_segment_align: 8
    .kernarg_segment_size: 104
    .language:       OpenCL C
    .language_version:
      - 2
      - 0
    .max_flat_workgroup_size: 128
    .name:           _ZN7rocprim17ROCPRIM_400000_NS6detail17trampoline_kernelINS0_14default_configENS1_22reduce_config_selectorIN6thrust23THRUST_200600_302600_NS5tupleIblNS6_9null_typeES8_S8_S8_S8_S8_S8_S8_EEEEZNS1_11reduce_implILb1ES3_NS6_12zip_iteratorINS7_INS6_11hip_rocprim26transform_input_iterator_tIbNSD_35transform_pair_of_input_iterators_tIbNS6_6detail15normal_iteratorINS6_10device_ptrIKdEEEESL_NS6_8equal_toIdEEEENSG_9not_fun_tINSD_8identityEEEEENSD_19counting_iterator_tIlEES8_S8_S8_S8_S8_S8_S8_S8_EEEEPS9_S9_NSD_9__find_if7functorIS9_EEEE10hipError_tPvRmT1_T2_T3_mT4_P12ihipStream_tbEUlT_E0_NS1_11comp_targetILNS1_3genE2ELNS1_11target_archE906ELNS1_3gpuE6ELNS1_3repE0EEENS1_30default_config_static_selectorELNS0_4arch9wavefront6targetE0EEEvS14_
    .private_segment_fixed_size: 0
    .sgpr_count:     0
    .sgpr_spill_count: 0
    .symbol:         _ZN7rocprim17ROCPRIM_400000_NS6detail17trampoline_kernelINS0_14default_configENS1_22reduce_config_selectorIN6thrust23THRUST_200600_302600_NS5tupleIblNS6_9null_typeES8_S8_S8_S8_S8_S8_S8_EEEEZNS1_11reduce_implILb1ES3_NS6_12zip_iteratorINS7_INS6_11hip_rocprim26transform_input_iterator_tIbNSD_35transform_pair_of_input_iterators_tIbNS6_6detail15normal_iteratorINS6_10device_ptrIKdEEEESL_NS6_8equal_toIdEEEENSG_9not_fun_tINSD_8identityEEEEENSD_19counting_iterator_tIlEES8_S8_S8_S8_S8_S8_S8_S8_EEEEPS9_S9_NSD_9__find_if7functorIS9_EEEE10hipError_tPvRmT1_T2_T3_mT4_P12ihipStream_tbEUlT_E0_NS1_11comp_targetILNS1_3genE2ELNS1_11target_archE906ELNS1_3gpuE6ELNS1_3repE0EEENS1_30default_config_static_selectorELNS0_4arch9wavefront6targetE0EEEvS14_.kd
    .uniform_work_group_size: 1
    .uses_dynamic_stack: false
    .vgpr_count:     0
    .vgpr_spill_count: 0
    .wavefront_size: 32
    .workgroup_processor_mode: 1
  - .args:
      - .offset:         0
        .size:           104
        .value_kind:     by_value
    .group_segment_fixed_size: 0
    .kernarg_segment_align: 8
    .kernarg_segment_size: 104
    .language:       OpenCL C
    .language_version:
      - 2
      - 0
    .max_flat_workgroup_size: 256
    .name:           _ZN7rocprim17ROCPRIM_400000_NS6detail17trampoline_kernelINS0_14default_configENS1_22reduce_config_selectorIN6thrust23THRUST_200600_302600_NS5tupleIblNS6_9null_typeES8_S8_S8_S8_S8_S8_S8_EEEEZNS1_11reduce_implILb1ES3_NS6_12zip_iteratorINS7_INS6_11hip_rocprim26transform_input_iterator_tIbNSD_35transform_pair_of_input_iterators_tIbNS6_6detail15normal_iteratorINS6_10device_ptrIKdEEEESL_NS6_8equal_toIdEEEENSG_9not_fun_tINSD_8identityEEEEENSD_19counting_iterator_tIlEES8_S8_S8_S8_S8_S8_S8_S8_EEEEPS9_S9_NSD_9__find_if7functorIS9_EEEE10hipError_tPvRmT1_T2_T3_mT4_P12ihipStream_tbEUlT_E0_NS1_11comp_targetILNS1_3genE10ELNS1_11target_archE1201ELNS1_3gpuE5ELNS1_3repE0EEENS1_30default_config_static_selectorELNS0_4arch9wavefront6targetE0EEEvS14_
    .private_segment_fixed_size: 0
    .sgpr_count:     0
    .sgpr_spill_count: 0
    .symbol:         _ZN7rocprim17ROCPRIM_400000_NS6detail17trampoline_kernelINS0_14default_configENS1_22reduce_config_selectorIN6thrust23THRUST_200600_302600_NS5tupleIblNS6_9null_typeES8_S8_S8_S8_S8_S8_S8_EEEEZNS1_11reduce_implILb1ES3_NS6_12zip_iteratorINS7_INS6_11hip_rocprim26transform_input_iterator_tIbNSD_35transform_pair_of_input_iterators_tIbNS6_6detail15normal_iteratorINS6_10device_ptrIKdEEEESL_NS6_8equal_toIdEEEENSG_9not_fun_tINSD_8identityEEEEENSD_19counting_iterator_tIlEES8_S8_S8_S8_S8_S8_S8_S8_EEEEPS9_S9_NSD_9__find_if7functorIS9_EEEE10hipError_tPvRmT1_T2_T3_mT4_P12ihipStream_tbEUlT_E0_NS1_11comp_targetILNS1_3genE10ELNS1_11target_archE1201ELNS1_3gpuE5ELNS1_3repE0EEENS1_30default_config_static_selectorELNS0_4arch9wavefront6targetE0EEEvS14_.kd
    .uniform_work_group_size: 1
    .uses_dynamic_stack: false
    .vgpr_count:     0
    .vgpr_spill_count: 0
    .wavefront_size: 32
    .workgroup_processor_mode: 1
  - .args:
      - .offset:         0
        .size:           104
        .value_kind:     by_value
    .group_segment_fixed_size: 0
    .kernarg_segment_align: 8
    .kernarg_segment_size: 104
    .language:       OpenCL C
    .language_version:
      - 2
      - 0
    .max_flat_workgroup_size: 256
    .name:           _ZN7rocprim17ROCPRIM_400000_NS6detail17trampoline_kernelINS0_14default_configENS1_22reduce_config_selectorIN6thrust23THRUST_200600_302600_NS5tupleIblNS6_9null_typeES8_S8_S8_S8_S8_S8_S8_EEEEZNS1_11reduce_implILb1ES3_NS6_12zip_iteratorINS7_INS6_11hip_rocprim26transform_input_iterator_tIbNSD_35transform_pair_of_input_iterators_tIbNS6_6detail15normal_iteratorINS6_10device_ptrIKdEEEESL_NS6_8equal_toIdEEEENSG_9not_fun_tINSD_8identityEEEEENSD_19counting_iterator_tIlEES8_S8_S8_S8_S8_S8_S8_S8_EEEEPS9_S9_NSD_9__find_if7functorIS9_EEEE10hipError_tPvRmT1_T2_T3_mT4_P12ihipStream_tbEUlT_E0_NS1_11comp_targetILNS1_3genE10ELNS1_11target_archE1200ELNS1_3gpuE4ELNS1_3repE0EEENS1_30default_config_static_selectorELNS0_4arch9wavefront6targetE0EEEvS14_
    .private_segment_fixed_size: 0
    .sgpr_count:     0
    .sgpr_spill_count: 0
    .symbol:         _ZN7rocprim17ROCPRIM_400000_NS6detail17trampoline_kernelINS0_14default_configENS1_22reduce_config_selectorIN6thrust23THRUST_200600_302600_NS5tupleIblNS6_9null_typeES8_S8_S8_S8_S8_S8_S8_EEEEZNS1_11reduce_implILb1ES3_NS6_12zip_iteratorINS7_INS6_11hip_rocprim26transform_input_iterator_tIbNSD_35transform_pair_of_input_iterators_tIbNS6_6detail15normal_iteratorINS6_10device_ptrIKdEEEESL_NS6_8equal_toIdEEEENSG_9not_fun_tINSD_8identityEEEEENSD_19counting_iterator_tIlEES8_S8_S8_S8_S8_S8_S8_S8_EEEEPS9_S9_NSD_9__find_if7functorIS9_EEEE10hipError_tPvRmT1_T2_T3_mT4_P12ihipStream_tbEUlT_E0_NS1_11comp_targetILNS1_3genE10ELNS1_11target_archE1200ELNS1_3gpuE4ELNS1_3repE0EEENS1_30default_config_static_selectorELNS0_4arch9wavefront6targetE0EEEvS14_.kd
    .uniform_work_group_size: 1
    .uses_dynamic_stack: false
    .vgpr_count:     0
    .vgpr_spill_count: 0
    .wavefront_size: 32
    .workgroup_processor_mode: 1
  - .args:
      - .offset:         0
        .size:           104
        .value_kind:     by_value
    .group_segment_fixed_size: 256
    .kernarg_segment_align: 8
    .kernarg_segment_size: 104
    .language:       OpenCL C
    .language_version:
      - 2
      - 0
    .max_flat_workgroup_size: 256
    .name:           _ZN7rocprim17ROCPRIM_400000_NS6detail17trampoline_kernelINS0_14default_configENS1_22reduce_config_selectorIN6thrust23THRUST_200600_302600_NS5tupleIblNS6_9null_typeES8_S8_S8_S8_S8_S8_S8_EEEEZNS1_11reduce_implILb1ES3_NS6_12zip_iteratorINS7_INS6_11hip_rocprim26transform_input_iterator_tIbNSD_35transform_pair_of_input_iterators_tIbNS6_6detail15normal_iteratorINS6_10device_ptrIKdEEEESL_NS6_8equal_toIdEEEENSG_9not_fun_tINSD_8identityEEEEENSD_19counting_iterator_tIlEES8_S8_S8_S8_S8_S8_S8_S8_EEEEPS9_S9_NSD_9__find_if7functorIS9_EEEE10hipError_tPvRmT1_T2_T3_mT4_P12ihipStream_tbEUlT_E0_NS1_11comp_targetILNS1_3genE9ELNS1_11target_archE1100ELNS1_3gpuE3ELNS1_3repE0EEENS1_30default_config_static_selectorELNS0_4arch9wavefront6targetE0EEEvS14_
    .private_segment_fixed_size: 0
    .sgpr_count:     30
    .sgpr_spill_count: 0
    .symbol:         _ZN7rocprim17ROCPRIM_400000_NS6detail17trampoline_kernelINS0_14default_configENS1_22reduce_config_selectorIN6thrust23THRUST_200600_302600_NS5tupleIblNS6_9null_typeES8_S8_S8_S8_S8_S8_S8_EEEEZNS1_11reduce_implILb1ES3_NS6_12zip_iteratorINS7_INS6_11hip_rocprim26transform_input_iterator_tIbNSD_35transform_pair_of_input_iterators_tIbNS6_6detail15normal_iteratorINS6_10device_ptrIKdEEEESL_NS6_8equal_toIdEEEENSG_9not_fun_tINSD_8identityEEEEENSD_19counting_iterator_tIlEES8_S8_S8_S8_S8_S8_S8_S8_EEEEPS9_S9_NSD_9__find_if7functorIS9_EEEE10hipError_tPvRmT1_T2_T3_mT4_P12ihipStream_tbEUlT_E0_NS1_11comp_targetILNS1_3genE9ELNS1_11target_archE1100ELNS1_3gpuE3ELNS1_3repE0EEENS1_30default_config_static_selectorELNS0_4arch9wavefront6targetE0EEEvS14_.kd
    .uniform_work_group_size: 1
    .uses_dynamic_stack: false
    .vgpr_count:     19
    .vgpr_spill_count: 0
    .wavefront_size: 32
    .workgroup_processor_mode: 1
  - .args:
      - .offset:         0
        .size:           104
        .value_kind:     by_value
    .group_segment_fixed_size: 0
    .kernarg_segment_align: 8
    .kernarg_segment_size: 104
    .language:       OpenCL C
    .language_version:
      - 2
      - 0
    .max_flat_workgroup_size: 256
    .name:           _ZN7rocprim17ROCPRIM_400000_NS6detail17trampoline_kernelINS0_14default_configENS1_22reduce_config_selectorIN6thrust23THRUST_200600_302600_NS5tupleIblNS6_9null_typeES8_S8_S8_S8_S8_S8_S8_EEEEZNS1_11reduce_implILb1ES3_NS6_12zip_iteratorINS7_INS6_11hip_rocprim26transform_input_iterator_tIbNSD_35transform_pair_of_input_iterators_tIbNS6_6detail15normal_iteratorINS6_10device_ptrIKdEEEESL_NS6_8equal_toIdEEEENSG_9not_fun_tINSD_8identityEEEEENSD_19counting_iterator_tIlEES8_S8_S8_S8_S8_S8_S8_S8_EEEEPS9_S9_NSD_9__find_if7functorIS9_EEEE10hipError_tPvRmT1_T2_T3_mT4_P12ihipStream_tbEUlT_E0_NS1_11comp_targetILNS1_3genE8ELNS1_11target_archE1030ELNS1_3gpuE2ELNS1_3repE0EEENS1_30default_config_static_selectorELNS0_4arch9wavefront6targetE0EEEvS14_
    .private_segment_fixed_size: 0
    .sgpr_count:     0
    .sgpr_spill_count: 0
    .symbol:         _ZN7rocprim17ROCPRIM_400000_NS6detail17trampoline_kernelINS0_14default_configENS1_22reduce_config_selectorIN6thrust23THRUST_200600_302600_NS5tupleIblNS6_9null_typeES8_S8_S8_S8_S8_S8_S8_EEEEZNS1_11reduce_implILb1ES3_NS6_12zip_iteratorINS7_INS6_11hip_rocprim26transform_input_iterator_tIbNSD_35transform_pair_of_input_iterators_tIbNS6_6detail15normal_iteratorINS6_10device_ptrIKdEEEESL_NS6_8equal_toIdEEEENSG_9not_fun_tINSD_8identityEEEEENSD_19counting_iterator_tIlEES8_S8_S8_S8_S8_S8_S8_S8_EEEEPS9_S9_NSD_9__find_if7functorIS9_EEEE10hipError_tPvRmT1_T2_T3_mT4_P12ihipStream_tbEUlT_E0_NS1_11comp_targetILNS1_3genE8ELNS1_11target_archE1030ELNS1_3gpuE2ELNS1_3repE0EEENS1_30default_config_static_selectorELNS0_4arch9wavefront6targetE0EEEvS14_.kd
    .uniform_work_group_size: 1
    .uses_dynamic_stack: false
    .vgpr_count:     0
    .vgpr_spill_count: 0
    .wavefront_size: 32
    .workgroup_processor_mode: 1
  - .args:
      - .offset:         0
        .size:           88
        .value_kind:     by_value
    .group_segment_fixed_size: 0
    .kernarg_segment_align: 8
    .kernarg_segment_size: 88
    .language:       OpenCL C
    .language_version:
      - 2
      - 0
    .max_flat_workgroup_size: 128
    .name:           _ZN7rocprim17ROCPRIM_400000_NS6detail17trampoline_kernelINS0_14default_configENS1_22reduce_config_selectorIN6thrust23THRUST_200600_302600_NS5tupleIblNS6_9null_typeES8_S8_S8_S8_S8_S8_S8_EEEEZNS1_11reduce_implILb1ES3_NS6_12zip_iteratorINS7_INS6_11hip_rocprim26transform_input_iterator_tIbNSD_35transform_pair_of_input_iterators_tIbNS6_6detail15normal_iteratorINS6_10device_ptrIKdEEEESL_NS6_8equal_toIdEEEENSG_9not_fun_tINSD_8identityEEEEENSD_19counting_iterator_tIlEES8_S8_S8_S8_S8_S8_S8_S8_EEEEPS9_S9_NSD_9__find_if7functorIS9_EEEE10hipError_tPvRmT1_T2_T3_mT4_P12ihipStream_tbEUlT_E1_NS1_11comp_targetILNS1_3genE0ELNS1_11target_archE4294967295ELNS1_3gpuE0ELNS1_3repE0EEENS1_30default_config_static_selectorELNS0_4arch9wavefront6targetE0EEEvS14_
    .private_segment_fixed_size: 0
    .sgpr_count:     0
    .sgpr_spill_count: 0
    .symbol:         _ZN7rocprim17ROCPRIM_400000_NS6detail17trampoline_kernelINS0_14default_configENS1_22reduce_config_selectorIN6thrust23THRUST_200600_302600_NS5tupleIblNS6_9null_typeES8_S8_S8_S8_S8_S8_S8_EEEEZNS1_11reduce_implILb1ES3_NS6_12zip_iteratorINS7_INS6_11hip_rocprim26transform_input_iterator_tIbNSD_35transform_pair_of_input_iterators_tIbNS6_6detail15normal_iteratorINS6_10device_ptrIKdEEEESL_NS6_8equal_toIdEEEENSG_9not_fun_tINSD_8identityEEEEENSD_19counting_iterator_tIlEES8_S8_S8_S8_S8_S8_S8_S8_EEEEPS9_S9_NSD_9__find_if7functorIS9_EEEE10hipError_tPvRmT1_T2_T3_mT4_P12ihipStream_tbEUlT_E1_NS1_11comp_targetILNS1_3genE0ELNS1_11target_archE4294967295ELNS1_3gpuE0ELNS1_3repE0EEENS1_30default_config_static_selectorELNS0_4arch9wavefront6targetE0EEEvS14_.kd
    .uniform_work_group_size: 1
    .uses_dynamic_stack: false
    .vgpr_count:     0
    .vgpr_spill_count: 0
    .wavefront_size: 32
    .workgroup_processor_mode: 1
  - .args:
      - .offset:         0
        .size:           88
        .value_kind:     by_value
    .group_segment_fixed_size: 0
    .kernarg_segment_align: 8
    .kernarg_segment_size: 88
    .language:       OpenCL C
    .language_version:
      - 2
      - 0
    .max_flat_workgroup_size: 256
    .name:           _ZN7rocprim17ROCPRIM_400000_NS6detail17trampoline_kernelINS0_14default_configENS1_22reduce_config_selectorIN6thrust23THRUST_200600_302600_NS5tupleIblNS6_9null_typeES8_S8_S8_S8_S8_S8_S8_EEEEZNS1_11reduce_implILb1ES3_NS6_12zip_iteratorINS7_INS6_11hip_rocprim26transform_input_iterator_tIbNSD_35transform_pair_of_input_iterators_tIbNS6_6detail15normal_iteratorINS6_10device_ptrIKdEEEESL_NS6_8equal_toIdEEEENSG_9not_fun_tINSD_8identityEEEEENSD_19counting_iterator_tIlEES8_S8_S8_S8_S8_S8_S8_S8_EEEEPS9_S9_NSD_9__find_if7functorIS9_EEEE10hipError_tPvRmT1_T2_T3_mT4_P12ihipStream_tbEUlT_E1_NS1_11comp_targetILNS1_3genE5ELNS1_11target_archE942ELNS1_3gpuE9ELNS1_3repE0EEENS1_30default_config_static_selectorELNS0_4arch9wavefront6targetE0EEEvS14_
    .private_segment_fixed_size: 0
    .sgpr_count:     0
    .sgpr_spill_count: 0
    .symbol:         _ZN7rocprim17ROCPRIM_400000_NS6detail17trampoline_kernelINS0_14default_configENS1_22reduce_config_selectorIN6thrust23THRUST_200600_302600_NS5tupleIblNS6_9null_typeES8_S8_S8_S8_S8_S8_S8_EEEEZNS1_11reduce_implILb1ES3_NS6_12zip_iteratorINS7_INS6_11hip_rocprim26transform_input_iterator_tIbNSD_35transform_pair_of_input_iterators_tIbNS6_6detail15normal_iteratorINS6_10device_ptrIKdEEEESL_NS6_8equal_toIdEEEENSG_9not_fun_tINSD_8identityEEEEENSD_19counting_iterator_tIlEES8_S8_S8_S8_S8_S8_S8_S8_EEEEPS9_S9_NSD_9__find_if7functorIS9_EEEE10hipError_tPvRmT1_T2_T3_mT4_P12ihipStream_tbEUlT_E1_NS1_11comp_targetILNS1_3genE5ELNS1_11target_archE942ELNS1_3gpuE9ELNS1_3repE0EEENS1_30default_config_static_selectorELNS0_4arch9wavefront6targetE0EEEvS14_.kd
    .uniform_work_group_size: 1
    .uses_dynamic_stack: false
    .vgpr_count:     0
    .vgpr_spill_count: 0
    .wavefront_size: 32
    .workgroup_processor_mode: 1
  - .args:
      - .offset:         0
        .size:           88
        .value_kind:     by_value
    .group_segment_fixed_size: 0
    .kernarg_segment_align: 8
    .kernarg_segment_size: 88
    .language:       OpenCL C
    .language_version:
      - 2
      - 0
    .max_flat_workgroup_size: 256
    .name:           _ZN7rocprim17ROCPRIM_400000_NS6detail17trampoline_kernelINS0_14default_configENS1_22reduce_config_selectorIN6thrust23THRUST_200600_302600_NS5tupleIblNS6_9null_typeES8_S8_S8_S8_S8_S8_S8_EEEEZNS1_11reduce_implILb1ES3_NS6_12zip_iteratorINS7_INS6_11hip_rocprim26transform_input_iterator_tIbNSD_35transform_pair_of_input_iterators_tIbNS6_6detail15normal_iteratorINS6_10device_ptrIKdEEEESL_NS6_8equal_toIdEEEENSG_9not_fun_tINSD_8identityEEEEENSD_19counting_iterator_tIlEES8_S8_S8_S8_S8_S8_S8_S8_EEEEPS9_S9_NSD_9__find_if7functorIS9_EEEE10hipError_tPvRmT1_T2_T3_mT4_P12ihipStream_tbEUlT_E1_NS1_11comp_targetILNS1_3genE4ELNS1_11target_archE910ELNS1_3gpuE8ELNS1_3repE0EEENS1_30default_config_static_selectorELNS0_4arch9wavefront6targetE0EEEvS14_
    .private_segment_fixed_size: 0
    .sgpr_count:     0
    .sgpr_spill_count: 0
    .symbol:         _ZN7rocprim17ROCPRIM_400000_NS6detail17trampoline_kernelINS0_14default_configENS1_22reduce_config_selectorIN6thrust23THRUST_200600_302600_NS5tupleIblNS6_9null_typeES8_S8_S8_S8_S8_S8_S8_EEEEZNS1_11reduce_implILb1ES3_NS6_12zip_iteratorINS7_INS6_11hip_rocprim26transform_input_iterator_tIbNSD_35transform_pair_of_input_iterators_tIbNS6_6detail15normal_iteratorINS6_10device_ptrIKdEEEESL_NS6_8equal_toIdEEEENSG_9not_fun_tINSD_8identityEEEEENSD_19counting_iterator_tIlEES8_S8_S8_S8_S8_S8_S8_S8_EEEEPS9_S9_NSD_9__find_if7functorIS9_EEEE10hipError_tPvRmT1_T2_T3_mT4_P12ihipStream_tbEUlT_E1_NS1_11comp_targetILNS1_3genE4ELNS1_11target_archE910ELNS1_3gpuE8ELNS1_3repE0EEENS1_30default_config_static_selectorELNS0_4arch9wavefront6targetE0EEEvS14_.kd
    .uniform_work_group_size: 1
    .uses_dynamic_stack: false
    .vgpr_count:     0
    .vgpr_spill_count: 0
    .wavefront_size: 32
    .workgroup_processor_mode: 1
  - .args:
      - .offset:         0
        .size:           88
        .value_kind:     by_value
    .group_segment_fixed_size: 0
    .kernarg_segment_align: 8
    .kernarg_segment_size: 88
    .language:       OpenCL C
    .language_version:
      - 2
      - 0
    .max_flat_workgroup_size: 128
    .name:           _ZN7rocprim17ROCPRIM_400000_NS6detail17trampoline_kernelINS0_14default_configENS1_22reduce_config_selectorIN6thrust23THRUST_200600_302600_NS5tupleIblNS6_9null_typeES8_S8_S8_S8_S8_S8_S8_EEEEZNS1_11reduce_implILb1ES3_NS6_12zip_iteratorINS7_INS6_11hip_rocprim26transform_input_iterator_tIbNSD_35transform_pair_of_input_iterators_tIbNS6_6detail15normal_iteratorINS6_10device_ptrIKdEEEESL_NS6_8equal_toIdEEEENSG_9not_fun_tINSD_8identityEEEEENSD_19counting_iterator_tIlEES8_S8_S8_S8_S8_S8_S8_S8_EEEEPS9_S9_NSD_9__find_if7functorIS9_EEEE10hipError_tPvRmT1_T2_T3_mT4_P12ihipStream_tbEUlT_E1_NS1_11comp_targetILNS1_3genE3ELNS1_11target_archE908ELNS1_3gpuE7ELNS1_3repE0EEENS1_30default_config_static_selectorELNS0_4arch9wavefront6targetE0EEEvS14_
    .private_segment_fixed_size: 0
    .sgpr_count:     0
    .sgpr_spill_count: 0
    .symbol:         _ZN7rocprim17ROCPRIM_400000_NS6detail17trampoline_kernelINS0_14default_configENS1_22reduce_config_selectorIN6thrust23THRUST_200600_302600_NS5tupleIblNS6_9null_typeES8_S8_S8_S8_S8_S8_S8_EEEEZNS1_11reduce_implILb1ES3_NS6_12zip_iteratorINS7_INS6_11hip_rocprim26transform_input_iterator_tIbNSD_35transform_pair_of_input_iterators_tIbNS6_6detail15normal_iteratorINS6_10device_ptrIKdEEEESL_NS6_8equal_toIdEEEENSG_9not_fun_tINSD_8identityEEEEENSD_19counting_iterator_tIlEES8_S8_S8_S8_S8_S8_S8_S8_EEEEPS9_S9_NSD_9__find_if7functorIS9_EEEE10hipError_tPvRmT1_T2_T3_mT4_P12ihipStream_tbEUlT_E1_NS1_11comp_targetILNS1_3genE3ELNS1_11target_archE908ELNS1_3gpuE7ELNS1_3repE0EEENS1_30default_config_static_selectorELNS0_4arch9wavefront6targetE0EEEvS14_.kd
    .uniform_work_group_size: 1
    .uses_dynamic_stack: false
    .vgpr_count:     0
    .vgpr_spill_count: 0
    .wavefront_size: 32
    .workgroup_processor_mode: 1
  - .args:
      - .offset:         0
        .size:           88
        .value_kind:     by_value
    .group_segment_fixed_size: 0
    .kernarg_segment_align: 8
    .kernarg_segment_size: 88
    .language:       OpenCL C
    .language_version:
      - 2
      - 0
    .max_flat_workgroup_size: 128
    .name:           _ZN7rocprim17ROCPRIM_400000_NS6detail17trampoline_kernelINS0_14default_configENS1_22reduce_config_selectorIN6thrust23THRUST_200600_302600_NS5tupleIblNS6_9null_typeES8_S8_S8_S8_S8_S8_S8_EEEEZNS1_11reduce_implILb1ES3_NS6_12zip_iteratorINS7_INS6_11hip_rocprim26transform_input_iterator_tIbNSD_35transform_pair_of_input_iterators_tIbNS6_6detail15normal_iteratorINS6_10device_ptrIKdEEEESL_NS6_8equal_toIdEEEENSG_9not_fun_tINSD_8identityEEEEENSD_19counting_iterator_tIlEES8_S8_S8_S8_S8_S8_S8_S8_EEEEPS9_S9_NSD_9__find_if7functorIS9_EEEE10hipError_tPvRmT1_T2_T3_mT4_P12ihipStream_tbEUlT_E1_NS1_11comp_targetILNS1_3genE2ELNS1_11target_archE906ELNS1_3gpuE6ELNS1_3repE0EEENS1_30default_config_static_selectorELNS0_4arch9wavefront6targetE0EEEvS14_
    .private_segment_fixed_size: 0
    .sgpr_count:     0
    .sgpr_spill_count: 0
    .symbol:         _ZN7rocprim17ROCPRIM_400000_NS6detail17trampoline_kernelINS0_14default_configENS1_22reduce_config_selectorIN6thrust23THRUST_200600_302600_NS5tupleIblNS6_9null_typeES8_S8_S8_S8_S8_S8_S8_EEEEZNS1_11reduce_implILb1ES3_NS6_12zip_iteratorINS7_INS6_11hip_rocprim26transform_input_iterator_tIbNSD_35transform_pair_of_input_iterators_tIbNS6_6detail15normal_iteratorINS6_10device_ptrIKdEEEESL_NS6_8equal_toIdEEEENSG_9not_fun_tINSD_8identityEEEEENSD_19counting_iterator_tIlEES8_S8_S8_S8_S8_S8_S8_S8_EEEEPS9_S9_NSD_9__find_if7functorIS9_EEEE10hipError_tPvRmT1_T2_T3_mT4_P12ihipStream_tbEUlT_E1_NS1_11comp_targetILNS1_3genE2ELNS1_11target_archE906ELNS1_3gpuE6ELNS1_3repE0EEENS1_30default_config_static_selectorELNS0_4arch9wavefront6targetE0EEEvS14_.kd
    .uniform_work_group_size: 1
    .uses_dynamic_stack: false
    .vgpr_count:     0
    .vgpr_spill_count: 0
    .wavefront_size: 32
    .workgroup_processor_mode: 1
  - .args:
      - .offset:         0
        .size:           88
        .value_kind:     by_value
    .group_segment_fixed_size: 0
    .kernarg_segment_align: 8
    .kernarg_segment_size: 88
    .language:       OpenCL C
    .language_version:
      - 2
      - 0
    .max_flat_workgroup_size: 256
    .name:           _ZN7rocprim17ROCPRIM_400000_NS6detail17trampoline_kernelINS0_14default_configENS1_22reduce_config_selectorIN6thrust23THRUST_200600_302600_NS5tupleIblNS6_9null_typeES8_S8_S8_S8_S8_S8_S8_EEEEZNS1_11reduce_implILb1ES3_NS6_12zip_iteratorINS7_INS6_11hip_rocprim26transform_input_iterator_tIbNSD_35transform_pair_of_input_iterators_tIbNS6_6detail15normal_iteratorINS6_10device_ptrIKdEEEESL_NS6_8equal_toIdEEEENSG_9not_fun_tINSD_8identityEEEEENSD_19counting_iterator_tIlEES8_S8_S8_S8_S8_S8_S8_S8_EEEEPS9_S9_NSD_9__find_if7functorIS9_EEEE10hipError_tPvRmT1_T2_T3_mT4_P12ihipStream_tbEUlT_E1_NS1_11comp_targetILNS1_3genE10ELNS1_11target_archE1201ELNS1_3gpuE5ELNS1_3repE0EEENS1_30default_config_static_selectorELNS0_4arch9wavefront6targetE0EEEvS14_
    .private_segment_fixed_size: 0
    .sgpr_count:     0
    .sgpr_spill_count: 0
    .symbol:         _ZN7rocprim17ROCPRIM_400000_NS6detail17trampoline_kernelINS0_14default_configENS1_22reduce_config_selectorIN6thrust23THRUST_200600_302600_NS5tupleIblNS6_9null_typeES8_S8_S8_S8_S8_S8_S8_EEEEZNS1_11reduce_implILb1ES3_NS6_12zip_iteratorINS7_INS6_11hip_rocprim26transform_input_iterator_tIbNSD_35transform_pair_of_input_iterators_tIbNS6_6detail15normal_iteratorINS6_10device_ptrIKdEEEESL_NS6_8equal_toIdEEEENSG_9not_fun_tINSD_8identityEEEEENSD_19counting_iterator_tIlEES8_S8_S8_S8_S8_S8_S8_S8_EEEEPS9_S9_NSD_9__find_if7functorIS9_EEEE10hipError_tPvRmT1_T2_T3_mT4_P12ihipStream_tbEUlT_E1_NS1_11comp_targetILNS1_3genE10ELNS1_11target_archE1201ELNS1_3gpuE5ELNS1_3repE0EEENS1_30default_config_static_selectorELNS0_4arch9wavefront6targetE0EEEvS14_.kd
    .uniform_work_group_size: 1
    .uses_dynamic_stack: false
    .vgpr_count:     0
    .vgpr_spill_count: 0
    .wavefront_size: 32
    .workgroup_processor_mode: 1
  - .args:
      - .offset:         0
        .size:           88
        .value_kind:     by_value
    .group_segment_fixed_size: 0
    .kernarg_segment_align: 8
    .kernarg_segment_size: 88
    .language:       OpenCL C
    .language_version:
      - 2
      - 0
    .max_flat_workgroup_size: 256
    .name:           _ZN7rocprim17ROCPRIM_400000_NS6detail17trampoline_kernelINS0_14default_configENS1_22reduce_config_selectorIN6thrust23THRUST_200600_302600_NS5tupleIblNS6_9null_typeES8_S8_S8_S8_S8_S8_S8_EEEEZNS1_11reduce_implILb1ES3_NS6_12zip_iteratorINS7_INS6_11hip_rocprim26transform_input_iterator_tIbNSD_35transform_pair_of_input_iterators_tIbNS6_6detail15normal_iteratorINS6_10device_ptrIKdEEEESL_NS6_8equal_toIdEEEENSG_9not_fun_tINSD_8identityEEEEENSD_19counting_iterator_tIlEES8_S8_S8_S8_S8_S8_S8_S8_EEEEPS9_S9_NSD_9__find_if7functorIS9_EEEE10hipError_tPvRmT1_T2_T3_mT4_P12ihipStream_tbEUlT_E1_NS1_11comp_targetILNS1_3genE10ELNS1_11target_archE1200ELNS1_3gpuE4ELNS1_3repE0EEENS1_30default_config_static_selectorELNS0_4arch9wavefront6targetE0EEEvS14_
    .private_segment_fixed_size: 0
    .sgpr_count:     0
    .sgpr_spill_count: 0
    .symbol:         _ZN7rocprim17ROCPRIM_400000_NS6detail17trampoline_kernelINS0_14default_configENS1_22reduce_config_selectorIN6thrust23THRUST_200600_302600_NS5tupleIblNS6_9null_typeES8_S8_S8_S8_S8_S8_S8_EEEEZNS1_11reduce_implILb1ES3_NS6_12zip_iteratorINS7_INS6_11hip_rocprim26transform_input_iterator_tIbNSD_35transform_pair_of_input_iterators_tIbNS6_6detail15normal_iteratorINS6_10device_ptrIKdEEEESL_NS6_8equal_toIdEEEENSG_9not_fun_tINSD_8identityEEEEENSD_19counting_iterator_tIlEES8_S8_S8_S8_S8_S8_S8_S8_EEEEPS9_S9_NSD_9__find_if7functorIS9_EEEE10hipError_tPvRmT1_T2_T3_mT4_P12ihipStream_tbEUlT_E1_NS1_11comp_targetILNS1_3genE10ELNS1_11target_archE1200ELNS1_3gpuE4ELNS1_3repE0EEENS1_30default_config_static_selectorELNS0_4arch9wavefront6targetE0EEEvS14_.kd
    .uniform_work_group_size: 1
    .uses_dynamic_stack: false
    .vgpr_count:     0
    .vgpr_spill_count: 0
    .wavefront_size: 32
    .workgroup_processor_mode: 1
  - .args:
      - .offset:         0
        .size:           88
        .value_kind:     by_value
    .group_segment_fixed_size: 640
    .kernarg_segment_align: 8
    .kernarg_segment_size: 88
    .language:       OpenCL C
    .language_version:
      - 2
      - 0
    .max_flat_workgroup_size: 256
    .name:           _ZN7rocprim17ROCPRIM_400000_NS6detail17trampoline_kernelINS0_14default_configENS1_22reduce_config_selectorIN6thrust23THRUST_200600_302600_NS5tupleIblNS6_9null_typeES8_S8_S8_S8_S8_S8_S8_EEEEZNS1_11reduce_implILb1ES3_NS6_12zip_iteratorINS7_INS6_11hip_rocprim26transform_input_iterator_tIbNSD_35transform_pair_of_input_iterators_tIbNS6_6detail15normal_iteratorINS6_10device_ptrIKdEEEESL_NS6_8equal_toIdEEEENSG_9not_fun_tINSD_8identityEEEEENSD_19counting_iterator_tIlEES8_S8_S8_S8_S8_S8_S8_S8_EEEEPS9_S9_NSD_9__find_if7functorIS9_EEEE10hipError_tPvRmT1_T2_T3_mT4_P12ihipStream_tbEUlT_E1_NS1_11comp_targetILNS1_3genE9ELNS1_11target_archE1100ELNS1_3gpuE3ELNS1_3repE0EEENS1_30default_config_static_selectorELNS0_4arch9wavefront6targetE0EEEvS14_
    .private_segment_fixed_size: 0
    .sgpr_count:     34
    .sgpr_spill_count: 0
    .symbol:         _ZN7rocprim17ROCPRIM_400000_NS6detail17trampoline_kernelINS0_14default_configENS1_22reduce_config_selectorIN6thrust23THRUST_200600_302600_NS5tupleIblNS6_9null_typeES8_S8_S8_S8_S8_S8_S8_EEEEZNS1_11reduce_implILb1ES3_NS6_12zip_iteratorINS7_INS6_11hip_rocprim26transform_input_iterator_tIbNSD_35transform_pair_of_input_iterators_tIbNS6_6detail15normal_iteratorINS6_10device_ptrIKdEEEESL_NS6_8equal_toIdEEEENSG_9not_fun_tINSD_8identityEEEEENSD_19counting_iterator_tIlEES8_S8_S8_S8_S8_S8_S8_S8_EEEEPS9_S9_NSD_9__find_if7functorIS9_EEEE10hipError_tPvRmT1_T2_T3_mT4_P12ihipStream_tbEUlT_E1_NS1_11comp_targetILNS1_3genE9ELNS1_11target_archE1100ELNS1_3gpuE3ELNS1_3repE0EEENS1_30default_config_static_selectorELNS0_4arch9wavefront6targetE0EEEvS14_.kd
    .uniform_work_group_size: 1
    .uses_dynamic_stack: false
    .vgpr_count:     34
    .vgpr_spill_count: 0
    .wavefront_size: 32
    .workgroup_processor_mode: 1
  - .args:
      - .offset:         0
        .size:           88
        .value_kind:     by_value
    .group_segment_fixed_size: 0
    .kernarg_segment_align: 8
    .kernarg_segment_size: 88
    .language:       OpenCL C
    .language_version:
      - 2
      - 0
    .max_flat_workgroup_size: 256
    .name:           _ZN7rocprim17ROCPRIM_400000_NS6detail17trampoline_kernelINS0_14default_configENS1_22reduce_config_selectorIN6thrust23THRUST_200600_302600_NS5tupleIblNS6_9null_typeES8_S8_S8_S8_S8_S8_S8_EEEEZNS1_11reduce_implILb1ES3_NS6_12zip_iteratorINS7_INS6_11hip_rocprim26transform_input_iterator_tIbNSD_35transform_pair_of_input_iterators_tIbNS6_6detail15normal_iteratorINS6_10device_ptrIKdEEEESL_NS6_8equal_toIdEEEENSG_9not_fun_tINSD_8identityEEEEENSD_19counting_iterator_tIlEES8_S8_S8_S8_S8_S8_S8_S8_EEEEPS9_S9_NSD_9__find_if7functorIS9_EEEE10hipError_tPvRmT1_T2_T3_mT4_P12ihipStream_tbEUlT_E1_NS1_11comp_targetILNS1_3genE8ELNS1_11target_archE1030ELNS1_3gpuE2ELNS1_3repE0EEENS1_30default_config_static_selectorELNS0_4arch9wavefront6targetE0EEEvS14_
    .private_segment_fixed_size: 0
    .sgpr_count:     0
    .sgpr_spill_count: 0
    .symbol:         _ZN7rocprim17ROCPRIM_400000_NS6detail17trampoline_kernelINS0_14default_configENS1_22reduce_config_selectorIN6thrust23THRUST_200600_302600_NS5tupleIblNS6_9null_typeES8_S8_S8_S8_S8_S8_S8_EEEEZNS1_11reduce_implILb1ES3_NS6_12zip_iteratorINS7_INS6_11hip_rocprim26transform_input_iterator_tIbNSD_35transform_pair_of_input_iterators_tIbNS6_6detail15normal_iteratorINS6_10device_ptrIKdEEEESL_NS6_8equal_toIdEEEENSG_9not_fun_tINSD_8identityEEEEENSD_19counting_iterator_tIlEES8_S8_S8_S8_S8_S8_S8_S8_EEEEPS9_S9_NSD_9__find_if7functorIS9_EEEE10hipError_tPvRmT1_T2_T3_mT4_P12ihipStream_tbEUlT_E1_NS1_11comp_targetILNS1_3genE8ELNS1_11target_archE1030ELNS1_3gpuE2ELNS1_3repE0EEENS1_30default_config_static_selectorELNS0_4arch9wavefront6targetE0EEEvS14_.kd
    .uniform_work_group_size: 1
    .uses_dynamic_stack: false
    .vgpr_count:     0
    .vgpr_spill_count: 0
    .wavefront_size: 32
    .workgroup_processor_mode: 1
  - .args:
      - .offset:         0
        .size:           40
        .value_kind:     by_value
      - .offset:         40
        .size:           8
        .value_kind:     by_value
      - .offset:         48
        .size:           8
        .value_kind:     by_value
    .group_segment_fixed_size: 0
    .kernarg_segment_align: 8
    .kernarg_segment_size: 56
    .language:       OpenCL C
    .language_version:
      - 2
      - 0
    .max_flat_workgroup_size: 256
    .name:           _ZN6thrust23THRUST_200600_302600_NS11hip_rocprim14__parallel_for6kernelILj256ENS1_11__transform17unary_transform_fINS0_12zip_iteratorINS0_5tupleINS0_6detail15normal_iteratorINS0_10device_ptrIfEEEESC_NS0_9null_typeESD_SD_SD_SD_SD_SD_SD_EEEESF_NS4_14no_stencil_tagENS0_8identityINS7_IffSD_SD_SD_SD_SD_SD_SD_SD_EEEENS4_21always_true_predicateEEElLj1EEEvT0_T1_SN_
    .private_segment_fixed_size: 0
    .sgpr_count:     22
    .sgpr_spill_count: 0
    .symbol:         _ZN6thrust23THRUST_200600_302600_NS11hip_rocprim14__parallel_for6kernelILj256ENS1_11__transform17unary_transform_fINS0_12zip_iteratorINS0_5tupleINS0_6detail15normal_iteratorINS0_10device_ptrIfEEEESC_NS0_9null_typeESD_SD_SD_SD_SD_SD_SD_EEEESF_NS4_14no_stencil_tagENS0_8identityINS7_IffSD_SD_SD_SD_SD_SD_SD_SD_EEEENS4_21always_true_predicateEEElLj1EEEvT0_T1_SN_.kd
    .uniform_work_group_size: 1
    .uses_dynamic_stack: false
    .vgpr_count:     8
    .vgpr_spill_count: 0
    .wavefront_size: 32
    .workgroup_processor_mode: 1
  - .args:
      - .offset:         0
        .size:           104
        .value_kind:     by_value
    .group_segment_fixed_size: 0
    .kernarg_segment_align: 8
    .kernarg_segment_size: 104
    .language:       OpenCL C
    .language_version:
      - 2
      - 0
    .max_flat_workgroup_size: 128
    .name:           _ZN7rocprim17ROCPRIM_400000_NS6detail17trampoline_kernelINS0_14default_configENS1_22reduce_config_selectorIN6thrust23THRUST_200600_302600_NS5tupleIblNS6_9null_typeES8_S8_S8_S8_S8_S8_S8_EEEEZNS1_11reduce_implILb1ES3_NS6_12zip_iteratorINS7_INS6_11hip_rocprim26transform_input_iterator_tIbNSD_35transform_pair_of_input_iterators_tIbNS6_6detail15normal_iteratorINS6_10device_ptrIKfEEEESL_NS6_8equal_toIfEEEENSG_9not_fun_tINSD_8identityEEEEENSD_19counting_iterator_tIlEES8_S8_S8_S8_S8_S8_S8_S8_EEEEPS9_S9_NSD_9__find_if7functorIS9_EEEE10hipError_tPvRmT1_T2_T3_mT4_P12ihipStream_tbEUlT_E0_NS1_11comp_targetILNS1_3genE0ELNS1_11target_archE4294967295ELNS1_3gpuE0ELNS1_3repE0EEENS1_30default_config_static_selectorELNS0_4arch9wavefront6targetE0EEEvS14_
    .private_segment_fixed_size: 0
    .sgpr_count:     0
    .sgpr_spill_count: 0
    .symbol:         _ZN7rocprim17ROCPRIM_400000_NS6detail17trampoline_kernelINS0_14default_configENS1_22reduce_config_selectorIN6thrust23THRUST_200600_302600_NS5tupleIblNS6_9null_typeES8_S8_S8_S8_S8_S8_S8_EEEEZNS1_11reduce_implILb1ES3_NS6_12zip_iteratorINS7_INS6_11hip_rocprim26transform_input_iterator_tIbNSD_35transform_pair_of_input_iterators_tIbNS6_6detail15normal_iteratorINS6_10device_ptrIKfEEEESL_NS6_8equal_toIfEEEENSG_9not_fun_tINSD_8identityEEEEENSD_19counting_iterator_tIlEES8_S8_S8_S8_S8_S8_S8_S8_EEEEPS9_S9_NSD_9__find_if7functorIS9_EEEE10hipError_tPvRmT1_T2_T3_mT4_P12ihipStream_tbEUlT_E0_NS1_11comp_targetILNS1_3genE0ELNS1_11target_archE4294967295ELNS1_3gpuE0ELNS1_3repE0EEENS1_30default_config_static_selectorELNS0_4arch9wavefront6targetE0EEEvS14_.kd
    .uniform_work_group_size: 1
    .uses_dynamic_stack: false
    .vgpr_count:     0
    .vgpr_spill_count: 0
    .wavefront_size: 32
    .workgroup_processor_mode: 1
  - .args:
      - .offset:         0
        .size:           104
        .value_kind:     by_value
    .group_segment_fixed_size: 0
    .kernarg_segment_align: 8
    .kernarg_segment_size: 104
    .language:       OpenCL C
    .language_version:
      - 2
      - 0
    .max_flat_workgroup_size: 256
    .name:           _ZN7rocprim17ROCPRIM_400000_NS6detail17trampoline_kernelINS0_14default_configENS1_22reduce_config_selectorIN6thrust23THRUST_200600_302600_NS5tupleIblNS6_9null_typeES8_S8_S8_S8_S8_S8_S8_EEEEZNS1_11reduce_implILb1ES3_NS6_12zip_iteratorINS7_INS6_11hip_rocprim26transform_input_iterator_tIbNSD_35transform_pair_of_input_iterators_tIbNS6_6detail15normal_iteratorINS6_10device_ptrIKfEEEESL_NS6_8equal_toIfEEEENSG_9not_fun_tINSD_8identityEEEEENSD_19counting_iterator_tIlEES8_S8_S8_S8_S8_S8_S8_S8_EEEEPS9_S9_NSD_9__find_if7functorIS9_EEEE10hipError_tPvRmT1_T2_T3_mT4_P12ihipStream_tbEUlT_E0_NS1_11comp_targetILNS1_3genE5ELNS1_11target_archE942ELNS1_3gpuE9ELNS1_3repE0EEENS1_30default_config_static_selectorELNS0_4arch9wavefront6targetE0EEEvS14_
    .private_segment_fixed_size: 0
    .sgpr_count:     0
    .sgpr_spill_count: 0
    .symbol:         _ZN7rocprim17ROCPRIM_400000_NS6detail17trampoline_kernelINS0_14default_configENS1_22reduce_config_selectorIN6thrust23THRUST_200600_302600_NS5tupleIblNS6_9null_typeES8_S8_S8_S8_S8_S8_S8_EEEEZNS1_11reduce_implILb1ES3_NS6_12zip_iteratorINS7_INS6_11hip_rocprim26transform_input_iterator_tIbNSD_35transform_pair_of_input_iterators_tIbNS6_6detail15normal_iteratorINS6_10device_ptrIKfEEEESL_NS6_8equal_toIfEEEENSG_9not_fun_tINSD_8identityEEEEENSD_19counting_iterator_tIlEES8_S8_S8_S8_S8_S8_S8_S8_EEEEPS9_S9_NSD_9__find_if7functorIS9_EEEE10hipError_tPvRmT1_T2_T3_mT4_P12ihipStream_tbEUlT_E0_NS1_11comp_targetILNS1_3genE5ELNS1_11target_archE942ELNS1_3gpuE9ELNS1_3repE0EEENS1_30default_config_static_selectorELNS0_4arch9wavefront6targetE0EEEvS14_.kd
    .uniform_work_group_size: 1
    .uses_dynamic_stack: false
    .vgpr_count:     0
    .vgpr_spill_count: 0
    .wavefront_size: 32
    .workgroup_processor_mode: 1
  - .args:
      - .offset:         0
        .size:           104
        .value_kind:     by_value
    .group_segment_fixed_size: 0
    .kernarg_segment_align: 8
    .kernarg_segment_size: 104
    .language:       OpenCL C
    .language_version:
      - 2
      - 0
    .max_flat_workgroup_size: 256
    .name:           _ZN7rocprim17ROCPRIM_400000_NS6detail17trampoline_kernelINS0_14default_configENS1_22reduce_config_selectorIN6thrust23THRUST_200600_302600_NS5tupleIblNS6_9null_typeES8_S8_S8_S8_S8_S8_S8_EEEEZNS1_11reduce_implILb1ES3_NS6_12zip_iteratorINS7_INS6_11hip_rocprim26transform_input_iterator_tIbNSD_35transform_pair_of_input_iterators_tIbNS6_6detail15normal_iteratorINS6_10device_ptrIKfEEEESL_NS6_8equal_toIfEEEENSG_9not_fun_tINSD_8identityEEEEENSD_19counting_iterator_tIlEES8_S8_S8_S8_S8_S8_S8_S8_EEEEPS9_S9_NSD_9__find_if7functorIS9_EEEE10hipError_tPvRmT1_T2_T3_mT4_P12ihipStream_tbEUlT_E0_NS1_11comp_targetILNS1_3genE4ELNS1_11target_archE910ELNS1_3gpuE8ELNS1_3repE0EEENS1_30default_config_static_selectorELNS0_4arch9wavefront6targetE0EEEvS14_
    .private_segment_fixed_size: 0
    .sgpr_count:     0
    .sgpr_spill_count: 0
    .symbol:         _ZN7rocprim17ROCPRIM_400000_NS6detail17trampoline_kernelINS0_14default_configENS1_22reduce_config_selectorIN6thrust23THRUST_200600_302600_NS5tupleIblNS6_9null_typeES8_S8_S8_S8_S8_S8_S8_EEEEZNS1_11reduce_implILb1ES3_NS6_12zip_iteratorINS7_INS6_11hip_rocprim26transform_input_iterator_tIbNSD_35transform_pair_of_input_iterators_tIbNS6_6detail15normal_iteratorINS6_10device_ptrIKfEEEESL_NS6_8equal_toIfEEEENSG_9not_fun_tINSD_8identityEEEEENSD_19counting_iterator_tIlEES8_S8_S8_S8_S8_S8_S8_S8_EEEEPS9_S9_NSD_9__find_if7functorIS9_EEEE10hipError_tPvRmT1_T2_T3_mT4_P12ihipStream_tbEUlT_E0_NS1_11comp_targetILNS1_3genE4ELNS1_11target_archE910ELNS1_3gpuE8ELNS1_3repE0EEENS1_30default_config_static_selectorELNS0_4arch9wavefront6targetE0EEEvS14_.kd
    .uniform_work_group_size: 1
    .uses_dynamic_stack: false
    .vgpr_count:     0
    .vgpr_spill_count: 0
    .wavefront_size: 32
    .workgroup_processor_mode: 1
  - .args:
      - .offset:         0
        .size:           104
        .value_kind:     by_value
    .group_segment_fixed_size: 0
    .kernarg_segment_align: 8
    .kernarg_segment_size: 104
    .language:       OpenCL C
    .language_version:
      - 2
      - 0
    .max_flat_workgroup_size: 128
    .name:           _ZN7rocprim17ROCPRIM_400000_NS6detail17trampoline_kernelINS0_14default_configENS1_22reduce_config_selectorIN6thrust23THRUST_200600_302600_NS5tupleIblNS6_9null_typeES8_S8_S8_S8_S8_S8_S8_EEEEZNS1_11reduce_implILb1ES3_NS6_12zip_iteratorINS7_INS6_11hip_rocprim26transform_input_iterator_tIbNSD_35transform_pair_of_input_iterators_tIbNS6_6detail15normal_iteratorINS6_10device_ptrIKfEEEESL_NS6_8equal_toIfEEEENSG_9not_fun_tINSD_8identityEEEEENSD_19counting_iterator_tIlEES8_S8_S8_S8_S8_S8_S8_S8_EEEEPS9_S9_NSD_9__find_if7functorIS9_EEEE10hipError_tPvRmT1_T2_T3_mT4_P12ihipStream_tbEUlT_E0_NS1_11comp_targetILNS1_3genE3ELNS1_11target_archE908ELNS1_3gpuE7ELNS1_3repE0EEENS1_30default_config_static_selectorELNS0_4arch9wavefront6targetE0EEEvS14_
    .private_segment_fixed_size: 0
    .sgpr_count:     0
    .sgpr_spill_count: 0
    .symbol:         _ZN7rocprim17ROCPRIM_400000_NS6detail17trampoline_kernelINS0_14default_configENS1_22reduce_config_selectorIN6thrust23THRUST_200600_302600_NS5tupleIblNS6_9null_typeES8_S8_S8_S8_S8_S8_S8_EEEEZNS1_11reduce_implILb1ES3_NS6_12zip_iteratorINS7_INS6_11hip_rocprim26transform_input_iterator_tIbNSD_35transform_pair_of_input_iterators_tIbNS6_6detail15normal_iteratorINS6_10device_ptrIKfEEEESL_NS6_8equal_toIfEEEENSG_9not_fun_tINSD_8identityEEEEENSD_19counting_iterator_tIlEES8_S8_S8_S8_S8_S8_S8_S8_EEEEPS9_S9_NSD_9__find_if7functorIS9_EEEE10hipError_tPvRmT1_T2_T3_mT4_P12ihipStream_tbEUlT_E0_NS1_11comp_targetILNS1_3genE3ELNS1_11target_archE908ELNS1_3gpuE7ELNS1_3repE0EEENS1_30default_config_static_selectorELNS0_4arch9wavefront6targetE0EEEvS14_.kd
    .uniform_work_group_size: 1
    .uses_dynamic_stack: false
    .vgpr_count:     0
    .vgpr_spill_count: 0
    .wavefront_size: 32
    .workgroup_processor_mode: 1
  - .args:
      - .offset:         0
        .size:           104
        .value_kind:     by_value
    .group_segment_fixed_size: 0
    .kernarg_segment_align: 8
    .kernarg_segment_size: 104
    .language:       OpenCL C
    .language_version:
      - 2
      - 0
    .max_flat_workgroup_size: 128
    .name:           _ZN7rocprim17ROCPRIM_400000_NS6detail17trampoline_kernelINS0_14default_configENS1_22reduce_config_selectorIN6thrust23THRUST_200600_302600_NS5tupleIblNS6_9null_typeES8_S8_S8_S8_S8_S8_S8_EEEEZNS1_11reduce_implILb1ES3_NS6_12zip_iteratorINS7_INS6_11hip_rocprim26transform_input_iterator_tIbNSD_35transform_pair_of_input_iterators_tIbNS6_6detail15normal_iteratorINS6_10device_ptrIKfEEEESL_NS6_8equal_toIfEEEENSG_9not_fun_tINSD_8identityEEEEENSD_19counting_iterator_tIlEES8_S8_S8_S8_S8_S8_S8_S8_EEEEPS9_S9_NSD_9__find_if7functorIS9_EEEE10hipError_tPvRmT1_T2_T3_mT4_P12ihipStream_tbEUlT_E0_NS1_11comp_targetILNS1_3genE2ELNS1_11target_archE906ELNS1_3gpuE6ELNS1_3repE0EEENS1_30default_config_static_selectorELNS0_4arch9wavefront6targetE0EEEvS14_
    .private_segment_fixed_size: 0
    .sgpr_count:     0
    .sgpr_spill_count: 0
    .symbol:         _ZN7rocprim17ROCPRIM_400000_NS6detail17trampoline_kernelINS0_14default_configENS1_22reduce_config_selectorIN6thrust23THRUST_200600_302600_NS5tupleIblNS6_9null_typeES8_S8_S8_S8_S8_S8_S8_EEEEZNS1_11reduce_implILb1ES3_NS6_12zip_iteratorINS7_INS6_11hip_rocprim26transform_input_iterator_tIbNSD_35transform_pair_of_input_iterators_tIbNS6_6detail15normal_iteratorINS6_10device_ptrIKfEEEESL_NS6_8equal_toIfEEEENSG_9not_fun_tINSD_8identityEEEEENSD_19counting_iterator_tIlEES8_S8_S8_S8_S8_S8_S8_S8_EEEEPS9_S9_NSD_9__find_if7functorIS9_EEEE10hipError_tPvRmT1_T2_T3_mT4_P12ihipStream_tbEUlT_E0_NS1_11comp_targetILNS1_3genE2ELNS1_11target_archE906ELNS1_3gpuE6ELNS1_3repE0EEENS1_30default_config_static_selectorELNS0_4arch9wavefront6targetE0EEEvS14_.kd
    .uniform_work_group_size: 1
    .uses_dynamic_stack: false
    .vgpr_count:     0
    .vgpr_spill_count: 0
    .wavefront_size: 32
    .workgroup_processor_mode: 1
  - .args:
      - .offset:         0
        .size:           104
        .value_kind:     by_value
    .group_segment_fixed_size: 0
    .kernarg_segment_align: 8
    .kernarg_segment_size: 104
    .language:       OpenCL C
    .language_version:
      - 2
      - 0
    .max_flat_workgroup_size: 256
    .name:           _ZN7rocprim17ROCPRIM_400000_NS6detail17trampoline_kernelINS0_14default_configENS1_22reduce_config_selectorIN6thrust23THRUST_200600_302600_NS5tupleIblNS6_9null_typeES8_S8_S8_S8_S8_S8_S8_EEEEZNS1_11reduce_implILb1ES3_NS6_12zip_iteratorINS7_INS6_11hip_rocprim26transform_input_iterator_tIbNSD_35transform_pair_of_input_iterators_tIbNS6_6detail15normal_iteratorINS6_10device_ptrIKfEEEESL_NS6_8equal_toIfEEEENSG_9not_fun_tINSD_8identityEEEEENSD_19counting_iterator_tIlEES8_S8_S8_S8_S8_S8_S8_S8_EEEEPS9_S9_NSD_9__find_if7functorIS9_EEEE10hipError_tPvRmT1_T2_T3_mT4_P12ihipStream_tbEUlT_E0_NS1_11comp_targetILNS1_3genE10ELNS1_11target_archE1201ELNS1_3gpuE5ELNS1_3repE0EEENS1_30default_config_static_selectorELNS0_4arch9wavefront6targetE0EEEvS14_
    .private_segment_fixed_size: 0
    .sgpr_count:     0
    .sgpr_spill_count: 0
    .symbol:         _ZN7rocprim17ROCPRIM_400000_NS6detail17trampoline_kernelINS0_14default_configENS1_22reduce_config_selectorIN6thrust23THRUST_200600_302600_NS5tupleIblNS6_9null_typeES8_S8_S8_S8_S8_S8_S8_EEEEZNS1_11reduce_implILb1ES3_NS6_12zip_iteratorINS7_INS6_11hip_rocprim26transform_input_iterator_tIbNSD_35transform_pair_of_input_iterators_tIbNS6_6detail15normal_iteratorINS6_10device_ptrIKfEEEESL_NS6_8equal_toIfEEEENSG_9not_fun_tINSD_8identityEEEEENSD_19counting_iterator_tIlEES8_S8_S8_S8_S8_S8_S8_S8_EEEEPS9_S9_NSD_9__find_if7functorIS9_EEEE10hipError_tPvRmT1_T2_T3_mT4_P12ihipStream_tbEUlT_E0_NS1_11comp_targetILNS1_3genE10ELNS1_11target_archE1201ELNS1_3gpuE5ELNS1_3repE0EEENS1_30default_config_static_selectorELNS0_4arch9wavefront6targetE0EEEvS14_.kd
    .uniform_work_group_size: 1
    .uses_dynamic_stack: false
    .vgpr_count:     0
    .vgpr_spill_count: 0
    .wavefront_size: 32
    .workgroup_processor_mode: 1
  - .args:
      - .offset:         0
        .size:           104
        .value_kind:     by_value
    .group_segment_fixed_size: 0
    .kernarg_segment_align: 8
    .kernarg_segment_size: 104
    .language:       OpenCL C
    .language_version:
      - 2
      - 0
    .max_flat_workgroup_size: 256
    .name:           _ZN7rocprim17ROCPRIM_400000_NS6detail17trampoline_kernelINS0_14default_configENS1_22reduce_config_selectorIN6thrust23THRUST_200600_302600_NS5tupleIblNS6_9null_typeES8_S8_S8_S8_S8_S8_S8_EEEEZNS1_11reduce_implILb1ES3_NS6_12zip_iteratorINS7_INS6_11hip_rocprim26transform_input_iterator_tIbNSD_35transform_pair_of_input_iterators_tIbNS6_6detail15normal_iteratorINS6_10device_ptrIKfEEEESL_NS6_8equal_toIfEEEENSG_9not_fun_tINSD_8identityEEEEENSD_19counting_iterator_tIlEES8_S8_S8_S8_S8_S8_S8_S8_EEEEPS9_S9_NSD_9__find_if7functorIS9_EEEE10hipError_tPvRmT1_T2_T3_mT4_P12ihipStream_tbEUlT_E0_NS1_11comp_targetILNS1_3genE10ELNS1_11target_archE1200ELNS1_3gpuE4ELNS1_3repE0EEENS1_30default_config_static_selectorELNS0_4arch9wavefront6targetE0EEEvS14_
    .private_segment_fixed_size: 0
    .sgpr_count:     0
    .sgpr_spill_count: 0
    .symbol:         _ZN7rocprim17ROCPRIM_400000_NS6detail17trampoline_kernelINS0_14default_configENS1_22reduce_config_selectorIN6thrust23THRUST_200600_302600_NS5tupleIblNS6_9null_typeES8_S8_S8_S8_S8_S8_S8_EEEEZNS1_11reduce_implILb1ES3_NS6_12zip_iteratorINS7_INS6_11hip_rocprim26transform_input_iterator_tIbNSD_35transform_pair_of_input_iterators_tIbNS6_6detail15normal_iteratorINS6_10device_ptrIKfEEEESL_NS6_8equal_toIfEEEENSG_9not_fun_tINSD_8identityEEEEENSD_19counting_iterator_tIlEES8_S8_S8_S8_S8_S8_S8_S8_EEEEPS9_S9_NSD_9__find_if7functorIS9_EEEE10hipError_tPvRmT1_T2_T3_mT4_P12ihipStream_tbEUlT_E0_NS1_11comp_targetILNS1_3genE10ELNS1_11target_archE1200ELNS1_3gpuE4ELNS1_3repE0EEENS1_30default_config_static_selectorELNS0_4arch9wavefront6targetE0EEEvS14_.kd
    .uniform_work_group_size: 1
    .uses_dynamic_stack: false
    .vgpr_count:     0
    .vgpr_spill_count: 0
    .wavefront_size: 32
    .workgroup_processor_mode: 1
  - .args:
      - .offset:         0
        .size:           104
        .value_kind:     by_value
    .group_segment_fixed_size: 256
    .kernarg_segment_align: 8
    .kernarg_segment_size: 104
    .language:       OpenCL C
    .language_version:
      - 2
      - 0
    .max_flat_workgroup_size: 256
    .name:           _ZN7rocprim17ROCPRIM_400000_NS6detail17trampoline_kernelINS0_14default_configENS1_22reduce_config_selectorIN6thrust23THRUST_200600_302600_NS5tupleIblNS6_9null_typeES8_S8_S8_S8_S8_S8_S8_EEEEZNS1_11reduce_implILb1ES3_NS6_12zip_iteratorINS7_INS6_11hip_rocprim26transform_input_iterator_tIbNSD_35transform_pair_of_input_iterators_tIbNS6_6detail15normal_iteratorINS6_10device_ptrIKfEEEESL_NS6_8equal_toIfEEEENSG_9not_fun_tINSD_8identityEEEEENSD_19counting_iterator_tIlEES8_S8_S8_S8_S8_S8_S8_S8_EEEEPS9_S9_NSD_9__find_if7functorIS9_EEEE10hipError_tPvRmT1_T2_T3_mT4_P12ihipStream_tbEUlT_E0_NS1_11comp_targetILNS1_3genE9ELNS1_11target_archE1100ELNS1_3gpuE3ELNS1_3repE0EEENS1_30default_config_static_selectorELNS0_4arch9wavefront6targetE0EEEvS14_
    .private_segment_fixed_size: 0
    .sgpr_count:     30
    .sgpr_spill_count: 0
    .symbol:         _ZN7rocprim17ROCPRIM_400000_NS6detail17trampoline_kernelINS0_14default_configENS1_22reduce_config_selectorIN6thrust23THRUST_200600_302600_NS5tupleIblNS6_9null_typeES8_S8_S8_S8_S8_S8_S8_EEEEZNS1_11reduce_implILb1ES3_NS6_12zip_iteratorINS7_INS6_11hip_rocprim26transform_input_iterator_tIbNSD_35transform_pair_of_input_iterators_tIbNS6_6detail15normal_iteratorINS6_10device_ptrIKfEEEESL_NS6_8equal_toIfEEEENSG_9not_fun_tINSD_8identityEEEEENSD_19counting_iterator_tIlEES8_S8_S8_S8_S8_S8_S8_S8_EEEEPS9_S9_NSD_9__find_if7functorIS9_EEEE10hipError_tPvRmT1_T2_T3_mT4_P12ihipStream_tbEUlT_E0_NS1_11comp_targetILNS1_3genE9ELNS1_11target_archE1100ELNS1_3gpuE3ELNS1_3repE0EEENS1_30default_config_static_selectorELNS0_4arch9wavefront6targetE0EEEvS14_.kd
    .uniform_work_group_size: 1
    .uses_dynamic_stack: false
    .vgpr_count:     16
    .vgpr_spill_count: 0
    .wavefront_size: 32
    .workgroup_processor_mode: 1
  - .args:
      - .offset:         0
        .size:           104
        .value_kind:     by_value
    .group_segment_fixed_size: 0
    .kernarg_segment_align: 8
    .kernarg_segment_size: 104
    .language:       OpenCL C
    .language_version:
      - 2
      - 0
    .max_flat_workgroup_size: 256
    .name:           _ZN7rocprim17ROCPRIM_400000_NS6detail17trampoline_kernelINS0_14default_configENS1_22reduce_config_selectorIN6thrust23THRUST_200600_302600_NS5tupleIblNS6_9null_typeES8_S8_S8_S8_S8_S8_S8_EEEEZNS1_11reduce_implILb1ES3_NS6_12zip_iteratorINS7_INS6_11hip_rocprim26transform_input_iterator_tIbNSD_35transform_pair_of_input_iterators_tIbNS6_6detail15normal_iteratorINS6_10device_ptrIKfEEEESL_NS6_8equal_toIfEEEENSG_9not_fun_tINSD_8identityEEEEENSD_19counting_iterator_tIlEES8_S8_S8_S8_S8_S8_S8_S8_EEEEPS9_S9_NSD_9__find_if7functorIS9_EEEE10hipError_tPvRmT1_T2_T3_mT4_P12ihipStream_tbEUlT_E0_NS1_11comp_targetILNS1_3genE8ELNS1_11target_archE1030ELNS1_3gpuE2ELNS1_3repE0EEENS1_30default_config_static_selectorELNS0_4arch9wavefront6targetE0EEEvS14_
    .private_segment_fixed_size: 0
    .sgpr_count:     0
    .sgpr_spill_count: 0
    .symbol:         _ZN7rocprim17ROCPRIM_400000_NS6detail17trampoline_kernelINS0_14default_configENS1_22reduce_config_selectorIN6thrust23THRUST_200600_302600_NS5tupleIblNS6_9null_typeES8_S8_S8_S8_S8_S8_S8_EEEEZNS1_11reduce_implILb1ES3_NS6_12zip_iteratorINS7_INS6_11hip_rocprim26transform_input_iterator_tIbNSD_35transform_pair_of_input_iterators_tIbNS6_6detail15normal_iteratorINS6_10device_ptrIKfEEEESL_NS6_8equal_toIfEEEENSG_9not_fun_tINSD_8identityEEEEENSD_19counting_iterator_tIlEES8_S8_S8_S8_S8_S8_S8_S8_EEEEPS9_S9_NSD_9__find_if7functorIS9_EEEE10hipError_tPvRmT1_T2_T3_mT4_P12ihipStream_tbEUlT_E0_NS1_11comp_targetILNS1_3genE8ELNS1_11target_archE1030ELNS1_3gpuE2ELNS1_3repE0EEENS1_30default_config_static_selectorELNS0_4arch9wavefront6targetE0EEEvS14_.kd
    .uniform_work_group_size: 1
    .uses_dynamic_stack: false
    .vgpr_count:     0
    .vgpr_spill_count: 0
    .wavefront_size: 32
    .workgroup_processor_mode: 1
  - .args:
      - .offset:         0
        .size:           88
        .value_kind:     by_value
    .group_segment_fixed_size: 0
    .kernarg_segment_align: 8
    .kernarg_segment_size: 88
    .language:       OpenCL C
    .language_version:
      - 2
      - 0
    .max_flat_workgroup_size: 128
    .name:           _ZN7rocprim17ROCPRIM_400000_NS6detail17trampoline_kernelINS0_14default_configENS1_22reduce_config_selectorIN6thrust23THRUST_200600_302600_NS5tupleIblNS6_9null_typeES8_S8_S8_S8_S8_S8_S8_EEEEZNS1_11reduce_implILb1ES3_NS6_12zip_iteratorINS7_INS6_11hip_rocprim26transform_input_iterator_tIbNSD_35transform_pair_of_input_iterators_tIbNS6_6detail15normal_iteratorINS6_10device_ptrIKfEEEESL_NS6_8equal_toIfEEEENSG_9not_fun_tINSD_8identityEEEEENSD_19counting_iterator_tIlEES8_S8_S8_S8_S8_S8_S8_S8_EEEEPS9_S9_NSD_9__find_if7functorIS9_EEEE10hipError_tPvRmT1_T2_T3_mT4_P12ihipStream_tbEUlT_E1_NS1_11comp_targetILNS1_3genE0ELNS1_11target_archE4294967295ELNS1_3gpuE0ELNS1_3repE0EEENS1_30default_config_static_selectorELNS0_4arch9wavefront6targetE0EEEvS14_
    .private_segment_fixed_size: 0
    .sgpr_count:     0
    .sgpr_spill_count: 0
    .symbol:         _ZN7rocprim17ROCPRIM_400000_NS6detail17trampoline_kernelINS0_14default_configENS1_22reduce_config_selectorIN6thrust23THRUST_200600_302600_NS5tupleIblNS6_9null_typeES8_S8_S8_S8_S8_S8_S8_EEEEZNS1_11reduce_implILb1ES3_NS6_12zip_iteratorINS7_INS6_11hip_rocprim26transform_input_iterator_tIbNSD_35transform_pair_of_input_iterators_tIbNS6_6detail15normal_iteratorINS6_10device_ptrIKfEEEESL_NS6_8equal_toIfEEEENSG_9not_fun_tINSD_8identityEEEEENSD_19counting_iterator_tIlEES8_S8_S8_S8_S8_S8_S8_S8_EEEEPS9_S9_NSD_9__find_if7functorIS9_EEEE10hipError_tPvRmT1_T2_T3_mT4_P12ihipStream_tbEUlT_E1_NS1_11comp_targetILNS1_3genE0ELNS1_11target_archE4294967295ELNS1_3gpuE0ELNS1_3repE0EEENS1_30default_config_static_selectorELNS0_4arch9wavefront6targetE0EEEvS14_.kd
    .uniform_work_group_size: 1
    .uses_dynamic_stack: false
    .vgpr_count:     0
    .vgpr_spill_count: 0
    .wavefront_size: 32
    .workgroup_processor_mode: 1
  - .args:
      - .offset:         0
        .size:           88
        .value_kind:     by_value
    .group_segment_fixed_size: 0
    .kernarg_segment_align: 8
    .kernarg_segment_size: 88
    .language:       OpenCL C
    .language_version:
      - 2
      - 0
    .max_flat_workgroup_size: 256
    .name:           _ZN7rocprim17ROCPRIM_400000_NS6detail17trampoline_kernelINS0_14default_configENS1_22reduce_config_selectorIN6thrust23THRUST_200600_302600_NS5tupleIblNS6_9null_typeES8_S8_S8_S8_S8_S8_S8_EEEEZNS1_11reduce_implILb1ES3_NS6_12zip_iteratorINS7_INS6_11hip_rocprim26transform_input_iterator_tIbNSD_35transform_pair_of_input_iterators_tIbNS6_6detail15normal_iteratorINS6_10device_ptrIKfEEEESL_NS6_8equal_toIfEEEENSG_9not_fun_tINSD_8identityEEEEENSD_19counting_iterator_tIlEES8_S8_S8_S8_S8_S8_S8_S8_EEEEPS9_S9_NSD_9__find_if7functorIS9_EEEE10hipError_tPvRmT1_T2_T3_mT4_P12ihipStream_tbEUlT_E1_NS1_11comp_targetILNS1_3genE5ELNS1_11target_archE942ELNS1_3gpuE9ELNS1_3repE0EEENS1_30default_config_static_selectorELNS0_4arch9wavefront6targetE0EEEvS14_
    .private_segment_fixed_size: 0
    .sgpr_count:     0
    .sgpr_spill_count: 0
    .symbol:         _ZN7rocprim17ROCPRIM_400000_NS6detail17trampoline_kernelINS0_14default_configENS1_22reduce_config_selectorIN6thrust23THRUST_200600_302600_NS5tupleIblNS6_9null_typeES8_S8_S8_S8_S8_S8_S8_EEEEZNS1_11reduce_implILb1ES3_NS6_12zip_iteratorINS7_INS6_11hip_rocprim26transform_input_iterator_tIbNSD_35transform_pair_of_input_iterators_tIbNS6_6detail15normal_iteratorINS6_10device_ptrIKfEEEESL_NS6_8equal_toIfEEEENSG_9not_fun_tINSD_8identityEEEEENSD_19counting_iterator_tIlEES8_S8_S8_S8_S8_S8_S8_S8_EEEEPS9_S9_NSD_9__find_if7functorIS9_EEEE10hipError_tPvRmT1_T2_T3_mT4_P12ihipStream_tbEUlT_E1_NS1_11comp_targetILNS1_3genE5ELNS1_11target_archE942ELNS1_3gpuE9ELNS1_3repE0EEENS1_30default_config_static_selectorELNS0_4arch9wavefront6targetE0EEEvS14_.kd
    .uniform_work_group_size: 1
    .uses_dynamic_stack: false
    .vgpr_count:     0
    .vgpr_spill_count: 0
    .wavefront_size: 32
    .workgroup_processor_mode: 1
  - .args:
      - .offset:         0
        .size:           88
        .value_kind:     by_value
    .group_segment_fixed_size: 0
    .kernarg_segment_align: 8
    .kernarg_segment_size: 88
    .language:       OpenCL C
    .language_version:
      - 2
      - 0
    .max_flat_workgroup_size: 256
    .name:           _ZN7rocprim17ROCPRIM_400000_NS6detail17trampoline_kernelINS0_14default_configENS1_22reduce_config_selectorIN6thrust23THRUST_200600_302600_NS5tupleIblNS6_9null_typeES8_S8_S8_S8_S8_S8_S8_EEEEZNS1_11reduce_implILb1ES3_NS6_12zip_iteratorINS7_INS6_11hip_rocprim26transform_input_iterator_tIbNSD_35transform_pair_of_input_iterators_tIbNS6_6detail15normal_iteratorINS6_10device_ptrIKfEEEESL_NS6_8equal_toIfEEEENSG_9not_fun_tINSD_8identityEEEEENSD_19counting_iterator_tIlEES8_S8_S8_S8_S8_S8_S8_S8_EEEEPS9_S9_NSD_9__find_if7functorIS9_EEEE10hipError_tPvRmT1_T2_T3_mT4_P12ihipStream_tbEUlT_E1_NS1_11comp_targetILNS1_3genE4ELNS1_11target_archE910ELNS1_3gpuE8ELNS1_3repE0EEENS1_30default_config_static_selectorELNS0_4arch9wavefront6targetE0EEEvS14_
    .private_segment_fixed_size: 0
    .sgpr_count:     0
    .sgpr_spill_count: 0
    .symbol:         _ZN7rocprim17ROCPRIM_400000_NS6detail17trampoline_kernelINS0_14default_configENS1_22reduce_config_selectorIN6thrust23THRUST_200600_302600_NS5tupleIblNS6_9null_typeES8_S8_S8_S8_S8_S8_S8_EEEEZNS1_11reduce_implILb1ES3_NS6_12zip_iteratorINS7_INS6_11hip_rocprim26transform_input_iterator_tIbNSD_35transform_pair_of_input_iterators_tIbNS6_6detail15normal_iteratorINS6_10device_ptrIKfEEEESL_NS6_8equal_toIfEEEENSG_9not_fun_tINSD_8identityEEEEENSD_19counting_iterator_tIlEES8_S8_S8_S8_S8_S8_S8_S8_EEEEPS9_S9_NSD_9__find_if7functorIS9_EEEE10hipError_tPvRmT1_T2_T3_mT4_P12ihipStream_tbEUlT_E1_NS1_11comp_targetILNS1_3genE4ELNS1_11target_archE910ELNS1_3gpuE8ELNS1_3repE0EEENS1_30default_config_static_selectorELNS0_4arch9wavefront6targetE0EEEvS14_.kd
    .uniform_work_group_size: 1
    .uses_dynamic_stack: false
    .vgpr_count:     0
    .vgpr_spill_count: 0
    .wavefront_size: 32
    .workgroup_processor_mode: 1
  - .args:
      - .offset:         0
        .size:           88
        .value_kind:     by_value
    .group_segment_fixed_size: 0
    .kernarg_segment_align: 8
    .kernarg_segment_size: 88
    .language:       OpenCL C
    .language_version:
      - 2
      - 0
    .max_flat_workgroup_size: 128
    .name:           _ZN7rocprim17ROCPRIM_400000_NS6detail17trampoline_kernelINS0_14default_configENS1_22reduce_config_selectorIN6thrust23THRUST_200600_302600_NS5tupleIblNS6_9null_typeES8_S8_S8_S8_S8_S8_S8_EEEEZNS1_11reduce_implILb1ES3_NS6_12zip_iteratorINS7_INS6_11hip_rocprim26transform_input_iterator_tIbNSD_35transform_pair_of_input_iterators_tIbNS6_6detail15normal_iteratorINS6_10device_ptrIKfEEEESL_NS6_8equal_toIfEEEENSG_9not_fun_tINSD_8identityEEEEENSD_19counting_iterator_tIlEES8_S8_S8_S8_S8_S8_S8_S8_EEEEPS9_S9_NSD_9__find_if7functorIS9_EEEE10hipError_tPvRmT1_T2_T3_mT4_P12ihipStream_tbEUlT_E1_NS1_11comp_targetILNS1_3genE3ELNS1_11target_archE908ELNS1_3gpuE7ELNS1_3repE0EEENS1_30default_config_static_selectorELNS0_4arch9wavefront6targetE0EEEvS14_
    .private_segment_fixed_size: 0
    .sgpr_count:     0
    .sgpr_spill_count: 0
    .symbol:         _ZN7rocprim17ROCPRIM_400000_NS6detail17trampoline_kernelINS0_14default_configENS1_22reduce_config_selectorIN6thrust23THRUST_200600_302600_NS5tupleIblNS6_9null_typeES8_S8_S8_S8_S8_S8_S8_EEEEZNS1_11reduce_implILb1ES3_NS6_12zip_iteratorINS7_INS6_11hip_rocprim26transform_input_iterator_tIbNSD_35transform_pair_of_input_iterators_tIbNS6_6detail15normal_iteratorINS6_10device_ptrIKfEEEESL_NS6_8equal_toIfEEEENSG_9not_fun_tINSD_8identityEEEEENSD_19counting_iterator_tIlEES8_S8_S8_S8_S8_S8_S8_S8_EEEEPS9_S9_NSD_9__find_if7functorIS9_EEEE10hipError_tPvRmT1_T2_T3_mT4_P12ihipStream_tbEUlT_E1_NS1_11comp_targetILNS1_3genE3ELNS1_11target_archE908ELNS1_3gpuE7ELNS1_3repE0EEENS1_30default_config_static_selectorELNS0_4arch9wavefront6targetE0EEEvS14_.kd
    .uniform_work_group_size: 1
    .uses_dynamic_stack: false
    .vgpr_count:     0
    .vgpr_spill_count: 0
    .wavefront_size: 32
    .workgroup_processor_mode: 1
  - .args:
      - .offset:         0
        .size:           88
        .value_kind:     by_value
    .group_segment_fixed_size: 0
    .kernarg_segment_align: 8
    .kernarg_segment_size: 88
    .language:       OpenCL C
    .language_version:
      - 2
      - 0
    .max_flat_workgroup_size: 128
    .name:           _ZN7rocprim17ROCPRIM_400000_NS6detail17trampoline_kernelINS0_14default_configENS1_22reduce_config_selectorIN6thrust23THRUST_200600_302600_NS5tupleIblNS6_9null_typeES8_S8_S8_S8_S8_S8_S8_EEEEZNS1_11reduce_implILb1ES3_NS6_12zip_iteratorINS7_INS6_11hip_rocprim26transform_input_iterator_tIbNSD_35transform_pair_of_input_iterators_tIbNS6_6detail15normal_iteratorINS6_10device_ptrIKfEEEESL_NS6_8equal_toIfEEEENSG_9not_fun_tINSD_8identityEEEEENSD_19counting_iterator_tIlEES8_S8_S8_S8_S8_S8_S8_S8_EEEEPS9_S9_NSD_9__find_if7functorIS9_EEEE10hipError_tPvRmT1_T2_T3_mT4_P12ihipStream_tbEUlT_E1_NS1_11comp_targetILNS1_3genE2ELNS1_11target_archE906ELNS1_3gpuE6ELNS1_3repE0EEENS1_30default_config_static_selectorELNS0_4arch9wavefront6targetE0EEEvS14_
    .private_segment_fixed_size: 0
    .sgpr_count:     0
    .sgpr_spill_count: 0
    .symbol:         _ZN7rocprim17ROCPRIM_400000_NS6detail17trampoline_kernelINS0_14default_configENS1_22reduce_config_selectorIN6thrust23THRUST_200600_302600_NS5tupleIblNS6_9null_typeES8_S8_S8_S8_S8_S8_S8_EEEEZNS1_11reduce_implILb1ES3_NS6_12zip_iteratorINS7_INS6_11hip_rocprim26transform_input_iterator_tIbNSD_35transform_pair_of_input_iterators_tIbNS6_6detail15normal_iteratorINS6_10device_ptrIKfEEEESL_NS6_8equal_toIfEEEENSG_9not_fun_tINSD_8identityEEEEENSD_19counting_iterator_tIlEES8_S8_S8_S8_S8_S8_S8_S8_EEEEPS9_S9_NSD_9__find_if7functorIS9_EEEE10hipError_tPvRmT1_T2_T3_mT4_P12ihipStream_tbEUlT_E1_NS1_11comp_targetILNS1_3genE2ELNS1_11target_archE906ELNS1_3gpuE6ELNS1_3repE0EEENS1_30default_config_static_selectorELNS0_4arch9wavefront6targetE0EEEvS14_.kd
    .uniform_work_group_size: 1
    .uses_dynamic_stack: false
    .vgpr_count:     0
    .vgpr_spill_count: 0
    .wavefront_size: 32
    .workgroup_processor_mode: 1
  - .args:
      - .offset:         0
        .size:           88
        .value_kind:     by_value
    .group_segment_fixed_size: 0
    .kernarg_segment_align: 8
    .kernarg_segment_size: 88
    .language:       OpenCL C
    .language_version:
      - 2
      - 0
    .max_flat_workgroup_size: 256
    .name:           _ZN7rocprim17ROCPRIM_400000_NS6detail17trampoline_kernelINS0_14default_configENS1_22reduce_config_selectorIN6thrust23THRUST_200600_302600_NS5tupleIblNS6_9null_typeES8_S8_S8_S8_S8_S8_S8_EEEEZNS1_11reduce_implILb1ES3_NS6_12zip_iteratorINS7_INS6_11hip_rocprim26transform_input_iterator_tIbNSD_35transform_pair_of_input_iterators_tIbNS6_6detail15normal_iteratorINS6_10device_ptrIKfEEEESL_NS6_8equal_toIfEEEENSG_9not_fun_tINSD_8identityEEEEENSD_19counting_iterator_tIlEES8_S8_S8_S8_S8_S8_S8_S8_EEEEPS9_S9_NSD_9__find_if7functorIS9_EEEE10hipError_tPvRmT1_T2_T3_mT4_P12ihipStream_tbEUlT_E1_NS1_11comp_targetILNS1_3genE10ELNS1_11target_archE1201ELNS1_3gpuE5ELNS1_3repE0EEENS1_30default_config_static_selectorELNS0_4arch9wavefront6targetE0EEEvS14_
    .private_segment_fixed_size: 0
    .sgpr_count:     0
    .sgpr_spill_count: 0
    .symbol:         _ZN7rocprim17ROCPRIM_400000_NS6detail17trampoline_kernelINS0_14default_configENS1_22reduce_config_selectorIN6thrust23THRUST_200600_302600_NS5tupleIblNS6_9null_typeES8_S8_S8_S8_S8_S8_S8_EEEEZNS1_11reduce_implILb1ES3_NS6_12zip_iteratorINS7_INS6_11hip_rocprim26transform_input_iterator_tIbNSD_35transform_pair_of_input_iterators_tIbNS6_6detail15normal_iteratorINS6_10device_ptrIKfEEEESL_NS6_8equal_toIfEEEENSG_9not_fun_tINSD_8identityEEEEENSD_19counting_iterator_tIlEES8_S8_S8_S8_S8_S8_S8_S8_EEEEPS9_S9_NSD_9__find_if7functorIS9_EEEE10hipError_tPvRmT1_T2_T3_mT4_P12ihipStream_tbEUlT_E1_NS1_11comp_targetILNS1_3genE10ELNS1_11target_archE1201ELNS1_3gpuE5ELNS1_3repE0EEENS1_30default_config_static_selectorELNS0_4arch9wavefront6targetE0EEEvS14_.kd
    .uniform_work_group_size: 1
    .uses_dynamic_stack: false
    .vgpr_count:     0
    .vgpr_spill_count: 0
    .wavefront_size: 32
    .workgroup_processor_mode: 1
  - .args:
      - .offset:         0
        .size:           88
        .value_kind:     by_value
    .group_segment_fixed_size: 0
    .kernarg_segment_align: 8
    .kernarg_segment_size: 88
    .language:       OpenCL C
    .language_version:
      - 2
      - 0
    .max_flat_workgroup_size: 256
    .name:           _ZN7rocprim17ROCPRIM_400000_NS6detail17trampoline_kernelINS0_14default_configENS1_22reduce_config_selectorIN6thrust23THRUST_200600_302600_NS5tupleIblNS6_9null_typeES8_S8_S8_S8_S8_S8_S8_EEEEZNS1_11reduce_implILb1ES3_NS6_12zip_iteratorINS7_INS6_11hip_rocprim26transform_input_iterator_tIbNSD_35transform_pair_of_input_iterators_tIbNS6_6detail15normal_iteratorINS6_10device_ptrIKfEEEESL_NS6_8equal_toIfEEEENSG_9not_fun_tINSD_8identityEEEEENSD_19counting_iterator_tIlEES8_S8_S8_S8_S8_S8_S8_S8_EEEEPS9_S9_NSD_9__find_if7functorIS9_EEEE10hipError_tPvRmT1_T2_T3_mT4_P12ihipStream_tbEUlT_E1_NS1_11comp_targetILNS1_3genE10ELNS1_11target_archE1200ELNS1_3gpuE4ELNS1_3repE0EEENS1_30default_config_static_selectorELNS0_4arch9wavefront6targetE0EEEvS14_
    .private_segment_fixed_size: 0
    .sgpr_count:     0
    .sgpr_spill_count: 0
    .symbol:         _ZN7rocprim17ROCPRIM_400000_NS6detail17trampoline_kernelINS0_14default_configENS1_22reduce_config_selectorIN6thrust23THRUST_200600_302600_NS5tupleIblNS6_9null_typeES8_S8_S8_S8_S8_S8_S8_EEEEZNS1_11reduce_implILb1ES3_NS6_12zip_iteratorINS7_INS6_11hip_rocprim26transform_input_iterator_tIbNSD_35transform_pair_of_input_iterators_tIbNS6_6detail15normal_iteratorINS6_10device_ptrIKfEEEESL_NS6_8equal_toIfEEEENSG_9not_fun_tINSD_8identityEEEEENSD_19counting_iterator_tIlEES8_S8_S8_S8_S8_S8_S8_S8_EEEEPS9_S9_NSD_9__find_if7functorIS9_EEEE10hipError_tPvRmT1_T2_T3_mT4_P12ihipStream_tbEUlT_E1_NS1_11comp_targetILNS1_3genE10ELNS1_11target_archE1200ELNS1_3gpuE4ELNS1_3repE0EEENS1_30default_config_static_selectorELNS0_4arch9wavefront6targetE0EEEvS14_.kd
    .uniform_work_group_size: 1
    .uses_dynamic_stack: false
    .vgpr_count:     0
    .vgpr_spill_count: 0
    .wavefront_size: 32
    .workgroup_processor_mode: 1
  - .args:
      - .offset:         0
        .size:           88
        .value_kind:     by_value
    .group_segment_fixed_size: 640
    .kernarg_segment_align: 8
    .kernarg_segment_size: 88
    .language:       OpenCL C
    .language_version:
      - 2
      - 0
    .max_flat_workgroup_size: 256
    .name:           _ZN7rocprim17ROCPRIM_400000_NS6detail17trampoline_kernelINS0_14default_configENS1_22reduce_config_selectorIN6thrust23THRUST_200600_302600_NS5tupleIblNS6_9null_typeES8_S8_S8_S8_S8_S8_S8_EEEEZNS1_11reduce_implILb1ES3_NS6_12zip_iteratorINS7_INS6_11hip_rocprim26transform_input_iterator_tIbNSD_35transform_pair_of_input_iterators_tIbNS6_6detail15normal_iteratorINS6_10device_ptrIKfEEEESL_NS6_8equal_toIfEEEENSG_9not_fun_tINSD_8identityEEEEENSD_19counting_iterator_tIlEES8_S8_S8_S8_S8_S8_S8_S8_EEEEPS9_S9_NSD_9__find_if7functorIS9_EEEE10hipError_tPvRmT1_T2_T3_mT4_P12ihipStream_tbEUlT_E1_NS1_11comp_targetILNS1_3genE9ELNS1_11target_archE1100ELNS1_3gpuE3ELNS1_3repE0EEENS1_30default_config_static_selectorELNS0_4arch9wavefront6targetE0EEEvS14_
    .private_segment_fixed_size: 0
    .sgpr_count:     34
    .sgpr_spill_count: 0
    .symbol:         _ZN7rocprim17ROCPRIM_400000_NS6detail17trampoline_kernelINS0_14default_configENS1_22reduce_config_selectorIN6thrust23THRUST_200600_302600_NS5tupleIblNS6_9null_typeES8_S8_S8_S8_S8_S8_S8_EEEEZNS1_11reduce_implILb1ES3_NS6_12zip_iteratorINS7_INS6_11hip_rocprim26transform_input_iterator_tIbNSD_35transform_pair_of_input_iterators_tIbNS6_6detail15normal_iteratorINS6_10device_ptrIKfEEEESL_NS6_8equal_toIfEEEENSG_9not_fun_tINSD_8identityEEEEENSD_19counting_iterator_tIlEES8_S8_S8_S8_S8_S8_S8_S8_EEEEPS9_S9_NSD_9__find_if7functorIS9_EEEE10hipError_tPvRmT1_T2_T3_mT4_P12ihipStream_tbEUlT_E1_NS1_11comp_targetILNS1_3genE9ELNS1_11target_archE1100ELNS1_3gpuE3ELNS1_3repE0EEENS1_30default_config_static_selectorELNS0_4arch9wavefront6targetE0EEEvS14_.kd
    .uniform_work_group_size: 1
    .uses_dynamic_stack: false
    .vgpr_count:     27
    .vgpr_spill_count: 0
    .wavefront_size: 32
    .workgroup_processor_mode: 1
  - .args:
      - .offset:         0
        .size:           88
        .value_kind:     by_value
    .group_segment_fixed_size: 0
    .kernarg_segment_align: 8
    .kernarg_segment_size: 88
    .language:       OpenCL C
    .language_version:
      - 2
      - 0
    .max_flat_workgroup_size: 256
    .name:           _ZN7rocprim17ROCPRIM_400000_NS6detail17trampoline_kernelINS0_14default_configENS1_22reduce_config_selectorIN6thrust23THRUST_200600_302600_NS5tupleIblNS6_9null_typeES8_S8_S8_S8_S8_S8_S8_EEEEZNS1_11reduce_implILb1ES3_NS6_12zip_iteratorINS7_INS6_11hip_rocprim26transform_input_iterator_tIbNSD_35transform_pair_of_input_iterators_tIbNS6_6detail15normal_iteratorINS6_10device_ptrIKfEEEESL_NS6_8equal_toIfEEEENSG_9not_fun_tINSD_8identityEEEEENSD_19counting_iterator_tIlEES8_S8_S8_S8_S8_S8_S8_S8_EEEEPS9_S9_NSD_9__find_if7functorIS9_EEEE10hipError_tPvRmT1_T2_T3_mT4_P12ihipStream_tbEUlT_E1_NS1_11comp_targetILNS1_3genE8ELNS1_11target_archE1030ELNS1_3gpuE2ELNS1_3repE0EEENS1_30default_config_static_selectorELNS0_4arch9wavefront6targetE0EEEvS14_
    .private_segment_fixed_size: 0
    .sgpr_count:     0
    .sgpr_spill_count: 0
    .symbol:         _ZN7rocprim17ROCPRIM_400000_NS6detail17trampoline_kernelINS0_14default_configENS1_22reduce_config_selectorIN6thrust23THRUST_200600_302600_NS5tupleIblNS6_9null_typeES8_S8_S8_S8_S8_S8_S8_EEEEZNS1_11reduce_implILb1ES3_NS6_12zip_iteratorINS7_INS6_11hip_rocprim26transform_input_iterator_tIbNSD_35transform_pair_of_input_iterators_tIbNS6_6detail15normal_iteratorINS6_10device_ptrIKfEEEESL_NS6_8equal_toIfEEEENSG_9not_fun_tINSD_8identityEEEEENSD_19counting_iterator_tIlEES8_S8_S8_S8_S8_S8_S8_S8_EEEEPS9_S9_NSD_9__find_if7functorIS9_EEEE10hipError_tPvRmT1_T2_T3_mT4_P12ihipStream_tbEUlT_E1_NS1_11comp_targetILNS1_3genE8ELNS1_11target_archE1030ELNS1_3gpuE2ELNS1_3repE0EEENS1_30default_config_static_selectorELNS0_4arch9wavefront6targetE0EEEvS14_.kd
    .uniform_work_group_size: 1
    .uses_dynamic_stack: false
    .vgpr_count:     0
    .vgpr_spill_count: 0
    .wavefront_size: 32
    .workgroup_processor_mode: 1
  - .args:
      - .offset:         0
        .size:           40
        .value_kind:     by_value
      - .offset:         40
        .size:           8
        .value_kind:     by_value
      - .offset:         48
        .size:           8
        .value_kind:     by_value
    .group_segment_fixed_size: 0
    .kernarg_segment_align: 8
    .kernarg_segment_size: 56
    .language:       OpenCL C
    .language_version:
      - 2
      - 0
    .max_flat_workgroup_size: 256
    .name:           _ZN6thrust23THRUST_200600_302600_NS11hip_rocprim14__parallel_for6kernelILj256ENS1_11__transform17unary_transform_fINS0_12zip_iteratorINS0_5tupleINS0_6detail15normal_iteratorINS0_10device_ptrIyEEEESC_NS0_9null_typeESD_SD_SD_SD_SD_SD_SD_EEEESF_NS4_14no_stencil_tagENS0_8identityINS7_IyySD_SD_SD_SD_SD_SD_SD_SD_EEEENS4_21always_true_predicateEEElLj1EEEvT0_T1_SN_
    .private_segment_fixed_size: 0
    .sgpr_count:     22
    .sgpr_spill_count: 0
    .symbol:         _ZN6thrust23THRUST_200600_302600_NS11hip_rocprim14__parallel_for6kernelILj256ENS1_11__transform17unary_transform_fINS0_12zip_iteratorINS0_5tupleINS0_6detail15normal_iteratorINS0_10device_ptrIyEEEESC_NS0_9null_typeESD_SD_SD_SD_SD_SD_SD_EEEESF_NS4_14no_stencil_tagENS0_8identityINS7_IyySD_SD_SD_SD_SD_SD_SD_SD_EEEENS4_21always_true_predicateEEElLj1EEEvT0_T1_SN_.kd
    .uniform_work_group_size: 1
    .uses_dynamic_stack: false
    .vgpr_count:     9
    .vgpr_spill_count: 0
    .wavefront_size: 32
    .workgroup_processor_mode: 1
  - .args:
      - .offset:         0
        .size:           104
        .value_kind:     by_value
    .group_segment_fixed_size: 0
    .kernarg_segment_align: 8
    .kernarg_segment_size: 104
    .language:       OpenCL C
    .language_version:
      - 2
      - 0
    .max_flat_workgroup_size: 128
    .name:           _ZN7rocprim17ROCPRIM_400000_NS6detail17trampoline_kernelINS0_14default_configENS1_22reduce_config_selectorIN6thrust23THRUST_200600_302600_NS5tupleIblNS6_9null_typeES8_S8_S8_S8_S8_S8_S8_EEEEZNS1_11reduce_implILb1ES3_NS6_12zip_iteratorINS7_INS6_11hip_rocprim26transform_input_iterator_tIbNSD_35transform_pair_of_input_iterators_tIbNS6_6detail15normal_iteratorINS6_10device_ptrIKyEEEESL_NS6_8equal_toIyEEEENSG_9not_fun_tINSD_8identityEEEEENSD_19counting_iterator_tIlEES8_S8_S8_S8_S8_S8_S8_S8_EEEEPS9_S9_NSD_9__find_if7functorIS9_EEEE10hipError_tPvRmT1_T2_T3_mT4_P12ihipStream_tbEUlT_E0_NS1_11comp_targetILNS1_3genE0ELNS1_11target_archE4294967295ELNS1_3gpuE0ELNS1_3repE0EEENS1_30default_config_static_selectorELNS0_4arch9wavefront6targetE0EEEvS14_
    .private_segment_fixed_size: 0
    .sgpr_count:     0
    .sgpr_spill_count: 0
    .symbol:         _ZN7rocprim17ROCPRIM_400000_NS6detail17trampoline_kernelINS0_14default_configENS1_22reduce_config_selectorIN6thrust23THRUST_200600_302600_NS5tupleIblNS6_9null_typeES8_S8_S8_S8_S8_S8_S8_EEEEZNS1_11reduce_implILb1ES3_NS6_12zip_iteratorINS7_INS6_11hip_rocprim26transform_input_iterator_tIbNSD_35transform_pair_of_input_iterators_tIbNS6_6detail15normal_iteratorINS6_10device_ptrIKyEEEESL_NS6_8equal_toIyEEEENSG_9not_fun_tINSD_8identityEEEEENSD_19counting_iterator_tIlEES8_S8_S8_S8_S8_S8_S8_S8_EEEEPS9_S9_NSD_9__find_if7functorIS9_EEEE10hipError_tPvRmT1_T2_T3_mT4_P12ihipStream_tbEUlT_E0_NS1_11comp_targetILNS1_3genE0ELNS1_11target_archE4294967295ELNS1_3gpuE0ELNS1_3repE0EEENS1_30default_config_static_selectorELNS0_4arch9wavefront6targetE0EEEvS14_.kd
    .uniform_work_group_size: 1
    .uses_dynamic_stack: false
    .vgpr_count:     0
    .vgpr_spill_count: 0
    .wavefront_size: 32
    .workgroup_processor_mode: 1
  - .args:
      - .offset:         0
        .size:           104
        .value_kind:     by_value
    .group_segment_fixed_size: 0
    .kernarg_segment_align: 8
    .kernarg_segment_size: 104
    .language:       OpenCL C
    .language_version:
      - 2
      - 0
    .max_flat_workgroup_size: 256
    .name:           _ZN7rocprim17ROCPRIM_400000_NS6detail17trampoline_kernelINS0_14default_configENS1_22reduce_config_selectorIN6thrust23THRUST_200600_302600_NS5tupleIblNS6_9null_typeES8_S8_S8_S8_S8_S8_S8_EEEEZNS1_11reduce_implILb1ES3_NS6_12zip_iteratorINS7_INS6_11hip_rocprim26transform_input_iterator_tIbNSD_35transform_pair_of_input_iterators_tIbNS6_6detail15normal_iteratorINS6_10device_ptrIKyEEEESL_NS6_8equal_toIyEEEENSG_9not_fun_tINSD_8identityEEEEENSD_19counting_iterator_tIlEES8_S8_S8_S8_S8_S8_S8_S8_EEEEPS9_S9_NSD_9__find_if7functorIS9_EEEE10hipError_tPvRmT1_T2_T3_mT4_P12ihipStream_tbEUlT_E0_NS1_11comp_targetILNS1_3genE5ELNS1_11target_archE942ELNS1_3gpuE9ELNS1_3repE0EEENS1_30default_config_static_selectorELNS0_4arch9wavefront6targetE0EEEvS14_
    .private_segment_fixed_size: 0
    .sgpr_count:     0
    .sgpr_spill_count: 0
    .symbol:         _ZN7rocprim17ROCPRIM_400000_NS6detail17trampoline_kernelINS0_14default_configENS1_22reduce_config_selectorIN6thrust23THRUST_200600_302600_NS5tupleIblNS6_9null_typeES8_S8_S8_S8_S8_S8_S8_EEEEZNS1_11reduce_implILb1ES3_NS6_12zip_iteratorINS7_INS6_11hip_rocprim26transform_input_iterator_tIbNSD_35transform_pair_of_input_iterators_tIbNS6_6detail15normal_iteratorINS6_10device_ptrIKyEEEESL_NS6_8equal_toIyEEEENSG_9not_fun_tINSD_8identityEEEEENSD_19counting_iterator_tIlEES8_S8_S8_S8_S8_S8_S8_S8_EEEEPS9_S9_NSD_9__find_if7functorIS9_EEEE10hipError_tPvRmT1_T2_T3_mT4_P12ihipStream_tbEUlT_E0_NS1_11comp_targetILNS1_3genE5ELNS1_11target_archE942ELNS1_3gpuE9ELNS1_3repE0EEENS1_30default_config_static_selectorELNS0_4arch9wavefront6targetE0EEEvS14_.kd
    .uniform_work_group_size: 1
    .uses_dynamic_stack: false
    .vgpr_count:     0
    .vgpr_spill_count: 0
    .wavefront_size: 32
    .workgroup_processor_mode: 1
  - .args:
      - .offset:         0
        .size:           104
        .value_kind:     by_value
    .group_segment_fixed_size: 0
    .kernarg_segment_align: 8
    .kernarg_segment_size: 104
    .language:       OpenCL C
    .language_version:
      - 2
      - 0
    .max_flat_workgroup_size: 256
    .name:           _ZN7rocprim17ROCPRIM_400000_NS6detail17trampoline_kernelINS0_14default_configENS1_22reduce_config_selectorIN6thrust23THRUST_200600_302600_NS5tupleIblNS6_9null_typeES8_S8_S8_S8_S8_S8_S8_EEEEZNS1_11reduce_implILb1ES3_NS6_12zip_iteratorINS7_INS6_11hip_rocprim26transform_input_iterator_tIbNSD_35transform_pair_of_input_iterators_tIbNS6_6detail15normal_iteratorINS6_10device_ptrIKyEEEESL_NS6_8equal_toIyEEEENSG_9not_fun_tINSD_8identityEEEEENSD_19counting_iterator_tIlEES8_S8_S8_S8_S8_S8_S8_S8_EEEEPS9_S9_NSD_9__find_if7functorIS9_EEEE10hipError_tPvRmT1_T2_T3_mT4_P12ihipStream_tbEUlT_E0_NS1_11comp_targetILNS1_3genE4ELNS1_11target_archE910ELNS1_3gpuE8ELNS1_3repE0EEENS1_30default_config_static_selectorELNS0_4arch9wavefront6targetE0EEEvS14_
    .private_segment_fixed_size: 0
    .sgpr_count:     0
    .sgpr_spill_count: 0
    .symbol:         _ZN7rocprim17ROCPRIM_400000_NS6detail17trampoline_kernelINS0_14default_configENS1_22reduce_config_selectorIN6thrust23THRUST_200600_302600_NS5tupleIblNS6_9null_typeES8_S8_S8_S8_S8_S8_S8_EEEEZNS1_11reduce_implILb1ES3_NS6_12zip_iteratorINS7_INS6_11hip_rocprim26transform_input_iterator_tIbNSD_35transform_pair_of_input_iterators_tIbNS6_6detail15normal_iteratorINS6_10device_ptrIKyEEEESL_NS6_8equal_toIyEEEENSG_9not_fun_tINSD_8identityEEEEENSD_19counting_iterator_tIlEES8_S8_S8_S8_S8_S8_S8_S8_EEEEPS9_S9_NSD_9__find_if7functorIS9_EEEE10hipError_tPvRmT1_T2_T3_mT4_P12ihipStream_tbEUlT_E0_NS1_11comp_targetILNS1_3genE4ELNS1_11target_archE910ELNS1_3gpuE8ELNS1_3repE0EEENS1_30default_config_static_selectorELNS0_4arch9wavefront6targetE0EEEvS14_.kd
    .uniform_work_group_size: 1
    .uses_dynamic_stack: false
    .vgpr_count:     0
    .vgpr_spill_count: 0
    .wavefront_size: 32
    .workgroup_processor_mode: 1
  - .args:
      - .offset:         0
        .size:           104
        .value_kind:     by_value
    .group_segment_fixed_size: 0
    .kernarg_segment_align: 8
    .kernarg_segment_size: 104
    .language:       OpenCL C
    .language_version:
      - 2
      - 0
    .max_flat_workgroup_size: 128
    .name:           _ZN7rocprim17ROCPRIM_400000_NS6detail17trampoline_kernelINS0_14default_configENS1_22reduce_config_selectorIN6thrust23THRUST_200600_302600_NS5tupleIblNS6_9null_typeES8_S8_S8_S8_S8_S8_S8_EEEEZNS1_11reduce_implILb1ES3_NS6_12zip_iteratorINS7_INS6_11hip_rocprim26transform_input_iterator_tIbNSD_35transform_pair_of_input_iterators_tIbNS6_6detail15normal_iteratorINS6_10device_ptrIKyEEEESL_NS6_8equal_toIyEEEENSG_9not_fun_tINSD_8identityEEEEENSD_19counting_iterator_tIlEES8_S8_S8_S8_S8_S8_S8_S8_EEEEPS9_S9_NSD_9__find_if7functorIS9_EEEE10hipError_tPvRmT1_T2_T3_mT4_P12ihipStream_tbEUlT_E0_NS1_11comp_targetILNS1_3genE3ELNS1_11target_archE908ELNS1_3gpuE7ELNS1_3repE0EEENS1_30default_config_static_selectorELNS0_4arch9wavefront6targetE0EEEvS14_
    .private_segment_fixed_size: 0
    .sgpr_count:     0
    .sgpr_spill_count: 0
    .symbol:         _ZN7rocprim17ROCPRIM_400000_NS6detail17trampoline_kernelINS0_14default_configENS1_22reduce_config_selectorIN6thrust23THRUST_200600_302600_NS5tupleIblNS6_9null_typeES8_S8_S8_S8_S8_S8_S8_EEEEZNS1_11reduce_implILb1ES3_NS6_12zip_iteratorINS7_INS6_11hip_rocprim26transform_input_iterator_tIbNSD_35transform_pair_of_input_iterators_tIbNS6_6detail15normal_iteratorINS6_10device_ptrIKyEEEESL_NS6_8equal_toIyEEEENSG_9not_fun_tINSD_8identityEEEEENSD_19counting_iterator_tIlEES8_S8_S8_S8_S8_S8_S8_S8_EEEEPS9_S9_NSD_9__find_if7functorIS9_EEEE10hipError_tPvRmT1_T2_T3_mT4_P12ihipStream_tbEUlT_E0_NS1_11comp_targetILNS1_3genE3ELNS1_11target_archE908ELNS1_3gpuE7ELNS1_3repE0EEENS1_30default_config_static_selectorELNS0_4arch9wavefront6targetE0EEEvS14_.kd
    .uniform_work_group_size: 1
    .uses_dynamic_stack: false
    .vgpr_count:     0
    .vgpr_spill_count: 0
    .wavefront_size: 32
    .workgroup_processor_mode: 1
  - .args:
      - .offset:         0
        .size:           104
        .value_kind:     by_value
    .group_segment_fixed_size: 0
    .kernarg_segment_align: 8
    .kernarg_segment_size: 104
    .language:       OpenCL C
    .language_version:
      - 2
      - 0
    .max_flat_workgroup_size: 128
    .name:           _ZN7rocprim17ROCPRIM_400000_NS6detail17trampoline_kernelINS0_14default_configENS1_22reduce_config_selectorIN6thrust23THRUST_200600_302600_NS5tupleIblNS6_9null_typeES8_S8_S8_S8_S8_S8_S8_EEEEZNS1_11reduce_implILb1ES3_NS6_12zip_iteratorINS7_INS6_11hip_rocprim26transform_input_iterator_tIbNSD_35transform_pair_of_input_iterators_tIbNS6_6detail15normal_iteratorINS6_10device_ptrIKyEEEESL_NS6_8equal_toIyEEEENSG_9not_fun_tINSD_8identityEEEEENSD_19counting_iterator_tIlEES8_S8_S8_S8_S8_S8_S8_S8_EEEEPS9_S9_NSD_9__find_if7functorIS9_EEEE10hipError_tPvRmT1_T2_T3_mT4_P12ihipStream_tbEUlT_E0_NS1_11comp_targetILNS1_3genE2ELNS1_11target_archE906ELNS1_3gpuE6ELNS1_3repE0EEENS1_30default_config_static_selectorELNS0_4arch9wavefront6targetE0EEEvS14_
    .private_segment_fixed_size: 0
    .sgpr_count:     0
    .sgpr_spill_count: 0
    .symbol:         _ZN7rocprim17ROCPRIM_400000_NS6detail17trampoline_kernelINS0_14default_configENS1_22reduce_config_selectorIN6thrust23THRUST_200600_302600_NS5tupleIblNS6_9null_typeES8_S8_S8_S8_S8_S8_S8_EEEEZNS1_11reduce_implILb1ES3_NS6_12zip_iteratorINS7_INS6_11hip_rocprim26transform_input_iterator_tIbNSD_35transform_pair_of_input_iterators_tIbNS6_6detail15normal_iteratorINS6_10device_ptrIKyEEEESL_NS6_8equal_toIyEEEENSG_9not_fun_tINSD_8identityEEEEENSD_19counting_iterator_tIlEES8_S8_S8_S8_S8_S8_S8_S8_EEEEPS9_S9_NSD_9__find_if7functorIS9_EEEE10hipError_tPvRmT1_T2_T3_mT4_P12ihipStream_tbEUlT_E0_NS1_11comp_targetILNS1_3genE2ELNS1_11target_archE906ELNS1_3gpuE6ELNS1_3repE0EEENS1_30default_config_static_selectorELNS0_4arch9wavefront6targetE0EEEvS14_.kd
    .uniform_work_group_size: 1
    .uses_dynamic_stack: false
    .vgpr_count:     0
    .vgpr_spill_count: 0
    .wavefront_size: 32
    .workgroup_processor_mode: 1
  - .args:
      - .offset:         0
        .size:           104
        .value_kind:     by_value
    .group_segment_fixed_size: 0
    .kernarg_segment_align: 8
    .kernarg_segment_size: 104
    .language:       OpenCL C
    .language_version:
      - 2
      - 0
    .max_flat_workgroup_size: 256
    .name:           _ZN7rocprim17ROCPRIM_400000_NS6detail17trampoline_kernelINS0_14default_configENS1_22reduce_config_selectorIN6thrust23THRUST_200600_302600_NS5tupleIblNS6_9null_typeES8_S8_S8_S8_S8_S8_S8_EEEEZNS1_11reduce_implILb1ES3_NS6_12zip_iteratorINS7_INS6_11hip_rocprim26transform_input_iterator_tIbNSD_35transform_pair_of_input_iterators_tIbNS6_6detail15normal_iteratorINS6_10device_ptrIKyEEEESL_NS6_8equal_toIyEEEENSG_9not_fun_tINSD_8identityEEEEENSD_19counting_iterator_tIlEES8_S8_S8_S8_S8_S8_S8_S8_EEEEPS9_S9_NSD_9__find_if7functorIS9_EEEE10hipError_tPvRmT1_T2_T3_mT4_P12ihipStream_tbEUlT_E0_NS1_11comp_targetILNS1_3genE10ELNS1_11target_archE1201ELNS1_3gpuE5ELNS1_3repE0EEENS1_30default_config_static_selectorELNS0_4arch9wavefront6targetE0EEEvS14_
    .private_segment_fixed_size: 0
    .sgpr_count:     0
    .sgpr_spill_count: 0
    .symbol:         _ZN7rocprim17ROCPRIM_400000_NS6detail17trampoline_kernelINS0_14default_configENS1_22reduce_config_selectorIN6thrust23THRUST_200600_302600_NS5tupleIblNS6_9null_typeES8_S8_S8_S8_S8_S8_S8_EEEEZNS1_11reduce_implILb1ES3_NS6_12zip_iteratorINS7_INS6_11hip_rocprim26transform_input_iterator_tIbNSD_35transform_pair_of_input_iterators_tIbNS6_6detail15normal_iteratorINS6_10device_ptrIKyEEEESL_NS6_8equal_toIyEEEENSG_9not_fun_tINSD_8identityEEEEENSD_19counting_iterator_tIlEES8_S8_S8_S8_S8_S8_S8_S8_EEEEPS9_S9_NSD_9__find_if7functorIS9_EEEE10hipError_tPvRmT1_T2_T3_mT4_P12ihipStream_tbEUlT_E0_NS1_11comp_targetILNS1_3genE10ELNS1_11target_archE1201ELNS1_3gpuE5ELNS1_3repE0EEENS1_30default_config_static_selectorELNS0_4arch9wavefront6targetE0EEEvS14_.kd
    .uniform_work_group_size: 1
    .uses_dynamic_stack: false
    .vgpr_count:     0
    .vgpr_spill_count: 0
    .wavefront_size: 32
    .workgroup_processor_mode: 1
  - .args:
      - .offset:         0
        .size:           104
        .value_kind:     by_value
    .group_segment_fixed_size: 0
    .kernarg_segment_align: 8
    .kernarg_segment_size: 104
    .language:       OpenCL C
    .language_version:
      - 2
      - 0
    .max_flat_workgroup_size: 256
    .name:           _ZN7rocprim17ROCPRIM_400000_NS6detail17trampoline_kernelINS0_14default_configENS1_22reduce_config_selectorIN6thrust23THRUST_200600_302600_NS5tupleIblNS6_9null_typeES8_S8_S8_S8_S8_S8_S8_EEEEZNS1_11reduce_implILb1ES3_NS6_12zip_iteratorINS7_INS6_11hip_rocprim26transform_input_iterator_tIbNSD_35transform_pair_of_input_iterators_tIbNS6_6detail15normal_iteratorINS6_10device_ptrIKyEEEESL_NS6_8equal_toIyEEEENSG_9not_fun_tINSD_8identityEEEEENSD_19counting_iterator_tIlEES8_S8_S8_S8_S8_S8_S8_S8_EEEEPS9_S9_NSD_9__find_if7functorIS9_EEEE10hipError_tPvRmT1_T2_T3_mT4_P12ihipStream_tbEUlT_E0_NS1_11comp_targetILNS1_3genE10ELNS1_11target_archE1200ELNS1_3gpuE4ELNS1_3repE0EEENS1_30default_config_static_selectorELNS0_4arch9wavefront6targetE0EEEvS14_
    .private_segment_fixed_size: 0
    .sgpr_count:     0
    .sgpr_spill_count: 0
    .symbol:         _ZN7rocprim17ROCPRIM_400000_NS6detail17trampoline_kernelINS0_14default_configENS1_22reduce_config_selectorIN6thrust23THRUST_200600_302600_NS5tupleIblNS6_9null_typeES8_S8_S8_S8_S8_S8_S8_EEEEZNS1_11reduce_implILb1ES3_NS6_12zip_iteratorINS7_INS6_11hip_rocprim26transform_input_iterator_tIbNSD_35transform_pair_of_input_iterators_tIbNS6_6detail15normal_iteratorINS6_10device_ptrIKyEEEESL_NS6_8equal_toIyEEEENSG_9not_fun_tINSD_8identityEEEEENSD_19counting_iterator_tIlEES8_S8_S8_S8_S8_S8_S8_S8_EEEEPS9_S9_NSD_9__find_if7functorIS9_EEEE10hipError_tPvRmT1_T2_T3_mT4_P12ihipStream_tbEUlT_E0_NS1_11comp_targetILNS1_3genE10ELNS1_11target_archE1200ELNS1_3gpuE4ELNS1_3repE0EEENS1_30default_config_static_selectorELNS0_4arch9wavefront6targetE0EEEvS14_.kd
    .uniform_work_group_size: 1
    .uses_dynamic_stack: false
    .vgpr_count:     0
    .vgpr_spill_count: 0
    .wavefront_size: 32
    .workgroup_processor_mode: 1
  - .args:
      - .offset:         0
        .size:           104
        .value_kind:     by_value
    .group_segment_fixed_size: 256
    .kernarg_segment_align: 8
    .kernarg_segment_size: 104
    .language:       OpenCL C
    .language_version:
      - 2
      - 0
    .max_flat_workgroup_size: 256
    .name:           _ZN7rocprim17ROCPRIM_400000_NS6detail17trampoline_kernelINS0_14default_configENS1_22reduce_config_selectorIN6thrust23THRUST_200600_302600_NS5tupleIblNS6_9null_typeES8_S8_S8_S8_S8_S8_S8_EEEEZNS1_11reduce_implILb1ES3_NS6_12zip_iteratorINS7_INS6_11hip_rocprim26transform_input_iterator_tIbNSD_35transform_pair_of_input_iterators_tIbNS6_6detail15normal_iteratorINS6_10device_ptrIKyEEEESL_NS6_8equal_toIyEEEENSG_9not_fun_tINSD_8identityEEEEENSD_19counting_iterator_tIlEES8_S8_S8_S8_S8_S8_S8_S8_EEEEPS9_S9_NSD_9__find_if7functorIS9_EEEE10hipError_tPvRmT1_T2_T3_mT4_P12ihipStream_tbEUlT_E0_NS1_11comp_targetILNS1_3genE9ELNS1_11target_archE1100ELNS1_3gpuE3ELNS1_3repE0EEENS1_30default_config_static_selectorELNS0_4arch9wavefront6targetE0EEEvS14_
    .private_segment_fixed_size: 0
    .sgpr_count:     30
    .sgpr_spill_count: 0
    .symbol:         _ZN7rocprim17ROCPRIM_400000_NS6detail17trampoline_kernelINS0_14default_configENS1_22reduce_config_selectorIN6thrust23THRUST_200600_302600_NS5tupleIblNS6_9null_typeES8_S8_S8_S8_S8_S8_S8_EEEEZNS1_11reduce_implILb1ES3_NS6_12zip_iteratorINS7_INS6_11hip_rocprim26transform_input_iterator_tIbNSD_35transform_pair_of_input_iterators_tIbNS6_6detail15normal_iteratorINS6_10device_ptrIKyEEEESL_NS6_8equal_toIyEEEENSG_9not_fun_tINSD_8identityEEEEENSD_19counting_iterator_tIlEES8_S8_S8_S8_S8_S8_S8_S8_EEEEPS9_S9_NSD_9__find_if7functorIS9_EEEE10hipError_tPvRmT1_T2_T3_mT4_P12ihipStream_tbEUlT_E0_NS1_11comp_targetILNS1_3genE9ELNS1_11target_archE1100ELNS1_3gpuE3ELNS1_3repE0EEENS1_30default_config_static_selectorELNS0_4arch9wavefront6targetE0EEEvS14_.kd
    .uniform_work_group_size: 1
    .uses_dynamic_stack: false
    .vgpr_count:     19
    .vgpr_spill_count: 0
    .wavefront_size: 32
    .workgroup_processor_mode: 1
  - .args:
      - .offset:         0
        .size:           104
        .value_kind:     by_value
    .group_segment_fixed_size: 0
    .kernarg_segment_align: 8
    .kernarg_segment_size: 104
    .language:       OpenCL C
    .language_version:
      - 2
      - 0
    .max_flat_workgroup_size: 256
    .name:           _ZN7rocprim17ROCPRIM_400000_NS6detail17trampoline_kernelINS0_14default_configENS1_22reduce_config_selectorIN6thrust23THRUST_200600_302600_NS5tupleIblNS6_9null_typeES8_S8_S8_S8_S8_S8_S8_EEEEZNS1_11reduce_implILb1ES3_NS6_12zip_iteratorINS7_INS6_11hip_rocprim26transform_input_iterator_tIbNSD_35transform_pair_of_input_iterators_tIbNS6_6detail15normal_iteratorINS6_10device_ptrIKyEEEESL_NS6_8equal_toIyEEEENSG_9not_fun_tINSD_8identityEEEEENSD_19counting_iterator_tIlEES8_S8_S8_S8_S8_S8_S8_S8_EEEEPS9_S9_NSD_9__find_if7functorIS9_EEEE10hipError_tPvRmT1_T2_T3_mT4_P12ihipStream_tbEUlT_E0_NS1_11comp_targetILNS1_3genE8ELNS1_11target_archE1030ELNS1_3gpuE2ELNS1_3repE0EEENS1_30default_config_static_selectorELNS0_4arch9wavefront6targetE0EEEvS14_
    .private_segment_fixed_size: 0
    .sgpr_count:     0
    .sgpr_spill_count: 0
    .symbol:         _ZN7rocprim17ROCPRIM_400000_NS6detail17trampoline_kernelINS0_14default_configENS1_22reduce_config_selectorIN6thrust23THRUST_200600_302600_NS5tupleIblNS6_9null_typeES8_S8_S8_S8_S8_S8_S8_EEEEZNS1_11reduce_implILb1ES3_NS6_12zip_iteratorINS7_INS6_11hip_rocprim26transform_input_iterator_tIbNSD_35transform_pair_of_input_iterators_tIbNS6_6detail15normal_iteratorINS6_10device_ptrIKyEEEESL_NS6_8equal_toIyEEEENSG_9not_fun_tINSD_8identityEEEEENSD_19counting_iterator_tIlEES8_S8_S8_S8_S8_S8_S8_S8_EEEEPS9_S9_NSD_9__find_if7functorIS9_EEEE10hipError_tPvRmT1_T2_T3_mT4_P12ihipStream_tbEUlT_E0_NS1_11comp_targetILNS1_3genE8ELNS1_11target_archE1030ELNS1_3gpuE2ELNS1_3repE0EEENS1_30default_config_static_selectorELNS0_4arch9wavefront6targetE0EEEvS14_.kd
    .uniform_work_group_size: 1
    .uses_dynamic_stack: false
    .vgpr_count:     0
    .vgpr_spill_count: 0
    .wavefront_size: 32
    .workgroup_processor_mode: 1
  - .args:
      - .offset:         0
        .size:           88
        .value_kind:     by_value
    .group_segment_fixed_size: 0
    .kernarg_segment_align: 8
    .kernarg_segment_size: 88
    .language:       OpenCL C
    .language_version:
      - 2
      - 0
    .max_flat_workgroup_size: 128
    .name:           _ZN7rocprim17ROCPRIM_400000_NS6detail17trampoline_kernelINS0_14default_configENS1_22reduce_config_selectorIN6thrust23THRUST_200600_302600_NS5tupleIblNS6_9null_typeES8_S8_S8_S8_S8_S8_S8_EEEEZNS1_11reduce_implILb1ES3_NS6_12zip_iteratorINS7_INS6_11hip_rocprim26transform_input_iterator_tIbNSD_35transform_pair_of_input_iterators_tIbNS6_6detail15normal_iteratorINS6_10device_ptrIKyEEEESL_NS6_8equal_toIyEEEENSG_9not_fun_tINSD_8identityEEEEENSD_19counting_iterator_tIlEES8_S8_S8_S8_S8_S8_S8_S8_EEEEPS9_S9_NSD_9__find_if7functorIS9_EEEE10hipError_tPvRmT1_T2_T3_mT4_P12ihipStream_tbEUlT_E1_NS1_11comp_targetILNS1_3genE0ELNS1_11target_archE4294967295ELNS1_3gpuE0ELNS1_3repE0EEENS1_30default_config_static_selectorELNS0_4arch9wavefront6targetE0EEEvS14_
    .private_segment_fixed_size: 0
    .sgpr_count:     0
    .sgpr_spill_count: 0
    .symbol:         _ZN7rocprim17ROCPRIM_400000_NS6detail17trampoline_kernelINS0_14default_configENS1_22reduce_config_selectorIN6thrust23THRUST_200600_302600_NS5tupleIblNS6_9null_typeES8_S8_S8_S8_S8_S8_S8_EEEEZNS1_11reduce_implILb1ES3_NS6_12zip_iteratorINS7_INS6_11hip_rocprim26transform_input_iterator_tIbNSD_35transform_pair_of_input_iterators_tIbNS6_6detail15normal_iteratorINS6_10device_ptrIKyEEEESL_NS6_8equal_toIyEEEENSG_9not_fun_tINSD_8identityEEEEENSD_19counting_iterator_tIlEES8_S8_S8_S8_S8_S8_S8_S8_EEEEPS9_S9_NSD_9__find_if7functorIS9_EEEE10hipError_tPvRmT1_T2_T3_mT4_P12ihipStream_tbEUlT_E1_NS1_11comp_targetILNS1_3genE0ELNS1_11target_archE4294967295ELNS1_3gpuE0ELNS1_3repE0EEENS1_30default_config_static_selectorELNS0_4arch9wavefront6targetE0EEEvS14_.kd
    .uniform_work_group_size: 1
    .uses_dynamic_stack: false
    .vgpr_count:     0
    .vgpr_spill_count: 0
    .wavefront_size: 32
    .workgroup_processor_mode: 1
  - .args:
      - .offset:         0
        .size:           88
        .value_kind:     by_value
    .group_segment_fixed_size: 0
    .kernarg_segment_align: 8
    .kernarg_segment_size: 88
    .language:       OpenCL C
    .language_version:
      - 2
      - 0
    .max_flat_workgroup_size: 256
    .name:           _ZN7rocprim17ROCPRIM_400000_NS6detail17trampoline_kernelINS0_14default_configENS1_22reduce_config_selectorIN6thrust23THRUST_200600_302600_NS5tupleIblNS6_9null_typeES8_S8_S8_S8_S8_S8_S8_EEEEZNS1_11reduce_implILb1ES3_NS6_12zip_iteratorINS7_INS6_11hip_rocprim26transform_input_iterator_tIbNSD_35transform_pair_of_input_iterators_tIbNS6_6detail15normal_iteratorINS6_10device_ptrIKyEEEESL_NS6_8equal_toIyEEEENSG_9not_fun_tINSD_8identityEEEEENSD_19counting_iterator_tIlEES8_S8_S8_S8_S8_S8_S8_S8_EEEEPS9_S9_NSD_9__find_if7functorIS9_EEEE10hipError_tPvRmT1_T2_T3_mT4_P12ihipStream_tbEUlT_E1_NS1_11comp_targetILNS1_3genE5ELNS1_11target_archE942ELNS1_3gpuE9ELNS1_3repE0EEENS1_30default_config_static_selectorELNS0_4arch9wavefront6targetE0EEEvS14_
    .private_segment_fixed_size: 0
    .sgpr_count:     0
    .sgpr_spill_count: 0
    .symbol:         _ZN7rocprim17ROCPRIM_400000_NS6detail17trampoline_kernelINS0_14default_configENS1_22reduce_config_selectorIN6thrust23THRUST_200600_302600_NS5tupleIblNS6_9null_typeES8_S8_S8_S8_S8_S8_S8_EEEEZNS1_11reduce_implILb1ES3_NS6_12zip_iteratorINS7_INS6_11hip_rocprim26transform_input_iterator_tIbNSD_35transform_pair_of_input_iterators_tIbNS6_6detail15normal_iteratorINS6_10device_ptrIKyEEEESL_NS6_8equal_toIyEEEENSG_9not_fun_tINSD_8identityEEEEENSD_19counting_iterator_tIlEES8_S8_S8_S8_S8_S8_S8_S8_EEEEPS9_S9_NSD_9__find_if7functorIS9_EEEE10hipError_tPvRmT1_T2_T3_mT4_P12ihipStream_tbEUlT_E1_NS1_11comp_targetILNS1_3genE5ELNS1_11target_archE942ELNS1_3gpuE9ELNS1_3repE0EEENS1_30default_config_static_selectorELNS0_4arch9wavefront6targetE0EEEvS14_.kd
    .uniform_work_group_size: 1
    .uses_dynamic_stack: false
    .vgpr_count:     0
    .vgpr_spill_count: 0
    .wavefront_size: 32
    .workgroup_processor_mode: 1
  - .args:
      - .offset:         0
        .size:           88
        .value_kind:     by_value
    .group_segment_fixed_size: 0
    .kernarg_segment_align: 8
    .kernarg_segment_size: 88
    .language:       OpenCL C
    .language_version:
      - 2
      - 0
    .max_flat_workgroup_size: 256
    .name:           _ZN7rocprim17ROCPRIM_400000_NS6detail17trampoline_kernelINS0_14default_configENS1_22reduce_config_selectorIN6thrust23THRUST_200600_302600_NS5tupleIblNS6_9null_typeES8_S8_S8_S8_S8_S8_S8_EEEEZNS1_11reduce_implILb1ES3_NS6_12zip_iteratorINS7_INS6_11hip_rocprim26transform_input_iterator_tIbNSD_35transform_pair_of_input_iterators_tIbNS6_6detail15normal_iteratorINS6_10device_ptrIKyEEEESL_NS6_8equal_toIyEEEENSG_9not_fun_tINSD_8identityEEEEENSD_19counting_iterator_tIlEES8_S8_S8_S8_S8_S8_S8_S8_EEEEPS9_S9_NSD_9__find_if7functorIS9_EEEE10hipError_tPvRmT1_T2_T3_mT4_P12ihipStream_tbEUlT_E1_NS1_11comp_targetILNS1_3genE4ELNS1_11target_archE910ELNS1_3gpuE8ELNS1_3repE0EEENS1_30default_config_static_selectorELNS0_4arch9wavefront6targetE0EEEvS14_
    .private_segment_fixed_size: 0
    .sgpr_count:     0
    .sgpr_spill_count: 0
    .symbol:         _ZN7rocprim17ROCPRIM_400000_NS6detail17trampoline_kernelINS0_14default_configENS1_22reduce_config_selectorIN6thrust23THRUST_200600_302600_NS5tupleIblNS6_9null_typeES8_S8_S8_S8_S8_S8_S8_EEEEZNS1_11reduce_implILb1ES3_NS6_12zip_iteratorINS7_INS6_11hip_rocprim26transform_input_iterator_tIbNSD_35transform_pair_of_input_iterators_tIbNS6_6detail15normal_iteratorINS6_10device_ptrIKyEEEESL_NS6_8equal_toIyEEEENSG_9not_fun_tINSD_8identityEEEEENSD_19counting_iterator_tIlEES8_S8_S8_S8_S8_S8_S8_S8_EEEEPS9_S9_NSD_9__find_if7functorIS9_EEEE10hipError_tPvRmT1_T2_T3_mT4_P12ihipStream_tbEUlT_E1_NS1_11comp_targetILNS1_3genE4ELNS1_11target_archE910ELNS1_3gpuE8ELNS1_3repE0EEENS1_30default_config_static_selectorELNS0_4arch9wavefront6targetE0EEEvS14_.kd
    .uniform_work_group_size: 1
    .uses_dynamic_stack: false
    .vgpr_count:     0
    .vgpr_spill_count: 0
    .wavefront_size: 32
    .workgroup_processor_mode: 1
  - .args:
      - .offset:         0
        .size:           88
        .value_kind:     by_value
    .group_segment_fixed_size: 0
    .kernarg_segment_align: 8
    .kernarg_segment_size: 88
    .language:       OpenCL C
    .language_version:
      - 2
      - 0
    .max_flat_workgroup_size: 128
    .name:           _ZN7rocprim17ROCPRIM_400000_NS6detail17trampoline_kernelINS0_14default_configENS1_22reduce_config_selectorIN6thrust23THRUST_200600_302600_NS5tupleIblNS6_9null_typeES8_S8_S8_S8_S8_S8_S8_EEEEZNS1_11reduce_implILb1ES3_NS6_12zip_iteratorINS7_INS6_11hip_rocprim26transform_input_iterator_tIbNSD_35transform_pair_of_input_iterators_tIbNS6_6detail15normal_iteratorINS6_10device_ptrIKyEEEESL_NS6_8equal_toIyEEEENSG_9not_fun_tINSD_8identityEEEEENSD_19counting_iterator_tIlEES8_S8_S8_S8_S8_S8_S8_S8_EEEEPS9_S9_NSD_9__find_if7functorIS9_EEEE10hipError_tPvRmT1_T2_T3_mT4_P12ihipStream_tbEUlT_E1_NS1_11comp_targetILNS1_3genE3ELNS1_11target_archE908ELNS1_3gpuE7ELNS1_3repE0EEENS1_30default_config_static_selectorELNS0_4arch9wavefront6targetE0EEEvS14_
    .private_segment_fixed_size: 0
    .sgpr_count:     0
    .sgpr_spill_count: 0
    .symbol:         _ZN7rocprim17ROCPRIM_400000_NS6detail17trampoline_kernelINS0_14default_configENS1_22reduce_config_selectorIN6thrust23THRUST_200600_302600_NS5tupleIblNS6_9null_typeES8_S8_S8_S8_S8_S8_S8_EEEEZNS1_11reduce_implILb1ES3_NS6_12zip_iteratorINS7_INS6_11hip_rocprim26transform_input_iterator_tIbNSD_35transform_pair_of_input_iterators_tIbNS6_6detail15normal_iteratorINS6_10device_ptrIKyEEEESL_NS6_8equal_toIyEEEENSG_9not_fun_tINSD_8identityEEEEENSD_19counting_iterator_tIlEES8_S8_S8_S8_S8_S8_S8_S8_EEEEPS9_S9_NSD_9__find_if7functorIS9_EEEE10hipError_tPvRmT1_T2_T3_mT4_P12ihipStream_tbEUlT_E1_NS1_11comp_targetILNS1_3genE3ELNS1_11target_archE908ELNS1_3gpuE7ELNS1_3repE0EEENS1_30default_config_static_selectorELNS0_4arch9wavefront6targetE0EEEvS14_.kd
    .uniform_work_group_size: 1
    .uses_dynamic_stack: false
    .vgpr_count:     0
    .vgpr_spill_count: 0
    .wavefront_size: 32
    .workgroup_processor_mode: 1
  - .args:
      - .offset:         0
        .size:           88
        .value_kind:     by_value
    .group_segment_fixed_size: 0
    .kernarg_segment_align: 8
    .kernarg_segment_size: 88
    .language:       OpenCL C
    .language_version:
      - 2
      - 0
    .max_flat_workgroup_size: 128
    .name:           _ZN7rocprim17ROCPRIM_400000_NS6detail17trampoline_kernelINS0_14default_configENS1_22reduce_config_selectorIN6thrust23THRUST_200600_302600_NS5tupleIblNS6_9null_typeES8_S8_S8_S8_S8_S8_S8_EEEEZNS1_11reduce_implILb1ES3_NS6_12zip_iteratorINS7_INS6_11hip_rocprim26transform_input_iterator_tIbNSD_35transform_pair_of_input_iterators_tIbNS6_6detail15normal_iteratorINS6_10device_ptrIKyEEEESL_NS6_8equal_toIyEEEENSG_9not_fun_tINSD_8identityEEEEENSD_19counting_iterator_tIlEES8_S8_S8_S8_S8_S8_S8_S8_EEEEPS9_S9_NSD_9__find_if7functorIS9_EEEE10hipError_tPvRmT1_T2_T3_mT4_P12ihipStream_tbEUlT_E1_NS1_11comp_targetILNS1_3genE2ELNS1_11target_archE906ELNS1_3gpuE6ELNS1_3repE0EEENS1_30default_config_static_selectorELNS0_4arch9wavefront6targetE0EEEvS14_
    .private_segment_fixed_size: 0
    .sgpr_count:     0
    .sgpr_spill_count: 0
    .symbol:         _ZN7rocprim17ROCPRIM_400000_NS6detail17trampoline_kernelINS0_14default_configENS1_22reduce_config_selectorIN6thrust23THRUST_200600_302600_NS5tupleIblNS6_9null_typeES8_S8_S8_S8_S8_S8_S8_EEEEZNS1_11reduce_implILb1ES3_NS6_12zip_iteratorINS7_INS6_11hip_rocprim26transform_input_iterator_tIbNSD_35transform_pair_of_input_iterators_tIbNS6_6detail15normal_iteratorINS6_10device_ptrIKyEEEESL_NS6_8equal_toIyEEEENSG_9not_fun_tINSD_8identityEEEEENSD_19counting_iterator_tIlEES8_S8_S8_S8_S8_S8_S8_S8_EEEEPS9_S9_NSD_9__find_if7functorIS9_EEEE10hipError_tPvRmT1_T2_T3_mT4_P12ihipStream_tbEUlT_E1_NS1_11comp_targetILNS1_3genE2ELNS1_11target_archE906ELNS1_3gpuE6ELNS1_3repE0EEENS1_30default_config_static_selectorELNS0_4arch9wavefront6targetE0EEEvS14_.kd
    .uniform_work_group_size: 1
    .uses_dynamic_stack: false
    .vgpr_count:     0
    .vgpr_spill_count: 0
    .wavefront_size: 32
    .workgroup_processor_mode: 1
  - .args:
      - .offset:         0
        .size:           88
        .value_kind:     by_value
    .group_segment_fixed_size: 0
    .kernarg_segment_align: 8
    .kernarg_segment_size: 88
    .language:       OpenCL C
    .language_version:
      - 2
      - 0
    .max_flat_workgroup_size: 256
    .name:           _ZN7rocprim17ROCPRIM_400000_NS6detail17trampoline_kernelINS0_14default_configENS1_22reduce_config_selectorIN6thrust23THRUST_200600_302600_NS5tupleIblNS6_9null_typeES8_S8_S8_S8_S8_S8_S8_EEEEZNS1_11reduce_implILb1ES3_NS6_12zip_iteratorINS7_INS6_11hip_rocprim26transform_input_iterator_tIbNSD_35transform_pair_of_input_iterators_tIbNS6_6detail15normal_iteratorINS6_10device_ptrIKyEEEESL_NS6_8equal_toIyEEEENSG_9not_fun_tINSD_8identityEEEEENSD_19counting_iterator_tIlEES8_S8_S8_S8_S8_S8_S8_S8_EEEEPS9_S9_NSD_9__find_if7functorIS9_EEEE10hipError_tPvRmT1_T2_T3_mT4_P12ihipStream_tbEUlT_E1_NS1_11comp_targetILNS1_3genE10ELNS1_11target_archE1201ELNS1_3gpuE5ELNS1_3repE0EEENS1_30default_config_static_selectorELNS0_4arch9wavefront6targetE0EEEvS14_
    .private_segment_fixed_size: 0
    .sgpr_count:     0
    .sgpr_spill_count: 0
    .symbol:         _ZN7rocprim17ROCPRIM_400000_NS6detail17trampoline_kernelINS0_14default_configENS1_22reduce_config_selectorIN6thrust23THRUST_200600_302600_NS5tupleIblNS6_9null_typeES8_S8_S8_S8_S8_S8_S8_EEEEZNS1_11reduce_implILb1ES3_NS6_12zip_iteratorINS7_INS6_11hip_rocprim26transform_input_iterator_tIbNSD_35transform_pair_of_input_iterators_tIbNS6_6detail15normal_iteratorINS6_10device_ptrIKyEEEESL_NS6_8equal_toIyEEEENSG_9not_fun_tINSD_8identityEEEEENSD_19counting_iterator_tIlEES8_S8_S8_S8_S8_S8_S8_S8_EEEEPS9_S9_NSD_9__find_if7functorIS9_EEEE10hipError_tPvRmT1_T2_T3_mT4_P12ihipStream_tbEUlT_E1_NS1_11comp_targetILNS1_3genE10ELNS1_11target_archE1201ELNS1_3gpuE5ELNS1_3repE0EEENS1_30default_config_static_selectorELNS0_4arch9wavefront6targetE0EEEvS14_.kd
    .uniform_work_group_size: 1
    .uses_dynamic_stack: false
    .vgpr_count:     0
    .vgpr_spill_count: 0
    .wavefront_size: 32
    .workgroup_processor_mode: 1
  - .args:
      - .offset:         0
        .size:           88
        .value_kind:     by_value
    .group_segment_fixed_size: 0
    .kernarg_segment_align: 8
    .kernarg_segment_size: 88
    .language:       OpenCL C
    .language_version:
      - 2
      - 0
    .max_flat_workgroup_size: 256
    .name:           _ZN7rocprim17ROCPRIM_400000_NS6detail17trampoline_kernelINS0_14default_configENS1_22reduce_config_selectorIN6thrust23THRUST_200600_302600_NS5tupleIblNS6_9null_typeES8_S8_S8_S8_S8_S8_S8_EEEEZNS1_11reduce_implILb1ES3_NS6_12zip_iteratorINS7_INS6_11hip_rocprim26transform_input_iterator_tIbNSD_35transform_pair_of_input_iterators_tIbNS6_6detail15normal_iteratorINS6_10device_ptrIKyEEEESL_NS6_8equal_toIyEEEENSG_9not_fun_tINSD_8identityEEEEENSD_19counting_iterator_tIlEES8_S8_S8_S8_S8_S8_S8_S8_EEEEPS9_S9_NSD_9__find_if7functorIS9_EEEE10hipError_tPvRmT1_T2_T3_mT4_P12ihipStream_tbEUlT_E1_NS1_11comp_targetILNS1_3genE10ELNS1_11target_archE1200ELNS1_3gpuE4ELNS1_3repE0EEENS1_30default_config_static_selectorELNS0_4arch9wavefront6targetE0EEEvS14_
    .private_segment_fixed_size: 0
    .sgpr_count:     0
    .sgpr_spill_count: 0
    .symbol:         _ZN7rocprim17ROCPRIM_400000_NS6detail17trampoline_kernelINS0_14default_configENS1_22reduce_config_selectorIN6thrust23THRUST_200600_302600_NS5tupleIblNS6_9null_typeES8_S8_S8_S8_S8_S8_S8_EEEEZNS1_11reduce_implILb1ES3_NS6_12zip_iteratorINS7_INS6_11hip_rocprim26transform_input_iterator_tIbNSD_35transform_pair_of_input_iterators_tIbNS6_6detail15normal_iteratorINS6_10device_ptrIKyEEEESL_NS6_8equal_toIyEEEENSG_9not_fun_tINSD_8identityEEEEENSD_19counting_iterator_tIlEES8_S8_S8_S8_S8_S8_S8_S8_EEEEPS9_S9_NSD_9__find_if7functorIS9_EEEE10hipError_tPvRmT1_T2_T3_mT4_P12ihipStream_tbEUlT_E1_NS1_11comp_targetILNS1_3genE10ELNS1_11target_archE1200ELNS1_3gpuE4ELNS1_3repE0EEENS1_30default_config_static_selectorELNS0_4arch9wavefront6targetE0EEEvS14_.kd
    .uniform_work_group_size: 1
    .uses_dynamic_stack: false
    .vgpr_count:     0
    .vgpr_spill_count: 0
    .wavefront_size: 32
    .workgroup_processor_mode: 1
  - .args:
      - .offset:         0
        .size:           88
        .value_kind:     by_value
    .group_segment_fixed_size: 640
    .kernarg_segment_align: 8
    .kernarg_segment_size: 88
    .language:       OpenCL C
    .language_version:
      - 2
      - 0
    .max_flat_workgroup_size: 256
    .name:           _ZN7rocprim17ROCPRIM_400000_NS6detail17trampoline_kernelINS0_14default_configENS1_22reduce_config_selectorIN6thrust23THRUST_200600_302600_NS5tupleIblNS6_9null_typeES8_S8_S8_S8_S8_S8_S8_EEEEZNS1_11reduce_implILb1ES3_NS6_12zip_iteratorINS7_INS6_11hip_rocprim26transform_input_iterator_tIbNSD_35transform_pair_of_input_iterators_tIbNS6_6detail15normal_iteratorINS6_10device_ptrIKyEEEESL_NS6_8equal_toIyEEEENSG_9not_fun_tINSD_8identityEEEEENSD_19counting_iterator_tIlEES8_S8_S8_S8_S8_S8_S8_S8_EEEEPS9_S9_NSD_9__find_if7functorIS9_EEEE10hipError_tPvRmT1_T2_T3_mT4_P12ihipStream_tbEUlT_E1_NS1_11comp_targetILNS1_3genE9ELNS1_11target_archE1100ELNS1_3gpuE3ELNS1_3repE0EEENS1_30default_config_static_selectorELNS0_4arch9wavefront6targetE0EEEvS14_
    .private_segment_fixed_size: 0
    .sgpr_count:     34
    .sgpr_spill_count: 0
    .symbol:         _ZN7rocprim17ROCPRIM_400000_NS6detail17trampoline_kernelINS0_14default_configENS1_22reduce_config_selectorIN6thrust23THRUST_200600_302600_NS5tupleIblNS6_9null_typeES8_S8_S8_S8_S8_S8_S8_EEEEZNS1_11reduce_implILb1ES3_NS6_12zip_iteratorINS7_INS6_11hip_rocprim26transform_input_iterator_tIbNSD_35transform_pair_of_input_iterators_tIbNS6_6detail15normal_iteratorINS6_10device_ptrIKyEEEESL_NS6_8equal_toIyEEEENSG_9not_fun_tINSD_8identityEEEEENSD_19counting_iterator_tIlEES8_S8_S8_S8_S8_S8_S8_S8_EEEEPS9_S9_NSD_9__find_if7functorIS9_EEEE10hipError_tPvRmT1_T2_T3_mT4_P12ihipStream_tbEUlT_E1_NS1_11comp_targetILNS1_3genE9ELNS1_11target_archE1100ELNS1_3gpuE3ELNS1_3repE0EEENS1_30default_config_static_selectorELNS0_4arch9wavefront6targetE0EEEvS14_.kd
    .uniform_work_group_size: 1
    .uses_dynamic_stack: false
    .vgpr_count:     34
    .vgpr_spill_count: 0
    .wavefront_size: 32
    .workgroup_processor_mode: 1
  - .args:
      - .offset:         0
        .size:           88
        .value_kind:     by_value
    .group_segment_fixed_size: 0
    .kernarg_segment_align: 8
    .kernarg_segment_size: 88
    .language:       OpenCL C
    .language_version:
      - 2
      - 0
    .max_flat_workgroup_size: 256
    .name:           _ZN7rocprim17ROCPRIM_400000_NS6detail17trampoline_kernelINS0_14default_configENS1_22reduce_config_selectorIN6thrust23THRUST_200600_302600_NS5tupleIblNS6_9null_typeES8_S8_S8_S8_S8_S8_S8_EEEEZNS1_11reduce_implILb1ES3_NS6_12zip_iteratorINS7_INS6_11hip_rocprim26transform_input_iterator_tIbNSD_35transform_pair_of_input_iterators_tIbNS6_6detail15normal_iteratorINS6_10device_ptrIKyEEEESL_NS6_8equal_toIyEEEENSG_9not_fun_tINSD_8identityEEEEENSD_19counting_iterator_tIlEES8_S8_S8_S8_S8_S8_S8_S8_EEEEPS9_S9_NSD_9__find_if7functorIS9_EEEE10hipError_tPvRmT1_T2_T3_mT4_P12ihipStream_tbEUlT_E1_NS1_11comp_targetILNS1_3genE8ELNS1_11target_archE1030ELNS1_3gpuE2ELNS1_3repE0EEENS1_30default_config_static_selectorELNS0_4arch9wavefront6targetE0EEEvS14_
    .private_segment_fixed_size: 0
    .sgpr_count:     0
    .sgpr_spill_count: 0
    .symbol:         _ZN7rocprim17ROCPRIM_400000_NS6detail17trampoline_kernelINS0_14default_configENS1_22reduce_config_selectorIN6thrust23THRUST_200600_302600_NS5tupleIblNS6_9null_typeES8_S8_S8_S8_S8_S8_S8_EEEEZNS1_11reduce_implILb1ES3_NS6_12zip_iteratorINS7_INS6_11hip_rocprim26transform_input_iterator_tIbNSD_35transform_pair_of_input_iterators_tIbNS6_6detail15normal_iteratorINS6_10device_ptrIKyEEEESL_NS6_8equal_toIyEEEENSG_9not_fun_tINSD_8identityEEEEENSD_19counting_iterator_tIlEES8_S8_S8_S8_S8_S8_S8_S8_EEEEPS9_S9_NSD_9__find_if7functorIS9_EEEE10hipError_tPvRmT1_T2_T3_mT4_P12ihipStream_tbEUlT_E1_NS1_11comp_targetILNS1_3genE8ELNS1_11target_archE1030ELNS1_3gpuE2ELNS1_3repE0EEENS1_30default_config_static_selectorELNS0_4arch9wavefront6targetE0EEEvS14_.kd
    .uniform_work_group_size: 1
    .uses_dynamic_stack: false
    .vgpr_count:     0
    .vgpr_spill_count: 0
    .wavefront_size: 32
    .workgroup_processor_mode: 1
  - .args:
      - .offset:         0
        .size:           40
        .value_kind:     by_value
      - .offset:         40
        .size:           8
        .value_kind:     by_value
      - .offset:         48
        .size:           8
        .value_kind:     by_value
    .group_segment_fixed_size: 0
    .kernarg_segment_align: 8
    .kernarg_segment_size: 56
    .language:       OpenCL C
    .language_version:
      - 2
      - 0
    .max_flat_workgroup_size: 256
    .name:           _ZN6thrust23THRUST_200600_302600_NS11hip_rocprim14__parallel_for6kernelILj256ENS1_11__transform17unary_transform_fINS0_12zip_iteratorINS0_5tupleINS0_6detail15normal_iteratorINS0_10device_ptrIjEEEESC_NS0_9null_typeESD_SD_SD_SD_SD_SD_SD_EEEESF_NS4_14no_stencil_tagENS0_8identityINS7_IjjSD_SD_SD_SD_SD_SD_SD_SD_EEEENS4_21always_true_predicateEEElLj1EEEvT0_T1_SN_
    .private_segment_fixed_size: 0
    .sgpr_count:     22
    .sgpr_spill_count: 0
    .symbol:         _ZN6thrust23THRUST_200600_302600_NS11hip_rocprim14__parallel_for6kernelILj256ENS1_11__transform17unary_transform_fINS0_12zip_iteratorINS0_5tupleINS0_6detail15normal_iteratorINS0_10device_ptrIjEEEESC_NS0_9null_typeESD_SD_SD_SD_SD_SD_SD_EEEESF_NS4_14no_stencil_tagENS0_8identityINS7_IjjSD_SD_SD_SD_SD_SD_SD_SD_EEEENS4_21always_true_predicateEEElLj1EEEvT0_T1_SN_.kd
    .uniform_work_group_size: 1
    .uses_dynamic_stack: false
    .vgpr_count:     8
    .vgpr_spill_count: 0
    .wavefront_size: 32
    .workgroup_processor_mode: 1
  - .args:
      - .offset:         0
        .size:           104
        .value_kind:     by_value
    .group_segment_fixed_size: 0
    .kernarg_segment_align: 8
    .kernarg_segment_size: 104
    .language:       OpenCL C
    .language_version:
      - 2
      - 0
    .max_flat_workgroup_size: 128
    .name:           _ZN7rocprim17ROCPRIM_400000_NS6detail17trampoline_kernelINS0_14default_configENS1_22reduce_config_selectorIN6thrust23THRUST_200600_302600_NS5tupleIblNS6_9null_typeES8_S8_S8_S8_S8_S8_S8_EEEEZNS1_11reduce_implILb1ES3_NS6_12zip_iteratorINS7_INS6_11hip_rocprim26transform_input_iterator_tIbNSD_35transform_pair_of_input_iterators_tIbNS6_6detail15normal_iteratorINS6_10device_ptrIKjEEEESL_NS6_8equal_toIjEEEENSG_9not_fun_tINSD_8identityEEEEENSD_19counting_iterator_tIlEES8_S8_S8_S8_S8_S8_S8_S8_EEEEPS9_S9_NSD_9__find_if7functorIS9_EEEE10hipError_tPvRmT1_T2_T3_mT4_P12ihipStream_tbEUlT_E0_NS1_11comp_targetILNS1_3genE0ELNS1_11target_archE4294967295ELNS1_3gpuE0ELNS1_3repE0EEENS1_30default_config_static_selectorELNS0_4arch9wavefront6targetE0EEEvS14_
    .private_segment_fixed_size: 0
    .sgpr_count:     0
    .sgpr_spill_count: 0
    .symbol:         _ZN7rocprim17ROCPRIM_400000_NS6detail17trampoline_kernelINS0_14default_configENS1_22reduce_config_selectorIN6thrust23THRUST_200600_302600_NS5tupleIblNS6_9null_typeES8_S8_S8_S8_S8_S8_S8_EEEEZNS1_11reduce_implILb1ES3_NS6_12zip_iteratorINS7_INS6_11hip_rocprim26transform_input_iterator_tIbNSD_35transform_pair_of_input_iterators_tIbNS6_6detail15normal_iteratorINS6_10device_ptrIKjEEEESL_NS6_8equal_toIjEEEENSG_9not_fun_tINSD_8identityEEEEENSD_19counting_iterator_tIlEES8_S8_S8_S8_S8_S8_S8_S8_EEEEPS9_S9_NSD_9__find_if7functorIS9_EEEE10hipError_tPvRmT1_T2_T3_mT4_P12ihipStream_tbEUlT_E0_NS1_11comp_targetILNS1_3genE0ELNS1_11target_archE4294967295ELNS1_3gpuE0ELNS1_3repE0EEENS1_30default_config_static_selectorELNS0_4arch9wavefront6targetE0EEEvS14_.kd
    .uniform_work_group_size: 1
    .uses_dynamic_stack: false
    .vgpr_count:     0
    .vgpr_spill_count: 0
    .wavefront_size: 32
    .workgroup_processor_mode: 1
  - .args:
      - .offset:         0
        .size:           104
        .value_kind:     by_value
    .group_segment_fixed_size: 0
    .kernarg_segment_align: 8
    .kernarg_segment_size: 104
    .language:       OpenCL C
    .language_version:
      - 2
      - 0
    .max_flat_workgroup_size: 256
    .name:           _ZN7rocprim17ROCPRIM_400000_NS6detail17trampoline_kernelINS0_14default_configENS1_22reduce_config_selectorIN6thrust23THRUST_200600_302600_NS5tupleIblNS6_9null_typeES8_S8_S8_S8_S8_S8_S8_EEEEZNS1_11reduce_implILb1ES3_NS6_12zip_iteratorINS7_INS6_11hip_rocprim26transform_input_iterator_tIbNSD_35transform_pair_of_input_iterators_tIbNS6_6detail15normal_iteratorINS6_10device_ptrIKjEEEESL_NS6_8equal_toIjEEEENSG_9not_fun_tINSD_8identityEEEEENSD_19counting_iterator_tIlEES8_S8_S8_S8_S8_S8_S8_S8_EEEEPS9_S9_NSD_9__find_if7functorIS9_EEEE10hipError_tPvRmT1_T2_T3_mT4_P12ihipStream_tbEUlT_E0_NS1_11comp_targetILNS1_3genE5ELNS1_11target_archE942ELNS1_3gpuE9ELNS1_3repE0EEENS1_30default_config_static_selectorELNS0_4arch9wavefront6targetE0EEEvS14_
    .private_segment_fixed_size: 0
    .sgpr_count:     0
    .sgpr_spill_count: 0
    .symbol:         _ZN7rocprim17ROCPRIM_400000_NS6detail17trampoline_kernelINS0_14default_configENS1_22reduce_config_selectorIN6thrust23THRUST_200600_302600_NS5tupleIblNS6_9null_typeES8_S8_S8_S8_S8_S8_S8_EEEEZNS1_11reduce_implILb1ES3_NS6_12zip_iteratorINS7_INS6_11hip_rocprim26transform_input_iterator_tIbNSD_35transform_pair_of_input_iterators_tIbNS6_6detail15normal_iteratorINS6_10device_ptrIKjEEEESL_NS6_8equal_toIjEEEENSG_9not_fun_tINSD_8identityEEEEENSD_19counting_iterator_tIlEES8_S8_S8_S8_S8_S8_S8_S8_EEEEPS9_S9_NSD_9__find_if7functorIS9_EEEE10hipError_tPvRmT1_T2_T3_mT4_P12ihipStream_tbEUlT_E0_NS1_11comp_targetILNS1_3genE5ELNS1_11target_archE942ELNS1_3gpuE9ELNS1_3repE0EEENS1_30default_config_static_selectorELNS0_4arch9wavefront6targetE0EEEvS14_.kd
    .uniform_work_group_size: 1
    .uses_dynamic_stack: false
    .vgpr_count:     0
    .vgpr_spill_count: 0
    .wavefront_size: 32
    .workgroup_processor_mode: 1
  - .args:
      - .offset:         0
        .size:           104
        .value_kind:     by_value
    .group_segment_fixed_size: 0
    .kernarg_segment_align: 8
    .kernarg_segment_size: 104
    .language:       OpenCL C
    .language_version:
      - 2
      - 0
    .max_flat_workgroup_size: 256
    .name:           _ZN7rocprim17ROCPRIM_400000_NS6detail17trampoline_kernelINS0_14default_configENS1_22reduce_config_selectorIN6thrust23THRUST_200600_302600_NS5tupleIblNS6_9null_typeES8_S8_S8_S8_S8_S8_S8_EEEEZNS1_11reduce_implILb1ES3_NS6_12zip_iteratorINS7_INS6_11hip_rocprim26transform_input_iterator_tIbNSD_35transform_pair_of_input_iterators_tIbNS6_6detail15normal_iteratorINS6_10device_ptrIKjEEEESL_NS6_8equal_toIjEEEENSG_9not_fun_tINSD_8identityEEEEENSD_19counting_iterator_tIlEES8_S8_S8_S8_S8_S8_S8_S8_EEEEPS9_S9_NSD_9__find_if7functorIS9_EEEE10hipError_tPvRmT1_T2_T3_mT4_P12ihipStream_tbEUlT_E0_NS1_11comp_targetILNS1_3genE4ELNS1_11target_archE910ELNS1_3gpuE8ELNS1_3repE0EEENS1_30default_config_static_selectorELNS0_4arch9wavefront6targetE0EEEvS14_
    .private_segment_fixed_size: 0
    .sgpr_count:     0
    .sgpr_spill_count: 0
    .symbol:         _ZN7rocprim17ROCPRIM_400000_NS6detail17trampoline_kernelINS0_14default_configENS1_22reduce_config_selectorIN6thrust23THRUST_200600_302600_NS5tupleIblNS6_9null_typeES8_S8_S8_S8_S8_S8_S8_EEEEZNS1_11reduce_implILb1ES3_NS6_12zip_iteratorINS7_INS6_11hip_rocprim26transform_input_iterator_tIbNSD_35transform_pair_of_input_iterators_tIbNS6_6detail15normal_iteratorINS6_10device_ptrIKjEEEESL_NS6_8equal_toIjEEEENSG_9not_fun_tINSD_8identityEEEEENSD_19counting_iterator_tIlEES8_S8_S8_S8_S8_S8_S8_S8_EEEEPS9_S9_NSD_9__find_if7functorIS9_EEEE10hipError_tPvRmT1_T2_T3_mT4_P12ihipStream_tbEUlT_E0_NS1_11comp_targetILNS1_3genE4ELNS1_11target_archE910ELNS1_3gpuE8ELNS1_3repE0EEENS1_30default_config_static_selectorELNS0_4arch9wavefront6targetE0EEEvS14_.kd
    .uniform_work_group_size: 1
    .uses_dynamic_stack: false
    .vgpr_count:     0
    .vgpr_spill_count: 0
    .wavefront_size: 32
    .workgroup_processor_mode: 1
  - .args:
      - .offset:         0
        .size:           104
        .value_kind:     by_value
    .group_segment_fixed_size: 0
    .kernarg_segment_align: 8
    .kernarg_segment_size: 104
    .language:       OpenCL C
    .language_version:
      - 2
      - 0
    .max_flat_workgroup_size: 128
    .name:           _ZN7rocprim17ROCPRIM_400000_NS6detail17trampoline_kernelINS0_14default_configENS1_22reduce_config_selectorIN6thrust23THRUST_200600_302600_NS5tupleIblNS6_9null_typeES8_S8_S8_S8_S8_S8_S8_EEEEZNS1_11reduce_implILb1ES3_NS6_12zip_iteratorINS7_INS6_11hip_rocprim26transform_input_iterator_tIbNSD_35transform_pair_of_input_iterators_tIbNS6_6detail15normal_iteratorINS6_10device_ptrIKjEEEESL_NS6_8equal_toIjEEEENSG_9not_fun_tINSD_8identityEEEEENSD_19counting_iterator_tIlEES8_S8_S8_S8_S8_S8_S8_S8_EEEEPS9_S9_NSD_9__find_if7functorIS9_EEEE10hipError_tPvRmT1_T2_T3_mT4_P12ihipStream_tbEUlT_E0_NS1_11comp_targetILNS1_3genE3ELNS1_11target_archE908ELNS1_3gpuE7ELNS1_3repE0EEENS1_30default_config_static_selectorELNS0_4arch9wavefront6targetE0EEEvS14_
    .private_segment_fixed_size: 0
    .sgpr_count:     0
    .sgpr_spill_count: 0
    .symbol:         _ZN7rocprim17ROCPRIM_400000_NS6detail17trampoline_kernelINS0_14default_configENS1_22reduce_config_selectorIN6thrust23THRUST_200600_302600_NS5tupleIblNS6_9null_typeES8_S8_S8_S8_S8_S8_S8_EEEEZNS1_11reduce_implILb1ES3_NS6_12zip_iteratorINS7_INS6_11hip_rocprim26transform_input_iterator_tIbNSD_35transform_pair_of_input_iterators_tIbNS6_6detail15normal_iteratorINS6_10device_ptrIKjEEEESL_NS6_8equal_toIjEEEENSG_9not_fun_tINSD_8identityEEEEENSD_19counting_iterator_tIlEES8_S8_S8_S8_S8_S8_S8_S8_EEEEPS9_S9_NSD_9__find_if7functorIS9_EEEE10hipError_tPvRmT1_T2_T3_mT4_P12ihipStream_tbEUlT_E0_NS1_11comp_targetILNS1_3genE3ELNS1_11target_archE908ELNS1_3gpuE7ELNS1_3repE0EEENS1_30default_config_static_selectorELNS0_4arch9wavefront6targetE0EEEvS14_.kd
    .uniform_work_group_size: 1
    .uses_dynamic_stack: false
    .vgpr_count:     0
    .vgpr_spill_count: 0
    .wavefront_size: 32
    .workgroup_processor_mode: 1
  - .args:
      - .offset:         0
        .size:           104
        .value_kind:     by_value
    .group_segment_fixed_size: 0
    .kernarg_segment_align: 8
    .kernarg_segment_size: 104
    .language:       OpenCL C
    .language_version:
      - 2
      - 0
    .max_flat_workgroup_size: 128
    .name:           _ZN7rocprim17ROCPRIM_400000_NS6detail17trampoline_kernelINS0_14default_configENS1_22reduce_config_selectorIN6thrust23THRUST_200600_302600_NS5tupleIblNS6_9null_typeES8_S8_S8_S8_S8_S8_S8_EEEEZNS1_11reduce_implILb1ES3_NS6_12zip_iteratorINS7_INS6_11hip_rocprim26transform_input_iterator_tIbNSD_35transform_pair_of_input_iterators_tIbNS6_6detail15normal_iteratorINS6_10device_ptrIKjEEEESL_NS6_8equal_toIjEEEENSG_9not_fun_tINSD_8identityEEEEENSD_19counting_iterator_tIlEES8_S8_S8_S8_S8_S8_S8_S8_EEEEPS9_S9_NSD_9__find_if7functorIS9_EEEE10hipError_tPvRmT1_T2_T3_mT4_P12ihipStream_tbEUlT_E0_NS1_11comp_targetILNS1_3genE2ELNS1_11target_archE906ELNS1_3gpuE6ELNS1_3repE0EEENS1_30default_config_static_selectorELNS0_4arch9wavefront6targetE0EEEvS14_
    .private_segment_fixed_size: 0
    .sgpr_count:     0
    .sgpr_spill_count: 0
    .symbol:         _ZN7rocprim17ROCPRIM_400000_NS6detail17trampoline_kernelINS0_14default_configENS1_22reduce_config_selectorIN6thrust23THRUST_200600_302600_NS5tupleIblNS6_9null_typeES8_S8_S8_S8_S8_S8_S8_EEEEZNS1_11reduce_implILb1ES3_NS6_12zip_iteratorINS7_INS6_11hip_rocprim26transform_input_iterator_tIbNSD_35transform_pair_of_input_iterators_tIbNS6_6detail15normal_iteratorINS6_10device_ptrIKjEEEESL_NS6_8equal_toIjEEEENSG_9not_fun_tINSD_8identityEEEEENSD_19counting_iterator_tIlEES8_S8_S8_S8_S8_S8_S8_S8_EEEEPS9_S9_NSD_9__find_if7functorIS9_EEEE10hipError_tPvRmT1_T2_T3_mT4_P12ihipStream_tbEUlT_E0_NS1_11comp_targetILNS1_3genE2ELNS1_11target_archE906ELNS1_3gpuE6ELNS1_3repE0EEENS1_30default_config_static_selectorELNS0_4arch9wavefront6targetE0EEEvS14_.kd
    .uniform_work_group_size: 1
    .uses_dynamic_stack: false
    .vgpr_count:     0
    .vgpr_spill_count: 0
    .wavefront_size: 32
    .workgroup_processor_mode: 1
  - .args:
      - .offset:         0
        .size:           104
        .value_kind:     by_value
    .group_segment_fixed_size: 0
    .kernarg_segment_align: 8
    .kernarg_segment_size: 104
    .language:       OpenCL C
    .language_version:
      - 2
      - 0
    .max_flat_workgroup_size: 256
    .name:           _ZN7rocprim17ROCPRIM_400000_NS6detail17trampoline_kernelINS0_14default_configENS1_22reduce_config_selectorIN6thrust23THRUST_200600_302600_NS5tupleIblNS6_9null_typeES8_S8_S8_S8_S8_S8_S8_EEEEZNS1_11reduce_implILb1ES3_NS6_12zip_iteratorINS7_INS6_11hip_rocprim26transform_input_iterator_tIbNSD_35transform_pair_of_input_iterators_tIbNS6_6detail15normal_iteratorINS6_10device_ptrIKjEEEESL_NS6_8equal_toIjEEEENSG_9not_fun_tINSD_8identityEEEEENSD_19counting_iterator_tIlEES8_S8_S8_S8_S8_S8_S8_S8_EEEEPS9_S9_NSD_9__find_if7functorIS9_EEEE10hipError_tPvRmT1_T2_T3_mT4_P12ihipStream_tbEUlT_E0_NS1_11comp_targetILNS1_3genE10ELNS1_11target_archE1201ELNS1_3gpuE5ELNS1_3repE0EEENS1_30default_config_static_selectorELNS0_4arch9wavefront6targetE0EEEvS14_
    .private_segment_fixed_size: 0
    .sgpr_count:     0
    .sgpr_spill_count: 0
    .symbol:         _ZN7rocprim17ROCPRIM_400000_NS6detail17trampoline_kernelINS0_14default_configENS1_22reduce_config_selectorIN6thrust23THRUST_200600_302600_NS5tupleIblNS6_9null_typeES8_S8_S8_S8_S8_S8_S8_EEEEZNS1_11reduce_implILb1ES3_NS6_12zip_iteratorINS7_INS6_11hip_rocprim26transform_input_iterator_tIbNSD_35transform_pair_of_input_iterators_tIbNS6_6detail15normal_iteratorINS6_10device_ptrIKjEEEESL_NS6_8equal_toIjEEEENSG_9not_fun_tINSD_8identityEEEEENSD_19counting_iterator_tIlEES8_S8_S8_S8_S8_S8_S8_S8_EEEEPS9_S9_NSD_9__find_if7functorIS9_EEEE10hipError_tPvRmT1_T2_T3_mT4_P12ihipStream_tbEUlT_E0_NS1_11comp_targetILNS1_3genE10ELNS1_11target_archE1201ELNS1_3gpuE5ELNS1_3repE0EEENS1_30default_config_static_selectorELNS0_4arch9wavefront6targetE0EEEvS14_.kd
    .uniform_work_group_size: 1
    .uses_dynamic_stack: false
    .vgpr_count:     0
    .vgpr_spill_count: 0
    .wavefront_size: 32
    .workgroup_processor_mode: 1
  - .args:
      - .offset:         0
        .size:           104
        .value_kind:     by_value
    .group_segment_fixed_size: 0
    .kernarg_segment_align: 8
    .kernarg_segment_size: 104
    .language:       OpenCL C
    .language_version:
      - 2
      - 0
    .max_flat_workgroup_size: 256
    .name:           _ZN7rocprim17ROCPRIM_400000_NS6detail17trampoline_kernelINS0_14default_configENS1_22reduce_config_selectorIN6thrust23THRUST_200600_302600_NS5tupleIblNS6_9null_typeES8_S8_S8_S8_S8_S8_S8_EEEEZNS1_11reduce_implILb1ES3_NS6_12zip_iteratorINS7_INS6_11hip_rocprim26transform_input_iterator_tIbNSD_35transform_pair_of_input_iterators_tIbNS6_6detail15normal_iteratorINS6_10device_ptrIKjEEEESL_NS6_8equal_toIjEEEENSG_9not_fun_tINSD_8identityEEEEENSD_19counting_iterator_tIlEES8_S8_S8_S8_S8_S8_S8_S8_EEEEPS9_S9_NSD_9__find_if7functorIS9_EEEE10hipError_tPvRmT1_T2_T3_mT4_P12ihipStream_tbEUlT_E0_NS1_11comp_targetILNS1_3genE10ELNS1_11target_archE1200ELNS1_3gpuE4ELNS1_3repE0EEENS1_30default_config_static_selectorELNS0_4arch9wavefront6targetE0EEEvS14_
    .private_segment_fixed_size: 0
    .sgpr_count:     0
    .sgpr_spill_count: 0
    .symbol:         _ZN7rocprim17ROCPRIM_400000_NS6detail17trampoline_kernelINS0_14default_configENS1_22reduce_config_selectorIN6thrust23THRUST_200600_302600_NS5tupleIblNS6_9null_typeES8_S8_S8_S8_S8_S8_S8_EEEEZNS1_11reduce_implILb1ES3_NS6_12zip_iteratorINS7_INS6_11hip_rocprim26transform_input_iterator_tIbNSD_35transform_pair_of_input_iterators_tIbNS6_6detail15normal_iteratorINS6_10device_ptrIKjEEEESL_NS6_8equal_toIjEEEENSG_9not_fun_tINSD_8identityEEEEENSD_19counting_iterator_tIlEES8_S8_S8_S8_S8_S8_S8_S8_EEEEPS9_S9_NSD_9__find_if7functorIS9_EEEE10hipError_tPvRmT1_T2_T3_mT4_P12ihipStream_tbEUlT_E0_NS1_11comp_targetILNS1_3genE10ELNS1_11target_archE1200ELNS1_3gpuE4ELNS1_3repE0EEENS1_30default_config_static_selectorELNS0_4arch9wavefront6targetE0EEEvS14_.kd
    .uniform_work_group_size: 1
    .uses_dynamic_stack: false
    .vgpr_count:     0
    .vgpr_spill_count: 0
    .wavefront_size: 32
    .workgroup_processor_mode: 1
  - .args:
      - .offset:         0
        .size:           104
        .value_kind:     by_value
    .group_segment_fixed_size: 256
    .kernarg_segment_align: 8
    .kernarg_segment_size: 104
    .language:       OpenCL C
    .language_version:
      - 2
      - 0
    .max_flat_workgroup_size: 256
    .name:           _ZN7rocprim17ROCPRIM_400000_NS6detail17trampoline_kernelINS0_14default_configENS1_22reduce_config_selectorIN6thrust23THRUST_200600_302600_NS5tupleIblNS6_9null_typeES8_S8_S8_S8_S8_S8_S8_EEEEZNS1_11reduce_implILb1ES3_NS6_12zip_iteratorINS7_INS6_11hip_rocprim26transform_input_iterator_tIbNSD_35transform_pair_of_input_iterators_tIbNS6_6detail15normal_iteratorINS6_10device_ptrIKjEEEESL_NS6_8equal_toIjEEEENSG_9not_fun_tINSD_8identityEEEEENSD_19counting_iterator_tIlEES8_S8_S8_S8_S8_S8_S8_S8_EEEEPS9_S9_NSD_9__find_if7functorIS9_EEEE10hipError_tPvRmT1_T2_T3_mT4_P12ihipStream_tbEUlT_E0_NS1_11comp_targetILNS1_3genE9ELNS1_11target_archE1100ELNS1_3gpuE3ELNS1_3repE0EEENS1_30default_config_static_selectorELNS0_4arch9wavefront6targetE0EEEvS14_
    .private_segment_fixed_size: 0
    .sgpr_count:     30
    .sgpr_spill_count: 0
    .symbol:         _ZN7rocprim17ROCPRIM_400000_NS6detail17trampoline_kernelINS0_14default_configENS1_22reduce_config_selectorIN6thrust23THRUST_200600_302600_NS5tupleIblNS6_9null_typeES8_S8_S8_S8_S8_S8_S8_EEEEZNS1_11reduce_implILb1ES3_NS6_12zip_iteratorINS7_INS6_11hip_rocprim26transform_input_iterator_tIbNSD_35transform_pair_of_input_iterators_tIbNS6_6detail15normal_iteratorINS6_10device_ptrIKjEEEESL_NS6_8equal_toIjEEEENSG_9not_fun_tINSD_8identityEEEEENSD_19counting_iterator_tIlEES8_S8_S8_S8_S8_S8_S8_S8_EEEEPS9_S9_NSD_9__find_if7functorIS9_EEEE10hipError_tPvRmT1_T2_T3_mT4_P12ihipStream_tbEUlT_E0_NS1_11comp_targetILNS1_3genE9ELNS1_11target_archE1100ELNS1_3gpuE3ELNS1_3repE0EEENS1_30default_config_static_selectorELNS0_4arch9wavefront6targetE0EEEvS14_.kd
    .uniform_work_group_size: 1
    .uses_dynamic_stack: false
    .vgpr_count:     16
    .vgpr_spill_count: 0
    .wavefront_size: 32
    .workgroup_processor_mode: 1
  - .args:
      - .offset:         0
        .size:           104
        .value_kind:     by_value
    .group_segment_fixed_size: 0
    .kernarg_segment_align: 8
    .kernarg_segment_size: 104
    .language:       OpenCL C
    .language_version:
      - 2
      - 0
    .max_flat_workgroup_size: 256
    .name:           _ZN7rocprim17ROCPRIM_400000_NS6detail17trampoline_kernelINS0_14default_configENS1_22reduce_config_selectorIN6thrust23THRUST_200600_302600_NS5tupleIblNS6_9null_typeES8_S8_S8_S8_S8_S8_S8_EEEEZNS1_11reduce_implILb1ES3_NS6_12zip_iteratorINS7_INS6_11hip_rocprim26transform_input_iterator_tIbNSD_35transform_pair_of_input_iterators_tIbNS6_6detail15normal_iteratorINS6_10device_ptrIKjEEEESL_NS6_8equal_toIjEEEENSG_9not_fun_tINSD_8identityEEEEENSD_19counting_iterator_tIlEES8_S8_S8_S8_S8_S8_S8_S8_EEEEPS9_S9_NSD_9__find_if7functorIS9_EEEE10hipError_tPvRmT1_T2_T3_mT4_P12ihipStream_tbEUlT_E0_NS1_11comp_targetILNS1_3genE8ELNS1_11target_archE1030ELNS1_3gpuE2ELNS1_3repE0EEENS1_30default_config_static_selectorELNS0_4arch9wavefront6targetE0EEEvS14_
    .private_segment_fixed_size: 0
    .sgpr_count:     0
    .sgpr_spill_count: 0
    .symbol:         _ZN7rocprim17ROCPRIM_400000_NS6detail17trampoline_kernelINS0_14default_configENS1_22reduce_config_selectorIN6thrust23THRUST_200600_302600_NS5tupleIblNS6_9null_typeES8_S8_S8_S8_S8_S8_S8_EEEEZNS1_11reduce_implILb1ES3_NS6_12zip_iteratorINS7_INS6_11hip_rocprim26transform_input_iterator_tIbNSD_35transform_pair_of_input_iterators_tIbNS6_6detail15normal_iteratorINS6_10device_ptrIKjEEEESL_NS6_8equal_toIjEEEENSG_9not_fun_tINSD_8identityEEEEENSD_19counting_iterator_tIlEES8_S8_S8_S8_S8_S8_S8_S8_EEEEPS9_S9_NSD_9__find_if7functorIS9_EEEE10hipError_tPvRmT1_T2_T3_mT4_P12ihipStream_tbEUlT_E0_NS1_11comp_targetILNS1_3genE8ELNS1_11target_archE1030ELNS1_3gpuE2ELNS1_3repE0EEENS1_30default_config_static_selectorELNS0_4arch9wavefront6targetE0EEEvS14_.kd
    .uniform_work_group_size: 1
    .uses_dynamic_stack: false
    .vgpr_count:     0
    .vgpr_spill_count: 0
    .wavefront_size: 32
    .workgroup_processor_mode: 1
  - .args:
      - .offset:         0
        .size:           88
        .value_kind:     by_value
    .group_segment_fixed_size: 0
    .kernarg_segment_align: 8
    .kernarg_segment_size: 88
    .language:       OpenCL C
    .language_version:
      - 2
      - 0
    .max_flat_workgroup_size: 128
    .name:           _ZN7rocprim17ROCPRIM_400000_NS6detail17trampoline_kernelINS0_14default_configENS1_22reduce_config_selectorIN6thrust23THRUST_200600_302600_NS5tupleIblNS6_9null_typeES8_S8_S8_S8_S8_S8_S8_EEEEZNS1_11reduce_implILb1ES3_NS6_12zip_iteratorINS7_INS6_11hip_rocprim26transform_input_iterator_tIbNSD_35transform_pair_of_input_iterators_tIbNS6_6detail15normal_iteratorINS6_10device_ptrIKjEEEESL_NS6_8equal_toIjEEEENSG_9not_fun_tINSD_8identityEEEEENSD_19counting_iterator_tIlEES8_S8_S8_S8_S8_S8_S8_S8_EEEEPS9_S9_NSD_9__find_if7functorIS9_EEEE10hipError_tPvRmT1_T2_T3_mT4_P12ihipStream_tbEUlT_E1_NS1_11comp_targetILNS1_3genE0ELNS1_11target_archE4294967295ELNS1_3gpuE0ELNS1_3repE0EEENS1_30default_config_static_selectorELNS0_4arch9wavefront6targetE0EEEvS14_
    .private_segment_fixed_size: 0
    .sgpr_count:     0
    .sgpr_spill_count: 0
    .symbol:         _ZN7rocprim17ROCPRIM_400000_NS6detail17trampoline_kernelINS0_14default_configENS1_22reduce_config_selectorIN6thrust23THRUST_200600_302600_NS5tupleIblNS6_9null_typeES8_S8_S8_S8_S8_S8_S8_EEEEZNS1_11reduce_implILb1ES3_NS6_12zip_iteratorINS7_INS6_11hip_rocprim26transform_input_iterator_tIbNSD_35transform_pair_of_input_iterators_tIbNS6_6detail15normal_iteratorINS6_10device_ptrIKjEEEESL_NS6_8equal_toIjEEEENSG_9not_fun_tINSD_8identityEEEEENSD_19counting_iterator_tIlEES8_S8_S8_S8_S8_S8_S8_S8_EEEEPS9_S9_NSD_9__find_if7functorIS9_EEEE10hipError_tPvRmT1_T2_T3_mT4_P12ihipStream_tbEUlT_E1_NS1_11comp_targetILNS1_3genE0ELNS1_11target_archE4294967295ELNS1_3gpuE0ELNS1_3repE0EEENS1_30default_config_static_selectorELNS0_4arch9wavefront6targetE0EEEvS14_.kd
    .uniform_work_group_size: 1
    .uses_dynamic_stack: false
    .vgpr_count:     0
    .vgpr_spill_count: 0
    .wavefront_size: 32
    .workgroup_processor_mode: 1
  - .args:
      - .offset:         0
        .size:           88
        .value_kind:     by_value
    .group_segment_fixed_size: 0
    .kernarg_segment_align: 8
    .kernarg_segment_size: 88
    .language:       OpenCL C
    .language_version:
      - 2
      - 0
    .max_flat_workgroup_size: 256
    .name:           _ZN7rocprim17ROCPRIM_400000_NS6detail17trampoline_kernelINS0_14default_configENS1_22reduce_config_selectorIN6thrust23THRUST_200600_302600_NS5tupleIblNS6_9null_typeES8_S8_S8_S8_S8_S8_S8_EEEEZNS1_11reduce_implILb1ES3_NS6_12zip_iteratorINS7_INS6_11hip_rocprim26transform_input_iterator_tIbNSD_35transform_pair_of_input_iterators_tIbNS6_6detail15normal_iteratorINS6_10device_ptrIKjEEEESL_NS6_8equal_toIjEEEENSG_9not_fun_tINSD_8identityEEEEENSD_19counting_iterator_tIlEES8_S8_S8_S8_S8_S8_S8_S8_EEEEPS9_S9_NSD_9__find_if7functorIS9_EEEE10hipError_tPvRmT1_T2_T3_mT4_P12ihipStream_tbEUlT_E1_NS1_11comp_targetILNS1_3genE5ELNS1_11target_archE942ELNS1_3gpuE9ELNS1_3repE0EEENS1_30default_config_static_selectorELNS0_4arch9wavefront6targetE0EEEvS14_
    .private_segment_fixed_size: 0
    .sgpr_count:     0
    .sgpr_spill_count: 0
    .symbol:         _ZN7rocprim17ROCPRIM_400000_NS6detail17trampoline_kernelINS0_14default_configENS1_22reduce_config_selectorIN6thrust23THRUST_200600_302600_NS5tupleIblNS6_9null_typeES8_S8_S8_S8_S8_S8_S8_EEEEZNS1_11reduce_implILb1ES3_NS6_12zip_iteratorINS7_INS6_11hip_rocprim26transform_input_iterator_tIbNSD_35transform_pair_of_input_iterators_tIbNS6_6detail15normal_iteratorINS6_10device_ptrIKjEEEESL_NS6_8equal_toIjEEEENSG_9not_fun_tINSD_8identityEEEEENSD_19counting_iterator_tIlEES8_S8_S8_S8_S8_S8_S8_S8_EEEEPS9_S9_NSD_9__find_if7functorIS9_EEEE10hipError_tPvRmT1_T2_T3_mT4_P12ihipStream_tbEUlT_E1_NS1_11comp_targetILNS1_3genE5ELNS1_11target_archE942ELNS1_3gpuE9ELNS1_3repE0EEENS1_30default_config_static_selectorELNS0_4arch9wavefront6targetE0EEEvS14_.kd
    .uniform_work_group_size: 1
    .uses_dynamic_stack: false
    .vgpr_count:     0
    .vgpr_spill_count: 0
    .wavefront_size: 32
    .workgroup_processor_mode: 1
  - .args:
      - .offset:         0
        .size:           88
        .value_kind:     by_value
    .group_segment_fixed_size: 0
    .kernarg_segment_align: 8
    .kernarg_segment_size: 88
    .language:       OpenCL C
    .language_version:
      - 2
      - 0
    .max_flat_workgroup_size: 256
    .name:           _ZN7rocprim17ROCPRIM_400000_NS6detail17trampoline_kernelINS0_14default_configENS1_22reduce_config_selectorIN6thrust23THRUST_200600_302600_NS5tupleIblNS6_9null_typeES8_S8_S8_S8_S8_S8_S8_EEEEZNS1_11reduce_implILb1ES3_NS6_12zip_iteratorINS7_INS6_11hip_rocprim26transform_input_iterator_tIbNSD_35transform_pair_of_input_iterators_tIbNS6_6detail15normal_iteratorINS6_10device_ptrIKjEEEESL_NS6_8equal_toIjEEEENSG_9not_fun_tINSD_8identityEEEEENSD_19counting_iterator_tIlEES8_S8_S8_S8_S8_S8_S8_S8_EEEEPS9_S9_NSD_9__find_if7functorIS9_EEEE10hipError_tPvRmT1_T2_T3_mT4_P12ihipStream_tbEUlT_E1_NS1_11comp_targetILNS1_3genE4ELNS1_11target_archE910ELNS1_3gpuE8ELNS1_3repE0EEENS1_30default_config_static_selectorELNS0_4arch9wavefront6targetE0EEEvS14_
    .private_segment_fixed_size: 0
    .sgpr_count:     0
    .sgpr_spill_count: 0
    .symbol:         _ZN7rocprim17ROCPRIM_400000_NS6detail17trampoline_kernelINS0_14default_configENS1_22reduce_config_selectorIN6thrust23THRUST_200600_302600_NS5tupleIblNS6_9null_typeES8_S8_S8_S8_S8_S8_S8_EEEEZNS1_11reduce_implILb1ES3_NS6_12zip_iteratorINS7_INS6_11hip_rocprim26transform_input_iterator_tIbNSD_35transform_pair_of_input_iterators_tIbNS6_6detail15normal_iteratorINS6_10device_ptrIKjEEEESL_NS6_8equal_toIjEEEENSG_9not_fun_tINSD_8identityEEEEENSD_19counting_iterator_tIlEES8_S8_S8_S8_S8_S8_S8_S8_EEEEPS9_S9_NSD_9__find_if7functorIS9_EEEE10hipError_tPvRmT1_T2_T3_mT4_P12ihipStream_tbEUlT_E1_NS1_11comp_targetILNS1_3genE4ELNS1_11target_archE910ELNS1_3gpuE8ELNS1_3repE0EEENS1_30default_config_static_selectorELNS0_4arch9wavefront6targetE0EEEvS14_.kd
    .uniform_work_group_size: 1
    .uses_dynamic_stack: false
    .vgpr_count:     0
    .vgpr_spill_count: 0
    .wavefront_size: 32
    .workgroup_processor_mode: 1
  - .args:
      - .offset:         0
        .size:           88
        .value_kind:     by_value
    .group_segment_fixed_size: 0
    .kernarg_segment_align: 8
    .kernarg_segment_size: 88
    .language:       OpenCL C
    .language_version:
      - 2
      - 0
    .max_flat_workgroup_size: 128
    .name:           _ZN7rocprim17ROCPRIM_400000_NS6detail17trampoline_kernelINS0_14default_configENS1_22reduce_config_selectorIN6thrust23THRUST_200600_302600_NS5tupleIblNS6_9null_typeES8_S8_S8_S8_S8_S8_S8_EEEEZNS1_11reduce_implILb1ES3_NS6_12zip_iteratorINS7_INS6_11hip_rocprim26transform_input_iterator_tIbNSD_35transform_pair_of_input_iterators_tIbNS6_6detail15normal_iteratorINS6_10device_ptrIKjEEEESL_NS6_8equal_toIjEEEENSG_9not_fun_tINSD_8identityEEEEENSD_19counting_iterator_tIlEES8_S8_S8_S8_S8_S8_S8_S8_EEEEPS9_S9_NSD_9__find_if7functorIS9_EEEE10hipError_tPvRmT1_T2_T3_mT4_P12ihipStream_tbEUlT_E1_NS1_11comp_targetILNS1_3genE3ELNS1_11target_archE908ELNS1_3gpuE7ELNS1_3repE0EEENS1_30default_config_static_selectorELNS0_4arch9wavefront6targetE0EEEvS14_
    .private_segment_fixed_size: 0
    .sgpr_count:     0
    .sgpr_spill_count: 0
    .symbol:         _ZN7rocprim17ROCPRIM_400000_NS6detail17trampoline_kernelINS0_14default_configENS1_22reduce_config_selectorIN6thrust23THRUST_200600_302600_NS5tupleIblNS6_9null_typeES8_S8_S8_S8_S8_S8_S8_EEEEZNS1_11reduce_implILb1ES3_NS6_12zip_iteratorINS7_INS6_11hip_rocprim26transform_input_iterator_tIbNSD_35transform_pair_of_input_iterators_tIbNS6_6detail15normal_iteratorINS6_10device_ptrIKjEEEESL_NS6_8equal_toIjEEEENSG_9not_fun_tINSD_8identityEEEEENSD_19counting_iterator_tIlEES8_S8_S8_S8_S8_S8_S8_S8_EEEEPS9_S9_NSD_9__find_if7functorIS9_EEEE10hipError_tPvRmT1_T2_T3_mT4_P12ihipStream_tbEUlT_E1_NS1_11comp_targetILNS1_3genE3ELNS1_11target_archE908ELNS1_3gpuE7ELNS1_3repE0EEENS1_30default_config_static_selectorELNS0_4arch9wavefront6targetE0EEEvS14_.kd
    .uniform_work_group_size: 1
    .uses_dynamic_stack: false
    .vgpr_count:     0
    .vgpr_spill_count: 0
    .wavefront_size: 32
    .workgroup_processor_mode: 1
  - .args:
      - .offset:         0
        .size:           88
        .value_kind:     by_value
    .group_segment_fixed_size: 0
    .kernarg_segment_align: 8
    .kernarg_segment_size: 88
    .language:       OpenCL C
    .language_version:
      - 2
      - 0
    .max_flat_workgroup_size: 128
    .name:           _ZN7rocprim17ROCPRIM_400000_NS6detail17trampoline_kernelINS0_14default_configENS1_22reduce_config_selectorIN6thrust23THRUST_200600_302600_NS5tupleIblNS6_9null_typeES8_S8_S8_S8_S8_S8_S8_EEEEZNS1_11reduce_implILb1ES3_NS6_12zip_iteratorINS7_INS6_11hip_rocprim26transform_input_iterator_tIbNSD_35transform_pair_of_input_iterators_tIbNS6_6detail15normal_iteratorINS6_10device_ptrIKjEEEESL_NS6_8equal_toIjEEEENSG_9not_fun_tINSD_8identityEEEEENSD_19counting_iterator_tIlEES8_S8_S8_S8_S8_S8_S8_S8_EEEEPS9_S9_NSD_9__find_if7functorIS9_EEEE10hipError_tPvRmT1_T2_T3_mT4_P12ihipStream_tbEUlT_E1_NS1_11comp_targetILNS1_3genE2ELNS1_11target_archE906ELNS1_3gpuE6ELNS1_3repE0EEENS1_30default_config_static_selectorELNS0_4arch9wavefront6targetE0EEEvS14_
    .private_segment_fixed_size: 0
    .sgpr_count:     0
    .sgpr_spill_count: 0
    .symbol:         _ZN7rocprim17ROCPRIM_400000_NS6detail17trampoline_kernelINS0_14default_configENS1_22reduce_config_selectorIN6thrust23THRUST_200600_302600_NS5tupleIblNS6_9null_typeES8_S8_S8_S8_S8_S8_S8_EEEEZNS1_11reduce_implILb1ES3_NS6_12zip_iteratorINS7_INS6_11hip_rocprim26transform_input_iterator_tIbNSD_35transform_pair_of_input_iterators_tIbNS6_6detail15normal_iteratorINS6_10device_ptrIKjEEEESL_NS6_8equal_toIjEEEENSG_9not_fun_tINSD_8identityEEEEENSD_19counting_iterator_tIlEES8_S8_S8_S8_S8_S8_S8_S8_EEEEPS9_S9_NSD_9__find_if7functorIS9_EEEE10hipError_tPvRmT1_T2_T3_mT4_P12ihipStream_tbEUlT_E1_NS1_11comp_targetILNS1_3genE2ELNS1_11target_archE906ELNS1_3gpuE6ELNS1_3repE0EEENS1_30default_config_static_selectorELNS0_4arch9wavefront6targetE0EEEvS14_.kd
    .uniform_work_group_size: 1
    .uses_dynamic_stack: false
    .vgpr_count:     0
    .vgpr_spill_count: 0
    .wavefront_size: 32
    .workgroup_processor_mode: 1
  - .args:
      - .offset:         0
        .size:           88
        .value_kind:     by_value
    .group_segment_fixed_size: 0
    .kernarg_segment_align: 8
    .kernarg_segment_size: 88
    .language:       OpenCL C
    .language_version:
      - 2
      - 0
    .max_flat_workgroup_size: 256
    .name:           _ZN7rocprim17ROCPRIM_400000_NS6detail17trampoline_kernelINS0_14default_configENS1_22reduce_config_selectorIN6thrust23THRUST_200600_302600_NS5tupleIblNS6_9null_typeES8_S8_S8_S8_S8_S8_S8_EEEEZNS1_11reduce_implILb1ES3_NS6_12zip_iteratorINS7_INS6_11hip_rocprim26transform_input_iterator_tIbNSD_35transform_pair_of_input_iterators_tIbNS6_6detail15normal_iteratorINS6_10device_ptrIKjEEEESL_NS6_8equal_toIjEEEENSG_9not_fun_tINSD_8identityEEEEENSD_19counting_iterator_tIlEES8_S8_S8_S8_S8_S8_S8_S8_EEEEPS9_S9_NSD_9__find_if7functorIS9_EEEE10hipError_tPvRmT1_T2_T3_mT4_P12ihipStream_tbEUlT_E1_NS1_11comp_targetILNS1_3genE10ELNS1_11target_archE1201ELNS1_3gpuE5ELNS1_3repE0EEENS1_30default_config_static_selectorELNS0_4arch9wavefront6targetE0EEEvS14_
    .private_segment_fixed_size: 0
    .sgpr_count:     0
    .sgpr_spill_count: 0
    .symbol:         _ZN7rocprim17ROCPRIM_400000_NS6detail17trampoline_kernelINS0_14default_configENS1_22reduce_config_selectorIN6thrust23THRUST_200600_302600_NS5tupleIblNS6_9null_typeES8_S8_S8_S8_S8_S8_S8_EEEEZNS1_11reduce_implILb1ES3_NS6_12zip_iteratorINS7_INS6_11hip_rocprim26transform_input_iterator_tIbNSD_35transform_pair_of_input_iterators_tIbNS6_6detail15normal_iteratorINS6_10device_ptrIKjEEEESL_NS6_8equal_toIjEEEENSG_9not_fun_tINSD_8identityEEEEENSD_19counting_iterator_tIlEES8_S8_S8_S8_S8_S8_S8_S8_EEEEPS9_S9_NSD_9__find_if7functorIS9_EEEE10hipError_tPvRmT1_T2_T3_mT4_P12ihipStream_tbEUlT_E1_NS1_11comp_targetILNS1_3genE10ELNS1_11target_archE1201ELNS1_3gpuE5ELNS1_3repE0EEENS1_30default_config_static_selectorELNS0_4arch9wavefront6targetE0EEEvS14_.kd
    .uniform_work_group_size: 1
    .uses_dynamic_stack: false
    .vgpr_count:     0
    .vgpr_spill_count: 0
    .wavefront_size: 32
    .workgroup_processor_mode: 1
  - .args:
      - .offset:         0
        .size:           88
        .value_kind:     by_value
    .group_segment_fixed_size: 0
    .kernarg_segment_align: 8
    .kernarg_segment_size: 88
    .language:       OpenCL C
    .language_version:
      - 2
      - 0
    .max_flat_workgroup_size: 256
    .name:           _ZN7rocprim17ROCPRIM_400000_NS6detail17trampoline_kernelINS0_14default_configENS1_22reduce_config_selectorIN6thrust23THRUST_200600_302600_NS5tupleIblNS6_9null_typeES8_S8_S8_S8_S8_S8_S8_EEEEZNS1_11reduce_implILb1ES3_NS6_12zip_iteratorINS7_INS6_11hip_rocprim26transform_input_iterator_tIbNSD_35transform_pair_of_input_iterators_tIbNS6_6detail15normal_iteratorINS6_10device_ptrIKjEEEESL_NS6_8equal_toIjEEEENSG_9not_fun_tINSD_8identityEEEEENSD_19counting_iterator_tIlEES8_S8_S8_S8_S8_S8_S8_S8_EEEEPS9_S9_NSD_9__find_if7functorIS9_EEEE10hipError_tPvRmT1_T2_T3_mT4_P12ihipStream_tbEUlT_E1_NS1_11comp_targetILNS1_3genE10ELNS1_11target_archE1200ELNS1_3gpuE4ELNS1_3repE0EEENS1_30default_config_static_selectorELNS0_4arch9wavefront6targetE0EEEvS14_
    .private_segment_fixed_size: 0
    .sgpr_count:     0
    .sgpr_spill_count: 0
    .symbol:         _ZN7rocprim17ROCPRIM_400000_NS6detail17trampoline_kernelINS0_14default_configENS1_22reduce_config_selectorIN6thrust23THRUST_200600_302600_NS5tupleIblNS6_9null_typeES8_S8_S8_S8_S8_S8_S8_EEEEZNS1_11reduce_implILb1ES3_NS6_12zip_iteratorINS7_INS6_11hip_rocprim26transform_input_iterator_tIbNSD_35transform_pair_of_input_iterators_tIbNS6_6detail15normal_iteratorINS6_10device_ptrIKjEEEESL_NS6_8equal_toIjEEEENSG_9not_fun_tINSD_8identityEEEEENSD_19counting_iterator_tIlEES8_S8_S8_S8_S8_S8_S8_S8_EEEEPS9_S9_NSD_9__find_if7functorIS9_EEEE10hipError_tPvRmT1_T2_T3_mT4_P12ihipStream_tbEUlT_E1_NS1_11comp_targetILNS1_3genE10ELNS1_11target_archE1200ELNS1_3gpuE4ELNS1_3repE0EEENS1_30default_config_static_selectorELNS0_4arch9wavefront6targetE0EEEvS14_.kd
    .uniform_work_group_size: 1
    .uses_dynamic_stack: false
    .vgpr_count:     0
    .vgpr_spill_count: 0
    .wavefront_size: 32
    .workgroup_processor_mode: 1
  - .args:
      - .offset:         0
        .size:           88
        .value_kind:     by_value
    .group_segment_fixed_size: 640
    .kernarg_segment_align: 8
    .kernarg_segment_size: 88
    .language:       OpenCL C
    .language_version:
      - 2
      - 0
    .max_flat_workgroup_size: 256
    .name:           _ZN7rocprim17ROCPRIM_400000_NS6detail17trampoline_kernelINS0_14default_configENS1_22reduce_config_selectorIN6thrust23THRUST_200600_302600_NS5tupleIblNS6_9null_typeES8_S8_S8_S8_S8_S8_S8_EEEEZNS1_11reduce_implILb1ES3_NS6_12zip_iteratorINS7_INS6_11hip_rocprim26transform_input_iterator_tIbNSD_35transform_pair_of_input_iterators_tIbNS6_6detail15normal_iteratorINS6_10device_ptrIKjEEEESL_NS6_8equal_toIjEEEENSG_9not_fun_tINSD_8identityEEEEENSD_19counting_iterator_tIlEES8_S8_S8_S8_S8_S8_S8_S8_EEEEPS9_S9_NSD_9__find_if7functorIS9_EEEE10hipError_tPvRmT1_T2_T3_mT4_P12ihipStream_tbEUlT_E1_NS1_11comp_targetILNS1_3genE9ELNS1_11target_archE1100ELNS1_3gpuE3ELNS1_3repE0EEENS1_30default_config_static_selectorELNS0_4arch9wavefront6targetE0EEEvS14_
    .private_segment_fixed_size: 0
    .sgpr_count:     34
    .sgpr_spill_count: 0
    .symbol:         _ZN7rocprim17ROCPRIM_400000_NS6detail17trampoline_kernelINS0_14default_configENS1_22reduce_config_selectorIN6thrust23THRUST_200600_302600_NS5tupleIblNS6_9null_typeES8_S8_S8_S8_S8_S8_S8_EEEEZNS1_11reduce_implILb1ES3_NS6_12zip_iteratorINS7_INS6_11hip_rocprim26transform_input_iterator_tIbNSD_35transform_pair_of_input_iterators_tIbNS6_6detail15normal_iteratorINS6_10device_ptrIKjEEEESL_NS6_8equal_toIjEEEENSG_9not_fun_tINSD_8identityEEEEENSD_19counting_iterator_tIlEES8_S8_S8_S8_S8_S8_S8_S8_EEEEPS9_S9_NSD_9__find_if7functorIS9_EEEE10hipError_tPvRmT1_T2_T3_mT4_P12ihipStream_tbEUlT_E1_NS1_11comp_targetILNS1_3genE9ELNS1_11target_archE1100ELNS1_3gpuE3ELNS1_3repE0EEENS1_30default_config_static_selectorELNS0_4arch9wavefront6targetE0EEEvS14_.kd
    .uniform_work_group_size: 1
    .uses_dynamic_stack: false
    .vgpr_count:     27
    .vgpr_spill_count: 0
    .wavefront_size: 32
    .workgroup_processor_mode: 1
  - .args:
      - .offset:         0
        .size:           88
        .value_kind:     by_value
    .group_segment_fixed_size: 0
    .kernarg_segment_align: 8
    .kernarg_segment_size: 88
    .language:       OpenCL C
    .language_version:
      - 2
      - 0
    .max_flat_workgroup_size: 256
    .name:           _ZN7rocprim17ROCPRIM_400000_NS6detail17trampoline_kernelINS0_14default_configENS1_22reduce_config_selectorIN6thrust23THRUST_200600_302600_NS5tupleIblNS6_9null_typeES8_S8_S8_S8_S8_S8_S8_EEEEZNS1_11reduce_implILb1ES3_NS6_12zip_iteratorINS7_INS6_11hip_rocprim26transform_input_iterator_tIbNSD_35transform_pair_of_input_iterators_tIbNS6_6detail15normal_iteratorINS6_10device_ptrIKjEEEESL_NS6_8equal_toIjEEEENSG_9not_fun_tINSD_8identityEEEEENSD_19counting_iterator_tIlEES8_S8_S8_S8_S8_S8_S8_S8_EEEEPS9_S9_NSD_9__find_if7functorIS9_EEEE10hipError_tPvRmT1_T2_T3_mT4_P12ihipStream_tbEUlT_E1_NS1_11comp_targetILNS1_3genE8ELNS1_11target_archE1030ELNS1_3gpuE2ELNS1_3repE0EEENS1_30default_config_static_selectorELNS0_4arch9wavefront6targetE0EEEvS14_
    .private_segment_fixed_size: 0
    .sgpr_count:     0
    .sgpr_spill_count: 0
    .symbol:         _ZN7rocprim17ROCPRIM_400000_NS6detail17trampoline_kernelINS0_14default_configENS1_22reduce_config_selectorIN6thrust23THRUST_200600_302600_NS5tupleIblNS6_9null_typeES8_S8_S8_S8_S8_S8_S8_EEEEZNS1_11reduce_implILb1ES3_NS6_12zip_iteratorINS7_INS6_11hip_rocprim26transform_input_iterator_tIbNSD_35transform_pair_of_input_iterators_tIbNS6_6detail15normal_iteratorINS6_10device_ptrIKjEEEESL_NS6_8equal_toIjEEEENSG_9not_fun_tINSD_8identityEEEEENSD_19counting_iterator_tIlEES8_S8_S8_S8_S8_S8_S8_S8_EEEEPS9_S9_NSD_9__find_if7functorIS9_EEEE10hipError_tPvRmT1_T2_T3_mT4_P12ihipStream_tbEUlT_E1_NS1_11comp_targetILNS1_3genE8ELNS1_11target_archE1030ELNS1_3gpuE2ELNS1_3repE0EEENS1_30default_config_static_selectorELNS0_4arch9wavefront6targetE0EEEvS14_.kd
    .uniform_work_group_size: 1
    .uses_dynamic_stack: false
    .vgpr_count:     0
    .vgpr_spill_count: 0
    .wavefront_size: 32
    .workgroup_processor_mode: 1
  - .args:
      - .offset:         0
        .size:           40
        .value_kind:     by_value
      - .offset:         40
        .size:           8
        .value_kind:     by_value
      - .offset:         48
        .size:           8
        .value_kind:     by_value
    .group_segment_fixed_size: 0
    .kernarg_segment_align: 8
    .kernarg_segment_size: 56
    .language:       OpenCL C
    .language_version:
      - 2
      - 0
    .max_flat_workgroup_size: 256
    .name:           _ZN6thrust23THRUST_200600_302600_NS11hip_rocprim14__parallel_for6kernelILj256ENS1_11__transform17unary_transform_fINS0_12zip_iteratorINS0_5tupleINS0_6detail15normal_iteratorINS0_10device_ptrItEEEESC_NS0_9null_typeESD_SD_SD_SD_SD_SD_SD_EEEESF_NS4_14no_stencil_tagENS0_8identityINS7_IttSD_SD_SD_SD_SD_SD_SD_SD_EEEENS4_21always_true_predicateEEElLj1EEEvT0_T1_SN_
    .private_segment_fixed_size: 0
    .sgpr_count:     22
    .sgpr_spill_count: 0
    .symbol:         _ZN6thrust23THRUST_200600_302600_NS11hip_rocprim14__parallel_for6kernelILj256ENS1_11__transform17unary_transform_fINS0_12zip_iteratorINS0_5tupleINS0_6detail15normal_iteratorINS0_10device_ptrItEEEESC_NS0_9null_typeESD_SD_SD_SD_SD_SD_SD_EEEESF_NS4_14no_stencil_tagENS0_8identityINS7_IttSD_SD_SD_SD_SD_SD_SD_SD_EEEENS4_21always_true_predicateEEElLj1EEEvT0_T1_SN_.kd
    .uniform_work_group_size: 1
    .uses_dynamic_stack: false
    .vgpr_count:     8
    .vgpr_spill_count: 0
    .wavefront_size: 32
    .workgroup_processor_mode: 1
  - .args:
      - .offset:         0
        .size:           104
        .value_kind:     by_value
    .group_segment_fixed_size: 0
    .kernarg_segment_align: 8
    .kernarg_segment_size: 104
    .language:       OpenCL C
    .language_version:
      - 2
      - 0
    .max_flat_workgroup_size: 128
    .name:           _ZN7rocprim17ROCPRIM_400000_NS6detail17trampoline_kernelINS0_14default_configENS1_22reduce_config_selectorIN6thrust23THRUST_200600_302600_NS5tupleIblNS6_9null_typeES8_S8_S8_S8_S8_S8_S8_EEEEZNS1_11reduce_implILb1ES3_NS6_12zip_iteratorINS7_INS6_11hip_rocprim26transform_input_iterator_tIbNSD_35transform_pair_of_input_iterators_tIbNS6_6detail15normal_iteratorINS6_10device_ptrIKtEEEESL_NS6_8equal_toItEEEENSG_9not_fun_tINSD_8identityEEEEENSD_19counting_iterator_tIlEES8_S8_S8_S8_S8_S8_S8_S8_EEEEPS9_S9_NSD_9__find_if7functorIS9_EEEE10hipError_tPvRmT1_T2_T3_mT4_P12ihipStream_tbEUlT_E0_NS1_11comp_targetILNS1_3genE0ELNS1_11target_archE4294967295ELNS1_3gpuE0ELNS1_3repE0EEENS1_30default_config_static_selectorELNS0_4arch9wavefront6targetE0EEEvS14_
    .private_segment_fixed_size: 0
    .sgpr_count:     0
    .sgpr_spill_count: 0
    .symbol:         _ZN7rocprim17ROCPRIM_400000_NS6detail17trampoline_kernelINS0_14default_configENS1_22reduce_config_selectorIN6thrust23THRUST_200600_302600_NS5tupleIblNS6_9null_typeES8_S8_S8_S8_S8_S8_S8_EEEEZNS1_11reduce_implILb1ES3_NS6_12zip_iteratorINS7_INS6_11hip_rocprim26transform_input_iterator_tIbNSD_35transform_pair_of_input_iterators_tIbNS6_6detail15normal_iteratorINS6_10device_ptrIKtEEEESL_NS6_8equal_toItEEEENSG_9not_fun_tINSD_8identityEEEEENSD_19counting_iterator_tIlEES8_S8_S8_S8_S8_S8_S8_S8_EEEEPS9_S9_NSD_9__find_if7functorIS9_EEEE10hipError_tPvRmT1_T2_T3_mT4_P12ihipStream_tbEUlT_E0_NS1_11comp_targetILNS1_3genE0ELNS1_11target_archE4294967295ELNS1_3gpuE0ELNS1_3repE0EEENS1_30default_config_static_selectorELNS0_4arch9wavefront6targetE0EEEvS14_.kd
    .uniform_work_group_size: 1
    .uses_dynamic_stack: false
    .vgpr_count:     0
    .vgpr_spill_count: 0
    .wavefront_size: 32
    .workgroup_processor_mode: 1
  - .args:
      - .offset:         0
        .size:           104
        .value_kind:     by_value
    .group_segment_fixed_size: 0
    .kernarg_segment_align: 8
    .kernarg_segment_size: 104
    .language:       OpenCL C
    .language_version:
      - 2
      - 0
    .max_flat_workgroup_size: 256
    .name:           _ZN7rocprim17ROCPRIM_400000_NS6detail17trampoline_kernelINS0_14default_configENS1_22reduce_config_selectorIN6thrust23THRUST_200600_302600_NS5tupleIblNS6_9null_typeES8_S8_S8_S8_S8_S8_S8_EEEEZNS1_11reduce_implILb1ES3_NS6_12zip_iteratorINS7_INS6_11hip_rocprim26transform_input_iterator_tIbNSD_35transform_pair_of_input_iterators_tIbNS6_6detail15normal_iteratorINS6_10device_ptrIKtEEEESL_NS6_8equal_toItEEEENSG_9not_fun_tINSD_8identityEEEEENSD_19counting_iterator_tIlEES8_S8_S8_S8_S8_S8_S8_S8_EEEEPS9_S9_NSD_9__find_if7functorIS9_EEEE10hipError_tPvRmT1_T2_T3_mT4_P12ihipStream_tbEUlT_E0_NS1_11comp_targetILNS1_3genE5ELNS1_11target_archE942ELNS1_3gpuE9ELNS1_3repE0EEENS1_30default_config_static_selectorELNS0_4arch9wavefront6targetE0EEEvS14_
    .private_segment_fixed_size: 0
    .sgpr_count:     0
    .sgpr_spill_count: 0
    .symbol:         _ZN7rocprim17ROCPRIM_400000_NS6detail17trampoline_kernelINS0_14default_configENS1_22reduce_config_selectorIN6thrust23THRUST_200600_302600_NS5tupleIblNS6_9null_typeES8_S8_S8_S8_S8_S8_S8_EEEEZNS1_11reduce_implILb1ES3_NS6_12zip_iteratorINS7_INS6_11hip_rocprim26transform_input_iterator_tIbNSD_35transform_pair_of_input_iterators_tIbNS6_6detail15normal_iteratorINS6_10device_ptrIKtEEEESL_NS6_8equal_toItEEEENSG_9not_fun_tINSD_8identityEEEEENSD_19counting_iterator_tIlEES8_S8_S8_S8_S8_S8_S8_S8_EEEEPS9_S9_NSD_9__find_if7functorIS9_EEEE10hipError_tPvRmT1_T2_T3_mT4_P12ihipStream_tbEUlT_E0_NS1_11comp_targetILNS1_3genE5ELNS1_11target_archE942ELNS1_3gpuE9ELNS1_3repE0EEENS1_30default_config_static_selectorELNS0_4arch9wavefront6targetE0EEEvS14_.kd
    .uniform_work_group_size: 1
    .uses_dynamic_stack: false
    .vgpr_count:     0
    .vgpr_spill_count: 0
    .wavefront_size: 32
    .workgroup_processor_mode: 1
  - .args:
      - .offset:         0
        .size:           104
        .value_kind:     by_value
    .group_segment_fixed_size: 0
    .kernarg_segment_align: 8
    .kernarg_segment_size: 104
    .language:       OpenCL C
    .language_version:
      - 2
      - 0
    .max_flat_workgroup_size: 256
    .name:           _ZN7rocprim17ROCPRIM_400000_NS6detail17trampoline_kernelINS0_14default_configENS1_22reduce_config_selectorIN6thrust23THRUST_200600_302600_NS5tupleIblNS6_9null_typeES8_S8_S8_S8_S8_S8_S8_EEEEZNS1_11reduce_implILb1ES3_NS6_12zip_iteratorINS7_INS6_11hip_rocprim26transform_input_iterator_tIbNSD_35transform_pair_of_input_iterators_tIbNS6_6detail15normal_iteratorINS6_10device_ptrIKtEEEESL_NS6_8equal_toItEEEENSG_9not_fun_tINSD_8identityEEEEENSD_19counting_iterator_tIlEES8_S8_S8_S8_S8_S8_S8_S8_EEEEPS9_S9_NSD_9__find_if7functorIS9_EEEE10hipError_tPvRmT1_T2_T3_mT4_P12ihipStream_tbEUlT_E0_NS1_11comp_targetILNS1_3genE4ELNS1_11target_archE910ELNS1_3gpuE8ELNS1_3repE0EEENS1_30default_config_static_selectorELNS0_4arch9wavefront6targetE0EEEvS14_
    .private_segment_fixed_size: 0
    .sgpr_count:     0
    .sgpr_spill_count: 0
    .symbol:         _ZN7rocprim17ROCPRIM_400000_NS6detail17trampoline_kernelINS0_14default_configENS1_22reduce_config_selectorIN6thrust23THRUST_200600_302600_NS5tupleIblNS6_9null_typeES8_S8_S8_S8_S8_S8_S8_EEEEZNS1_11reduce_implILb1ES3_NS6_12zip_iteratorINS7_INS6_11hip_rocprim26transform_input_iterator_tIbNSD_35transform_pair_of_input_iterators_tIbNS6_6detail15normal_iteratorINS6_10device_ptrIKtEEEESL_NS6_8equal_toItEEEENSG_9not_fun_tINSD_8identityEEEEENSD_19counting_iterator_tIlEES8_S8_S8_S8_S8_S8_S8_S8_EEEEPS9_S9_NSD_9__find_if7functorIS9_EEEE10hipError_tPvRmT1_T2_T3_mT4_P12ihipStream_tbEUlT_E0_NS1_11comp_targetILNS1_3genE4ELNS1_11target_archE910ELNS1_3gpuE8ELNS1_3repE0EEENS1_30default_config_static_selectorELNS0_4arch9wavefront6targetE0EEEvS14_.kd
    .uniform_work_group_size: 1
    .uses_dynamic_stack: false
    .vgpr_count:     0
    .vgpr_spill_count: 0
    .wavefront_size: 32
    .workgroup_processor_mode: 1
  - .args:
      - .offset:         0
        .size:           104
        .value_kind:     by_value
    .group_segment_fixed_size: 0
    .kernarg_segment_align: 8
    .kernarg_segment_size: 104
    .language:       OpenCL C
    .language_version:
      - 2
      - 0
    .max_flat_workgroup_size: 128
    .name:           _ZN7rocprim17ROCPRIM_400000_NS6detail17trampoline_kernelINS0_14default_configENS1_22reduce_config_selectorIN6thrust23THRUST_200600_302600_NS5tupleIblNS6_9null_typeES8_S8_S8_S8_S8_S8_S8_EEEEZNS1_11reduce_implILb1ES3_NS6_12zip_iteratorINS7_INS6_11hip_rocprim26transform_input_iterator_tIbNSD_35transform_pair_of_input_iterators_tIbNS6_6detail15normal_iteratorINS6_10device_ptrIKtEEEESL_NS6_8equal_toItEEEENSG_9not_fun_tINSD_8identityEEEEENSD_19counting_iterator_tIlEES8_S8_S8_S8_S8_S8_S8_S8_EEEEPS9_S9_NSD_9__find_if7functorIS9_EEEE10hipError_tPvRmT1_T2_T3_mT4_P12ihipStream_tbEUlT_E0_NS1_11comp_targetILNS1_3genE3ELNS1_11target_archE908ELNS1_3gpuE7ELNS1_3repE0EEENS1_30default_config_static_selectorELNS0_4arch9wavefront6targetE0EEEvS14_
    .private_segment_fixed_size: 0
    .sgpr_count:     0
    .sgpr_spill_count: 0
    .symbol:         _ZN7rocprim17ROCPRIM_400000_NS6detail17trampoline_kernelINS0_14default_configENS1_22reduce_config_selectorIN6thrust23THRUST_200600_302600_NS5tupleIblNS6_9null_typeES8_S8_S8_S8_S8_S8_S8_EEEEZNS1_11reduce_implILb1ES3_NS6_12zip_iteratorINS7_INS6_11hip_rocprim26transform_input_iterator_tIbNSD_35transform_pair_of_input_iterators_tIbNS6_6detail15normal_iteratorINS6_10device_ptrIKtEEEESL_NS6_8equal_toItEEEENSG_9not_fun_tINSD_8identityEEEEENSD_19counting_iterator_tIlEES8_S8_S8_S8_S8_S8_S8_S8_EEEEPS9_S9_NSD_9__find_if7functorIS9_EEEE10hipError_tPvRmT1_T2_T3_mT4_P12ihipStream_tbEUlT_E0_NS1_11comp_targetILNS1_3genE3ELNS1_11target_archE908ELNS1_3gpuE7ELNS1_3repE0EEENS1_30default_config_static_selectorELNS0_4arch9wavefront6targetE0EEEvS14_.kd
    .uniform_work_group_size: 1
    .uses_dynamic_stack: false
    .vgpr_count:     0
    .vgpr_spill_count: 0
    .wavefront_size: 32
    .workgroup_processor_mode: 1
  - .args:
      - .offset:         0
        .size:           104
        .value_kind:     by_value
    .group_segment_fixed_size: 0
    .kernarg_segment_align: 8
    .kernarg_segment_size: 104
    .language:       OpenCL C
    .language_version:
      - 2
      - 0
    .max_flat_workgroup_size: 128
    .name:           _ZN7rocprim17ROCPRIM_400000_NS6detail17trampoline_kernelINS0_14default_configENS1_22reduce_config_selectorIN6thrust23THRUST_200600_302600_NS5tupleIblNS6_9null_typeES8_S8_S8_S8_S8_S8_S8_EEEEZNS1_11reduce_implILb1ES3_NS6_12zip_iteratorINS7_INS6_11hip_rocprim26transform_input_iterator_tIbNSD_35transform_pair_of_input_iterators_tIbNS6_6detail15normal_iteratorINS6_10device_ptrIKtEEEESL_NS6_8equal_toItEEEENSG_9not_fun_tINSD_8identityEEEEENSD_19counting_iterator_tIlEES8_S8_S8_S8_S8_S8_S8_S8_EEEEPS9_S9_NSD_9__find_if7functorIS9_EEEE10hipError_tPvRmT1_T2_T3_mT4_P12ihipStream_tbEUlT_E0_NS1_11comp_targetILNS1_3genE2ELNS1_11target_archE906ELNS1_3gpuE6ELNS1_3repE0EEENS1_30default_config_static_selectorELNS0_4arch9wavefront6targetE0EEEvS14_
    .private_segment_fixed_size: 0
    .sgpr_count:     0
    .sgpr_spill_count: 0
    .symbol:         _ZN7rocprim17ROCPRIM_400000_NS6detail17trampoline_kernelINS0_14default_configENS1_22reduce_config_selectorIN6thrust23THRUST_200600_302600_NS5tupleIblNS6_9null_typeES8_S8_S8_S8_S8_S8_S8_EEEEZNS1_11reduce_implILb1ES3_NS6_12zip_iteratorINS7_INS6_11hip_rocprim26transform_input_iterator_tIbNSD_35transform_pair_of_input_iterators_tIbNS6_6detail15normal_iteratorINS6_10device_ptrIKtEEEESL_NS6_8equal_toItEEEENSG_9not_fun_tINSD_8identityEEEEENSD_19counting_iterator_tIlEES8_S8_S8_S8_S8_S8_S8_S8_EEEEPS9_S9_NSD_9__find_if7functorIS9_EEEE10hipError_tPvRmT1_T2_T3_mT4_P12ihipStream_tbEUlT_E0_NS1_11comp_targetILNS1_3genE2ELNS1_11target_archE906ELNS1_3gpuE6ELNS1_3repE0EEENS1_30default_config_static_selectorELNS0_4arch9wavefront6targetE0EEEvS14_.kd
    .uniform_work_group_size: 1
    .uses_dynamic_stack: false
    .vgpr_count:     0
    .vgpr_spill_count: 0
    .wavefront_size: 32
    .workgroup_processor_mode: 1
  - .args:
      - .offset:         0
        .size:           104
        .value_kind:     by_value
    .group_segment_fixed_size: 0
    .kernarg_segment_align: 8
    .kernarg_segment_size: 104
    .language:       OpenCL C
    .language_version:
      - 2
      - 0
    .max_flat_workgroup_size: 256
    .name:           _ZN7rocprim17ROCPRIM_400000_NS6detail17trampoline_kernelINS0_14default_configENS1_22reduce_config_selectorIN6thrust23THRUST_200600_302600_NS5tupleIblNS6_9null_typeES8_S8_S8_S8_S8_S8_S8_EEEEZNS1_11reduce_implILb1ES3_NS6_12zip_iteratorINS7_INS6_11hip_rocprim26transform_input_iterator_tIbNSD_35transform_pair_of_input_iterators_tIbNS6_6detail15normal_iteratorINS6_10device_ptrIKtEEEESL_NS6_8equal_toItEEEENSG_9not_fun_tINSD_8identityEEEEENSD_19counting_iterator_tIlEES8_S8_S8_S8_S8_S8_S8_S8_EEEEPS9_S9_NSD_9__find_if7functorIS9_EEEE10hipError_tPvRmT1_T2_T3_mT4_P12ihipStream_tbEUlT_E0_NS1_11comp_targetILNS1_3genE10ELNS1_11target_archE1201ELNS1_3gpuE5ELNS1_3repE0EEENS1_30default_config_static_selectorELNS0_4arch9wavefront6targetE0EEEvS14_
    .private_segment_fixed_size: 0
    .sgpr_count:     0
    .sgpr_spill_count: 0
    .symbol:         _ZN7rocprim17ROCPRIM_400000_NS6detail17trampoline_kernelINS0_14default_configENS1_22reduce_config_selectorIN6thrust23THRUST_200600_302600_NS5tupleIblNS6_9null_typeES8_S8_S8_S8_S8_S8_S8_EEEEZNS1_11reduce_implILb1ES3_NS6_12zip_iteratorINS7_INS6_11hip_rocprim26transform_input_iterator_tIbNSD_35transform_pair_of_input_iterators_tIbNS6_6detail15normal_iteratorINS6_10device_ptrIKtEEEESL_NS6_8equal_toItEEEENSG_9not_fun_tINSD_8identityEEEEENSD_19counting_iterator_tIlEES8_S8_S8_S8_S8_S8_S8_S8_EEEEPS9_S9_NSD_9__find_if7functorIS9_EEEE10hipError_tPvRmT1_T2_T3_mT4_P12ihipStream_tbEUlT_E0_NS1_11comp_targetILNS1_3genE10ELNS1_11target_archE1201ELNS1_3gpuE5ELNS1_3repE0EEENS1_30default_config_static_selectorELNS0_4arch9wavefront6targetE0EEEvS14_.kd
    .uniform_work_group_size: 1
    .uses_dynamic_stack: false
    .vgpr_count:     0
    .vgpr_spill_count: 0
    .wavefront_size: 32
    .workgroup_processor_mode: 1
  - .args:
      - .offset:         0
        .size:           104
        .value_kind:     by_value
    .group_segment_fixed_size: 0
    .kernarg_segment_align: 8
    .kernarg_segment_size: 104
    .language:       OpenCL C
    .language_version:
      - 2
      - 0
    .max_flat_workgroup_size: 256
    .name:           _ZN7rocprim17ROCPRIM_400000_NS6detail17trampoline_kernelINS0_14default_configENS1_22reduce_config_selectorIN6thrust23THRUST_200600_302600_NS5tupleIblNS6_9null_typeES8_S8_S8_S8_S8_S8_S8_EEEEZNS1_11reduce_implILb1ES3_NS6_12zip_iteratorINS7_INS6_11hip_rocprim26transform_input_iterator_tIbNSD_35transform_pair_of_input_iterators_tIbNS6_6detail15normal_iteratorINS6_10device_ptrIKtEEEESL_NS6_8equal_toItEEEENSG_9not_fun_tINSD_8identityEEEEENSD_19counting_iterator_tIlEES8_S8_S8_S8_S8_S8_S8_S8_EEEEPS9_S9_NSD_9__find_if7functorIS9_EEEE10hipError_tPvRmT1_T2_T3_mT4_P12ihipStream_tbEUlT_E0_NS1_11comp_targetILNS1_3genE10ELNS1_11target_archE1200ELNS1_3gpuE4ELNS1_3repE0EEENS1_30default_config_static_selectorELNS0_4arch9wavefront6targetE0EEEvS14_
    .private_segment_fixed_size: 0
    .sgpr_count:     0
    .sgpr_spill_count: 0
    .symbol:         _ZN7rocprim17ROCPRIM_400000_NS6detail17trampoline_kernelINS0_14default_configENS1_22reduce_config_selectorIN6thrust23THRUST_200600_302600_NS5tupleIblNS6_9null_typeES8_S8_S8_S8_S8_S8_S8_EEEEZNS1_11reduce_implILb1ES3_NS6_12zip_iteratorINS7_INS6_11hip_rocprim26transform_input_iterator_tIbNSD_35transform_pair_of_input_iterators_tIbNS6_6detail15normal_iteratorINS6_10device_ptrIKtEEEESL_NS6_8equal_toItEEEENSG_9not_fun_tINSD_8identityEEEEENSD_19counting_iterator_tIlEES8_S8_S8_S8_S8_S8_S8_S8_EEEEPS9_S9_NSD_9__find_if7functorIS9_EEEE10hipError_tPvRmT1_T2_T3_mT4_P12ihipStream_tbEUlT_E0_NS1_11comp_targetILNS1_3genE10ELNS1_11target_archE1200ELNS1_3gpuE4ELNS1_3repE0EEENS1_30default_config_static_selectorELNS0_4arch9wavefront6targetE0EEEvS14_.kd
    .uniform_work_group_size: 1
    .uses_dynamic_stack: false
    .vgpr_count:     0
    .vgpr_spill_count: 0
    .wavefront_size: 32
    .workgroup_processor_mode: 1
  - .args:
      - .offset:         0
        .size:           104
        .value_kind:     by_value
    .group_segment_fixed_size: 256
    .kernarg_segment_align: 8
    .kernarg_segment_size: 104
    .language:       OpenCL C
    .language_version:
      - 2
      - 0
    .max_flat_workgroup_size: 256
    .name:           _ZN7rocprim17ROCPRIM_400000_NS6detail17trampoline_kernelINS0_14default_configENS1_22reduce_config_selectorIN6thrust23THRUST_200600_302600_NS5tupleIblNS6_9null_typeES8_S8_S8_S8_S8_S8_S8_EEEEZNS1_11reduce_implILb1ES3_NS6_12zip_iteratorINS7_INS6_11hip_rocprim26transform_input_iterator_tIbNSD_35transform_pair_of_input_iterators_tIbNS6_6detail15normal_iteratorINS6_10device_ptrIKtEEEESL_NS6_8equal_toItEEEENSG_9not_fun_tINSD_8identityEEEEENSD_19counting_iterator_tIlEES8_S8_S8_S8_S8_S8_S8_S8_EEEEPS9_S9_NSD_9__find_if7functorIS9_EEEE10hipError_tPvRmT1_T2_T3_mT4_P12ihipStream_tbEUlT_E0_NS1_11comp_targetILNS1_3genE9ELNS1_11target_archE1100ELNS1_3gpuE3ELNS1_3repE0EEENS1_30default_config_static_selectorELNS0_4arch9wavefront6targetE0EEEvS14_
    .private_segment_fixed_size: 0
    .sgpr_count:     30
    .sgpr_spill_count: 0
    .symbol:         _ZN7rocprim17ROCPRIM_400000_NS6detail17trampoline_kernelINS0_14default_configENS1_22reduce_config_selectorIN6thrust23THRUST_200600_302600_NS5tupleIblNS6_9null_typeES8_S8_S8_S8_S8_S8_S8_EEEEZNS1_11reduce_implILb1ES3_NS6_12zip_iteratorINS7_INS6_11hip_rocprim26transform_input_iterator_tIbNSD_35transform_pair_of_input_iterators_tIbNS6_6detail15normal_iteratorINS6_10device_ptrIKtEEEESL_NS6_8equal_toItEEEENSG_9not_fun_tINSD_8identityEEEEENSD_19counting_iterator_tIlEES8_S8_S8_S8_S8_S8_S8_S8_EEEEPS9_S9_NSD_9__find_if7functorIS9_EEEE10hipError_tPvRmT1_T2_T3_mT4_P12ihipStream_tbEUlT_E0_NS1_11comp_targetILNS1_3genE9ELNS1_11target_archE1100ELNS1_3gpuE3ELNS1_3repE0EEENS1_30default_config_static_selectorELNS0_4arch9wavefront6targetE0EEEvS14_.kd
    .uniform_work_group_size: 1
    .uses_dynamic_stack: false
    .vgpr_count:     16
    .vgpr_spill_count: 0
    .wavefront_size: 32
    .workgroup_processor_mode: 1
  - .args:
      - .offset:         0
        .size:           104
        .value_kind:     by_value
    .group_segment_fixed_size: 0
    .kernarg_segment_align: 8
    .kernarg_segment_size: 104
    .language:       OpenCL C
    .language_version:
      - 2
      - 0
    .max_flat_workgroup_size: 256
    .name:           _ZN7rocprim17ROCPRIM_400000_NS6detail17trampoline_kernelINS0_14default_configENS1_22reduce_config_selectorIN6thrust23THRUST_200600_302600_NS5tupleIblNS6_9null_typeES8_S8_S8_S8_S8_S8_S8_EEEEZNS1_11reduce_implILb1ES3_NS6_12zip_iteratorINS7_INS6_11hip_rocprim26transform_input_iterator_tIbNSD_35transform_pair_of_input_iterators_tIbNS6_6detail15normal_iteratorINS6_10device_ptrIKtEEEESL_NS6_8equal_toItEEEENSG_9not_fun_tINSD_8identityEEEEENSD_19counting_iterator_tIlEES8_S8_S8_S8_S8_S8_S8_S8_EEEEPS9_S9_NSD_9__find_if7functorIS9_EEEE10hipError_tPvRmT1_T2_T3_mT4_P12ihipStream_tbEUlT_E0_NS1_11comp_targetILNS1_3genE8ELNS1_11target_archE1030ELNS1_3gpuE2ELNS1_3repE0EEENS1_30default_config_static_selectorELNS0_4arch9wavefront6targetE0EEEvS14_
    .private_segment_fixed_size: 0
    .sgpr_count:     0
    .sgpr_spill_count: 0
    .symbol:         _ZN7rocprim17ROCPRIM_400000_NS6detail17trampoline_kernelINS0_14default_configENS1_22reduce_config_selectorIN6thrust23THRUST_200600_302600_NS5tupleIblNS6_9null_typeES8_S8_S8_S8_S8_S8_S8_EEEEZNS1_11reduce_implILb1ES3_NS6_12zip_iteratorINS7_INS6_11hip_rocprim26transform_input_iterator_tIbNSD_35transform_pair_of_input_iterators_tIbNS6_6detail15normal_iteratorINS6_10device_ptrIKtEEEESL_NS6_8equal_toItEEEENSG_9not_fun_tINSD_8identityEEEEENSD_19counting_iterator_tIlEES8_S8_S8_S8_S8_S8_S8_S8_EEEEPS9_S9_NSD_9__find_if7functorIS9_EEEE10hipError_tPvRmT1_T2_T3_mT4_P12ihipStream_tbEUlT_E0_NS1_11comp_targetILNS1_3genE8ELNS1_11target_archE1030ELNS1_3gpuE2ELNS1_3repE0EEENS1_30default_config_static_selectorELNS0_4arch9wavefront6targetE0EEEvS14_.kd
    .uniform_work_group_size: 1
    .uses_dynamic_stack: false
    .vgpr_count:     0
    .vgpr_spill_count: 0
    .wavefront_size: 32
    .workgroup_processor_mode: 1
  - .args:
      - .offset:         0
        .size:           88
        .value_kind:     by_value
    .group_segment_fixed_size: 0
    .kernarg_segment_align: 8
    .kernarg_segment_size: 88
    .language:       OpenCL C
    .language_version:
      - 2
      - 0
    .max_flat_workgroup_size: 128
    .name:           _ZN7rocprim17ROCPRIM_400000_NS6detail17trampoline_kernelINS0_14default_configENS1_22reduce_config_selectorIN6thrust23THRUST_200600_302600_NS5tupleIblNS6_9null_typeES8_S8_S8_S8_S8_S8_S8_EEEEZNS1_11reduce_implILb1ES3_NS6_12zip_iteratorINS7_INS6_11hip_rocprim26transform_input_iterator_tIbNSD_35transform_pair_of_input_iterators_tIbNS6_6detail15normal_iteratorINS6_10device_ptrIKtEEEESL_NS6_8equal_toItEEEENSG_9not_fun_tINSD_8identityEEEEENSD_19counting_iterator_tIlEES8_S8_S8_S8_S8_S8_S8_S8_EEEEPS9_S9_NSD_9__find_if7functorIS9_EEEE10hipError_tPvRmT1_T2_T3_mT4_P12ihipStream_tbEUlT_E1_NS1_11comp_targetILNS1_3genE0ELNS1_11target_archE4294967295ELNS1_3gpuE0ELNS1_3repE0EEENS1_30default_config_static_selectorELNS0_4arch9wavefront6targetE0EEEvS14_
    .private_segment_fixed_size: 0
    .sgpr_count:     0
    .sgpr_spill_count: 0
    .symbol:         _ZN7rocprim17ROCPRIM_400000_NS6detail17trampoline_kernelINS0_14default_configENS1_22reduce_config_selectorIN6thrust23THRUST_200600_302600_NS5tupleIblNS6_9null_typeES8_S8_S8_S8_S8_S8_S8_EEEEZNS1_11reduce_implILb1ES3_NS6_12zip_iteratorINS7_INS6_11hip_rocprim26transform_input_iterator_tIbNSD_35transform_pair_of_input_iterators_tIbNS6_6detail15normal_iteratorINS6_10device_ptrIKtEEEESL_NS6_8equal_toItEEEENSG_9not_fun_tINSD_8identityEEEEENSD_19counting_iterator_tIlEES8_S8_S8_S8_S8_S8_S8_S8_EEEEPS9_S9_NSD_9__find_if7functorIS9_EEEE10hipError_tPvRmT1_T2_T3_mT4_P12ihipStream_tbEUlT_E1_NS1_11comp_targetILNS1_3genE0ELNS1_11target_archE4294967295ELNS1_3gpuE0ELNS1_3repE0EEENS1_30default_config_static_selectorELNS0_4arch9wavefront6targetE0EEEvS14_.kd
    .uniform_work_group_size: 1
    .uses_dynamic_stack: false
    .vgpr_count:     0
    .vgpr_spill_count: 0
    .wavefront_size: 32
    .workgroup_processor_mode: 1
  - .args:
      - .offset:         0
        .size:           88
        .value_kind:     by_value
    .group_segment_fixed_size: 0
    .kernarg_segment_align: 8
    .kernarg_segment_size: 88
    .language:       OpenCL C
    .language_version:
      - 2
      - 0
    .max_flat_workgroup_size: 256
    .name:           _ZN7rocprim17ROCPRIM_400000_NS6detail17trampoline_kernelINS0_14default_configENS1_22reduce_config_selectorIN6thrust23THRUST_200600_302600_NS5tupleIblNS6_9null_typeES8_S8_S8_S8_S8_S8_S8_EEEEZNS1_11reduce_implILb1ES3_NS6_12zip_iteratorINS7_INS6_11hip_rocprim26transform_input_iterator_tIbNSD_35transform_pair_of_input_iterators_tIbNS6_6detail15normal_iteratorINS6_10device_ptrIKtEEEESL_NS6_8equal_toItEEEENSG_9not_fun_tINSD_8identityEEEEENSD_19counting_iterator_tIlEES8_S8_S8_S8_S8_S8_S8_S8_EEEEPS9_S9_NSD_9__find_if7functorIS9_EEEE10hipError_tPvRmT1_T2_T3_mT4_P12ihipStream_tbEUlT_E1_NS1_11comp_targetILNS1_3genE5ELNS1_11target_archE942ELNS1_3gpuE9ELNS1_3repE0EEENS1_30default_config_static_selectorELNS0_4arch9wavefront6targetE0EEEvS14_
    .private_segment_fixed_size: 0
    .sgpr_count:     0
    .sgpr_spill_count: 0
    .symbol:         _ZN7rocprim17ROCPRIM_400000_NS6detail17trampoline_kernelINS0_14default_configENS1_22reduce_config_selectorIN6thrust23THRUST_200600_302600_NS5tupleIblNS6_9null_typeES8_S8_S8_S8_S8_S8_S8_EEEEZNS1_11reduce_implILb1ES3_NS6_12zip_iteratorINS7_INS6_11hip_rocprim26transform_input_iterator_tIbNSD_35transform_pair_of_input_iterators_tIbNS6_6detail15normal_iteratorINS6_10device_ptrIKtEEEESL_NS6_8equal_toItEEEENSG_9not_fun_tINSD_8identityEEEEENSD_19counting_iterator_tIlEES8_S8_S8_S8_S8_S8_S8_S8_EEEEPS9_S9_NSD_9__find_if7functorIS9_EEEE10hipError_tPvRmT1_T2_T3_mT4_P12ihipStream_tbEUlT_E1_NS1_11comp_targetILNS1_3genE5ELNS1_11target_archE942ELNS1_3gpuE9ELNS1_3repE0EEENS1_30default_config_static_selectorELNS0_4arch9wavefront6targetE0EEEvS14_.kd
    .uniform_work_group_size: 1
    .uses_dynamic_stack: false
    .vgpr_count:     0
    .vgpr_spill_count: 0
    .wavefront_size: 32
    .workgroup_processor_mode: 1
  - .args:
      - .offset:         0
        .size:           88
        .value_kind:     by_value
    .group_segment_fixed_size: 0
    .kernarg_segment_align: 8
    .kernarg_segment_size: 88
    .language:       OpenCL C
    .language_version:
      - 2
      - 0
    .max_flat_workgroup_size: 256
    .name:           _ZN7rocprim17ROCPRIM_400000_NS6detail17trampoline_kernelINS0_14default_configENS1_22reduce_config_selectorIN6thrust23THRUST_200600_302600_NS5tupleIblNS6_9null_typeES8_S8_S8_S8_S8_S8_S8_EEEEZNS1_11reduce_implILb1ES3_NS6_12zip_iteratorINS7_INS6_11hip_rocprim26transform_input_iterator_tIbNSD_35transform_pair_of_input_iterators_tIbNS6_6detail15normal_iteratorINS6_10device_ptrIKtEEEESL_NS6_8equal_toItEEEENSG_9not_fun_tINSD_8identityEEEEENSD_19counting_iterator_tIlEES8_S8_S8_S8_S8_S8_S8_S8_EEEEPS9_S9_NSD_9__find_if7functorIS9_EEEE10hipError_tPvRmT1_T2_T3_mT4_P12ihipStream_tbEUlT_E1_NS1_11comp_targetILNS1_3genE4ELNS1_11target_archE910ELNS1_3gpuE8ELNS1_3repE0EEENS1_30default_config_static_selectorELNS0_4arch9wavefront6targetE0EEEvS14_
    .private_segment_fixed_size: 0
    .sgpr_count:     0
    .sgpr_spill_count: 0
    .symbol:         _ZN7rocprim17ROCPRIM_400000_NS6detail17trampoline_kernelINS0_14default_configENS1_22reduce_config_selectorIN6thrust23THRUST_200600_302600_NS5tupleIblNS6_9null_typeES8_S8_S8_S8_S8_S8_S8_EEEEZNS1_11reduce_implILb1ES3_NS6_12zip_iteratorINS7_INS6_11hip_rocprim26transform_input_iterator_tIbNSD_35transform_pair_of_input_iterators_tIbNS6_6detail15normal_iteratorINS6_10device_ptrIKtEEEESL_NS6_8equal_toItEEEENSG_9not_fun_tINSD_8identityEEEEENSD_19counting_iterator_tIlEES8_S8_S8_S8_S8_S8_S8_S8_EEEEPS9_S9_NSD_9__find_if7functorIS9_EEEE10hipError_tPvRmT1_T2_T3_mT4_P12ihipStream_tbEUlT_E1_NS1_11comp_targetILNS1_3genE4ELNS1_11target_archE910ELNS1_3gpuE8ELNS1_3repE0EEENS1_30default_config_static_selectorELNS0_4arch9wavefront6targetE0EEEvS14_.kd
    .uniform_work_group_size: 1
    .uses_dynamic_stack: false
    .vgpr_count:     0
    .vgpr_spill_count: 0
    .wavefront_size: 32
    .workgroup_processor_mode: 1
  - .args:
      - .offset:         0
        .size:           88
        .value_kind:     by_value
    .group_segment_fixed_size: 0
    .kernarg_segment_align: 8
    .kernarg_segment_size: 88
    .language:       OpenCL C
    .language_version:
      - 2
      - 0
    .max_flat_workgroup_size: 128
    .name:           _ZN7rocprim17ROCPRIM_400000_NS6detail17trampoline_kernelINS0_14default_configENS1_22reduce_config_selectorIN6thrust23THRUST_200600_302600_NS5tupleIblNS6_9null_typeES8_S8_S8_S8_S8_S8_S8_EEEEZNS1_11reduce_implILb1ES3_NS6_12zip_iteratorINS7_INS6_11hip_rocprim26transform_input_iterator_tIbNSD_35transform_pair_of_input_iterators_tIbNS6_6detail15normal_iteratorINS6_10device_ptrIKtEEEESL_NS6_8equal_toItEEEENSG_9not_fun_tINSD_8identityEEEEENSD_19counting_iterator_tIlEES8_S8_S8_S8_S8_S8_S8_S8_EEEEPS9_S9_NSD_9__find_if7functorIS9_EEEE10hipError_tPvRmT1_T2_T3_mT4_P12ihipStream_tbEUlT_E1_NS1_11comp_targetILNS1_3genE3ELNS1_11target_archE908ELNS1_3gpuE7ELNS1_3repE0EEENS1_30default_config_static_selectorELNS0_4arch9wavefront6targetE0EEEvS14_
    .private_segment_fixed_size: 0
    .sgpr_count:     0
    .sgpr_spill_count: 0
    .symbol:         _ZN7rocprim17ROCPRIM_400000_NS6detail17trampoline_kernelINS0_14default_configENS1_22reduce_config_selectorIN6thrust23THRUST_200600_302600_NS5tupleIblNS6_9null_typeES8_S8_S8_S8_S8_S8_S8_EEEEZNS1_11reduce_implILb1ES3_NS6_12zip_iteratorINS7_INS6_11hip_rocprim26transform_input_iterator_tIbNSD_35transform_pair_of_input_iterators_tIbNS6_6detail15normal_iteratorINS6_10device_ptrIKtEEEESL_NS6_8equal_toItEEEENSG_9not_fun_tINSD_8identityEEEEENSD_19counting_iterator_tIlEES8_S8_S8_S8_S8_S8_S8_S8_EEEEPS9_S9_NSD_9__find_if7functorIS9_EEEE10hipError_tPvRmT1_T2_T3_mT4_P12ihipStream_tbEUlT_E1_NS1_11comp_targetILNS1_3genE3ELNS1_11target_archE908ELNS1_3gpuE7ELNS1_3repE0EEENS1_30default_config_static_selectorELNS0_4arch9wavefront6targetE0EEEvS14_.kd
    .uniform_work_group_size: 1
    .uses_dynamic_stack: false
    .vgpr_count:     0
    .vgpr_spill_count: 0
    .wavefront_size: 32
    .workgroup_processor_mode: 1
  - .args:
      - .offset:         0
        .size:           88
        .value_kind:     by_value
    .group_segment_fixed_size: 0
    .kernarg_segment_align: 8
    .kernarg_segment_size: 88
    .language:       OpenCL C
    .language_version:
      - 2
      - 0
    .max_flat_workgroup_size: 128
    .name:           _ZN7rocprim17ROCPRIM_400000_NS6detail17trampoline_kernelINS0_14default_configENS1_22reduce_config_selectorIN6thrust23THRUST_200600_302600_NS5tupleIblNS6_9null_typeES8_S8_S8_S8_S8_S8_S8_EEEEZNS1_11reduce_implILb1ES3_NS6_12zip_iteratorINS7_INS6_11hip_rocprim26transform_input_iterator_tIbNSD_35transform_pair_of_input_iterators_tIbNS6_6detail15normal_iteratorINS6_10device_ptrIKtEEEESL_NS6_8equal_toItEEEENSG_9not_fun_tINSD_8identityEEEEENSD_19counting_iterator_tIlEES8_S8_S8_S8_S8_S8_S8_S8_EEEEPS9_S9_NSD_9__find_if7functorIS9_EEEE10hipError_tPvRmT1_T2_T3_mT4_P12ihipStream_tbEUlT_E1_NS1_11comp_targetILNS1_3genE2ELNS1_11target_archE906ELNS1_3gpuE6ELNS1_3repE0EEENS1_30default_config_static_selectorELNS0_4arch9wavefront6targetE0EEEvS14_
    .private_segment_fixed_size: 0
    .sgpr_count:     0
    .sgpr_spill_count: 0
    .symbol:         _ZN7rocprim17ROCPRIM_400000_NS6detail17trampoline_kernelINS0_14default_configENS1_22reduce_config_selectorIN6thrust23THRUST_200600_302600_NS5tupleIblNS6_9null_typeES8_S8_S8_S8_S8_S8_S8_EEEEZNS1_11reduce_implILb1ES3_NS6_12zip_iteratorINS7_INS6_11hip_rocprim26transform_input_iterator_tIbNSD_35transform_pair_of_input_iterators_tIbNS6_6detail15normal_iteratorINS6_10device_ptrIKtEEEESL_NS6_8equal_toItEEEENSG_9not_fun_tINSD_8identityEEEEENSD_19counting_iterator_tIlEES8_S8_S8_S8_S8_S8_S8_S8_EEEEPS9_S9_NSD_9__find_if7functorIS9_EEEE10hipError_tPvRmT1_T2_T3_mT4_P12ihipStream_tbEUlT_E1_NS1_11comp_targetILNS1_3genE2ELNS1_11target_archE906ELNS1_3gpuE6ELNS1_3repE0EEENS1_30default_config_static_selectorELNS0_4arch9wavefront6targetE0EEEvS14_.kd
    .uniform_work_group_size: 1
    .uses_dynamic_stack: false
    .vgpr_count:     0
    .vgpr_spill_count: 0
    .wavefront_size: 32
    .workgroup_processor_mode: 1
  - .args:
      - .offset:         0
        .size:           88
        .value_kind:     by_value
    .group_segment_fixed_size: 0
    .kernarg_segment_align: 8
    .kernarg_segment_size: 88
    .language:       OpenCL C
    .language_version:
      - 2
      - 0
    .max_flat_workgroup_size: 256
    .name:           _ZN7rocprim17ROCPRIM_400000_NS6detail17trampoline_kernelINS0_14default_configENS1_22reduce_config_selectorIN6thrust23THRUST_200600_302600_NS5tupleIblNS6_9null_typeES8_S8_S8_S8_S8_S8_S8_EEEEZNS1_11reduce_implILb1ES3_NS6_12zip_iteratorINS7_INS6_11hip_rocprim26transform_input_iterator_tIbNSD_35transform_pair_of_input_iterators_tIbNS6_6detail15normal_iteratorINS6_10device_ptrIKtEEEESL_NS6_8equal_toItEEEENSG_9not_fun_tINSD_8identityEEEEENSD_19counting_iterator_tIlEES8_S8_S8_S8_S8_S8_S8_S8_EEEEPS9_S9_NSD_9__find_if7functorIS9_EEEE10hipError_tPvRmT1_T2_T3_mT4_P12ihipStream_tbEUlT_E1_NS1_11comp_targetILNS1_3genE10ELNS1_11target_archE1201ELNS1_3gpuE5ELNS1_3repE0EEENS1_30default_config_static_selectorELNS0_4arch9wavefront6targetE0EEEvS14_
    .private_segment_fixed_size: 0
    .sgpr_count:     0
    .sgpr_spill_count: 0
    .symbol:         _ZN7rocprim17ROCPRIM_400000_NS6detail17trampoline_kernelINS0_14default_configENS1_22reduce_config_selectorIN6thrust23THRUST_200600_302600_NS5tupleIblNS6_9null_typeES8_S8_S8_S8_S8_S8_S8_EEEEZNS1_11reduce_implILb1ES3_NS6_12zip_iteratorINS7_INS6_11hip_rocprim26transform_input_iterator_tIbNSD_35transform_pair_of_input_iterators_tIbNS6_6detail15normal_iteratorINS6_10device_ptrIKtEEEESL_NS6_8equal_toItEEEENSG_9not_fun_tINSD_8identityEEEEENSD_19counting_iterator_tIlEES8_S8_S8_S8_S8_S8_S8_S8_EEEEPS9_S9_NSD_9__find_if7functorIS9_EEEE10hipError_tPvRmT1_T2_T3_mT4_P12ihipStream_tbEUlT_E1_NS1_11comp_targetILNS1_3genE10ELNS1_11target_archE1201ELNS1_3gpuE5ELNS1_3repE0EEENS1_30default_config_static_selectorELNS0_4arch9wavefront6targetE0EEEvS14_.kd
    .uniform_work_group_size: 1
    .uses_dynamic_stack: false
    .vgpr_count:     0
    .vgpr_spill_count: 0
    .wavefront_size: 32
    .workgroup_processor_mode: 1
  - .args:
      - .offset:         0
        .size:           88
        .value_kind:     by_value
    .group_segment_fixed_size: 0
    .kernarg_segment_align: 8
    .kernarg_segment_size: 88
    .language:       OpenCL C
    .language_version:
      - 2
      - 0
    .max_flat_workgroup_size: 256
    .name:           _ZN7rocprim17ROCPRIM_400000_NS6detail17trampoline_kernelINS0_14default_configENS1_22reduce_config_selectorIN6thrust23THRUST_200600_302600_NS5tupleIblNS6_9null_typeES8_S8_S8_S8_S8_S8_S8_EEEEZNS1_11reduce_implILb1ES3_NS6_12zip_iteratorINS7_INS6_11hip_rocprim26transform_input_iterator_tIbNSD_35transform_pair_of_input_iterators_tIbNS6_6detail15normal_iteratorINS6_10device_ptrIKtEEEESL_NS6_8equal_toItEEEENSG_9not_fun_tINSD_8identityEEEEENSD_19counting_iterator_tIlEES8_S8_S8_S8_S8_S8_S8_S8_EEEEPS9_S9_NSD_9__find_if7functorIS9_EEEE10hipError_tPvRmT1_T2_T3_mT4_P12ihipStream_tbEUlT_E1_NS1_11comp_targetILNS1_3genE10ELNS1_11target_archE1200ELNS1_3gpuE4ELNS1_3repE0EEENS1_30default_config_static_selectorELNS0_4arch9wavefront6targetE0EEEvS14_
    .private_segment_fixed_size: 0
    .sgpr_count:     0
    .sgpr_spill_count: 0
    .symbol:         _ZN7rocprim17ROCPRIM_400000_NS6detail17trampoline_kernelINS0_14default_configENS1_22reduce_config_selectorIN6thrust23THRUST_200600_302600_NS5tupleIblNS6_9null_typeES8_S8_S8_S8_S8_S8_S8_EEEEZNS1_11reduce_implILb1ES3_NS6_12zip_iteratorINS7_INS6_11hip_rocprim26transform_input_iterator_tIbNSD_35transform_pair_of_input_iterators_tIbNS6_6detail15normal_iteratorINS6_10device_ptrIKtEEEESL_NS6_8equal_toItEEEENSG_9not_fun_tINSD_8identityEEEEENSD_19counting_iterator_tIlEES8_S8_S8_S8_S8_S8_S8_S8_EEEEPS9_S9_NSD_9__find_if7functorIS9_EEEE10hipError_tPvRmT1_T2_T3_mT4_P12ihipStream_tbEUlT_E1_NS1_11comp_targetILNS1_3genE10ELNS1_11target_archE1200ELNS1_3gpuE4ELNS1_3repE0EEENS1_30default_config_static_selectorELNS0_4arch9wavefront6targetE0EEEvS14_.kd
    .uniform_work_group_size: 1
    .uses_dynamic_stack: false
    .vgpr_count:     0
    .vgpr_spill_count: 0
    .wavefront_size: 32
    .workgroup_processor_mode: 1
  - .args:
      - .offset:         0
        .size:           88
        .value_kind:     by_value
    .group_segment_fixed_size: 640
    .kernarg_segment_align: 8
    .kernarg_segment_size: 88
    .language:       OpenCL C
    .language_version:
      - 2
      - 0
    .max_flat_workgroup_size: 256
    .name:           _ZN7rocprim17ROCPRIM_400000_NS6detail17trampoline_kernelINS0_14default_configENS1_22reduce_config_selectorIN6thrust23THRUST_200600_302600_NS5tupleIblNS6_9null_typeES8_S8_S8_S8_S8_S8_S8_EEEEZNS1_11reduce_implILb1ES3_NS6_12zip_iteratorINS7_INS6_11hip_rocprim26transform_input_iterator_tIbNSD_35transform_pair_of_input_iterators_tIbNS6_6detail15normal_iteratorINS6_10device_ptrIKtEEEESL_NS6_8equal_toItEEEENSG_9not_fun_tINSD_8identityEEEEENSD_19counting_iterator_tIlEES8_S8_S8_S8_S8_S8_S8_S8_EEEEPS9_S9_NSD_9__find_if7functorIS9_EEEE10hipError_tPvRmT1_T2_T3_mT4_P12ihipStream_tbEUlT_E1_NS1_11comp_targetILNS1_3genE9ELNS1_11target_archE1100ELNS1_3gpuE3ELNS1_3repE0EEENS1_30default_config_static_selectorELNS0_4arch9wavefront6targetE0EEEvS14_
    .private_segment_fixed_size: 0
    .sgpr_count:     34
    .sgpr_spill_count: 0
    .symbol:         _ZN7rocprim17ROCPRIM_400000_NS6detail17trampoline_kernelINS0_14default_configENS1_22reduce_config_selectorIN6thrust23THRUST_200600_302600_NS5tupleIblNS6_9null_typeES8_S8_S8_S8_S8_S8_S8_EEEEZNS1_11reduce_implILb1ES3_NS6_12zip_iteratorINS7_INS6_11hip_rocprim26transform_input_iterator_tIbNSD_35transform_pair_of_input_iterators_tIbNS6_6detail15normal_iteratorINS6_10device_ptrIKtEEEESL_NS6_8equal_toItEEEENSG_9not_fun_tINSD_8identityEEEEENSD_19counting_iterator_tIlEES8_S8_S8_S8_S8_S8_S8_S8_EEEEPS9_S9_NSD_9__find_if7functorIS9_EEEE10hipError_tPvRmT1_T2_T3_mT4_P12ihipStream_tbEUlT_E1_NS1_11comp_targetILNS1_3genE9ELNS1_11target_archE1100ELNS1_3gpuE3ELNS1_3repE0EEENS1_30default_config_static_selectorELNS0_4arch9wavefront6targetE0EEEvS14_.kd
    .uniform_work_group_size: 1
    .uses_dynamic_stack: false
    .vgpr_count:     27
    .vgpr_spill_count: 0
    .wavefront_size: 32
    .workgroup_processor_mode: 1
  - .args:
      - .offset:         0
        .size:           88
        .value_kind:     by_value
    .group_segment_fixed_size: 0
    .kernarg_segment_align: 8
    .kernarg_segment_size: 88
    .language:       OpenCL C
    .language_version:
      - 2
      - 0
    .max_flat_workgroup_size: 256
    .name:           _ZN7rocprim17ROCPRIM_400000_NS6detail17trampoline_kernelINS0_14default_configENS1_22reduce_config_selectorIN6thrust23THRUST_200600_302600_NS5tupleIblNS6_9null_typeES8_S8_S8_S8_S8_S8_S8_EEEEZNS1_11reduce_implILb1ES3_NS6_12zip_iteratorINS7_INS6_11hip_rocprim26transform_input_iterator_tIbNSD_35transform_pair_of_input_iterators_tIbNS6_6detail15normal_iteratorINS6_10device_ptrIKtEEEESL_NS6_8equal_toItEEEENSG_9not_fun_tINSD_8identityEEEEENSD_19counting_iterator_tIlEES8_S8_S8_S8_S8_S8_S8_S8_EEEEPS9_S9_NSD_9__find_if7functorIS9_EEEE10hipError_tPvRmT1_T2_T3_mT4_P12ihipStream_tbEUlT_E1_NS1_11comp_targetILNS1_3genE8ELNS1_11target_archE1030ELNS1_3gpuE2ELNS1_3repE0EEENS1_30default_config_static_selectorELNS0_4arch9wavefront6targetE0EEEvS14_
    .private_segment_fixed_size: 0
    .sgpr_count:     0
    .sgpr_spill_count: 0
    .symbol:         _ZN7rocprim17ROCPRIM_400000_NS6detail17trampoline_kernelINS0_14default_configENS1_22reduce_config_selectorIN6thrust23THRUST_200600_302600_NS5tupleIblNS6_9null_typeES8_S8_S8_S8_S8_S8_S8_EEEEZNS1_11reduce_implILb1ES3_NS6_12zip_iteratorINS7_INS6_11hip_rocprim26transform_input_iterator_tIbNSD_35transform_pair_of_input_iterators_tIbNS6_6detail15normal_iteratorINS6_10device_ptrIKtEEEESL_NS6_8equal_toItEEEENSG_9not_fun_tINSD_8identityEEEEENSD_19counting_iterator_tIlEES8_S8_S8_S8_S8_S8_S8_S8_EEEEPS9_S9_NSD_9__find_if7functorIS9_EEEE10hipError_tPvRmT1_T2_T3_mT4_P12ihipStream_tbEUlT_E1_NS1_11comp_targetILNS1_3genE8ELNS1_11target_archE1030ELNS1_3gpuE2ELNS1_3repE0EEENS1_30default_config_static_selectorELNS0_4arch9wavefront6targetE0EEEvS14_.kd
    .uniform_work_group_size: 1
    .uses_dynamic_stack: false
    .vgpr_count:     0
    .vgpr_spill_count: 0
    .wavefront_size: 32
    .workgroup_processor_mode: 1
  - .args:
      - .offset:         0
        .size:           40
        .value_kind:     by_value
      - .offset:         40
        .size:           8
        .value_kind:     by_value
      - .offset:         48
        .size:           8
        .value_kind:     by_value
    .group_segment_fixed_size: 0
    .kernarg_segment_align: 8
    .kernarg_segment_size: 56
    .language:       OpenCL C
    .language_version:
      - 2
      - 0
    .max_flat_workgroup_size: 256
    .name:           _ZN6thrust23THRUST_200600_302600_NS11hip_rocprim14__parallel_for6kernelILj256ENS1_11__transform17unary_transform_fINS0_12zip_iteratorINS0_5tupleINS0_6detail15normal_iteratorINS0_10device_ptrIxEEEESC_NS0_9null_typeESD_SD_SD_SD_SD_SD_SD_EEEESF_NS4_14no_stencil_tagENS0_8identityINS7_IxxSD_SD_SD_SD_SD_SD_SD_SD_EEEENS4_21always_true_predicateEEElLj1EEEvT0_T1_SN_
    .private_segment_fixed_size: 0
    .sgpr_count:     22
    .sgpr_spill_count: 0
    .symbol:         _ZN6thrust23THRUST_200600_302600_NS11hip_rocprim14__parallel_for6kernelILj256ENS1_11__transform17unary_transform_fINS0_12zip_iteratorINS0_5tupleINS0_6detail15normal_iteratorINS0_10device_ptrIxEEEESC_NS0_9null_typeESD_SD_SD_SD_SD_SD_SD_EEEESF_NS4_14no_stencil_tagENS0_8identityINS7_IxxSD_SD_SD_SD_SD_SD_SD_SD_EEEENS4_21always_true_predicateEEElLj1EEEvT0_T1_SN_.kd
    .uniform_work_group_size: 1
    .uses_dynamic_stack: false
    .vgpr_count:     9
    .vgpr_spill_count: 0
    .wavefront_size: 32
    .workgroup_processor_mode: 1
  - .args:
      - .offset:         0
        .size:           104
        .value_kind:     by_value
    .group_segment_fixed_size: 0
    .kernarg_segment_align: 8
    .kernarg_segment_size: 104
    .language:       OpenCL C
    .language_version:
      - 2
      - 0
    .max_flat_workgroup_size: 128
    .name:           _ZN7rocprim17ROCPRIM_400000_NS6detail17trampoline_kernelINS0_14default_configENS1_22reduce_config_selectorIN6thrust23THRUST_200600_302600_NS5tupleIblNS6_9null_typeES8_S8_S8_S8_S8_S8_S8_EEEEZNS1_11reduce_implILb1ES3_NS6_12zip_iteratorINS7_INS6_11hip_rocprim26transform_input_iterator_tIbNSD_35transform_pair_of_input_iterators_tIbNS6_6detail15normal_iteratorINS6_10device_ptrIKxEEEESL_NS6_8equal_toIxEEEENSG_9not_fun_tINSD_8identityEEEEENSD_19counting_iterator_tIlEES8_S8_S8_S8_S8_S8_S8_S8_EEEEPS9_S9_NSD_9__find_if7functorIS9_EEEE10hipError_tPvRmT1_T2_T3_mT4_P12ihipStream_tbEUlT_E0_NS1_11comp_targetILNS1_3genE0ELNS1_11target_archE4294967295ELNS1_3gpuE0ELNS1_3repE0EEENS1_30default_config_static_selectorELNS0_4arch9wavefront6targetE0EEEvS14_
    .private_segment_fixed_size: 0
    .sgpr_count:     0
    .sgpr_spill_count: 0
    .symbol:         _ZN7rocprim17ROCPRIM_400000_NS6detail17trampoline_kernelINS0_14default_configENS1_22reduce_config_selectorIN6thrust23THRUST_200600_302600_NS5tupleIblNS6_9null_typeES8_S8_S8_S8_S8_S8_S8_EEEEZNS1_11reduce_implILb1ES3_NS6_12zip_iteratorINS7_INS6_11hip_rocprim26transform_input_iterator_tIbNSD_35transform_pair_of_input_iterators_tIbNS6_6detail15normal_iteratorINS6_10device_ptrIKxEEEESL_NS6_8equal_toIxEEEENSG_9not_fun_tINSD_8identityEEEEENSD_19counting_iterator_tIlEES8_S8_S8_S8_S8_S8_S8_S8_EEEEPS9_S9_NSD_9__find_if7functorIS9_EEEE10hipError_tPvRmT1_T2_T3_mT4_P12ihipStream_tbEUlT_E0_NS1_11comp_targetILNS1_3genE0ELNS1_11target_archE4294967295ELNS1_3gpuE0ELNS1_3repE0EEENS1_30default_config_static_selectorELNS0_4arch9wavefront6targetE0EEEvS14_.kd
    .uniform_work_group_size: 1
    .uses_dynamic_stack: false
    .vgpr_count:     0
    .vgpr_spill_count: 0
    .wavefront_size: 32
    .workgroup_processor_mode: 1
  - .args:
      - .offset:         0
        .size:           104
        .value_kind:     by_value
    .group_segment_fixed_size: 0
    .kernarg_segment_align: 8
    .kernarg_segment_size: 104
    .language:       OpenCL C
    .language_version:
      - 2
      - 0
    .max_flat_workgroup_size: 256
    .name:           _ZN7rocprim17ROCPRIM_400000_NS6detail17trampoline_kernelINS0_14default_configENS1_22reduce_config_selectorIN6thrust23THRUST_200600_302600_NS5tupleIblNS6_9null_typeES8_S8_S8_S8_S8_S8_S8_EEEEZNS1_11reduce_implILb1ES3_NS6_12zip_iteratorINS7_INS6_11hip_rocprim26transform_input_iterator_tIbNSD_35transform_pair_of_input_iterators_tIbNS6_6detail15normal_iteratorINS6_10device_ptrIKxEEEESL_NS6_8equal_toIxEEEENSG_9not_fun_tINSD_8identityEEEEENSD_19counting_iterator_tIlEES8_S8_S8_S8_S8_S8_S8_S8_EEEEPS9_S9_NSD_9__find_if7functorIS9_EEEE10hipError_tPvRmT1_T2_T3_mT4_P12ihipStream_tbEUlT_E0_NS1_11comp_targetILNS1_3genE5ELNS1_11target_archE942ELNS1_3gpuE9ELNS1_3repE0EEENS1_30default_config_static_selectorELNS0_4arch9wavefront6targetE0EEEvS14_
    .private_segment_fixed_size: 0
    .sgpr_count:     0
    .sgpr_spill_count: 0
    .symbol:         _ZN7rocprim17ROCPRIM_400000_NS6detail17trampoline_kernelINS0_14default_configENS1_22reduce_config_selectorIN6thrust23THRUST_200600_302600_NS5tupleIblNS6_9null_typeES8_S8_S8_S8_S8_S8_S8_EEEEZNS1_11reduce_implILb1ES3_NS6_12zip_iteratorINS7_INS6_11hip_rocprim26transform_input_iterator_tIbNSD_35transform_pair_of_input_iterators_tIbNS6_6detail15normal_iteratorINS6_10device_ptrIKxEEEESL_NS6_8equal_toIxEEEENSG_9not_fun_tINSD_8identityEEEEENSD_19counting_iterator_tIlEES8_S8_S8_S8_S8_S8_S8_S8_EEEEPS9_S9_NSD_9__find_if7functorIS9_EEEE10hipError_tPvRmT1_T2_T3_mT4_P12ihipStream_tbEUlT_E0_NS1_11comp_targetILNS1_3genE5ELNS1_11target_archE942ELNS1_3gpuE9ELNS1_3repE0EEENS1_30default_config_static_selectorELNS0_4arch9wavefront6targetE0EEEvS14_.kd
    .uniform_work_group_size: 1
    .uses_dynamic_stack: false
    .vgpr_count:     0
    .vgpr_spill_count: 0
    .wavefront_size: 32
    .workgroup_processor_mode: 1
  - .args:
      - .offset:         0
        .size:           104
        .value_kind:     by_value
    .group_segment_fixed_size: 0
    .kernarg_segment_align: 8
    .kernarg_segment_size: 104
    .language:       OpenCL C
    .language_version:
      - 2
      - 0
    .max_flat_workgroup_size: 256
    .name:           _ZN7rocprim17ROCPRIM_400000_NS6detail17trampoline_kernelINS0_14default_configENS1_22reduce_config_selectorIN6thrust23THRUST_200600_302600_NS5tupleIblNS6_9null_typeES8_S8_S8_S8_S8_S8_S8_EEEEZNS1_11reduce_implILb1ES3_NS6_12zip_iteratorINS7_INS6_11hip_rocprim26transform_input_iterator_tIbNSD_35transform_pair_of_input_iterators_tIbNS6_6detail15normal_iteratorINS6_10device_ptrIKxEEEESL_NS6_8equal_toIxEEEENSG_9not_fun_tINSD_8identityEEEEENSD_19counting_iterator_tIlEES8_S8_S8_S8_S8_S8_S8_S8_EEEEPS9_S9_NSD_9__find_if7functorIS9_EEEE10hipError_tPvRmT1_T2_T3_mT4_P12ihipStream_tbEUlT_E0_NS1_11comp_targetILNS1_3genE4ELNS1_11target_archE910ELNS1_3gpuE8ELNS1_3repE0EEENS1_30default_config_static_selectorELNS0_4arch9wavefront6targetE0EEEvS14_
    .private_segment_fixed_size: 0
    .sgpr_count:     0
    .sgpr_spill_count: 0
    .symbol:         _ZN7rocprim17ROCPRIM_400000_NS6detail17trampoline_kernelINS0_14default_configENS1_22reduce_config_selectorIN6thrust23THRUST_200600_302600_NS5tupleIblNS6_9null_typeES8_S8_S8_S8_S8_S8_S8_EEEEZNS1_11reduce_implILb1ES3_NS6_12zip_iteratorINS7_INS6_11hip_rocprim26transform_input_iterator_tIbNSD_35transform_pair_of_input_iterators_tIbNS6_6detail15normal_iteratorINS6_10device_ptrIKxEEEESL_NS6_8equal_toIxEEEENSG_9not_fun_tINSD_8identityEEEEENSD_19counting_iterator_tIlEES8_S8_S8_S8_S8_S8_S8_S8_EEEEPS9_S9_NSD_9__find_if7functorIS9_EEEE10hipError_tPvRmT1_T2_T3_mT4_P12ihipStream_tbEUlT_E0_NS1_11comp_targetILNS1_3genE4ELNS1_11target_archE910ELNS1_3gpuE8ELNS1_3repE0EEENS1_30default_config_static_selectorELNS0_4arch9wavefront6targetE0EEEvS14_.kd
    .uniform_work_group_size: 1
    .uses_dynamic_stack: false
    .vgpr_count:     0
    .vgpr_spill_count: 0
    .wavefront_size: 32
    .workgroup_processor_mode: 1
  - .args:
      - .offset:         0
        .size:           104
        .value_kind:     by_value
    .group_segment_fixed_size: 0
    .kernarg_segment_align: 8
    .kernarg_segment_size: 104
    .language:       OpenCL C
    .language_version:
      - 2
      - 0
    .max_flat_workgroup_size: 128
    .name:           _ZN7rocprim17ROCPRIM_400000_NS6detail17trampoline_kernelINS0_14default_configENS1_22reduce_config_selectorIN6thrust23THRUST_200600_302600_NS5tupleIblNS6_9null_typeES8_S8_S8_S8_S8_S8_S8_EEEEZNS1_11reduce_implILb1ES3_NS6_12zip_iteratorINS7_INS6_11hip_rocprim26transform_input_iterator_tIbNSD_35transform_pair_of_input_iterators_tIbNS6_6detail15normal_iteratorINS6_10device_ptrIKxEEEESL_NS6_8equal_toIxEEEENSG_9not_fun_tINSD_8identityEEEEENSD_19counting_iterator_tIlEES8_S8_S8_S8_S8_S8_S8_S8_EEEEPS9_S9_NSD_9__find_if7functorIS9_EEEE10hipError_tPvRmT1_T2_T3_mT4_P12ihipStream_tbEUlT_E0_NS1_11comp_targetILNS1_3genE3ELNS1_11target_archE908ELNS1_3gpuE7ELNS1_3repE0EEENS1_30default_config_static_selectorELNS0_4arch9wavefront6targetE0EEEvS14_
    .private_segment_fixed_size: 0
    .sgpr_count:     0
    .sgpr_spill_count: 0
    .symbol:         _ZN7rocprim17ROCPRIM_400000_NS6detail17trampoline_kernelINS0_14default_configENS1_22reduce_config_selectorIN6thrust23THRUST_200600_302600_NS5tupleIblNS6_9null_typeES8_S8_S8_S8_S8_S8_S8_EEEEZNS1_11reduce_implILb1ES3_NS6_12zip_iteratorINS7_INS6_11hip_rocprim26transform_input_iterator_tIbNSD_35transform_pair_of_input_iterators_tIbNS6_6detail15normal_iteratorINS6_10device_ptrIKxEEEESL_NS6_8equal_toIxEEEENSG_9not_fun_tINSD_8identityEEEEENSD_19counting_iterator_tIlEES8_S8_S8_S8_S8_S8_S8_S8_EEEEPS9_S9_NSD_9__find_if7functorIS9_EEEE10hipError_tPvRmT1_T2_T3_mT4_P12ihipStream_tbEUlT_E0_NS1_11comp_targetILNS1_3genE3ELNS1_11target_archE908ELNS1_3gpuE7ELNS1_3repE0EEENS1_30default_config_static_selectorELNS0_4arch9wavefront6targetE0EEEvS14_.kd
    .uniform_work_group_size: 1
    .uses_dynamic_stack: false
    .vgpr_count:     0
    .vgpr_spill_count: 0
    .wavefront_size: 32
    .workgroup_processor_mode: 1
  - .args:
      - .offset:         0
        .size:           104
        .value_kind:     by_value
    .group_segment_fixed_size: 0
    .kernarg_segment_align: 8
    .kernarg_segment_size: 104
    .language:       OpenCL C
    .language_version:
      - 2
      - 0
    .max_flat_workgroup_size: 128
    .name:           _ZN7rocprim17ROCPRIM_400000_NS6detail17trampoline_kernelINS0_14default_configENS1_22reduce_config_selectorIN6thrust23THRUST_200600_302600_NS5tupleIblNS6_9null_typeES8_S8_S8_S8_S8_S8_S8_EEEEZNS1_11reduce_implILb1ES3_NS6_12zip_iteratorINS7_INS6_11hip_rocprim26transform_input_iterator_tIbNSD_35transform_pair_of_input_iterators_tIbNS6_6detail15normal_iteratorINS6_10device_ptrIKxEEEESL_NS6_8equal_toIxEEEENSG_9not_fun_tINSD_8identityEEEEENSD_19counting_iterator_tIlEES8_S8_S8_S8_S8_S8_S8_S8_EEEEPS9_S9_NSD_9__find_if7functorIS9_EEEE10hipError_tPvRmT1_T2_T3_mT4_P12ihipStream_tbEUlT_E0_NS1_11comp_targetILNS1_3genE2ELNS1_11target_archE906ELNS1_3gpuE6ELNS1_3repE0EEENS1_30default_config_static_selectorELNS0_4arch9wavefront6targetE0EEEvS14_
    .private_segment_fixed_size: 0
    .sgpr_count:     0
    .sgpr_spill_count: 0
    .symbol:         _ZN7rocprim17ROCPRIM_400000_NS6detail17trampoline_kernelINS0_14default_configENS1_22reduce_config_selectorIN6thrust23THRUST_200600_302600_NS5tupleIblNS6_9null_typeES8_S8_S8_S8_S8_S8_S8_EEEEZNS1_11reduce_implILb1ES3_NS6_12zip_iteratorINS7_INS6_11hip_rocprim26transform_input_iterator_tIbNSD_35transform_pair_of_input_iterators_tIbNS6_6detail15normal_iteratorINS6_10device_ptrIKxEEEESL_NS6_8equal_toIxEEEENSG_9not_fun_tINSD_8identityEEEEENSD_19counting_iterator_tIlEES8_S8_S8_S8_S8_S8_S8_S8_EEEEPS9_S9_NSD_9__find_if7functorIS9_EEEE10hipError_tPvRmT1_T2_T3_mT4_P12ihipStream_tbEUlT_E0_NS1_11comp_targetILNS1_3genE2ELNS1_11target_archE906ELNS1_3gpuE6ELNS1_3repE0EEENS1_30default_config_static_selectorELNS0_4arch9wavefront6targetE0EEEvS14_.kd
    .uniform_work_group_size: 1
    .uses_dynamic_stack: false
    .vgpr_count:     0
    .vgpr_spill_count: 0
    .wavefront_size: 32
    .workgroup_processor_mode: 1
  - .args:
      - .offset:         0
        .size:           104
        .value_kind:     by_value
    .group_segment_fixed_size: 0
    .kernarg_segment_align: 8
    .kernarg_segment_size: 104
    .language:       OpenCL C
    .language_version:
      - 2
      - 0
    .max_flat_workgroup_size: 256
    .name:           _ZN7rocprim17ROCPRIM_400000_NS6detail17trampoline_kernelINS0_14default_configENS1_22reduce_config_selectorIN6thrust23THRUST_200600_302600_NS5tupleIblNS6_9null_typeES8_S8_S8_S8_S8_S8_S8_EEEEZNS1_11reduce_implILb1ES3_NS6_12zip_iteratorINS7_INS6_11hip_rocprim26transform_input_iterator_tIbNSD_35transform_pair_of_input_iterators_tIbNS6_6detail15normal_iteratorINS6_10device_ptrIKxEEEESL_NS6_8equal_toIxEEEENSG_9not_fun_tINSD_8identityEEEEENSD_19counting_iterator_tIlEES8_S8_S8_S8_S8_S8_S8_S8_EEEEPS9_S9_NSD_9__find_if7functorIS9_EEEE10hipError_tPvRmT1_T2_T3_mT4_P12ihipStream_tbEUlT_E0_NS1_11comp_targetILNS1_3genE10ELNS1_11target_archE1201ELNS1_3gpuE5ELNS1_3repE0EEENS1_30default_config_static_selectorELNS0_4arch9wavefront6targetE0EEEvS14_
    .private_segment_fixed_size: 0
    .sgpr_count:     0
    .sgpr_spill_count: 0
    .symbol:         _ZN7rocprim17ROCPRIM_400000_NS6detail17trampoline_kernelINS0_14default_configENS1_22reduce_config_selectorIN6thrust23THRUST_200600_302600_NS5tupleIblNS6_9null_typeES8_S8_S8_S8_S8_S8_S8_EEEEZNS1_11reduce_implILb1ES3_NS6_12zip_iteratorINS7_INS6_11hip_rocprim26transform_input_iterator_tIbNSD_35transform_pair_of_input_iterators_tIbNS6_6detail15normal_iteratorINS6_10device_ptrIKxEEEESL_NS6_8equal_toIxEEEENSG_9not_fun_tINSD_8identityEEEEENSD_19counting_iterator_tIlEES8_S8_S8_S8_S8_S8_S8_S8_EEEEPS9_S9_NSD_9__find_if7functorIS9_EEEE10hipError_tPvRmT1_T2_T3_mT4_P12ihipStream_tbEUlT_E0_NS1_11comp_targetILNS1_3genE10ELNS1_11target_archE1201ELNS1_3gpuE5ELNS1_3repE0EEENS1_30default_config_static_selectorELNS0_4arch9wavefront6targetE0EEEvS14_.kd
    .uniform_work_group_size: 1
    .uses_dynamic_stack: false
    .vgpr_count:     0
    .vgpr_spill_count: 0
    .wavefront_size: 32
    .workgroup_processor_mode: 1
  - .args:
      - .offset:         0
        .size:           104
        .value_kind:     by_value
    .group_segment_fixed_size: 0
    .kernarg_segment_align: 8
    .kernarg_segment_size: 104
    .language:       OpenCL C
    .language_version:
      - 2
      - 0
    .max_flat_workgroup_size: 256
    .name:           _ZN7rocprim17ROCPRIM_400000_NS6detail17trampoline_kernelINS0_14default_configENS1_22reduce_config_selectorIN6thrust23THRUST_200600_302600_NS5tupleIblNS6_9null_typeES8_S8_S8_S8_S8_S8_S8_EEEEZNS1_11reduce_implILb1ES3_NS6_12zip_iteratorINS7_INS6_11hip_rocprim26transform_input_iterator_tIbNSD_35transform_pair_of_input_iterators_tIbNS6_6detail15normal_iteratorINS6_10device_ptrIKxEEEESL_NS6_8equal_toIxEEEENSG_9not_fun_tINSD_8identityEEEEENSD_19counting_iterator_tIlEES8_S8_S8_S8_S8_S8_S8_S8_EEEEPS9_S9_NSD_9__find_if7functorIS9_EEEE10hipError_tPvRmT1_T2_T3_mT4_P12ihipStream_tbEUlT_E0_NS1_11comp_targetILNS1_3genE10ELNS1_11target_archE1200ELNS1_3gpuE4ELNS1_3repE0EEENS1_30default_config_static_selectorELNS0_4arch9wavefront6targetE0EEEvS14_
    .private_segment_fixed_size: 0
    .sgpr_count:     0
    .sgpr_spill_count: 0
    .symbol:         _ZN7rocprim17ROCPRIM_400000_NS6detail17trampoline_kernelINS0_14default_configENS1_22reduce_config_selectorIN6thrust23THRUST_200600_302600_NS5tupleIblNS6_9null_typeES8_S8_S8_S8_S8_S8_S8_EEEEZNS1_11reduce_implILb1ES3_NS6_12zip_iteratorINS7_INS6_11hip_rocprim26transform_input_iterator_tIbNSD_35transform_pair_of_input_iterators_tIbNS6_6detail15normal_iteratorINS6_10device_ptrIKxEEEESL_NS6_8equal_toIxEEEENSG_9not_fun_tINSD_8identityEEEEENSD_19counting_iterator_tIlEES8_S8_S8_S8_S8_S8_S8_S8_EEEEPS9_S9_NSD_9__find_if7functorIS9_EEEE10hipError_tPvRmT1_T2_T3_mT4_P12ihipStream_tbEUlT_E0_NS1_11comp_targetILNS1_3genE10ELNS1_11target_archE1200ELNS1_3gpuE4ELNS1_3repE0EEENS1_30default_config_static_selectorELNS0_4arch9wavefront6targetE0EEEvS14_.kd
    .uniform_work_group_size: 1
    .uses_dynamic_stack: false
    .vgpr_count:     0
    .vgpr_spill_count: 0
    .wavefront_size: 32
    .workgroup_processor_mode: 1
  - .args:
      - .offset:         0
        .size:           104
        .value_kind:     by_value
    .group_segment_fixed_size: 256
    .kernarg_segment_align: 8
    .kernarg_segment_size: 104
    .language:       OpenCL C
    .language_version:
      - 2
      - 0
    .max_flat_workgroup_size: 256
    .name:           _ZN7rocprim17ROCPRIM_400000_NS6detail17trampoline_kernelINS0_14default_configENS1_22reduce_config_selectorIN6thrust23THRUST_200600_302600_NS5tupleIblNS6_9null_typeES8_S8_S8_S8_S8_S8_S8_EEEEZNS1_11reduce_implILb1ES3_NS6_12zip_iteratorINS7_INS6_11hip_rocprim26transform_input_iterator_tIbNSD_35transform_pair_of_input_iterators_tIbNS6_6detail15normal_iteratorINS6_10device_ptrIKxEEEESL_NS6_8equal_toIxEEEENSG_9not_fun_tINSD_8identityEEEEENSD_19counting_iterator_tIlEES8_S8_S8_S8_S8_S8_S8_S8_EEEEPS9_S9_NSD_9__find_if7functorIS9_EEEE10hipError_tPvRmT1_T2_T3_mT4_P12ihipStream_tbEUlT_E0_NS1_11comp_targetILNS1_3genE9ELNS1_11target_archE1100ELNS1_3gpuE3ELNS1_3repE0EEENS1_30default_config_static_selectorELNS0_4arch9wavefront6targetE0EEEvS14_
    .private_segment_fixed_size: 0
    .sgpr_count:     30
    .sgpr_spill_count: 0
    .symbol:         _ZN7rocprim17ROCPRIM_400000_NS6detail17trampoline_kernelINS0_14default_configENS1_22reduce_config_selectorIN6thrust23THRUST_200600_302600_NS5tupleIblNS6_9null_typeES8_S8_S8_S8_S8_S8_S8_EEEEZNS1_11reduce_implILb1ES3_NS6_12zip_iteratorINS7_INS6_11hip_rocprim26transform_input_iterator_tIbNSD_35transform_pair_of_input_iterators_tIbNS6_6detail15normal_iteratorINS6_10device_ptrIKxEEEESL_NS6_8equal_toIxEEEENSG_9not_fun_tINSD_8identityEEEEENSD_19counting_iterator_tIlEES8_S8_S8_S8_S8_S8_S8_S8_EEEEPS9_S9_NSD_9__find_if7functorIS9_EEEE10hipError_tPvRmT1_T2_T3_mT4_P12ihipStream_tbEUlT_E0_NS1_11comp_targetILNS1_3genE9ELNS1_11target_archE1100ELNS1_3gpuE3ELNS1_3repE0EEENS1_30default_config_static_selectorELNS0_4arch9wavefront6targetE0EEEvS14_.kd
    .uniform_work_group_size: 1
    .uses_dynamic_stack: false
    .vgpr_count:     19
    .vgpr_spill_count: 0
    .wavefront_size: 32
    .workgroup_processor_mode: 1
  - .args:
      - .offset:         0
        .size:           104
        .value_kind:     by_value
    .group_segment_fixed_size: 0
    .kernarg_segment_align: 8
    .kernarg_segment_size: 104
    .language:       OpenCL C
    .language_version:
      - 2
      - 0
    .max_flat_workgroup_size: 256
    .name:           _ZN7rocprim17ROCPRIM_400000_NS6detail17trampoline_kernelINS0_14default_configENS1_22reduce_config_selectorIN6thrust23THRUST_200600_302600_NS5tupleIblNS6_9null_typeES8_S8_S8_S8_S8_S8_S8_EEEEZNS1_11reduce_implILb1ES3_NS6_12zip_iteratorINS7_INS6_11hip_rocprim26transform_input_iterator_tIbNSD_35transform_pair_of_input_iterators_tIbNS6_6detail15normal_iteratorINS6_10device_ptrIKxEEEESL_NS6_8equal_toIxEEEENSG_9not_fun_tINSD_8identityEEEEENSD_19counting_iterator_tIlEES8_S8_S8_S8_S8_S8_S8_S8_EEEEPS9_S9_NSD_9__find_if7functorIS9_EEEE10hipError_tPvRmT1_T2_T3_mT4_P12ihipStream_tbEUlT_E0_NS1_11comp_targetILNS1_3genE8ELNS1_11target_archE1030ELNS1_3gpuE2ELNS1_3repE0EEENS1_30default_config_static_selectorELNS0_4arch9wavefront6targetE0EEEvS14_
    .private_segment_fixed_size: 0
    .sgpr_count:     0
    .sgpr_spill_count: 0
    .symbol:         _ZN7rocprim17ROCPRIM_400000_NS6detail17trampoline_kernelINS0_14default_configENS1_22reduce_config_selectorIN6thrust23THRUST_200600_302600_NS5tupleIblNS6_9null_typeES8_S8_S8_S8_S8_S8_S8_EEEEZNS1_11reduce_implILb1ES3_NS6_12zip_iteratorINS7_INS6_11hip_rocprim26transform_input_iterator_tIbNSD_35transform_pair_of_input_iterators_tIbNS6_6detail15normal_iteratorINS6_10device_ptrIKxEEEESL_NS6_8equal_toIxEEEENSG_9not_fun_tINSD_8identityEEEEENSD_19counting_iterator_tIlEES8_S8_S8_S8_S8_S8_S8_S8_EEEEPS9_S9_NSD_9__find_if7functorIS9_EEEE10hipError_tPvRmT1_T2_T3_mT4_P12ihipStream_tbEUlT_E0_NS1_11comp_targetILNS1_3genE8ELNS1_11target_archE1030ELNS1_3gpuE2ELNS1_3repE0EEENS1_30default_config_static_selectorELNS0_4arch9wavefront6targetE0EEEvS14_.kd
    .uniform_work_group_size: 1
    .uses_dynamic_stack: false
    .vgpr_count:     0
    .vgpr_spill_count: 0
    .wavefront_size: 32
    .workgroup_processor_mode: 1
  - .args:
      - .offset:         0
        .size:           88
        .value_kind:     by_value
    .group_segment_fixed_size: 0
    .kernarg_segment_align: 8
    .kernarg_segment_size: 88
    .language:       OpenCL C
    .language_version:
      - 2
      - 0
    .max_flat_workgroup_size: 128
    .name:           _ZN7rocprim17ROCPRIM_400000_NS6detail17trampoline_kernelINS0_14default_configENS1_22reduce_config_selectorIN6thrust23THRUST_200600_302600_NS5tupleIblNS6_9null_typeES8_S8_S8_S8_S8_S8_S8_EEEEZNS1_11reduce_implILb1ES3_NS6_12zip_iteratorINS7_INS6_11hip_rocprim26transform_input_iterator_tIbNSD_35transform_pair_of_input_iterators_tIbNS6_6detail15normal_iteratorINS6_10device_ptrIKxEEEESL_NS6_8equal_toIxEEEENSG_9not_fun_tINSD_8identityEEEEENSD_19counting_iterator_tIlEES8_S8_S8_S8_S8_S8_S8_S8_EEEEPS9_S9_NSD_9__find_if7functorIS9_EEEE10hipError_tPvRmT1_T2_T3_mT4_P12ihipStream_tbEUlT_E1_NS1_11comp_targetILNS1_3genE0ELNS1_11target_archE4294967295ELNS1_3gpuE0ELNS1_3repE0EEENS1_30default_config_static_selectorELNS0_4arch9wavefront6targetE0EEEvS14_
    .private_segment_fixed_size: 0
    .sgpr_count:     0
    .sgpr_spill_count: 0
    .symbol:         _ZN7rocprim17ROCPRIM_400000_NS6detail17trampoline_kernelINS0_14default_configENS1_22reduce_config_selectorIN6thrust23THRUST_200600_302600_NS5tupleIblNS6_9null_typeES8_S8_S8_S8_S8_S8_S8_EEEEZNS1_11reduce_implILb1ES3_NS6_12zip_iteratorINS7_INS6_11hip_rocprim26transform_input_iterator_tIbNSD_35transform_pair_of_input_iterators_tIbNS6_6detail15normal_iteratorINS6_10device_ptrIKxEEEESL_NS6_8equal_toIxEEEENSG_9not_fun_tINSD_8identityEEEEENSD_19counting_iterator_tIlEES8_S8_S8_S8_S8_S8_S8_S8_EEEEPS9_S9_NSD_9__find_if7functorIS9_EEEE10hipError_tPvRmT1_T2_T3_mT4_P12ihipStream_tbEUlT_E1_NS1_11comp_targetILNS1_3genE0ELNS1_11target_archE4294967295ELNS1_3gpuE0ELNS1_3repE0EEENS1_30default_config_static_selectorELNS0_4arch9wavefront6targetE0EEEvS14_.kd
    .uniform_work_group_size: 1
    .uses_dynamic_stack: false
    .vgpr_count:     0
    .vgpr_spill_count: 0
    .wavefront_size: 32
    .workgroup_processor_mode: 1
  - .args:
      - .offset:         0
        .size:           88
        .value_kind:     by_value
    .group_segment_fixed_size: 0
    .kernarg_segment_align: 8
    .kernarg_segment_size: 88
    .language:       OpenCL C
    .language_version:
      - 2
      - 0
    .max_flat_workgroup_size: 256
    .name:           _ZN7rocprim17ROCPRIM_400000_NS6detail17trampoline_kernelINS0_14default_configENS1_22reduce_config_selectorIN6thrust23THRUST_200600_302600_NS5tupleIblNS6_9null_typeES8_S8_S8_S8_S8_S8_S8_EEEEZNS1_11reduce_implILb1ES3_NS6_12zip_iteratorINS7_INS6_11hip_rocprim26transform_input_iterator_tIbNSD_35transform_pair_of_input_iterators_tIbNS6_6detail15normal_iteratorINS6_10device_ptrIKxEEEESL_NS6_8equal_toIxEEEENSG_9not_fun_tINSD_8identityEEEEENSD_19counting_iterator_tIlEES8_S8_S8_S8_S8_S8_S8_S8_EEEEPS9_S9_NSD_9__find_if7functorIS9_EEEE10hipError_tPvRmT1_T2_T3_mT4_P12ihipStream_tbEUlT_E1_NS1_11comp_targetILNS1_3genE5ELNS1_11target_archE942ELNS1_3gpuE9ELNS1_3repE0EEENS1_30default_config_static_selectorELNS0_4arch9wavefront6targetE0EEEvS14_
    .private_segment_fixed_size: 0
    .sgpr_count:     0
    .sgpr_spill_count: 0
    .symbol:         _ZN7rocprim17ROCPRIM_400000_NS6detail17trampoline_kernelINS0_14default_configENS1_22reduce_config_selectorIN6thrust23THRUST_200600_302600_NS5tupleIblNS6_9null_typeES8_S8_S8_S8_S8_S8_S8_EEEEZNS1_11reduce_implILb1ES3_NS6_12zip_iteratorINS7_INS6_11hip_rocprim26transform_input_iterator_tIbNSD_35transform_pair_of_input_iterators_tIbNS6_6detail15normal_iteratorINS6_10device_ptrIKxEEEESL_NS6_8equal_toIxEEEENSG_9not_fun_tINSD_8identityEEEEENSD_19counting_iterator_tIlEES8_S8_S8_S8_S8_S8_S8_S8_EEEEPS9_S9_NSD_9__find_if7functorIS9_EEEE10hipError_tPvRmT1_T2_T3_mT4_P12ihipStream_tbEUlT_E1_NS1_11comp_targetILNS1_3genE5ELNS1_11target_archE942ELNS1_3gpuE9ELNS1_3repE0EEENS1_30default_config_static_selectorELNS0_4arch9wavefront6targetE0EEEvS14_.kd
    .uniform_work_group_size: 1
    .uses_dynamic_stack: false
    .vgpr_count:     0
    .vgpr_spill_count: 0
    .wavefront_size: 32
    .workgroup_processor_mode: 1
  - .args:
      - .offset:         0
        .size:           88
        .value_kind:     by_value
    .group_segment_fixed_size: 0
    .kernarg_segment_align: 8
    .kernarg_segment_size: 88
    .language:       OpenCL C
    .language_version:
      - 2
      - 0
    .max_flat_workgroup_size: 256
    .name:           _ZN7rocprim17ROCPRIM_400000_NS6detail17trampoline_kernelINS0_14default_configENS1_22reduce_config_selectorIN6thrust23THRUST_200600_302600_NS5tupleIblNS6_9null_typeES8_S8_S8_S8_S8_S8_S8_EEEEZNS1_11reduce_implILb1ES3_NS6_12zip_iteratorINS7_INS6_11hip_rocprim26transform_input_iterator_tIbNSD_35transform_pair_of_input_iterators_tIbNS6_6detail15normal_iteratorINS6_10device_ptrIKxEEEESL_NS6_8equal_toIxEEEENSG_9not_fun_tINSD_8identityEEEEENSD_19counting_iterator_tIlEES8_S8_S8_S8_S8_S8_S8_S8_EEEEPS9_S9_NSD_9__find_if7functorIS9_EEEE10hipError_tPvRmT1_T2_T3_mT4_P12ihipStream_tbEUlT_E1_NS1_11comp_targetILNS1_3genE4ELNS1_11target_archE910ELNS1_3gpuE8ELNS1_3repE0EEENS1_30default_config_static_selectorELNS0_4arch9wavefront6targetE0EEEvS14_
    .private_segment_fixed_size: 0
    .sgpr_count:     0
    .sgpr_spill_count: 0
    .symbol:         _ZN7rocprim17ROCPRIM_400000_NS6detail17trampoline_kernelINS0_14default_configENS1_22reduce_config_selectorIN6thrust23THRUST_200600_302600_NS5tupleIblNS6_9null_typeES8_S8_S8_S8_S8_S8_S8_EEEEZNS1_11reduce_implILb1ES3_NS6_12zip_iteratorINS7_INS6_11hip_rocprim26transform_input_iterator_tIbNSD_35transform_pair_of_input_iterators_tIbNS6_6detail15normal_iteratorINS6_10device_ptrIKxEEEESL_NS6_8equal_toIxEEEENSG_9not_fun_tINSD_8identityEEEEENSD_19counting_iterator_tIlEES8_S8_S8_S8_S8_S8_S8_S8_EEEEPS9_S9_NSD_9__find_if7functorIS9_EEEE10hipError_tPvRmT1_T2_T3_mT4_P12ihipStream_tbEUlT_E1_NS1_11comp_targetILNS1_3genE4ELNS1_11target_archE910ELNS1_3gpuE8ELNS1_3repE0EEENS1_30default_config_static_selectorELNS0_4arch9wavefront6targetE0EEEvS14_.kd
    .uniform_work_group_size: 1
    .uses_dynamic_stack: false
    .vgpr_count:     0
    .vgpr_spill_count: 0
    .wavefront_size: 32
    .workgroup_processor_mode: 1
  - .args:
      - .offset:         0
        .size:           88
        .value_kind:     by_value
    .group_segment_fixed_size: 0
    .kernarg_segment_align: 8
    .kernarg_segment_size: 88
    .language:       OpenCL C
    .language_version:
      - 2
      - 0
    .max_flat_workgroup_size: 128
    .name:           _ZN7rocprim17ROCPRIM_400000_NS6detail17trampoline_kernelINS0_14default_configENS1_22reduce_config_selectorIN6thrust23THRUST_200600_302600_NS5tupleIblNS6_9null_typeES8_S8_S8_S8_S8_S8_S8_EEEEZNS1_11reduce_implILb1ES3_NS6_12zip_iteratorINS7_INS6_11hip_rocprim26transform_input_iterator_tIbNSD_35transform_pair_of_input_iterators_tIbNS6_6detail15normal_iteratorINS6_10device_ptrIKxEEEESL_NS6_8equal_toIxEEEENSG_9not_fun_tINSD_8identityEEEEENSD_19counting_iterator_tIlEES8_S8_S8_S8_S8_S8_S8_S8_EEEEPS9_S9_NSD_9__find_if7functorIS9_EEEE10hipError_tPvRmT1_T2_T3_mT4_P12ihipStream_tbEUlT_E1_NS1_11comp_targetILNS1_3genE3ELNS1_11target_archE908ELNS1_3gpuE7ELNS1_3repE0EEENS1_30default_config_static_selectorELNS0_4arch9wavefront6targetE0EEEvS14_
    .private_segment_fixed_size: 0
    .sgpr_count:     0
    .sgpr_spill_count: 0
    .symbol:         _ZN7rocprim17ROCPRIM_400000_NS6detail17trampoline_kernelINS0_14default_configENS1_22reduce_config_selectorIN6thrust23THRUST_200600_302600_NS5tupleIblNS6_9null_typeES8_S8_S8_S8_S8_S8_S8_EEEEZNS1_11reduce_implILb1ES3_NS6_12zip_iteratorINS7_INS6_11hip_rocprim26transform_input_iterator_tIbNSD_35transform_pair_of_input_iterators_tIbNS6_6detail15normal_iteratorINS6_10device_ptrIKxEEEESL_NS6_8equal_toIxEEEENSG_9not_fun_tINSD_8identityEEEEENSD_19counting_iterator_tIlEES8_S8_S8_S8_S8_S8_S8_S8_EEEEPS9_S9_NSD_9__find_if7functorIS9_EEEE10hipError_tPvRmT1_T2_T3_mT4_P12ihipStream_tbEUlT_E1_NS1_11comp_targetILNS1_3genE3ELNS1_11target_archE908ELNS1_3gpuE7ELNS1_3repE0EEENS1_30default_config_static_selectorELNS0_4arch9wavefront6targetE0EEEvS14_.kd
    .uniform_work_group_size: 1
    .uses_dynamic_stack: false
    .vgpr_count:     0
    .vgpr_spill_count: 0
    .wavefront_size: 32
    .workgroup_processor_mode: 1
  - .args:
      - .offset:         0
        .size:           88
        .value_kind:     by_value
    .group_segment_fixed_size: 0
    .kernarg_segment_align: 8
    .kernarg_segment_size: 88
    .language:       OpenCL C
    .language_version:
      - 2
      - 0
    .max_flat_workgroup_size: 128
    .name:           _ZN7rocprim17ROCPRIM_400000_NS6detail17trampoline_kernelINS0_14default_configENS1_22reduce_config_selectorIN6thrust23THRUST_200600_302600_NS5tupleIblNS6_9null_typeES8_S8_S8_S8_S8_S8_S8_EEEEZNS1_11reduce_implILb1ES3_NS6_12zip_iteratorINS7_INS6_11hip_rocprim26transform_input_iterator_tIbNSD_35transform_pair_of_input_iterators_tIbNS6_6detail15normal_iteratorINS6_10device_ptrIKxEEEESL_NS6_8equal_toIxEEEENSG_9not_fun_tINSD_8identityEEEEENSD_19counting_iterator_tIlEES8_S8_S8_S8_S8_S8_S8_S8_EEEEPS9_S9_NSD_9__find_if7functorIS9_EEEE10hipError_tPvRmT1_T2_T3_mT4_P12ihipStream_tbEUlT_E1_NS1_11comp_targetILNS1_3genE2ELNS1_11target_archE906ELNS1_3gpuE6ELNS1_3repE0EEENS1_30default_config_static_selectorELNS0_4arch9wavefront6targetE0EEEvS14_
    .private_segment_fixed_size: 0
    .sgpr_count:     0
    .sgpr_spill_count: 0
    .symbol:         _ZN7rocprim17ROCPRIM_400000_NS6detail17trampoline_kernelINS0_14default_configENS1_22reduce_config_selectorIN6thrust23THRUST_200600_302600_NS5tupleIblNS6_9null_typeES8_S8_S8_S8_S8_S8_S8_EEEEZNS1_11reduce_implILb1ES3_NS6_12zip_iteratorINS7_INS6_11hip_rocprim26transform_input_iterator_tIbNSD_35transform_pair_of_input_iterators_tIbNS6_6detail15normal_iteratorINS6_10device_ptrIKxEEEESL_NS6_8equal_toIxEEEENSG_9not_fun_tINSD_8identityEEEEENSD_19counting_iterator_tIlEES8_S8_S8_S8_S8_S8_S8_S8_EEEEPS9_S9_NSD_9__find_if7functorIS9_EEEE10hipError_tPvRmT1_T2_T3_mT4_P12ihipStream_tbEUlT_E1_NS1_11comp_targetILNS1_3genE2ELNS1_11target_archE906ELNS1_3gpuE6ELNS1_3repE0EEENS1_30default_config_static_selectorELNS0_4arch9wavefront6targetE0EEEvS14_.kd
    .uniform_work_group_size: 1
    .uses_dynamic_stack: false
    .vgpr_count:     0
    .vgpr_spill_count: 0
    .wavefront_size: 32
    .workgroup_processor_mode: 1
  - .args:
      - .offset:         0
        .size:           88
        .value_kind:     by_value
    .group_segment_fixed_size: 0
    .kernarg_segment_align: 8
    .kernarg_segment_size: 88
    .language:       OpenCL C
    .language_version:
      - 2
      - 0
    .max_flat_workgroup_size: 256
    .name:           _ZN7rocprim17ROCPRIM_400000_NS6detail17trampoline_kernelINS0_14default_configENS1_22reduce_config_selectorIN6thrust23THRUST_200600_302600_NS5tupleIblNS6_9null_typeES8_S8_S8_S8_S8_S8_S8_EEEEZNS1_11reduce_implILb1ES3_NS6_12zip_iteratorINS7_INS6_11hip_rocprim26transform_input_iterator_tIbNSD_35transform_pair_of_input_iterators_tIbNS6_6detail15normal_iteratorINS6_10device_ptrIKxEEEESL_NS6_8equal_toIxEEEENSG_9not_fun_tINSD_8identityEEEEENSD_19counting_iterator_tIlEES8_S8_S8_S8_S8_S8_S8_S8_EEEEPS9_S9_NSD_9__find_if7functorIS9_EEEE10hipError_tPvRmT1_T2_T3_mT4_P12ihipStream_tbEUlT_E1_NS1_11comp_targetILNS1_3genE10ELNS1_11target_archE1201ELNS1_3gpuE5ELNS1_3repE0EEENS1_30default_config_static_selectorELNS0_4arch9wavefront6targetE0EEEvS14_
    .private_segment_fixed_size: 0
    .sgpr_count:     0
    .sgpr_spill_count: 0
    .symbol:         _ZN7rocprim17ROCPRIM_400000_NS6detail17trampoline_kernelINS0_14default_configENS1_22reduce_config_selectorIN6thrust23THRUST_200600_302600_NS5tupleIblNS6_9null_typeES8_S8_S8_S8_S8_S8_S8_EEEEZNS1_11reduce_implILb1ES3_NS6_12zip_iteratorINS7_INS6_11hip_rocprim26transform_input_iterator_tIbNSD_35transform_pair_of_input_iterators_tIbNS6_6detail15normal_iteratorINS6_10device_ptrIKxEEEESL_NS6_8equal_toIxEEEENSG_9not_fun_tINSD_8identityEEEEENSD_19counting_iterator_tIlEES8_S8_S8_S8_S8_S8_S8_S8_EEEEPS9_S9_NSD_9__find_if7functorIS9_EEEE10hipError_tPvRmT1_T2_T3_mT4_P12ihipStream_tbEUlT_E1_NS1_11comp_targetILNS1_3genE10ELNS1_11target_archE1201ELNS1_3gpuE5ELNS1_3repE0EEENS1_30default_config_static_selectorELNS0_4arch9wavefront6targetE0EEEvS14_.kd
    .uniform_work_group_size: 1
    .uses_dynamic_stack: false
    .vgpr_count:     0
    .vgpr_spill_count: 0
    .wavefront_size: 32
    .workgroup_processor_mode: 1
  - .args:
      - .offset:         0
        .size:           88
        .value_kind:     by_value
    .group_segment_fixed_size: 0
    .kernarg_segment_align: 8
    .kernarg_segment_size: 88
    .language:       OpenCL C
    .language_version:
      - 2
      - 0
    .max_flat_workgroup_size: 256
    .name:           _ZN7rocprim17ROCPRIM_400000_NS6detail17trampoline_kernelINS0_14default_configENS1_22reduce_config_selectorIN6thrust23THRUST_200600_302600_NS5tupleIblNS6_9null_typeES8_S8_S8_S8_S8_S8_S8_EEEEZNS1_11reduce_implILb1ES3_NS6_12zip_iteratorINS7_INS6_11hip_rocprim26transform_input_iterator_tIbNSD_35transform_pair_of_input_iterators_tIbNS6_6detail15normal_iteratorINS6_10device_ptrIKxEEEESL_NS6_8equal_toIxEEEENSG_9not_fun_tINSD_8identityEEEEENSD_19counting_iterator_tIlEES8_S8_S8_S8_S8_S8_S8_S8_EEEEPS9_S9_NSD_9__find_if7functorIS9_EEEE10hipError_tPvRmT1_T2_T3_mT4_P12ihipStream_tbEUlT_E1_NS1_11comp_targetILNS1_3genE10ELNS1_11target_archE1200ELNS1_3gpuE4ELNS1_3repE0EEENS1_30default_config_static_selectorELNS0_4arch9wavefront6targetE0EEEvS14_
    .private_segment_fixed_size: 0
    .sgpr_count:     0
    .sgpr_spill_count: 0
    .symbol:         _ZN7rocprim17ROCPRIM_400000_NS6detail17trampoline_kernelINS0_14default_configENS1_22reduce_config_selectorIN6thrust23THRUST_200600_302600_NS5tupleIblNS6_9null_typeES8_S8_S8_S8_S8_S8_S8_EEEEZNS1_11reduce_implILb1ES3_NS6_12zip_iteratorINS7_INS6_11hip_rocprim26transform_input_iterator_tIbNSD_35transform_pair_of_input_iterators_tIbNS6_6detail15normal_iteratorINS6_10device_ptrIKxEEEESL_NS6_8equal_toIxEEEENSG_9not_fun_tINSD_8identityEEEEENSD_19counting_iterator_tIlEES8_S8_S8_S8_S8_S8_S8_S8_EEEEPS9_S9_NSD_9__find_if7functorIS9_EEEE10hipError_tPvRmT1_T2_T3_mT4_P12ihipStream_tbEUlT_E1_NS1_11comp_targetILNS1_3genE10ELNS1_11target_archE1200ELNS1_3gpuE4ELNS1_3repE0EEENS1_30default_config_static_selectorELNS0_4arch9wavefront6targetE0EEEvS14_.kd
    .uniform_work_group_size: 1
    .uses_dynamic_stack: false
    .vgpr_count:     0
    .vgpr_spill_count: 0
    .wavefront_size: 32
    .workgroup_processor_mode: 1
  - .args:
      - .offset:         0
        .size:           88
        .value_kind:     by_value
    .group_segment_fixed_size: 640
    .kernarg_segment_align: 8
    .kernarg_segment_size: 88
    .language:       OpenCL C
    .language_version:
      - 2
      - 0
    .max_flat_workgroup_size: 256
    .name:           _ZN7rocprim17ROCPRIM_400000_NS6detail17trampoline_kernelINS0_14default_configENS1_22reduce_config_selectorIN6thrust23THRUST_200600_302600_NS5tupleIblNS6_9null_typeES8_S8_S8_S8_S8_S8_S8_EEEEZNS1_11reduce_implILb1ES3_NS6_12zip_iteratorINS7_INS6_11hip_rocprim26transform_input_iterator_tIbNSD_35transform_pair_of_input_iterators_tIbNS6_6detail15normal_iteratorINS6_10device_ptrIKxEEEESL_NS6_8equal_toIxEEEENSG_9not_fun_tINSD_8identityEEEEENSD_19counting_iterator_tIlEES8_S8_S8_S8_S8_S8_S8_S8_EEEEPS9_S9_NSD_9__find_if7functorIS9_EEEE10hipError_tPvRmT1_T2_T3_mT4_P12ihipStream_tbEUlT_E1_NS1_11comp_targetILNS1_3genE9ELNS1_11target_archE1100ELNS1_3gpuE3ELNS1_3repE0EEENS1_30default_config_static_selectorELNS0_4arch9wavefront6targetE0EEEvS14_
    .private_segment_fixed_size: 0
    .sgpr_count:     34
    .sgpr_spill_count: 0
    .symbol:         _ZN7rocprim17ROCPRIM_400000_NS6detail17trampoline_kernelINS0_14default_configENS1_22reduce_config_selectorIN6thrust23THRUST_200600_302600_NS5tupleIblNS6_9null_typeES8_S8_S8_S8_S8_S8_S8_EEEEZNS1_11reduce_implILb1ES3_NS6_12zip_iteratorINS7_INS6_11hip_rocprim26transform_input_iterator_tIbNSD_35transform_pair_of_input_iterators_tIbNS6_6detail15normal_iteratorINS6_10device_ptrIKxEEEESL_NS6_8equal_toIxEEEENSG_9not_fun_tINSD_8identityEEEEENSD_19counting_iterator_tIlEES8_S8_S8_S8_S8_S8_S8_S8_EEEEPS9_S9_NSD_9__find_if7functorIS9_EEEE10hipError_tPvRmT1_T2_T3_mT4_P12ihipStream_tbEUlT_E1_NS1_11comp_targetILNS1_3genE9ELNS1_11target_archE1100ELNS1_3gpuE3ELNS1_3repE0EEENS1_30default_config_static_selectorELNS0_4arch9wavefront6targetE0EEEvS14_.kd
    .uniform_work_group_size: 1
    .uses_dynamic_stack: false
    .vgpr_count:     34
    .vgpr_spill_count: 0
    .wavefront_size: 32
    .workgroup_processor_mode: 1
  - .args:
      - .offset:         0
        .size:           88
        .value_kind:     by_value
    .group_segment_fixed_size: 0
    .kernarg_segment_align: 8
    .kernarg_segment_size: 88
    .language:       OpenCL C
    .language_version:
      - 2
      - 0
    .max_flat_workgroup_size: 256
    .name:           _ZN7rocprim17ROCPRIM_400000_NS6detail17trampoline_kernelINS0_14default_configENS1_22reduce_config_selectorIN6thrust23THRUST_200600_302600_NS5tupleIblNS6_9null_typeES8_S8_S8_S8_S8_S8_S8_EEEEZNS1_11reduce_implILb1ES3_NS6_12zip_iteratorINS7_INS6_11hip_rocprim26transform_input_iterator_tIbNSD_35transform_pair_of_input_iterators_tIbNS6_6detail15normal_iteratorINS6_10device_ptrIKxEEEESL_NS6_8equal_toIxEEEENSG_9not_fun_tINSD_8identityEEEEENSD_19counting_iterator_tIlEES8_S8_S8_S8_S8_S8_S8_S8_EEEEPS9_S9_NSD_9__find_if7functorIS9_EEEE10hipError_tPvRmT1_T2_T3_mT4_P12ihipStream_tbEUlT_E1_NS1_11comp_targetILNS1_3genE8ELNS1_11target_archE1030ELNS1_3gpuE2ELNS1_3repE0EEENS1_30default_config_static_selectorELNS0_4arch9wavefront6targetE0EEEvS14_
    .private_segment_fixed_size: 0
    .sgpr_count:     0
    .sgpr_spill_count: 0
    .symbol:         _ZN7rocprim17ROCPRIM_400000_NS6detail17trampoline_kernelINS0_14default_configENS1_22reduce_config_selectorIN6thrust23THRUST_200600_302600_NS5tupleIblNS6_9null_typeES8_S8_S8_S8_S8_S8_S8_EEEEZNS1_11reduce_implILb1ES3_NS6_12zip_iteratorINS7_INS6_11hip_rocprim26transform_input_iterator_tIbNSD_35transform_pair_of_input_iterators_tIbNS6_6detail15normal_iteratorINS6_10device_ptrIKxEEEESL_NS6_8equal_toIxEEEENSG_9not_fun_tINSD_8identityEEEEENSD_19counting_iterator_tIlEES8_S8_S8_S8_S8_S8_S8_S8_EEEEPS9_S9_NSD_9__find_if7functorIS9_EEEE10hipError_tPvRmT1_T2_T3_mT4_P12ihipStream_tbEUlT_E1_NS1_11comp_targetILNS1_3genE8ELNS1_11target_archE1030ELNS1_3gpuE2ELNS1_3repE0EEENS1_30default_config_static_selectorELNS0_4arch9wavefront6targetE0EEEvS14_.kd
    .uniform_work_group_size: 1
    .uses_dynamic_stack: false
    .vgpr_count:     0
    .vgpr_spill_count: 0
    .wavefront_size: 32
    .workgroup_processor_mode: 1
  - .args:
      - .offset:         0
        .size:           40
        .value_kind:     by_value
      - .offset:         40
        .size:           8
        .value_kind:     by_value
      - .offset:         48
        .size:           8
        .value_kind:     by_value
    .group_segment_fixed_size: 0
    .kernarg_segment_align: 8
    .kernarg_segment_size: 56
    .language:       OpenCL C
    .language_version:
      - 2
      - 0
    .max_flat_workgroup_size: 256
    .name:           _ZN6thrust23THRUST_200600_302600_NS11hip_rocprim14__parallel_for6kernelILj256ENS1_11__transform17unary_transform_fINS0_12zip_iteratorINS0_5tupleINS0_6detail15normal_iteratorINS0_10device_ptrIiEEEESC_NS0_9null_typeESD_SD_SD_SD_SD_SD_SD_EEEESF_NS4_14no_stencil_tagENS0_8identityINS7_IiiSD_SD_SD_SD_SD_SD_SD_SD_EEEENS4_21always_true_predicateEEElLj1EEEvT0_T1_SN_
    .private_segment_fixed_size: 0
    .sgpr_count:     22
    .sgpr_spill_count: 0
    .symbol:         _ZN6thrust23THRUST_200600_302600_NS11hip_rocprim14__parallel_for6kernelILj256ENS1_11__transform17unary_transform_fINS0_12zip_iteratorINS0_5tupleINS0_6detail15normal_iteratorINS0_10device_ptrIiEEEESC_NS0_9null_typeESD_SD_SD_SD_SD_SD_SD_EEEESF_NS4_14no_stencil_tagENS0_8identityINS7_IiiSD_SD_SD_SD_SD_SD_SD_SD_EEEENS4_21always_true_predicateEEElLj1EEEvT0_T1_SN_.kd
    .uniform_work_group_size: 1
    .uses_dynamic_stack: false
    .vgpr_count:     8
    .vgpr_spill_count: 0
    .wavefront_size: 32
    .workgroup_processor_mode: 1
  - .args:
      - .offset:         0
        .size:           40
        .value_kind:     by_value
      - .offset:         40
        .size:           8
        .value_kind:     by_value
      - .offset:         48
        .size:           8
        .value_kind:     by_value
    .group_segment_fixed_size: 0
    .kernarg_segment_align: 8
    .kernarg_segment_size: 56
    .language:       OpenCL C
    .language_version:
      - 2
      - 0
    .max_flat_workgroup_size: 256
    .name:           _ZN6thrust23THRUST_200600_302600_NS11hip_rocprim14__parallel_for6kernelILj256ENS1_11__transform17unary_transform_fINS0_12zip_iteratorINS0_5tupleINS0_6detail15normal_iteratorINS0_10device_ptrIsEEEESC_NS0_9null_typeESD_SD_SD_SD_SD_SD_SD_EEEESF_NS4_14no_stencil_tagENS0_8identityINS7_IssSD_SD_SD_SD_SD_SD_SD_SD_EEEENS4_21always_true_predicateEEElLj1EEEvT0_T1_SN_
    .private_segment_fixed_size: 0
    .sgpr_count:     22
    .sgpr_spill_count: 0
    .symbol:         _ZN6thrust23THRUST_200600_302600_NS11hip_rocprim14__parallel_for6kernelILj256ENS1_11__transform17unary_transform_fINS0_12zip_iteratorINS0_5tupleINS0_6detail15normal_iteratorINS0_10device_ptrIsEEEESC_NS0_9null_typeESD_SD_SD_SD_SD_SD_SD_EEEESF_NS4_14no_stencil_tagENS0_8identityINS7_IssSD_SD_SD_SD_SD_SD_SD_SD_EEEENS4_21always_true_predicateEEElLj1EEEvT0_T1_SN_.kd
    .uniform_work_group_size: 1
    .uses_dynamic_stack: false
    .vgpr_count:     8
    .vgpr_spill_count: 0
    .wavefront_size: 32
    .workgroup_processor_mode: 1
  - .args:
      - .offset:         0
        .size:           104
        .value_kind:     by_value
    .group_segment_fixed_size: 0
    .kernarg_segment_align: 8
    .kernarg_segment_size: 104
    .language:       OpenCL C
    .language_version:
      - 2
      - 0
    .max_flat_workgroup_size: 128
    .name:           _ZN7rocprim17ROCPRIM_400000_NS6detail17trampoline_kernelINS0_14default_configENS1_22reduce_config_selectorIN6thrust23THRUST_200600_302600_NS5tupleIblNS6_9null_typeES8_S8_S8_S8_S8_S8_S8_EEEEZNS1_11reduce_implILb1ES3_NS6_12zip_iteratorINS7_INS6_11hip_rocprim26transform_input_iterator_tIbNSD_35transform_pair_of_input_iterators_tIbNS6_6detail15normal_iteratorINS6_10device_ptrIKsEEEESL_NS6_8equal_toIsEEEENSG_9not_fun_tINSD_8identityEEEEENSD_19counting_iterator_tIlEES8_S8_S8_S8_S8_S8_S8_S8_EEEEPS9_S9_NSD_9__find_if7functorIS9_EEEE10hipError_tPvRmT1_T2_T3_mT4_P12ihipStream_tbEUlT_E0_NS1_11comp_targetILNS1_3genE0ELNS1_11target_archE4294967295ELNS1_3gpuE0ELNS1_3repE0EEENS1_30default_config_static_selectorELNS0_4arch9wavefront6targetE0EEEvS14_
    .private_segment_fixed_size: 0
    .sgpr_count:     0
    .sgpr_spill_count: 0
    .symbol:         _ZN7rocprim17ROCPRIM_400000_NS6detail17trampoline_kernelINS0_14default_configENS1_22reduce_config_selectorIN6thrust23THRUST_200600_302600_NS5tupleIblNS6_9null_typeES8_S8_S8_S8_S8_S8_S8_EEEEZNS1_11reduce_implILb1ES3_NS6_12zip_iteratorINS7_INS6_11hip_rocprim26transform_input_iterator_tIbNSD_35transform_pair_of_input_iterators_tIbNS6_6detail15normal_iteratorINS6_10device_ptrIKsEEEESL_NS6_8equal_toIsEEEENSG_9not_fun_tINSD_8identityEEEEENSD_19counting_iterator_tIlEES8_S8_S8_S8_S8_S8_S8_S8_EEEEPS9_S9_NSD_9__find_if7functorIS9_EEEE10hipError_tPvRmT1_T2_T3_mT4_P12ihipStream_tbEUlT_E0_NS1_11comp_targetILNS1_3genE0ELNS1_11target_archE4294967295ELNS1_3gpuE0ELNS1_3repE0EEENS1_30default_config_static_selectorELNS0_4arch9wavefront6targetE0EEEvS14_.kd
    .uniform_work_group_size: 1
    .uses_dynamic_stack: false
    .vgpr_count:     0
    .vgpr_spill_count: 0
    .wavefront_size: 32
    .workgroup_processor_mode: 1
  - .args:
      - .offset:         0
        .size:           104
        .value_kind:     by_value
    .group_segment_fixed_size: 0
    .kernarg_segment_align: 8
    .kernarg_segment_size: 104
    .language:       OpenCL C
    .language_version:
      - 2
      - 0
    .max_flat_workgroup_size: 256
    .name:           _ZN7rocprim17ROCPRIM_400000_NS6detail17trampoline_kernelINS0_14default_configENS1_22reduce_config_selectorIN6thrust23THRUST_200600_302600_NS5tupleIblNS6_9null_typeES8_S8_S8_S8_S8_S8_S8_EEEEZNS1_11reduce_implILb1ES3_NS6_12zip_iteratorINS7_INS6_11hip_rocprim26transform_input_iterator_tIbNSD_35transform_pair_of_input_iterators_tIbNS6_6detail15normal_iteratorINS6_10device_ptrIKsEEEESL_NS6_8equal_toIsEEEENSG_9not_fun_tINSD_8identityEEEEENSD_19counting_iterator_tIlEES8_S8_S8_S8_S8_S8_S8_S8_EEEEPS9_S9_NSD_9__find_if7functorIS9_EEEE10hipError_tPvRmT1_T2_T3_mT4_P12ihipStream_tbEUlT_E0_NS1_11comp_targetILNS1_3genE5ELNS1_11target_archE942ELNS1_3gpuE9ELNS1_3repE0EEENS1_30default_config_static_selectorELNS0_4arch9wavefront6targetE0EEEvS14_
    .private_segment_fixed_size: 0
    .sgpr_count:     0
    .sgpr_spill_count: 0
    .symbol:         _ZN7rocprim17ROCPRIM_400000_NS6detail17trampoline_kernelINS0_14default_configENS1_22reduce_config_selectorIN6thrust23THRUST_200600_302600_NS5tupleIblNS6_9null_typeES8_S8_S8_S8_S8_S8_S8_EEEEZNS1_11reduce_implILb1ES3_NS6_12zip_iteratorINS7_INS6_11hip_rocprim26transform_input_iterator_tIbNSD_35transform_pair_of_input_iterators_tIbNS6_6detail15normal_iteratorINS6_10device_ptrIKsEEEESL_NS6_8equal_toIsEEEENSG_9not_fun_tINSD_8identityEEEEENSD_19counting_iterator_tIlEES8_S8_S8_S8_S8_S8_S8_S8_EEEEPS9_S9_NSD_9__find_if7functorIS9_EEEE10hipError_tPvRmT1_T2_T3_mT4_P12ihipStream_tbEUlT_E0_NS1_11comp_targetILNS1_3genE5ELNS1_11target_archE942ELNS1_3gpuE9ELNS1_3repE0EEENS1_30default_config_static_selectorELNS0_4arch9wavefront6targetE0EEEvS14_.kd
    .uniform_work_group_size: 1
    .uses_dynamic_stack: false
    .vgpr_count:     0
    .vgpr_spill_count: 0
    .wavefront_size: 32
    .workgroup_processor_mode: 1
  - .args:
      - .offset:         0
        .size:           104
        .value_kind:     by_value
    .group_segment_fixed_size: 0
    .kernarg_segment_align: 8
    .kernarg_segment_size: 104
    .language:       OpenCL C
    .language_version:
      - 2
      - 0
    .max_flat_workgroup_size: 256
    .name:           _ZN7rocprim17ROCPRIM_400000_NS6detail17trampoline_kernelINS0_14default_configENS1_22reduce_config_selectorIN6thrust23THRUST_200600_302600_NS5tupleIblNS6_9null_typeES8_S8_S8_S8_S8_S8_S8_EEEEZNS1_11reduce_implILb1ES3_NS6_12zip_iteratorINS7_INS6_11hip_rocprim26transform_input_iterator_tIbNSD_35transform_pair_of_input_iterators_tIbNS6_6detail15normal_iteratorINS6_10device_ptrIKsEEEESL_NS6_8equal_toIsEEEENSG_9not_fun_tINSD_8identityEEEEENSD_19counting_iterator_tIlEES8_S8_S8_S8_S8_S8_S8_S8_EEEEPS9_S9_NSD_9__find_if7functorIS9_EEEE10hipError_tPvRmT1_T2_T3_mT4_P12ihipStream_tbEUlT_E0_NS1_11comp_targetILNS1_3genE4ELNS1_11target_archE910ELNS1_3gpuE8ELNS1_3repE0EEENS1_30default_config_static_selectorELNS0_4arch9wavefront6targetE0EEEvS14_
    .private_segment_fixed_size: 0
    .sgpr_count:     0
    .sgpr_spill_count: 0
    .symbol:         _ZN7rocprim17ROCPRIM_400000_NS6detail17trampoline_kernelINS0_14default_configENS1_22reduce_config_selectorIN6thrust23THRUST_200600_302600_NS5tupleIblNS6_9null_typeES8_S8_S8_S8_S8_S8_S8_EEEEZNS1_11reduce_implILb1ES3_NS6_12zip_iteratorINS7_INS6_11hip_rocprim26transform_input_iterator_tIbNSD_35transform_pair_of_input_iterators_tIbNS6_6detail15normal_iteratorINS6_10device_ptrIKsEEEESL_NS6_8equal_toIsEEEENSG_9not_fun_tINSD_8identityEEEEENSD_19counting_iterator_tIlEES8_S8_S8_S8_S8_S8_S8_S8_EEEEPS9_S9_NSD_9__find_if7functorIS9_EEEE10hipError_tPvRmT1_T2_T3_mT4_P12ihipStream_tbEUlT_E0_NS1_11comp_targetILNS1_3genE4ELNS1_11target_archE910ELNS1_3gpuE8ELNS1_3repE0EEENS1_30default_config_static_selectorELNS0_4arch9wavefront6targetE0EEEvS14_.kd
    .uniform_work_group_size: 1
    .uses_dynamic_stack: false
    .vgpr_count:     0
    .vgpr_spill_count: 0
    .wavefront_size: 32
    .workgroup_processor_mode: 1
  - .args:
      - .offset:         0
        .size:           104
        .value_kind:     by_value
    .group_segment_fixed_size: 0
    .kernarg_segment_align: 8
    .kernarg_segment_size: 104
    .language:       OpenCL C
    .language_version:
      - 2
      - 0
    .max_flat_workgroup_size: 128
    .name:           _ZN7rocprim17ROCPRIM_400000_NS6detail17trampoline_kernelINS0_14default_configENS1_22reduce_config_selectorIN6thrust23THRUST_200600_302600_NS5tupleIblNS6_9null_typeES8_S8_S8_S8_S8_S8_S8_EEEEZNS1_11reduce_implILb1ES3_NS6_12zip_iteratorINS7_INS6_11hip_rocprim26transform_input_iterator_tIbNSD_35transform_pair_of_input_iterators_tIbNS6_6detail15normal_iteratorINS6_10device_ptrIKsEEEESL_NS6_8equal_toIsEEEENSG_9not_fun_tINSD_8identityEEEEENSD_19counting_iterator_tIlEES8_S8_S8_S8_S8_S8_S8_S8_EEEEPS9_S9_NSD_9__find_if7functorIS9_EEEE10hipError_tPvRmT1_T2_T3_mT4_P12ihipStream_tbEUlT_E0_NS1_11comp_targetILNS1_3genE3ELNS1_11target_archE908ELNS1_3gpuE7ELNS1_3repE0EEENS1_30default_config_static_selectorELNS0_4arch9wavefront6targetE0EEEvS14_
    .private_segment_fixed_size: 0
    .sgpr_count:     0
    .sgpr_spill_count: 0
    .symbol:         _ZN7rocprim17ROCPRIM_400000_NS6detail17trampoline_kernelINS0_14default_configENS1_22reduce_config_selectorIN6thrust23THRUST_200600_302600_NS5tupleIblNS6_9null_typeES8_S8_S8_S8_S8_S8_S8_EEEEZNS1_11reduce_implILb1ES3_NS6_12zip_iteratorINS7_INS6_11hip_rocprim26transform_input_iterator_tIbNSD_35transform_pair_of_input_iterators_tIbNS6_6detail15normal_iteratorINS6_10device_ptrIKsEEEESL_NS6_8equal_toIsEEEENSG_9not_fun_tINSD_8identityEEEEENSD_19counting_iterator_tIlEES8_S8_S8_S8_S8_S8_S8_S8_EEEEPS9_S9_NSD_9__find_if7functorIS9_EEEE10hipError_tPvRmT1_T2_T3_mT4_P12ihipStream_tbEUlT_E0_NS1_11comp_targetILNS1_3genE3ELNS1_11target_archE908ELNS1_3gpuE7ELNS1_3repE0EEENS1_30default_config_static_selectorELNS0_4arch9wavefront6targetE0EEEvS14_.kd
    .uniform_work_group_size: 1
    .uses_dynamic_stack: false
    .vgpr_count:     0
    .vgpr_spill_count: 0
    .wavefront_size: 32
    .workgroup_processor_mode: 1
  - .args:
      - .offset:         0
        .size:           104
        .value_kind:     by_value
    .group_segment_fixed_size: 0
    .kernarg_segment_align: 8
    .kernarg_segment_size: 104
    .language:       OpenCL C
    .language_version:
      - 2
      - 0
    .max_flat_workgroup_size: 128
    .name:           _ZN7rocprim17ROCPRIM_400000_NS6detail17trampoline_kernelINS0_14default_configENS1_22reduce_config_selectorIN6thrust23THRUST_200600_302600_NS5tupleIblNS6_9null_typeES8_S8_S8_S8_S8_S8_S8_EEEEZNS1_11reduce_implILb1ES3_NS6_12zip_iteratorINS7_INS6_11hip_rocprim26transform_input_iterator_tIbNSD_35transform_pair_of_input_iterators_tIbNS6_6detail15normal_iteratorINS6_10device_ptrIKsEEEESL_NS6_8equal_toIsEEEENSG_9not_fun_tINSD_8identityEEEEENSD_19counting_iterator_tIlEES8_S8_S8_S8_S8_S8_S8_S8_EEEEPS9_S9_NSD_9__find_if7functorIS9_EEEE10hipError_tPvRmT1_T2_T3_mT4_P12ihipStream_tbEUlT_E0_NS1_11comp_targetILNS1_3genE2ELNS1_11target_archE906ELNS1_3gpuE6ELNS1_3repE0EEENS1_30default_config_static_selectorELNS0_4arch9wavefront6targetE0EEEvS14_
    .private_segment_fixed_size: 0
    .sgpr_count:     0
    .sgpr_spill_count: 0
    .symbol:         _ZN7rocprim17ROCPRIM_400000_NS6detail17trampoline_kernelINS0_14default_configENS1_22reduce_config_selectorIN6thrust23THRUST_200600_302600_NS5tupleIblNS6_9null_typeES8_S8_S8_S8_S8_S8_S8_EEEEZNS1_11reduce_implILb1ES3_NS6_12zip_iteratorINS7_INS6_11hip_rocprim26transform_input_iterator_tIbNSD_35transform_pair_of_input_iterators_tIbNS6_6detail15normal_iteratorINS6_10device_ptrIKsEEEESL_NS6_8equal_toIsEEEENSG_9not_fun_tINSD_8identityEEEEENSD_19counting_iterator_tIlEES8_S8_S8_S8_S8_S8_S8_S8_EEEEPS9_S9_NSD_9__find_if7functorIS9_EEEE10hipError_tPvRmT1_T2_T3_mT4_P12ihipStream_tbEUlT_E0_NS1_11comp_targetILNS1_3genE2ELNS1_11target_archE906ELNS1_3gpuE6ELNS1_3repE0EEENS1_30default_config_static_selectorELNS0_4arch9wavefront6targetE0EEEvS14_.kd
    .uniform_work_group_size: 1
    .uses_dynamic_stack: false
    .vgpr_count:     0
    .vgpr_spill_count: 0
    .wavefront_size: 32
    .workgroup_processor_mode: 1
  - .args:
      - .offset:         0
        .size:           104
        .value_kind:     by_value
    .group_segment_fixed_size: 0
    .kernarg_segment_align: 8
    .kernarg_segment_size: 104
    .language:       OpenCL C
    .language_version:
      - 2
      - 0
    .max_flat_workgroup_size: 256
    .name:           _ZN7rocprim17ROCPRIM_400000_NS6detail17trampoline_kernelINS0_14default_configENS1_22reduce_config_selectorIN6thrust23THRUST_200600_302600_NS5tupleIblNS6_9null_typeES8_S8_S8_S8_S8_S8_S8_EEEEZNS1_11reduce_implILb1ES3_NS6_12zip_iteratorINS7_INS6_11hip_rocprim26transform_input_iterator_tIbNSD_35transform_pair_of_input_iterators_tIbNS6_6detail15normal_iteratorINS6_10device_ptrIKsEEEESL_NS6_8equal_toIsEEEENSG_9not_fun_tINSD_8identityEEEEENSD_19counting_iterator_tIlEES8_S8_S8_S8_S8_S8_S8_S8_EEEEPS9_S9_NSD_9__find_if7functorIS9_EEEE10hipError_tPvRmT1_T2_T3_mT4_P12ihipStream_tbEUlT_E0_NS1_11comp_targetILNS1_3genE10ELNS1_11target_archE1201ELNS1_3gpuE5ELNS1_3repE0EEENS1_30default_config_static_selectorELNS0_4arch9wavefront6targetE0EEEvS14_
    .private_segment_fixed_size: 0
    .sgpr_count:     0
    .sgpr_spill_count: 0
    .symbol:         _ZN7rocprim17ROCPRIM_400000_NS6detail17trampoline_kernelINS0_14default_configENS1_22reduce_config_selectorIN6thrust23THRUST_200600_302600_NS5tupleIblNS6_9null_typeES8_S8_S8_S8_S8_S8_S8_EEEEZNS1_11reduce_implILb1ES3_NS6_12zip_iteratorINS7_INS6_11hip_rocprim26transform_input_iterator_tIbNSD_35transform_pair_of_input_iterators_tIbNS6_6detail15normal_iteratorINS6_10device_ptrIKsEEEESL_NS6_8equal_toIsEEEENSG_9not_fun_tINSD_8identityEEEEENSD_19counting_iterator_tIlEES8_S8_S8_S8_S8_S8_S8_S8_EEEEPS9_S9_NSD_9__find_if7functorIS9_EEEE10hipError_tPvRmT1_T2_T3_mT4_P12ihipStream_tbEUlT_E0_NS1_11comp_targetILNS1_3genE10ELNS1_11target_archE1201ELNS1_3gpuE5ELNS1_3repE0EEENS1_30default_config_static_selectorELNS0_4arch9wavefront6targetE0EEEvS14_.kd
    .uniform_work_group_size: 1
    .uses_dynamic_stack: false
    .vgpr_count:     0
    .vgpr_spill_count: 0
    .wavefront_size: 32
    .workgroup_processor_mode: 1
  - .args:
      - .offset:         0
        .size:           104
        .value_kind:     by_value
    .group_segment_fixed_size: 0
    .kernarg_segment_align: 8
    .kernarg_segment_size: 104
    .language:       OpenCL C
    .language_version:
      - 2
      - 0
    .max_flat_workgroup_size: 256
    .name:           _ZN7rocprim17ROCPRIM_400000_NS6detail17trampoline_kernelINS0_14default_configENS1_22reduce_config_selectorIN6thrust23THRUST_200600_302600_NS5tupleIblNS6_9null_typeES8_S8_S8_S8_S8_S8_S8_EEEEZNS1_11reduce_implILb1ES3_NS6_12zip_iteratorINS7_INS6_11hip_rocprim26transform_input_iterator_tIbNSD_35transform_pair_of_input_iterators_tIbNS6_6detail15normal_iteratorINS6_10device_ptrIKsEEEESL_NS6_8equal_toIsEEEENSG_9not_fun_tINSD_8identityEEEEENSD_19counting_iterator_tIlEES8_S8_S8_S8_S8_S8_S8_S8_EEEEPS9_S9_NSD_9__find_if7functorIS9_EEEE10hipError_tPvRmT1_T2_T3_mT4_P12ihipStream_tbEUlT_E0_NS1_11comp_targetILNS1_3genE10ELNS1_11target_archE1200ELNS1_3gpuE4ELNS1_3repE0EEENS1_30default_config_static_selectorELNS0_4arch9wavefront6targetE0EEEvS14_
    .private_segment_fixed_size: 0
    .sgpr_count:     0
    .sgpr_spill_count: 0
    .symbol:         _ZN7rocprim17ROCPRIM_400000_NS6detail17trampoline_kernelINS0_14default_configENS1_22reduce_config_selectorIN6thrust23THRUST_200600_302600_NS5tupleIblNS6_9null_typeES8_S8_S8_S8_S8_S8_S8_EEEEZNS1_11reduce_implILb1ES3_NS6_12zip_iteratorINS7_INS6_11hip_rocprim26transform_input_iterator_tIbNSD_35transform_pair_of_input_iterators_tIbNS6_6detail15normal_iteratorINS6_10device_ptrIKsEEEESL_NS6_8equal_toIsEEEENSG_9not_fun_tINSD_8identityEEEEENSD_19counting_iterator_tIlEES8_S8_S8_S8_S8_S8_S8_S8_EEEEPS9_S9_NSD_9__find_if7functorIS9_EEEE10hipError_tPvRmT1_T2_T3_mT4_P12ihipStream_tbEUlT_E0_NS1_11comp_targetILNS1_3genE10ELNS1_11target_archE1200ELNS1_3gpuE4ELNS1_3repE0EEENS1_30default_config_static_selectorELNS0_4arch9wavefront6targetE0EEEvS14_.kd
    .uniform_work_group_size: 1
    .uses_dynamic_stack: false
    .vgpr_count:     0
    .vgpr_spill_count: 0
    .wavefront_size: 32
    .workgroup_processor_mode: 1
  - .args:
      - .offset:         0
        .size:           104
        .value_kind:     by_value
    .group_segment_fixed_size: 256
    .kernarg_segment_align: 8
    .kernarg_segment_size: 104
    .language:       OpenCL C
    .language_version:
      - 2
      - 0
    .max_flat_workgroup_size: 256
    .name:           _ZN7rocprim17ROCPRIM_400000_NS6detail17trampoline_kernelINS0_14default_configENS1_22reduce_config_selectorIN6thrust23THRUST_200600_302600_NS5tupleIblNS6_9null_typeES8_S8_S8_S8_S8_S8_S8_EEEEZNS1_11reduce_implILb1ES3_NS6_12zip_iteratorINS7_INS6_11hip_rocprim26transform_input_iterator_tIbNSD_35transform_pair_of_input_iterators_tIbNS6_6detail15normal_iteratorINS6_10device_ptrIKsEEEESL_NS6_8equal_toIsEEEENSG_9not_fun_tINSD_8identityEEEEENSD_19counting_iterator_tIlEES8_S8_S8_S8_S8_S8_S8_S8_EEEEPS9_S9_NSD_9__find_if7functorIS9_EEEE10hipError_tPvRmT1_T2_T3_mT4_P12ihipStream_tbEUlT_E0_NS1_11comp_targetILNS1_3genE9ELNS1_11target_archE1100ELNS1_3gpuE3ELNS1_3repE0EEENS1_30default_config_static_selectorELNS0_4arch9wavefront6targetE0EEEvS14_
    .private_segment_fixed_size: 0
    .sgpr_count:     30
    .sgpr_spill_count: 0
    .symbol:         _ZN7rocprim17ROCPRIM_400000_NS6detail17trampoline_kernelINS0_14default_configENS1_22reduce_config_selectorIN6thrust23THRUST_200600_302600_NS5tupleIblNS6_9null_typeES8_S8_S8_S8_S8_S8_S8_EEEEZNS1_11reduce_implILb1ES3_NS6_12zip_iteratorINS7_INS6_11hip_rocprim26transform_input_iterator_tIbNSD_35transform_pair_of_input_iterators_tIbNS6_6detail15normal_iteratorINS6_10device_ptrIKsEEEESL_NS6_8equal_toIsEEEENSG_9not_fun_tINSD_8identityEEEEENSD_19counting_iterator_tIlEES8_S8_S8_S8_S8_S8_S8_S8_EEEEPS9_S9_NSD_9__find_if7functorIS9_EEEE10hipError_tPvRmT1_T2_T3_mT4_P12ihipStream_tbEUlT_E0_NS1_11comp_targetILNS1_3genE9ELNS1_11target_archE1100ELNS1_3gpuE3ELNS1_3repE0EEENS1_30default_config_static_selectorELNS0_4arch9wavefront6targetE0EEEvS14_.kd
    .uniform_work_group_size: 1
    .uses_dynamic_stack: false
    .vgpr_count:     16
    .vgpr_spill_count: 0
    .wavefront_size: 32
    .workgroup_processor_mode: 1
  - .args:
      - .offset:         0
        .size:           104
        .value_kind:     by_value
    .group_segment_fixed_size: 0
    .kernarg_segment_align: 8
    .kernarg_segment_size: 104
    .language:       OpenCL C
    .language_version:
      - 2
      - 0
    .max_flat_workgroup_size: 256
    .name:           _ZN7rocprim17ROCPRIM_400000_NS6detail17trampoline_kernelINS0_14default_configENS1_22reduce_config_selectorIN6thrust23THRUST_200600_302600_NS5tupleIblNS6_9null_typeES8_S8_S8_S8_S8_S8_S8_EEEEZNS1_11reduce_implILb1ES3_NS6_12zip_iteratorINS7_INS6_11hip_rocprim26transform_input_iterator_tIbNSD_35transform_pair_of_input_iterators_tIbNS6_6detail15normal_iteratorINS6_10device_ptrIKsEEEESL_NS6_8equal_toIsEEEENSG_9not_fun_tINSD_8identityEEEEENSD_19counting_iterator_tIlEES8_S8_S8_S8_S8_S8_S8_S8_EEEEPS9_S9_NSD_9__find_if7functorIS9_EEEE10hipError_tPvRmT1_T2_T3_mT4_P12ihipStream_tbEUlT_E0_NS1_11comp_targetILNS1_3genE8ELNS1_11target_archE1030ELNS1_3gpuE2ELNS1_3repE0EEENS1_30default_config_static_selectorELNS0_4arch9wavefront6targetE0EEEvS14_
    .private_segment_fixed_size: 0
    .sgpr_count:     0
    .sgpr_spill_count: 0
    .symbol:         _ZN7rocprim17ROCPRIM_400000_NS6detail17trampoline_kernelINS0_14default_configENS1_22reduce_config_selectorIN6thrust23THRUST_200600_302600_NS5tupleIblNS6_9null_typeES8_S8_S8_S8_S8_S8_S8_EEEEZNS1_11reduce_implILb1ES3_NS6_12zip_iteratorINS7_INS6_11hip_rocprim26transform_input_iterator_tIbNSD_35transform_pair_of_input_iterators_tIbNS6_6detail15normal_iteratorINS6_10device_ptrIKsEEEESL_NS6_8equal_toIsEEEENSG_9not_fun_tINSD_8identityEEEEENSD_19counting_iterator_tIlEES8_S8_S8_S8_S8_S8_S8_S8_EEEEPS9_S9_NSD_9__find_if7functorIS9_EEEE10hipError_tPvRmT1_T2_T3_mT4_P12ihipStream_tbEUlT_E0_NS1_11comp_targetILNS1_3genE8ELNS1_11target_archE1030ELNS1_3gpuE2ELNS1_3repE0EEENS1_30default_config_static_selectorELNS0_4arch9wavefront6targetE0EEEvS14_.kd
    .uniform_work_group_size: 1
    .uses_dynamic_stack: false
    .vgpr_count:     0
    .vgpr_spill_count: 0
    .wavefront_size: 32
    .workgroup_processor_mode: 1
  - .args:
      - .offset:         0
        .size:           88
        .value_kind:     by_value
    .group_segment_fixed_size: 0
    .kernarg_segment_align: 8
    .kernarg_segment_size: 88
    .language:       OpenCL C
    .language_version:
      - 2
      - 0
    .max_flat_workgroup_size: 128
    .name:           _ZN7rocprim17ROCPRIM_400000_NS6detail17trampoline_kernelINS0_14default_configENS1_22reduce_config_selectorIN6thrust23THRUST_200600_302600_NS5tupleIblNS6_9null_typeES8_S8_S8_S8_S8_S8_S8_EEEEZNS1_11reduce_implILb1ES3_NS6_12zip_iteratorINS7_INS6_11hip_rocprim26transform_input_iterator_tIbNSD_35transform_pair_of_input_iterators_tIbNS6_6detail15normal_iteratorINS6_10device_ptrIKsEEEESL_NS6_8equal_toIsEEEENSG_9not_fun_tINSD_8identityEEEEENSD_19counting_iterator_tIlEES8_S8_S8_S8_S8_S8_S8_S8_EEEEPS9_S9_NSD_9__find_if7functorIS9_EEEE10hipError_tPvRmT1_T2_T3_mT4_P12ihipStream_tbEUlT_E1_NS1_11comp_targetILNS1_3genE0ELNS1_11target_archE4294967295ELNS1_3gpuE0ELNS1_3repE0EEENS1_30default_config_static_selectorELNS0_4arch9wavefront6targetE0EEEvS14_
    .private_segment_fixed_size: 0
    .sgpr_count:     0
    .sgpr_spill_count: 0
    .symbol:         _ZN7rocprim17ROCPRIM_400000_NS6detail17trampoline_kernelINS0_14default_configENS1_22reduce_config_selectorIN6thrust23THRUST_200600_302600_NS5tupleIblNS6_9null_typeES8_S8_S8_S8_S8_S8_S8_EEEEZNS1_11reduce_implILb1ES3_NS6_12zip_iteratorINS7_INS6_11hip_rocprim26transform_input_iterator_tIbNSD_35transform_pair_of_input_iterators_tIbNS6_6detail15normal_iteratorINS6_10device_ptrIKsEEEESL_NS6_8equal_toIsEEEENSG_9not_fun_tINSD_8identityEEEEENSD_19counting_iterator_tIlEES8_S8_S8_S8_S8_S8_S8_S8_EEEEPS9_S9_NSD_9__find_if7functorIS9_EEEE10hipError_tPvRmT1_T2_T3_mT4_P12ihipStream_tbEUlT_E1_NS1_11comp_targetILNS1_3genE0ELNS1_11target_archE4294967295ELNS1_3gpuE0ELNS1_3repE0EEENS1_30default_config_static_selectorELNS0_4arch9wavefront6targetE0EEEvS14_.kd
    .uniform_work_group_size: 1
    .uses_dynamic_stack: false
    .vgpr_count:     0
    .vgpr_spill_count: 0
    .wavefront_size: 32
    .workgroup_processor_mode: 1
  - .args:
      - .offset:         0
        .size:           88
        .value_kind:     by_value
    .group_segment_fixed_size: 0
    .kernarg_segment_align: 8
    .kernarg_segment_size: 88
    .language:       OpenCL C
    .language_version:
      - 2
      - 0
    .max_flat_workgroup_size: 256
    .name:           _ZN7rocprim17ROCPRIM_400000_NS6detail17trampoline_kernelINS0_14default_configENS1_22reduce_config_selectorIN6thrust23THRUST_200600_302600_NS5tupleIblNS6_9null_typeES8_S8_S8_S8_S8_S8_S8_EEEEZNS1_11reduce_implILb1ES3_NS6_12zip_iteratorINS7_INS6_11hip_rocprim26transform_input_iterator_tIbNSD_35transform_pair_of_input_iterators_tIbNS6_6detail15normal_iteratorINS6_10device_ptrIKsEEEESL_NS6_8equal_toIsEEEENSG_9not_fun_tINSD_8identityEEEEENSD_19counting_iterator_tIlEES8_S8_S8_S8_S8_S8_S8_S8_EEEEPS9_S9_NSD_9__find_if7functorIS9_EEEE10hipError_tPvRmT1_T2_T3_mT4_P12ihipStream_tbEUlT_E1_NS1_11comp_targetILNS1_3genE5ELNS1_11target_archE942ELNS1_3gpuE9ELNS1_3repE0EEENS1_30default_config_static_selectorELNS0_4arch9wavefront6targetE0EEEvS14_
    .private_segment_fixed_size: 0
    .sgpr_count:     0
    .sgpr_spill_count: 0
    .symbol:         _ZN7rocprim17ROCPRIM_400000_NS6detail17trampoline_kernelINS0_14default_configENS1_22reduce_config_selectorIN6thrust23THRUST_200600_302600_NS5tupleIblNS6_9null_typeES8_S8_S8_S8_S8_S8_S8_EEEEZNS1_11reduce_implILb1ES3_NS6_12zip_iteratorINS7_INS6_11hip_rocprim26transform_input_iterator_tIbNSD_35transform_pair_of_input_iterators_tIbNS6_6detail15normal_iteratorINS6_10device_ptrIKsEEEESL_NS6_8equal_toIsEEEENSG_9not_fun_tINSD_8identityEEEEENSD_19counting_iterator_tIlEES8_S8_S8_S8_S8_S8_S8_S8_EEEEPS9_S9_NSD_9__find_if7functorIS9_EEEE10hipError_tPvRmT1_T2_T3_mT4_P12ihipStream_tbEUlT_E1_NS1_11comp_targetILNS1_3genE5ELNS1_11target_archE942ELNS1_3gpuE9ELNS1_3repE0EEENS1_30default_config_static_selectorELNS0_4arch9wavefront6targetE0EEEvS14_.kd
    .uniform_work_group_size: 1
    .uses_dynamic_stack: false
    .vgpr_count:     0
    .vgpr_spill_count: 0
    .wavefront_size: 32
    .workgroup_processor_mode: 1
  - .args:
      - .offset:         0
        .size:           88
        .value_kind:     by_value
    .group_segment_fixed_size: 0
    .kernarg_segment_align: 8
    .kernarg_segment_size: 88
    .language:       OpenCL C
    .language_version:
      - 2
      - 0
    .max_flat_workgroup_size: 256
    .name:           _ZN7rocprim17ROCPRIM_400000_NS6detail17trampoline_kernelINS0_14default_configENS1_22reduce_config_selectorIN6thrust23THRUST_200600_302600_NS5tupleIblNS6_9null_typeES8_S8_S8_S8_S8_S8_S8_EEEEZNS1_11reduce_implILb1ES3_NS6_12zip_iteratorINS7_INS6_11hip_rocprim26transform_input_iterator_tIbNSD_35transform_pair_of_input_iterators_tIbNS6_6detail15normal_iteratorINS6_10device_ptrIKsEEEESL_NS6_8equal_toIsEEEENSG_9not_fun_tINSD_8identityEEEEENSD_19counting_iterator_tIlEES8_S8_S8_S8_S8_S8_S8_S8_EEEEPS9_S9_NSD_9__find_if7functorIS9_EEEE10hipError_tPvRmT1_T2_T3_mT4_P12ihipStream_tbEUlT_E1_NS1_11comp_targetILNS1_3genE4ELNS1_11target_archE910ELNS1_3gpuE8ELNS1_3repE0EEENS1_30default_config_static_selectorELNS0_4arch9wavefront6targetE0EEEvS14_
    .private_segment_fixed_size: 0
    .sgpr_count:     0
    .sgpr_spill_count: 0
    .symbol:         _ZN7rocprim17ROCPRIM_400000_NS6detail17trampoline_kernelINS0_14default_configENS1_22reduce_config_selectorIN6thrust23THRUST_200600_302600_NS5tupleIblNS6_9null_typeES8_S8_S8_S8_S8_S8_S8_EEEEZNS1_11reduce_implILb1ES3_NS6_12zip_iteratorINS7_INS6_11hip_rocprim26transform_input_iterator_tIbNSD_35transform_pair_of_input_iterators_tIbNS6_6detail15normal_iteratorINS6_10device_ptrIKsEEEESL_NS6_8equal_toIsEEEENSG_9not_fun_tINSD_8identityEEEEENSD_19counting_iterator_tIlEES8_S8_S8_S8_S8_S8_S8_S8_EEEEPS9_S9_NSD_9__find_if7functorIS9_EEEE10hipError_tPvRmT1_T2_T3_mT4_P12ihipStream_tbEUlT_E1_NS1_11comp_targetILNS1_3genE4ELNS1_11target_archE910ELNS1_3gpuE8ELNS1_3repE0EEENS1_30default_config_static_selectorELNS0_4arch9wavefront6targetE0EEEvS14_.kd
    .uniform_work_group_size: 1
    .uses_dynamic_stack: false
    .vgpr_count:     0
    .vgpr_spill_count: 0
    .wavefront_size: 32
    .workgroup_processor_mode: 1
  - .args:
      - .offset:         0
        .size:           88
        .value_kind:     by_value
    .group_segment_fixed_size: 0
    .kernarg_segment_align: 8
    .kernarg_segment_size: 88
    .language:       OpenCL C
    .language_version:
      - 2
      - 0
    .max_flat_workgroup_size: 128
    .name:           _ZN7rocprim17ROCPRIM_400000_NS6detail17trampoline_kernelINS0_14default_configENS1_22reduce_config_selectorIN6thrust23THRUST_200600_302600_NS5tupleIblNS6_9null_typeES8_S8_S8_S8_S8_S8_S8_EEEEZNS1_11reduce_implILb1ES3_NS6_12zip_iteratorINS7_INS6_11hip_rocprim26transform_input_iterator_tIbNSD_35transform_pair_of_input_iterators_tIbNS6_6detail15normal_iteratorINS6_10device_ptrIKsEEEESL_NS6_8equal_toIsEEEENSG_9not_fun_tINSD_8identityEEEEENSD_19counting_iterator_tIlEES8_S8_S8_S8_S8_S8_S8_S8_EEEEPS9_S9_NSD_9__find_if7functorIS9_EEEE10hipError_tPvRmT1_T2_T3_mT4_P12ihipStream_tbEUlT_E1_NS1_11comp_targetILNS1_3genE3ELNS1_11target_archE908ELNS1_3gpuE7ELNS1_3repE0EEENS1_30default_config_static_selectorELNS0_4arch9wavefront6targetE0EEEvS14_
    .private_segment_fixed_size: 0
    .sgpr_count:     0
    .sgpr_spill_count: 0
    .symbol:         _ZN7rocprim17ROCPRIM_400000_NS6detail17trampoline_kernelINS0_14default_configENS1_22reduce_config_selectorIN6thrust23THRUST_200600_302600_NS5tupleIblNS6_9null_typeES8_S8_S8_S8_S8_S8_S8_EEEEZNS1_11reduce_implILb1ES3_NS6_12zip_iteratorINS7_INS6_11hip_rocprim26transform_input_iterator_tIbNSD_35transform_pair_of_input_iterators_tIbNS6_6detail15normal_iteratorINS6_10device_ptrIKsEEEESL_NS6_8equal_toIsEEEENSG_9not_fun_tINSD_8identityEEEEENSD_19counting_iterator_tIlEES8_S8_S8_S8_S8_S8_S8_S8_EEEEPS9_S9_NSD_9__find_if7functorIS9_EEEE10hipError_tPvRmT1_T2_T3_mT4_P12ihipStream_tbEUlT_E1_NS1_11comp_targetILNS1_3genE3ELNS1_11target_archE908ELNS1_3gpuE7ELNS1_3repE0EEENS1_30default_config_static_selectorELNS0_4arch9wavefront6targetE0EEEvS14_.kd
    .uniform_work_group_size: 1
    .uses_dynamic_stack: false
    .vgpr_count:     0
    .vgpr_spill_count: 0
    .wavefront_size: 32
    .workgroup_processor_mode: 1
  - .args:
      - .offset:         0
        .size:           88
        .value_kind:     by_value
    .group_segment_fixed_size: 0
    .kernarg_segment_align: 8
    .kernarg_segment_size: 88
    .language:       OpenCL C
    .language_version:
      - 2
      - 0
    .max_flat_workgroup_size: 128
    .name:           _ZN7rocprim17ROCPRIM_400000_NS6detail17trampoline_kernelINS0_14default_configENS1_22reduce_config_selectorIN6thrust23THRUST_200600_302600_NS5tupleIblNS6_9null_typeES8_S8_S8_S8_S8_S8_S8_EEEEZNS1_11reduce_implILb1ES3_NS6_12zip_iteratorINS7_INS6_11hip_rocprim26transform_input_iterator_tIbNSD_35transform_pair_of_input_iterators_tIbNS6_6detail15normal_iteratorINS6_10device_ptrIKsEEEESL_NS6_8equal_toIsEEEENSG_9not_fun_tINSD_8identityEEEEENSD_19counting_iterator_tIlEES8_S8_S8_S8_S8_S8_S8_S8_EEEEPS9_S9_NSD_9__find_if7functorIS9_EEEE10hipError_tPvRmT1_T2_T3_mT4_P12ihipStream_tbEUlT_E1_NS1_11comp_targetILNS1_3genE2ELNS1_11target_archE906ELNS1_3gpuE6ELNS1_3repE0EEENS1_30default_config_static_selectorELNS0_4arch9wavefront6targetE0EEEvS14_
    .private_segment_fixed_size: 0
    .sgpr_count:     0
    .sgpr_spill_count: 0
    .symbol:         _ZN7rocprim17ROCPRIM_400000_NS6detail17trampoline_kernelINS0_14default_configENS1_22reduce_config_selectorIN6thrust23THRUST_200600_302600_NS5tupleIblNS6_9null_typeES8_S8_S8_S8_S8_S8_S8_EEEEZNS1_11reduce_implILb1ES3_NS6_12zip_iteratorINS7_INS6_11hip_rocprim26transform_input_iterator_tIbNSD_35transform_pair_of_input_iterators_tIbNS6_6detail15normal_iteratorINS6_10device_ptrIKsEEEESL_NS6_8equal_toIsEEEENSG_9not_fun_tINSD_8identityEEEEENSD_19counting_iterator_tIlEES8_S8_S8_S8_S8_S8_S8_S8_EEEEPS9_S9_NSD_9__find_if7functorIS9_EEEE10hipError_tPvRmT1_T2_T3_mT4_P12ihipStream_tbEUlT_E1_NS1_11comp_targetILNS1_3genE2ELNS1_11target_archE906ELNS1_3gpuE6ELNS1_3repE0EEENS1_30default_config_static_selectorELNS0_4arch9wavefront6targetE0EEEvS14_.kd
    .uniform_work_group_size: 1
    .uses_dynamic_stack: false
    .vgpr_count:     0
    .vgpr_spill_count: 0
    .wavefront_size: 32
    .workgroup_processor_mode: 1
  - .args:
      - .offset:         0
        .size:           88
        .value_kind:     by_value
    .group_segment_fixed_size: 0
    .kernarg_segment_align: 8
    .kernarg_segment_size: 88
    .language:       OpenCL C
    .language_version:
      - 2
      - 0
    .max_flat_workgroup_size: 256
    .name:           _ZN7rocprim17ROCPRIM_400000_NS6detail17trampoline_kernelINS0_14default_configENS1_22reduce_config_selectorIN6thrust23THRUST_200600_302600_NS5tupleIblNS6_9null_typeES8_S8_S8_S8_S8_S8_S8_EEEEZNS1_11reduce_implILb1ES3_NS6_12zip_iteratorINS7_INS6_11hip_rocprim26transform_input_iterator_tIbNSD_35transform_pair_of_input_iterators_tIbNS6_6detail15normal_iteratorINS6_10device_ptrIKsEEEESL_NS6_8equal_toIsEEEENSG_9not_fun_tINSD_8identityEEEEENSD_19counting_iterator_tIlEES8_S8_S8_S8_S8_S8_S8_S8_EEEEPS9_S9_NSD_9__find_if7functorIS9_EEEE10hipError_tPvRmT1_T2_T3_mT4_P12ihipStream_tbEUlT_E1_NS1_11comp_targetILNS1_3genE10ELNS1_11target_archE1201ELNS1_3gpuE5ELNS1_3repE0EEENS1_30default_config_static_selectorELNS0_4arch9wavefront6targetE0EEEvS14_
    .private_segment_fixed_size: 0
    .sgpr_count:     0
    .sgpr_spill_count: 0
    .symbol:         _ZN7rocprim17ROCPRIM_400000_NS6detail17trampoline_kernelINS0_14default_configENS1_22reduce_config_selectorIN6thrust23THRUST_200600_302600_NS5tupleIblNS6_9null_typeES8_S8_S8_S8_S8_S8_S8_EEEEZNS1_11reduce_implILb1ES3_NS6_12zip_iteratorINS7_INS6_11hip_rocprim26transform_input_iterator_tIbNSD_35transform_pair_of_input_iterators_tIbNS6_6detail15normal_iteratorINS6_10device_ptrIKsEEEESL_NS6_8equal_toIsEEEENSG_9not_fun_tINSD_8identityEEEEENSD_19counting_iterator_tIlEES8_S8_S8_S8_S8_S8_S8_S8_EEEEPS9_S9_NSD_9__find_if7functorIS9_EEEE10hipError_tPvRmT1_T2_T3_mT4_P12ihipStream_tbEUlT_E1_NS1_11comp_targetILNS1_3genE10ELNS1_11target_archE1201ELNS1_3gpuE5ELNS1_3repE0EEENS1_30default_config_static_selectorELNS0_4arch9wavefront6targetE0EEEvS14_.kd
    .uniform_work_group_size: 1
    .uses_dynamic_stack: false
    .vgpr_count:     0
    .vgpr_spill_count: 0
    .wavefront_size: 32
    .workgroup_processor_mode: 1
  - .args:
      - .offset:         0
        .size:           88
        .value_kind:     by_value
    .group_segment_fixed_size: 0
    .kernarg_segment_align: 8
    .kernarg_segment_size: 88
    .language:       OpenCL C
    .language_version:
      - 2
      - 0
    .max_flat_workgroup_size: 256
    .name:           _ZN7rocprim17ROCPRIM_400000_NS6detail17trampoline_kernelINS0_14default_configENS1_22reduce_config_selectorIN6thrust23THRUST_200600_302600_NS5tupleIblNS6_9null_typeES8_S8_S8_S8_S8_S8_S8_EEEEZNS1_11reduce_implILb1ES3_NS6_12zip_iteratorINS7_INS6_11hip_rocprim26transform_input_iterator_tIbNSD_35transform_pair_of_input_iterators_tIbNS6_6detail15normal_iteratorINS6_10device_ptrIKsEEEESL_NS6_8equal_toIsEEEENSG_9not_fun_tINSD_8identityEEEEENSD_19counting_iterator_tIlEES8_S8_S8_S8_S8_S8_S8_S8_EEEEPS9_S9_NSD_9__find_if7functorIS9_EEEE10hipError_tPvRmT1_T2_T3_mT4_P12ihipStream_tbEUlT_E1_NS1_11comp_targetILNS1_3genE10ELNS1_11target_archE1200ELNS1_3gpuE4ELNS1_3repE0EEENS1_30default_config_static_selectorELNS0_4arch9wavefront6targetE0EEEvS14_
    .private_segment_fixed_size: 0
    .sgpr_count:     0
    .sgpr_spill_count: 0
    .symbol:         _ZN7rocprim17ROCPRIM_400000_NS6detail17trampoline_kernelINS0_14default_configENS1_22reduce_config_selectorIN6thrust23THRUST_200600_302600_NS5tupleIblNS6_9null_typeES8_S8_S8_S8_S8_S8_S8_EEEEZNS1_11reduce_implILb1ES3_NS6_12zip_iteratorINS7_INS6_11hip_rocprim26transform_input_iterator_tIbNSD_35transform_pair_of_input_iterators_tIbNS6_6detail15normal_iteratorINS6_10device_ptrIKsEEEESL_NS6_8equal_toIsEEEENSG_9not_fun_tINSD_8identityEEEEENSD_19counting_iterator_tIlEES8_S8_S8_S8_S8_S8_S8_S8_EEEEPS9_S9_NSD_9__find_if7functorIS9_EEEE10hipError_tPvRmT1_T2_T3_mT4_P12ihipStream_tbEUlT_E1_NS1_11comp_targetILNS1_3genE10ELNS1_11target_archE1200ELNS1_3gpuE4ELNS1_3repE0EEENS1_30default_config_static_selectorELNS0_4arch9wavefront6targetE0EEEvS14_.kd
    .uniform_work_group_size: 1
    .uses_dynamic_stack: false
    .vgpr_count:     0
    .vgpr_spill_count: 0
    .wavefront_size: 32
    .workgroup_processor_mode: 1
  - .args:
      - .offset:         0
        .size:           88
        .value_kind:     by_value
    .group_segment_fixed_size: 640
    .kernarg_segment_align: 8
    .kernarg_segment_size: 88
    .language:       OpenCL C
    .language_version:
      - 2
      - 0
    .max_flat_workgroup_size: 256
    .name:           _ZN7rocprim17ROCPRIM_400000_NS6detail17trampoline_kernelINS0_14default_configENS1_22reduce_config_selectorIN6thrust23THRUST_200600_302600_NS5tupleIblNS6_9null_typeES8_S8_S8_S8_S8_S8_S8_EEEEZNS1_11reduce_implILb1ES3_NS6_12zip_iteratorINS7_INS6_11hip_rocprim26transform_input_iterator_tIbNSD_35transform_pair_of_input_iterators_tIbNS6_6detail15normal_iteratorINS6_10device_ptrIKsEEEESL_NS6_8equal_toIsEEEENSG_9not_fun_tINSD_8identityEEEEENSD_19counting_iterator_tIlEES8_S8_S8_S8_S8_S8_S8_S8_EEEEPS9_S9_NSD_9__find_if7functorIS9_EEEE10hipError_tPvRmT1_T2_T3_mT4_P12ihipStream_tbEUlT_E1_NS1_11comp_targetILNS1_3genE9ELNS1_11target_archE1100ELNS1_3gpuE3ELNS1_3repE0EEENS1_30default_config_static_selectorELNS0_4arch9wavefront6targetE0EEEvS14_
    .private_segment_fixed_size: 0
    .sgpr_count:     34
    .sgpr_spill_count: 0
    .symbol:         _ZN7rocprim17ROCPRIM_400000_NS6detail17trampoline_kernelINS0_14default_configENS1_22reduce_config_selectorIN6thrust23THRUST_200600_302600_NS5tupleIblNS6_9null_typeES8_S8_S8_S8_S8_S8_S8_EEEEZNS1_11reduce_implILb1ES3_NS6_12zip_iteratorINS7_INS6_11hip_rocprim26transform_input_iterator_tIbNSD_35transform_pair_of_input_iterators_tIbNS6_6detail15normal_iteratorINS6_10device_ptrIKsEEEESL_NS6_8equal_toIsEEEENSG_9not_fun_tINSD_8identityEEEEENSD_19counting_iterator_tIlEES8_S8_S8_S8_S8_S8_S8_S8_EEEEPS9_S9_NSD_9__find_if7functorIS9_EEEE10hipError_tPvRmT1_T2_T3_mT4_P12ihipStream_tbEUlT_E1_NS1_11comp_targetILNS1_3genE9ELNS1_11target_archE1100ELNS1_3gpuE3ELNS1_3repE0EEENS1_30default_config_static_selectorELNS0_4arch9wavefront6targetE0EEEvS14_.kd
    .uniform_work_group_size: 1
    .uses_dynamic_stack: false
    .vgpr_count:     27
    .vgpr_spill_count: 0
    .wavefront_size: 32
    .workgroup_processor_mode: 1
  - .args:
      - .offset:         0
        .size:           88
        .value_kind:     by_value
    .group_segment_fixed_size: 0
    .kernarg_segment_align: 8
    .kernarg_segment_size: 88
    .language:       OpenCL C
    .language_version:
      - 2
      - 0
    .max_flat_workgroup_size: 256
    .name:           _ZN7rocprim17ROCPRIM_400000_NS6detail17trampoline_kernelINS0_14default_configENS1_22reduce_config_selectorIN6thrust23THRUST_200600_302600_NS5tupleIblNS6_9null_typeES8_S8_S8_S8_S8_S8_S8_EEEEZNS1_11reduce_implILb1ES3_NS6_12zip_iteratorINS7_INS6_11hip_rocprim26transform_input_iterator_tIbNSD_35transform_pair_of_input_iterators_tIbNS6_6detail15normal_iteratorINS6_10device_ptrIKsEEEESL_NS6_8equal_toIsEEEENSG_9not_fun_tINSD_8identityEEEEENSD_19counting_iterator_tIlEES8_S8_S8_S8_S8_S8_S8_S8_EEEEPS9_S9_NSD_9__find_if7functorIS9_EEEE10hipError_tPvRmT1_T2_T3_mT4_P12ihipStream_tbEUlT_E1_NS1_11comp_targetILNS1_3genE8ELNS1_11target_archE1030ELNS1_3gpuE2ELNS1_3repE0EEENS1_30default_config_static_selectorELNS0_4arch9wavefront6targetE0EEEvS14_
    .private_segment_fixed_size: 0
    .sgpr_count:     0
    .sgpr_spill_count: 0
    .symbol:         _ZN7rocprim17ROCPRIM_400000_NS6detail17trampoline_kernelINS0_14default_configENS1_22reduce_config_selectorIN6thrust23THRUST_200600_302600_NS5tupleIblNS6_9null_typeES8_S8_S8_S8_S8_S8_S8_EEEEZNS1_11reduce_implILb1ES3_NS6_12zip_iteratorINS7_INS6_11hip_rocprim26transform_input_iterator_tIbNSD_35transform_pair_of_input_iterators_tIbNS6_6detail15normal_iteratorINS6_10device_ptrIKsEEEESL_NS6_8equal_toIsEEEENSG_9not_fun_tINSD_8identityEEEEENSD_19counting_iterator_tIlEES8_S8_S8_S8_S8_S8_S8_S8_EEEEPS9_S9_NSD_9__find_if7functorIS9_EEEE10hipError_tPvRmT1_T2_T3_mT4_P12ihipStream_tbEUlT_E1_NS1_11comp_targetILNS1_3genE8ELNS1_11target_archE1030ELNS1_3gpuE2ELNS1_3repE0EEENS1_30default_config_static_selectorELNS0_4arch9wavefront6targetE0EEEvS14_.kd
    .uniform_work_group_size: 1
    .uses_dynamic_stack: false
    .vgpr_count:     0
    .vgpr_spill_count: 0
    .wavefront_size: 32
    .workgroup_processor_mode: 1
  - .args:
      - .offset:         0
        .size:           1056
        .value_kind:     by_value
      - .offset:         1056
        .size:           8
        .value_kind:     by_value
      - .offset:         1064
        .size:           8
        .value_kind:     by_value
    .group_segment_fixed_size: 0
    .kernarg_segment_align: 8
    .kernarg_segment_size: 1072
    .language:       OpenCL C
    .language_version:
      - 2
      - 0
    .max_flat_workgroup_size: 256
    .name:           _ZN6thrust23THRUST_200600_302600_NS11hip_rocprim14__parallel_for6kernelILj256ENS1_11__transform17unary_transform_fINS0_17constant_iteratorINS0_5tupleI10large_dataS8_NS0_9null_typeES9_S9_S9_S9_S9_S9_S9_EENS0_11use_defaultESB_EENS0_12zip_iteratorINS7_INS0_6detail15normal_iteratorINS0_10device_ptrIS8_EEEESI_S9_S9_S9_S9_S9_S9_S9_S9_EEEENS4_14no_stencil_tagENS0_8identityISA_EENS4_21always_true_predicateEEExLj1EEEvT0_T1_SR_
    .private_segment_fixed_size: 0
    .sgpr_count:     18
    .sgpr_spill_count: 0
    .symbol:         _ZN6thrust23THRUST_200600_302600_NS11hip_rocprim14__parallel_for6kernelILj256ENS1_11__transform17unary_transform_fINS0_17constant_iteratorINS0_5tupleI10large_dataS8_NS0_9null_typeES9_S9_S9_S9_S9_S9_S9_EENS0_11use_defaultESB_EENS0_12zip_iteratorINS7_INS0_6detail15normal_iteratorINS0_10device_ptrIS8_EEEESI_S9_S9_S9_S9_S9_S9_S9_S9_EEEENS4_14no_stencil_tagENS0_8identityISA_EENS4_21always_true_predicateEEExLj1EEEvT0_T1_SR_.kd
    .uniform_work_group_size: 1
    .uses_dynamic_stack: false
    .vgpr_count:     6
    .vgpr_spill_count: 0
    .wavefront_size: 32
    .workgroup_processor_mode: 1
  - .args:
      - .offset:         0
        .size:           48
        .value_kind:     by_value
      - .offset:         48
        .size:           8
        .value_kind:     by_value
      - .offset:         56
        .size:           8
        .value_kind:     by_value
    .group_segment_fixed_size: 0
    .kernarg_segment_align: 8
    .kernarg_segment_size: 64
    .language:       OpenCL C
    .language_version:
      - 2
      - 0
    .max_flat_workgroup_size: 256
    .name:           _ZN6thrust23THRUST_200600_302600_NS11hip_rocprim14__parallel_for6kernelILj256ENS1_11__transform17unary_transform_fINS0_17constant_iteratorINS0_5tupleIddNS0_9null_typeES8_S8_S8_S8_S8_S8_S8_EENS0_11use_defaultESA_EENS0_12zip_iteratorINS7_INS0_6detail15normal_iteratorINS0_10device_ptrIdEEEESH_S8_S8_S8_S8_S8_S8_S8_S8_EEEENS4_14no_stencil_tagENS0_8identityIS9_EENS4_21always_true_predicateEEExLj1EEEvT0_T1_SQ_
    .private_segment_fixed_size: 0
    .sgpr_count:     18
    .sgpr_spill_count: 0
    .symbol:         _ZN6thrust23THRUST_200600_302600_NS11hip_rocprim14__parallel_for6kernelILj256ENS1_11__transform17unary_transform_fINS0_17constant_iteratorINS0_5tupleIddNS0_9null_typeES8_S8_S8_S8_S8_S8_S8_EENS0_11use_defaultESA_EENS0_12zip_iteratorINS7_INS0_6detail15normal_iteratorINS0_10device_ptrIdEEEESH_S8_S8_S8_S8_S8_S8_S8_S8_EEEENS4_14no_stencil_tagENS0_8identityIS9_EENS4_21always_true_predicateEEExLj1EEEvT0_T1_SQ_.kd
    .uniform_work_group_size: 1
    .uses_dynamic_stack: false
    .vgpr_count:     8
    .vgpr_spill_count: 0
    .wavefront_size: 32
    .workgroup_processor_mode: 1
  - .args:
      - .offset:         0
        .size:           40
        .value_kind:     by_value
      - .offset:         40
        .size:           8
        .value_kind:     by_value
      - .offset:         48
        .size:           8
        .value_kind:     by_value
    .group_segment_fixed_size: 0
    .kernarg_segment_align: 8
    .kernarg_segment_size: 56
    .language:       OpenCL C
    .language_version:
      - 2
      - 0
    .max_flat_workgroup_size: 256
    .name:           _ZN6thrust23THRUST_200600_302600_NS11hip_rocprim14__parallel_for6kernelILj256ENS1_11__transform17unary_transform_fINS0_17constant_iteratorINS0_5tupleIffNS0_9null_typeES8_S8_S8_S8_S8_S8_S8_EENS0_11use_defaultESA_EENS0_12zip_iteratorINS7_INS0_6detail15normal_iteratorINS0_10device_ptrIfEEEESH_S8_S8_S8_S8_S8_S8_S8_S8_EEEENS4_14no_stencil_tagENS0_8identityIS9_EENS4_21always_true_predicateEEExLj1EEEvT0_T1_SQ_
    .private_segment_fixed_size: 0
    .sgpr_count:     18
    .sgpr_spill_count: 0
    .symbol:         _ZN6thrust23THRUST_200600_302600_NS11hip_rocprim14__parallel_for6kernelILj256ENS1_11__transform17unary_transform_fINS0_17constant_iteratorINS0_5tupleIffNS0_9null_typeES8_S8_S8_S8_S8_S8_S8_EENS0_11use_defaultESA_EENS0_12zip_iteratorINS7_INS0_6detail15normal_iteratorINS0_10device_ptrIfEEEESH_S8_S8_S8_S8_S8_S8_S8_S8_EEEENS4_14no_stencil_tagENS0_8identityIS9_EENS4_21always_true_predicateEEExLj1EEEvT0_T1_SQ_.kd
    .uniform_work_group_size: 1
    .uses_dynamic_stack: false
    .vgpr_count:     6
    .vgpr_spill_count: 0
    .wavefront_size: 32
    .workgroup_processor_mode: 1
  - .args:
      - .offset:         0
        .size:           48
        .value_kind:     by_value
      - .offset:         48
        .size:           8
        .value_kind:     by_value
      - .offset:         56
        .size:           8
        .value_kind:     by_value
    .group_segment_fixed_size: 0
    .kernarg_segment_align: 8
    .kernarg_segment_size: 64
    .language:       OpenCL C
    .language_version:
      - 2
      - 0
    .max_flat_workgroup_size: 256
    .name:           _ZN6thrust23THRUST_200600_302600_NS11hip_rocprim14__parallel_for6kernelILj256ENS1_11__transform17unary_transform_fINS0_17constant_iteratorINS0_5tupleIyyNS0_9null_typeES8_S8_S8_S8_S8_S8_S8_EENS0_11use_defaultESA_EENS0_12zip_iteratorINS7_INS0_6detail15normal_iteratorINS0_10device_ptrIyEEEESH_S8_S8_S8_S8_S8_S8_S8_S8_EEEENS4_14no_stencil_tagENS0_8identityIS9_EENS4_21always_true_predicateEEExLj1EEEvT0_T1_SQ_
    .private_segment_fixed_size: 0
    .sgpr_count:     18
    .sgpr_spill_count: 0
    .symbol:         _ZN6thrust23THRUST_200600_302600_NS11hip_rocprim14__parallel_for6kernelILj256ENS1_11__transform17unary_transform_fINS0_17constant_iteratorINS0_5tupleIyyNS0_9null_typeES8_S8_S8_S8_S8_S8_S8_EENS0_11use_defaultESA_EENS0_12zip_iteratorINS7_INS0_6detail15normal_iteratorINS0_10device_ptrIyEEEESH_S8_S8_S8_S8_S8_S8_S8_S8_EEEENS4_14no_stencil_tagENS0_8identityIS9_EENS4_21always_true_predicateEEExLj1EEEvT0_T1_SQ_.kd
    .uniform_work_group_size: 1
    .uses_dynamic_stack: false
    .vgpr_count:     8
    .vgpr_spill_count: 0
    .wavefront_size: 32
    .workgroup_processor_mode: 1
  - .args:
      - .offset:         0
        .size:           40
        .value_kind:     by_value
      - .offset:         40
        .size:           8
        .value_kind:     by_value
      - .offset:         48
        .size:           8
        .value_kind:     by_value
    .group_segment_fixed_size: 0
    .kernarg_segment_align: 8
    .kernarg_segment_size: 56
    .language:       OpenCL C
    .language_version:
      - 2
      - 0
    .max_flat_workgroup_size: 256
    .name:           _ZN6thrust23THRUST_200600_302600_NS11hip_rocprim14__parallel_for6kernelILj256ENS1_11__transform17unary_transform_fINS0_17constant_iteratorINS0_5tupleIjjNS0_9null_typeES8_S8_S8_S8_S8_S8_S8_EENS0_11use_defaultESA_EENS0_12zip_iteratorINS7_INS0_6detail15normal_iteratorINS0_10device_ptrIjEEEESH_S8_S8_S8_S8_S8_S8_S8_S8_EEEENS4_14no_stencil_tagENS0_8identityIS9_EENS4_21always_true_predicateEEExLj1EEEvT0_T1_SQ_
    .private_segment_fixed_size: 0
    .sgpr_count:     18
    .sgpr_spill_count: 0
    .symbol:         _ZN6thrust23THRUST_200600_302600_NS11hip_rocprim14__parallel_for6kernelILj256ENS1_11__transform17unary_transform_fINS0_17constant_iteratorINS0_5tupleIjjNS0_9null_typeES8_S8_S8_S8_S8_S8_S8_EENS0_11use_defaultESA_EENS0_12zip_iteratorINS7_INS0_6detail15normal_iteratorINS0_10device_ptrIjEEEESH_S8_S8_S8_S8_S8_S8_S8_S8_EEEENS4_14no_stencil_tagENS0_8identityIS9_EENS4_21always_true_predicateEEExLj1EEEvT0_T1_SQ_.kd
    .uniform_work_group_size: 1
    .uses_dynamic_stack: false
    .vgpr_count:     6
    .vgpr_spill_count: 0
    .wavefront_size: 32
    .workgroup_processor_mode: 1
  - .args:
      - .offset:         0
        .size:           40
        .value_kind:     by_value
      - .offset:         40
        .size:           8
        .value_kind:     by_value
      - .offset:         48
        .size:           8
        .value_kind:     by_value
    .group_segment_fixed_size: 0
    .kernarg_segment_align: 8
    .kernarg_segment_size: 56
    .language:       OpenCL C
    .language_version:
      - 2
      - 0
    .max_flat_workgroup_size: 256
    .name:           _ZN6thrust23THRUST_200600_302600_NS11hip_rocprim14__parallel_for6kernelILj256ENS1_11__transform17unary_transform_fINS0_17constant_iteratorINS0_5tupleIttNS0_9null_typeES8_S8_S8_S8_S8_S8_S8_EENS0_11use_defaultESA_EENS0_12zip_iteratorINS7_INS0_6detail15normal_iteratorINS0_10device_ptrItEEEESH_S8_S8_S8_S8_S8_S8_S8_S8_EEEENS4_14no_stencil_tagENS0_8identityIS9_EENS4_21always_true_predicateEEExLj1EEEvT0_T1_SQ_
    .private_segment_fixed_size: 0
    .sgpr_count:     18
    .sgpr_spill_count: 0
    .symbol:         _ZN6thrust23THRUST_200600_302600_NS11hip_rocprim14__parallel_for6kernelILj256ENS1_11__transform17unary_transform_fINS0_17constant_iteratorINS0_5tupleIttNS0_9null_typeES8_S8_S8_S8_S8_S8_S8_EENS0_11use_defaultESA_EENS0_12zip_iteratorINS7_INS0_6detail15normal_iteratorINS0_10device_ptrItEEEESH_S8_S8_S8_S8_S8_S8_S8_S8_EEEENS4_14no_stencil_tagENS0_8identityIS9_EENS4_21always_true_predicateEEExLj1EEEvT0_T1_SQ_.kd
    .uniform_work_group_size: 1
    .uses_dynamic_stack: false
    .vgpr_count:     5
    .vgpr_spill_count: 0
    .wavefront_size: 32
    .workgroup_processor_mode: 1
  - .args:
      - .offset:         0
        .size:           48
        .value_kind:     by_value
      - .offset:         48
        .size:           8
        .value_kind:     by_value
      - .offset:         56
        .size:           8
        .value_kind:     by_value
    .group_segment_fixed_size: 0
    .kernarg_segment_align: 8
    .kernarg_segment_size: 64
    .language:       OpenCL C
    .language_version:
      - 2
      - 0
    .max_flat_workgroup_size: 256
    .name:           _ZN6thrust23THRUST_200600_302600_NS11hip_rocprim14__parallel_for6kernelILj256ENS1_11__transform17unary_transform_fINS0_17constant_iteratorINS0_5tupleIxxNS0_9null_typeES8_S8_S8_S8_S8_S8_S8_EENS0_11use_defaultESA_EENS0_12zip_iteratorINS7_INS0_6detail15normal_iteratorINS0_10device_ptrIxEEEESH_S8_S8_S8_S8_S8_S8_S8_S8_EEEENS4_14no_stencil_tagENS0_8identityIS9_EENS4_21always_true_predicateEEExLj1EEEvT0_T1_SQ_
    .private_segment_fixed_size: 0
    .sgpr_count:     18
    .sgpr_spill_count: 0
    .symbol:         _ZN6thrust23THRUST_200600_302600_NS11hip_rocprim14__parallel_for6kernelILj256ENS1_11__transform17unary_transform_fINS0_17constant_iteratorINS0_5tupleIxxNS0_9null_typeES8_S8_S8_S8_S8_S8_S8_EENS0_11use_defaultESA_EENS0_12zip_iteratorINS7_INS0_6detail15normal_iteratorINS0_10device_ptrIxEEEESH_S8_S8_S8_S8_S8_S8_S8_S8_EEEENS4_14no_stencil_tagENS0_8identityIS9_EENS4_21always_true_predicateEEExLj1EEEvT0_T1_SQ_.kd
    .uniform_work_group_size: 1
    .uses_dynamic_stack: false
    .vgpr_count:     8
    .vgpr_spill_count: 0
    .wavefront_size: 32
    .workgroup_processor_mode: 1
  - .args:
      - .offset:         0
        .size:           40
        .value_kind:     by_value
      - .offset:         40
        .size:           8
        .value_kind:     by_value
      - .offset:         48
        .size:           8
        .value_kind:     by_value
    .group_segment_fixed_size: 0
    .kernarg_segment_align: 8
    .kernarg_segment_size: 56
    .language:       OpenCL C
    .language_version:
      - 2
      - 0
    .max_flat_workgroup_size: 256
    .name:           _ZN6thrust23THRUST_200600_302600_NS11hip_rocprim14__parallel_for6kernelILj256ENS1_11__transform17unary_transform_fINS0_17constant_iteratorINS0_5tupleIiiNS0_9null_typeES8_S8_S8_S8_S8_S8_S8_EENS0_11use_defaultESA_EENS0_12zip_iteratorINS7_INS0_6detail15normal_iteratorINS0_10device_ptrIiEEEESH_S8_S8_S8_S8_S8_S8_S8_S8_EEEENS4_14no_stencil_tagENS0_8identityIS9_EENS4_21always_true_predicateEEExLj1EEEvT0_T1_SQ_
    .private_segment_fixed_size: 0
    .sgpr_count:     18
    .sgpr_spill_count: 0
    .symbol:         _ZN6thrust23THRUST_200600_302600_NS11hip_rocprim14__parallel_for6kernelILj256ENS1_11__transform17unary_transform_fINS0_17constant_iteratorINS0_5tupleIiiNS0_9null_typeES8_S8_S8_S8_S8_S8_S8_EENS0_11use_defaultESA_EENS0_12zip_iteratorINS7_INS0_6detail15normal_iteratorINS0_10device_ptrIiEEEESH_S8_S8_S8_S8_S8_S8_S8_S8_EEEENS4_14no_stencil_tagENS0_8identityIS9_EENS4_21always_true_predicateEEExLj1EEEvT0_T1_SQ_.kd
    .uniform_work_group_size: 1
    .uses_dynamic_stack: false
    .vgpr_count:     6
    .vgpr_spill_count: 0
    .wavefront_size: 32
    .workgroup_processor_mode: 1
  - .args:
      - .offset:         0
        .size:           40
        .value_kind:     by_value
      - .offset:         40
        .size:           8
        .value_kind:     by_value
      - .offset:         48
        .size:           8
        .value_kind:     by_value
    .group_segment_fixed_size: 0
    .kernarg_segment_align: 8
    .kernarg_segment_size: 56
    .language:       OpenCL C
    .language_version:
      - 2
      - 0
    .max_flat_workgroup_size: 256
    .name:           _ZN6thrust23THRUST_200600_302600_NS11hip_rocprim14__parallel_for6kernelILj256ENS1_11__transform17unary_transform_fINS0_17constant_iteratorINS0_5tupleIssNS0_9null_typeES8_S8_S8_S8_S8_S8_S8_EENS0_11use_defaultESA_EENS0_12zip_iteratorINS7_INS0_6detail15normal_iteratorINS0_10device_ptrIsEEEESH_S8_S8_S8_S8_S8_S8_S8_S8_EEEENS4_14no_stencil_tagENS0_8identityIS9_EENS4_21always_true_predicateEEExLj1EEEvT0_T1_SQ_
    .private_segment_fixed_size: 0
    .sgpr_count:     18
    .sgpr_spill_count: 0
    .symbol:         _ZN6thrust23THRUST_200600_302600_NS11hip_rocprim14__parallel_for6kernelILj256ENS1_11__transform17unary_transform_fINS0_17constant_iteratorINS0_5tupleIssNS0_9null_typeES8_S8_S8_S8_S8_S8_S8_EENS0_11use_defaultESA_EENS0_12zip_iteratorINS7_INS0_6detail15normal_iteratorINS0_10device_ptrIsEEEESH_S8_S8_S8_S8_S8_S8_S8_S8_EEEENS4_14no_stencil_tagENS0_8identityIS9_EENS4_21always_true_predicateEEExLj1EEEvT0_T1_SQ_.kd
    .uniform_work_group_size: 1
    .uses_dynamic_stack: false
    .vgpr_count:     5
    .vgpr_spill_count: 0
    .wavefront_size: 32
    .workgroup_processor_mode: 1
  - .args:
      - .offset:         0
        .size:           112
        .value_kind:     by_value
    .group_segment_fixed_size: 0
    .kernarg_segment_align: 8
    .kernarg_segment_size: 112
    .language:       OpenCL C
    .language_version:
      - 2
      - 0
    .max_flat_workgroup_size: 256
    .name:           _ZN7rocprim17ROCPRIM_400000_NS6detail17trampoline_kernelINS0_14default_configENS1_25partition_config_selectorILNS1_17partition_subalgoE6EiNS0_10empty_typeEbEEZZNS1_14partition_implILS5_6ELb0ES3_mN6thrust23THRUST_200600_302600_NS10device_ptrIiEEPS6_SD_NS0_5tupleIJSC_S6_EEENSE_IJSD_SD_EEES6_PlJ7is_evenIiEEEE10hipError_tPvRmT3_T4_T5_T6_T7_T9_mT8_P12ihipStream_tbDpT10_ENKUlT_T0_E_clISt17integral_constantIbLb0EES13_EEDaSY_SZ_EUlSY_E_NS1_11comp_targetILNS1_3genE0ELNS1_11target_archE4294967295ELNS1_3gpuE0ELNS1_3repE0EEENS1_30default_config_static_selectorELNS0_4arch9wavefront6targetE0EEEvT1_
    .private_segment_fixed_size: 0
    .sgpr_count:     0
    .sgpr_spill_count: 0
    .symbol:         _ZN7rocprim17ROCPRIM_400000_NS6detail17trampoline_kernelINS0_14default_configENS1_25partition_config_selectorILNS1_17partition_subalgoE6EiNS0_10empty_typeEbEEZZNS1_14partition_implILS5_6ELb0ES3_mN6thrust23THRUST_200600_302600_NS10device_ptrIiEEPS6_SD_NS0_5tupleIJSC_S6_EEENSE_IJSD_SD_EEES6_PlJ7is_evenIiEEEE10hipError_tPvRmT3_T4_T5_T6_T7_T9_mT8_P12ihipStream_tbDpT10_ENKUlT_T0_E_clISt17integral_constantIbLb0EES13_EEDaSY_SZ_EUlSY_E_NS1_11comp_targetILNS1_3genE0ELNS1_11target_archE4294967295ELNS1_3gpuE0ELNS1_3repE0EEENS1_30default_config_static_selectorELNS0_4arch9wavefront6targetE0EEEvT1_.kd
    .uniform_work_group_size: 1
    .uses_dynamic_stack: false
    .vgpr_count:     0
    .vgpr_spill_count: 0
    .wavefront_size: 32
    .workgroup_processor_mode: 1
  - .args:
      - .offset:         0
        .size:           112
        .value_kind:     by_value
    .group_segment_fixed_size: 0
    .kernarg_segment_align: 8
    .kernarg_segment_size: 112
    .language:       OpenCL C
    .language_version:
      - 2
      - 0
    .max_flat_workgroup_size: 512
    .name:           _ZN7rocprim17ROCPRIM_400000_NS6detail17trampoline_kernelINS0_14default_configENS1_25partition_config_selectorILNS1_17partition_subalgoE6EiNS0_10empty_typeEbEEZZNS1_14partition_implILS5_6ELb0ES3_mN6thrust23THRUST_200600_302600_NS10device_ptrIiEEPS6_SD_NS0_5tupleIJSC_S6_EEENSE_IJSD_SD_EEES6_PlJ7is_evenIiEEEE10hipError_tPvRmT3_T4_T5_T6_T7_T9_mT8_P12ihipStream_tbDpT10_ENKUlT_T0_E_clISt17integral_constantIbLb0EES13_EEDaSY_SZ_EUlSY_E_NS1_11comp_targetILNS1_3genE5ELNS1_11target_archE942ELNS1_3gpuE9ELNS1_3repE0EEENS1_30default_config_static_selectorELNS0_4arch9wavefront6targetE0EEEvT1_
    .private_segment_fixed_size: 0
    .sgpr_count:     0
    .sgpr_spill_count: 0
    .symbol:         _ZN7rocprim17ROCPRIM_400000_NS6detail17trampoline_kernelINS0_14default_configENS1_25partition_config_selectorILNS1_17partition_subalgoE6EiNS0_10empty_typeEbEEZZNS1_14partition_implILS5_6ELb0ES3_mN6thrust23THRUST_200600_302600_NS10device_ptrIiEEPS6_SD_NS0_5tupleIJSC_S6_EEENSE_IJSD_SD_EEES6_PlJ7is_evenIiEEEE10hipError_tPvRmT3_T4_T5_T6_T7_T9_mT8_P12ihipStream_tbDpT10_ENKUlT_T0_E_clISt17integral_constantIbLb0EES13_EEDaSY_SZ_EUlSY_E_NS1_11comp_targetILNS1_3genE5ELNS1_11target_archE942ELNS1_3gpuE9ELNS1_3repE0EEENS1_30default_config_static_selectorELNS0_4arch9wavefront6targetE0EEEvT1_.kd
    .uniform_work_group_size: 1
    .uses_dynamic_stack: false
    .vgpr_count:     0
    .vgpr_spill_count: 0
    .wavefront_size: 32
    .workgroup_processor_mode: 1
  - .args:
      - .offset:         0
        .size:           112
        .value_kind:     by_value
    .group_segment_fixed_size: 0
    .kernarg_segment_align: 8
    .kernarg_segment_size: 112
    .language:       OpenCL C
    .language_version:
      - 2
      - 0
    .max_flat_workgroup_size: 512
    .name:           _ZN7rocprim17ROCPRIM_400000_NS6detail17trampoline_kernelINS0_14default_configENS1_25partition_config_selectorILNS1_17partition_subalgoE6EiNS0_10empty_typeEbEEZZNS1_14partition_implILS5_6ELb0ES3_mN6thrust23THRUST_200600_302600_NS10device_ptrIiEEPS6_SD_NS0_5tupleIJSC_S6_EEENSE_IJSD_SD_EEES6_PlJ7is_evenIiEEEE10hipError_tPvRmT3_T4_T5_T6_T7_T9_mT8_P12ihipStream_tbDpT10_ENKUlT_T0_E_clISt17integral_constantIbLb0EES13_EEDaSY_SZ_EUlSY_E_NS1_11comp_targetILNS1_3genE4ELNS1_11target_archE910ELNS1_3gpuE8ELNS1_3repE0EEENS1_30default_config_static_selectorELNS0_4arch9wavefront6targetE0EEEvT1_
    .private_segment_fixed_size: 0
    .sgpr_count:     0
    .sgpr_spill_count: 0
    .symbol:         _ZN7rocprim17ROCPRIM_400000_NS6detail17trampoline_kernelINS0_14default_configENS1_25partition_config_selectorILNS1_17partition_subalgoE6EiNS0_10empty_typeEbEEZZNS1_14partition_implILS5_6ELb0ES3_mN6thrust23THRUST_200600_302600_NS10device_ptrIiEEPS6_SD_NS0_5tupleIJSC_S6_EEENSE_IJSD_SD_EEES6_PlJ7is_evenIiEEEE10hipError_tPvRmT3_T4_T5_T6_T7_T9_mT8_P12ihipStream_tbDpT10_ENKUlT_T0_E_clISt17integral_constantIbLb0EES13_EEDaSY_SZ_EUlSY_E_NS1_11comp_targetILNS1_3genE4ELNS1_11target_archE910ELNS1_3gpuE8ELNS1_3repE0EEENS1_30default_config_static_selectorELNS0_4arch9wavefront6targetE0EEEvT1_.kd
    .uniform_work_group_size: 1
    .uses_dynamic_stack: false
    .vgpr_count:     0
    .vgpr_spill_count: 0
    .wavefront_size: 32
    .workgroup_processor_mode: 1
  - .args:
      - .offset:         0
        .size:           112
        .value_kind:     by_value
    .group_segment_fixed_size: 0
    .kernarg_segment_align: 8
    .kernarg_segment_size: 112
    .language:       OpenCL C
    .language_version:
      - 2
      - 0
    .max_flat_workgroup_size: 256
    .name:           _ZN7rocprim17ROCPRIM_400000_NS6detail17trampoline_kernelINS0_14default_configENS1_25partition_config_selectorILNS1_17partition_subalgoE6EiNS0_10empty_typeEbEEZZNS1_14partition_implILS5_6ELb0ES3_mN6thrust23THRUST_200600_302600_NS10device_ptrIiEEPS6_SD_NS0_5tupleIJSC_S6_EEENSE_IJSD_SD_EEES6_PlJ7is_evenIiEEEE10hipError_tPvRmT3_T4_T5_T6_T7_T9_mT8_P12ihipStream_tbDpT10_ENKUlT_T0_E_clISt17integral_constantIbLb0EES13_EEDaSY_SZ_EUlSY_E_NS1_11comp_targetILNS1_3genE3ELNS1_11target_archE908ELNS1_3gpuE7ELNS1_3repE0EEENS1_30default_config_static_selectorELNS0_4arch9wavefront6targetE0EEEvT1_
    .private_segment_fixed_size: 0
    .sgpr_count:     0
    .sgpr_spill_count: 0
    .symbol:         _ZN7rocprim17ROCPRIM_400000_NS6detail17trampoline_kernelINS0_14default_configENS1_25partition_config_selectorILNS1_17partition_subalgoE6EiNS0_10empty_typeEbEEZZNS1_14partition_implILS5_6ELb0ES3_mN6thrust23THRUST_200600_302600_NS10device_ptrIiEEPS6_SD_NS0_5tupleIJSC_S6_EEENSE_IJSD_SD_EEES6_PlJ7is_evenIiEEEE10hipError_tPvRmT3_T4_T5_T6_T7_T9_mT8_P12ihipStream_tbDpT10_ENKUlT_T0_E_clISt17integral_constantIbLb0EES13_EEDaSY_SZ_EUlSY_E_NS1_11comp_targetILNS1_3genE3ELNS1_11target_archE908ELNS1_3gpuE7ELNS1_3repE0EEENS1_30default_config_static_selectorELNS0_4arch9wavefront6targetE0EEEvT1_.kd
    .uniform_work_group_size: 1
    .uses_dynamic_stack: false
    .vgpr_count:     0
    .vgpr_spill_count: 0
    .wavefront_size: 32
    .workgroup_processor_mode: 1
  - .args:
      - .offset:         0
        .size:           112
        .value_kind:     by_value
    .group_segment_fixed_size: 0
    .kernarg_segment_align: 8
    .kernarg_segment_size: 112
    .language:       OpenCL C
    .language_version:
      - 2
      - 0
    .max_flat_workgroup_size: 192
    .name:           _ZN7rocprim17ROCPRIM_400000_NS6detail17trampoline_kernelINS0_14default_configENS1_25partition_config_selectorILNS1_17partition_subalgoE6EiNS0_10empty_typeEbEEZZNS1_14partition_implILS5_6ELb0ES3_mN6thrust23THRUST_200600_302600_NS10device_ptrIiEEPS6_SD_NS0_5tupleIJSC_S6_EEENSE_IJSD_SD_EEES6_PlJ7is_evenIiEEEE10hipError_tPvRmT3_T4_T5_T6_T7_T9_mT8_P12ihipStream_tbDpT10_ENKUlT_T0_E_clISt17integral_constantIbLb0EES13_EEDaSY_SZ_EUlSY_E_NS1_11comp_targetILNS1_3genE2ELNS1_11target_archE906ELNS1_3gpuE6ELNS1_3repE0EEENS1_30default_config_static_selectorELNS0_4arch9wavefront6targetE0EEEvT1_
    .private_segment_fixed_size: 0
    .sgpr_count:     0
    .sgpr_spill_count: 0
    .symbol:         _ZN7rocprim17ROCPRIM_400000_NS6detail17trampoline_kernelINS0_14default_configENS1_25partition_config_selectorILNS1_17partition_subalgoE6EiNS0_10empty_typeEbEEZZNS1_14partition_implILS5_6ELb0ES3_mN6thrust23THRUST_200600_302600_NS10device_ptrIiEEPS6_SD_NS0_5tupleIJSC_S6_EEENSE_IJSD_SD_EEES6_PlJ7is_evenIiEEEE10hipError_tPvRmT3_T4_T5_T6_T7_T9_mT8_P12ihipStream_tbDpT10_ENKUlT_T0_E_clISt17integral_constantIbLb0EES13_EEDaSY_SZ_EUlSY_E_NS1_11comp_targetILNS1_3genE2ELNS1_11target_archE906ELNS1_3gpuE6ELNS1_3repE0EEENS1_30default_config_static_selectorELNS0_4arch9wavefront6targetE0EEEvT1_.kd
    .uniform_work_group_size: 1
    .uses_dynamic_stack: false
    .vgpr_count:     0
    .vgpr_spill_count: 0
    .wavefront_size: 32
    .workgroup_processor_mode: 1
  - .args:
      - .offset:         0
        .size:           112
        .value_kind:     by_value
    .group_segment_fixed_size: 0
    .kernarg_segment_align: 8
    .kernarg_segment_size: 112
    .language:       OpenCL C
    .language_version:
      - 2
      - 0
    .max_flat_workgroup_size: 384
    .name:           _ZN7rocprim17ROCPRIM_400000_NS6detail17trampoline_kernelINS0_14default_configENS1_25partition_config_selectorILNS1_17partition_subalgoE6EiNS0_10empty_typeEbEEZZNS1_14partition_implILS5_6ELb0ES3_mN6thrust23THRUST_200600_302600_NS10device_ptrIiEEPS6_SD_NS0_5tupleIJSC_S6_EEENSE_IJSD_SD_EEES6_PlJ7is_evenIiEEEE10hipError_tPvRmT3_T4_T5_T6_T7_T9_mT8_P12ihipStream_tbDpT10_ENKUlT_T0_E_clISt17integral_constantIbLb0EES13_EEDaSY_SZ_EUlSY_E_NS1_11comp_targetILNS1_3genE10ELNS1_11target_archE1200ELNS1_3gpuE4ELNS1_3repE0EEENS1_30default_config_static_selectorELNS0_4arch9wavefront6targetE0EEEvT1_
    .private_segment_fixed_size: 0
    .sgpr_count:     0
    .sgpr_spill_count: 0
    .symbol:         _ZN7rocprim17ROCPRIM_400000_NS6detail17trampoline_kernelINS0_14default_configENS1_25partition_config_selectorILNS1_17partition_subalgoE6EiNS0_10empty_typeEbEEZZNS1_14partition_implILS5_6ELb0ES3_mN6thrust23THRUST_200600_302600_NS10device_ptrIiEEPS6_SD_NS0_5tupleIJSC_S6_EEENSE_IJSD_SD_EEES6_PlJ7is_evenIiEEEE10hipError_tPvRmT3_T4_T5_T6_T7_T9_mT8_P12ihipStream_tbDpT10_ENKUlT_T0_E_clISt17integral_constantIbLb0EES13_EEDaSY_SZ_EUlSY_E_NS1_11comp_targetILNS1_3genE10ELNS1_11target_archE1200ELNS1_3gpuE4ELNS1_3repE0EEENS1_30default_config_static_selectorELNS0_4arch9wavefront6targetE0EEEvT1_.kd
    .uniform_work_group_size: 1
    .uses_dynamic_stack: false
    .vgpr_count:     0
    .vgpr_spill_count: 0
    .wavefront_size: 32
    .workgroup_processor_mode: 1
  - .args:
      - .offset:         0
        .size:           112
        .value_kind:     by_value
    .group_segment_fixed_size: 7184
    .kernarg_segment_align: 8
    .kernarg_segment_size: 112
    .language:       OpenCL C
    .language_version:
      - 2
      - 0
    .max_flat_workgroup_size: 128
    .name:           _ZN7rocprim17ROCPRIM_400000_NS6detail17trampoline_kernelINS0_14default_configENS1_25partition_config_selectorILNS1_17partition_subalgoE6EiNS0_10empty_typeEbEEZZNS1_14partition_implILS5_6ELb0ES3_mN6thrust23THRUST_200600_302600_NS10device_ptrIiEEPS6_SD_NS0_5tupleIJSC_S6_EEENSE_IJSD_SD_EEES6_PlJ7is_evenIiEEEE10hipError_tPvRmT3_T4_T5_T6_T7_T9_mT8_P12ihipStream_tbDpT10_ENKUlT_T0_E_clISt17integral_constantIbLb0EES13_EEDaSY_SZ_EUlSY_E_NS1_11comp_targetILNS1_3genE9ELNS1_11target_archE1100ELNS1_3gpuE3ELNS1_3repE0EEENS1_30default_config_static_selectorELNS0_4arch9wavefront6targetE0EEEvT1_
    .private_segment_fixed_size: 0
    .sgpr_count:     20
    .sgpr_spill_count: 0
    .symbol:         _ZN7rocprim17ROCPRIM_400000_NS6detail17trampoline_kernelINS0_14default_configENS1_25partition_config_selectorILNS1_17partition_subalgoE6EiNS0_10empty_typeEbEEZZNS1_14partition_implILS5_6ELb0ES3_mN6thrust23THRUST_200600_302600_NS10device_ptrIiEEPS6_SD_NS0_5tupleIJSC_S6_EEENSE_IJSD_SD_EEES6_PlJ7is_evenIiEEEE10hipError_tPvRmT3_T4_T5_T6_T7_T9_mT8_P12ihipStream_tbDpT10_ENKUlT_T0_E_clISt17integral_constantIbLb0EES13_EEDaSY_SZ_EUlSY_E_NS1_11comp_targetILNS1_3genE9ELNS1_11target_archE1100ELNS1_3gpuE3ELNS1_3repE0EEENS1_30default_config_static_selectorELNS0_4arch9wavefront6targetE0EEEvT1_.kd
    .uniform_work_group_size: 1
    .uses_dynamic_stack: false
    .vgpr_count:     74
    .vgpr_spill_count: 0
    .wavefront_size: 32
    .workgroup_processor_mode: 1
  - .args:
      - .offset:         0
        .size:           112
        .value_kind:     by_value
    .group_segment_fixed_size: 0
    .kernarg_segment_align: 8
    .kernarg_segment_size: 112
    .language:       OpenCL C
    .language_version:
      - 2
      - 0
    .max_flat_workgroup_size: 512
    .name:           _ZN7rocprim17ROCPRIM_400000_NS6detail17trampoline_kernelINS0_14default_configENS1_25partition_config_selectorILNS1_17partition_subalgoE6EiNS0_10empty_typeEbEEZZNS1_14partition_implILS5_6ELb0ES3_mN6thrust23THRUST_200600_302600_NS10device_ptrIiEEPS6_SD_NS0_5tupleIJSC_S6_EEENSE_IJSD_SD_EEES6_PlJ7is_evenIiEEEE10hipError_tPvRmT3_T4_T5_T6_T7_T9_mT8_P12ihipStream_tbDpT10_ENKUlT_T0_E_clISt17integral_constantIbLb0EES13_EEDaSY_SZ_EUlSY_E_NS1_11comp_targetILNS1_3genE8ELNS1_11target_archE1030ELNS1_3gpuE2ELNS1_3repE0EEENS1_30default_config_static_selectorELNS0_4arch9wavefront6targetE0EEEvT1_
    .private_segment_fixed_size: 0
    .sgpr_count:     0
    .sgpr_spill_count: 0
    .symbol:         _ZN7rocprim17ROCPRIM_400000_NS6detail17trampoline_kernelINS0_14default_configENS1_25partition_config_selectorILNS1_17partition_subalgoE6EiNS0_10empty_typeEbEEZZNS1_14partition_implILS5_6ELb0ES3_mN6thrust23THRUST_200600_302600_NS10device_ptrIiEEPS6_SD_NS0_5tupleIJSC_S6_EEENSE_IJSD_SD_EEES6_PlJ7is_evenIiEEEE10hipError_tPvRmT3_T4_T5_T6_T7_T9_mT8_P12ihipStream_tbDpT10_ENKUlT_T0_E_clISt17integral_constantIbLb0EES13_EEDaSY_SZ_EUlSY_E_NS1_11comp_targetILNS1_3genE8ELNS1_11target_archE1030ELNS1_3gpuE2ELNS1_3repE0EEENS1_30default_config_static_selectorELNS0_4arch9wavefront6targetE0EEEvT1_.kd
    .uniform_work_group_size: 1
    .uses_dynamic_stack: false
    .vgpr_count:     0
    .vgpr_spill_count: 0
    .wavefront_size: 32
    .workgroup_processor_mode: 1
  - .args:
      - .offset:         0
        .size:           128
        .value_kind:     by_value
    .group_segment_fixed_size: 0
    .kernarg_segment_align: 8
    .kernarg_segment_size: 128
    .language:       OpenCL C
    .language_version:
      - 2
      - 0
    .max_flat_workgroup_size: 256
    .name:           _ZN7rocprim17ROCPRIM_400000_NS6detail17trampoline_kernelINS0_14default_configENS1_25partition_config_selectorILNS1_17partition_subalgoE6EiNS0_10empty_typeEbEEZZNS1_14partition_implILS5_6ELb0ES3_mN6thrust23THRUST_200600_302600_NS10device_ptrIiEEPS6_SD_NS0_5tupleIJSC_S6_EEENSE_IJSD_SD_EEES6_PlJ7is_evenIiEEEE10hipError_tPvRmT3_T4_T5_T6_T7_T9_mT8_P12ihipStream_tbDpT10_ENKUlT_T0_E_clISt17integral_constantIbLb1EES13_EEDaSY_SZ_EUlSY_E_NS1_11comp_targetILNS1_3genE0ELNS1_11target_archE4294967295ELNS1_3gpuE0ELNS1_3repE0EEENS1_30default_config_static_selectorELNS0_4arch9wavefront6targetE0EEEvT1_
    .private_segment_fixed_size: 0
    .sgpr_count:     0
    .sgpr_spill_count: 0
    .symbol:         _ZN7rocprim17ROCPRIM_400000_NS6detail17trampoline_kernelINS0_14default_configENS1_25partition_config_selectorILNS1_17partition_subalgoE6EiNS0_10empty_typeEbEEZZNS1_14partition_implILS5_6ELb0ES3_mN6thrust23THRUST_200600_302600_NS10device_ptrIiEEPS6_SD_NS0_5tupleIJSC_S6_EEENSE_IJSD_SD_EEES6_PlJ7is_evenIiEEEE10hipError_tPvRmT3_T4_T5_T6_T7_T9_mT8_P12ihipStream_tbDpT10_ENKUlT_T0_E_clISt17integral_constantIbLb1EES13_EEDaSY_SZ_EUlSY_E_NS1_11comp_targetILNS1_3genE0ELNS1_11target_archE4294967295ELNS1_3gpuE0ELNS1_3repE0EEENS1_30default_config_static_selectorELNS0_4arch9wavefront6targetE0EEEvT1_.kd
    .uniform_work_group_size: 1
    .uses_dynamic_stack: false
    .vgpr_count:     0
    .vgpr_spill_count: 0
    .wavefront_size: 32
    .workgroup_processor_mode: 1
  - .args:
      - .offset:         0
        .size:           128
        .value_kind:     by_value
    .group_segment_fixed_size: 0
    .kernarg_segment_align: 8
    .kernarg_segment_size: 128
    .language:       OpenCL C
    .language_version:
      - 2
      - 0
    .max_flat_workgroup_size: 512
    .name:           _ZN7rocprim17ROCPRIM_400000_NS6detail17trampoline_kernelINS0_14default_configENS1_25partition_config_selectorILNS1_17partition_subalgoE6EiNS0_10empty_typeEbEEZZNS1_14partition_implILS5_6ELb0ES3_mN6thrust23THRUST_200600_302600_NS10device_ptrIiEEPS6_SD_NS0_5tupleIJSC_S6_EEENSE_IJSD_SD_EEES6_PlJ7is_evenIiEEEE10hipError_tPvRmT3_T4_T5_T6_T7_T9_mT8_P12ihipStream_tbDpT10_ENKUlT_T0_E_clISt17integral_constantIbLb1EES13_EEDaSY_SZ_EUlSY_E_NS1_11comp_targetILNS1_3genE5ELNS1_11target_archE942ELNS1_3gpuE9ELNS1_3repE0EEENS1_30default_config_static_selectorELNS0_4arch9wavefront6targetE0EEEvT1_
    .private_segment_fixed_size: 0
    .sgpr_count:     0
    .sgpr_spill_count: 0
    .symbol:         _ZN7rocprim17ROCPRIM_400000_NS6detail17trampoline_kernelINS0_14default_configENS1_25partition_config_selectorILNS1_17partition_subalgoE6EiNS0_10empty_typeEbEEZZNS1_14partition_implILS5_6ELb0ES3_mN6thrust23THRUST_200600_302600_NS10device_ptrIiEEPS6_SD_NS0_5tupleIJSC_S6_EEENSE_IJSD_SD_EEES6_PlJ7is_evenIiEEEE10hipError_tPvRmT3_T4_T5_T6_T7_T9_mT8_P12ihipStream_tbDpT10_ENKUlT_T0_E_clISt17integral_constantIbLb1EES13_EEDaSY_SZ_EUlSY_E_NS1_11comp_targetILNS1_3genE5ELNS1_11target_archE942ELNS1_3gpuE9ELNS1_3repE0EEENS1_30default_config_static_selectorELNS0_4arch9wavefront6targetE0EEEvT1_.kd
    .uniform_work_group_size: 1
    .uses_dynamic_stack: false
    .vgpr_count:     0
    .vgpr_spill_count: 0
    .wavefront_size: 32
    .workgroup_processor_mode: 1
  - .args:
      - .offset:         0
        .size:           128
        .value_kind:     by_value
    .group_segment_fixed_size: 0
    .kernarg_segment_align: 8
    .kernarg_segment_size: 128
    .language:       OpenCL C
    .language_version:
      - 2
      - 0
    .max_flat_workgroup_size: 512
    .name:           _ZN7rocprim17ROCPRIM_400000_NS6detail17trampoline_kernelINS0_14default_configENS1_25partition_config_selectorILNS1_17partition_subalgoE6EiNS0_10empty_typeEbEEZZNS1_14partition_implILS5_6ELb0ES3_mN6thrust23THRUST_200600_302600_NS10device_ptrIiEEPS6_SD_NS0_5tupleIJSC_S6_EEENSE_IJSD_SD_EEES6_PlJ7is_evenIiEEEE10hipError_tPvRmT3_T4_T5_T6_T7_T9_mT8_P12ihipStream_tbDpT10_ENKUlT_T0_E_clISt17integral_constantIbLb1EES13_EEDaSY_SZ_EUlSY_E_NS1_11comp_targetILNS1_3genE4ELNS1_11target_archE910ELNS1_3gpuE8ELNS1_3repE0EEENS1_30default_config_static_selectorELNS0_4arch9wavefront6targetE0EEEvT1_
    .private_segment_fixed_size: 0
    .sgpr_count:     0
    .sgpr_spill_count: 0
    .symbol:         _ZN7rocprim17ROCPRIM_400000_NS6detail17trampoline_kernelINS0_14default_configENS1_25partition_config_selectorILNS1_17partition_subalgoE6EiNS0_10empty_typeEbEEZZNS1_14partition_implILS5_6ELb0ES3_mN6thrust23THRUST_200600_302600_NS10device_ptrIiEEPS6_SD_NS0_5tupleIJSC_S6_EEENSE_IJSD_SD_EEES6_PlJ7is_evenIiEEEE10hipError_tPvRmT3_T4_T5_T6_T7_T9_mT8_P12ihipStream_tbDpT10_ENKUlT_T0_E_clISt17integral_constantIbLb1EES13_EEDaSY_SZ_EUlSY_E_NS1_11comp_targetILNS1_3genE4ELNS1_11target_archE910ELNS1_3gpuE8ELNS1_3repE0EEENS1_30default_config_static_selectorELNS0_4arch9wavefront6targetE0EEEvT1_.kd
    .uniform_work_group_size: 1
    .uses_dynamic_stack: false
    .vgpr_count:     0
    .vgpr_spill_count: 0
    .wavefront_size: 32
    .workgroup_processor_mode: 1
  - .args:
      - .offset:         0
        .size:           128
        .value_kind:     by_value
    .group_segment_fixed_size: 0
    .kernarg_segment_align: 8
    .kernarg_segment_size: 128
    .language:       OpenCL C
    .language_version:
      - 2
      - 0
    .max_flat_workgroup_size: 256
    .name:           _ZN7rocprim17ROCPRIM_400000_NS6detail17trampoline_kernelINS0_14default_configENS1_25partition_config_selectorILNS1_17partition_subalgoE6EiNS0_10empty_typeEbEEZZNS1_14partition_implILS5_6ELb0ES3_mN6thrust23THRUST_200600_302600_NS10device_ptrIiEEPS6_SD_NS0_5tupleIJSC_S6_EEENSE_IJSD_SD_EEES6_PlJ7is_evenIiEEEE10hipError_tPvRmT3_T4_T5_T6_T7_T9_mT8_P12ihipStream_tbDpT10_ENKUlT_T0_E_clISt17integral_constantIbLb1EES13_EEDaSY_SZ_EUlSY_E_NS1_11comp_targetILNS1_3genE3ELNS1_11target_archE908ELNS1_3gpuE7ELNS1_3repE0EEENS1_30default_config_static_selectorELNS0_4arch9wavefront6targetE0EEEvT1_
    .private_segment_fixed_size: 0
    .sgpr_count:     0
    .sgpr_spill_count: 0
    .symbol:         _ZN7rocprim17ROCPRIM_400000_NS6detail17trampoline_kernelINS0_14default_configENS1_25partition_config_selectorILNS1_17partition_subalgoE6EiNS0_10empty_typeEbEEZZNS1_14partition_implILS5_6ELb0ES3_mN6thrust23THRUST_200600_302600_NS10device_ptrIiEEPS6_SD_NS0_5tupleIJSC_S6_EEENSE_IJSD_SD_EEES6_PlJ7is_evenIiEEEE10hipError_tPvRmT3_T4_T5_T6_T7_T9_mT8_P12ihipStream_tbDpT10_ENKUlT_T0_E_clISt17integral_constantIbLb1EES13_EEDaSY_SZ_EUlSY_E_NS1_11comp_targetILNS1_3genE3ELNS1_11target_archE908ELNS1_3gpuE7ELNS1_3repE0EEENS1_30default_config_static_selectorELNS0_4arch9wavefront6targetE0EEEvT1_.kd
    .uniform_work_group_size: 1
    .uses_dynamic_stack: false
    .vgpr_count:     0
    .vgpr_spill_count: 0
    .wavefront_size: 32
    .workgroup_processor_mode: 1
  - .args:
      - .offset:         0
        .size:           128
        .value_kind:     by_value
    .group_segment_fixed_size: 0
    .kernarg_segment_align: 8
    .kernarg_segment_size: 128
    .language:       OpenCL C
    .language_version:
      - 2
      - 0
    .max_flat_workgroup_size: 192
    .name:           _ZN7rocprim17ROCPRIM_400000_NS6detail17trampoline_kernelINS0_14default_configENS1_25partition_config_selectorILNS1_17partition_subalgoE6EiNS0_10empty_typeEbEEZZNS1_14partition_implILS5_6ELb0ES3_mN6thrust23THRUST_200600_302600_NS10device_ptrIiEEPS6_SD_NS0_5tupleIJSC_S6_EEENSE_IJSD_SD_EEES6_PlJ7is_evenIiEEEE10hipError_tPvRmT3_T4_T5_T6_T7_T9_mT8_P12ihipStream_tbDpT10_ENKUlT_T0_E_clISt17integral_constantIbLb1EES13_EEDaSY_SZ_EUlSY_E_NS1_11comp_targetILNS1_3genE2ELNS1_11target_archE906ELNS1_3gpuE6ELNS1_3repE0EEENS1_30default_config_static_selectorELNS0_4arch9wavefront6targetE0EEEvT1_
    .private_segment_fixed_size: 0
    .sgpr_count:     0
    .sgpr_spill_count: 0
    .symbol:         _ZN7rocprim17ROCPRIM_400000_NS6detail17trampoline_kernelINS0_14default_configENS1_25partition_config_selectorILNS1_17partition_subalgoE6EiNS0_10empty_typeEbEEZZNS1_14partition_implILS5_6ELb0ES3_mN6thrust23THRUST_200600_302600_NS10device_ptrIiEEPS6_SD_NS0_5tupleIJSC_S6_EEENSE_IJSD_SD_EEES6_PlJ7is_evenIiEEEE10hipError_tPvRmT3_T4_T5_T6_T7_T9_mT8_P12ihipStream_tbDpT10_ENKUlT_T0_E_clISt17integral_constantIbLb1EES13_EEDaSY_SZ_EUlSY_E_NS1_11comp_targetILNS1_3genE2ELNS1_11target_archE906ELNS1_3gpuE6ELNS1_3repE0EEENS1_30default_config_static_selectorELNS0_4arch9wavefront6targetE0EEEvT1_.kd
    .uniform_work_group_size: 1
    .uses_dynamic_stack: false
    .vgpr_count:     0
    .vgpr_spill_count: 0
    .wavefront_size: 32
    .workgroup_processor_mode: 1
  - .args:
      - .offset:         0
        .size:           128
        .value_kind:     by_value
    .group_segment_fixed_size: 0
    .kernarg_segment_align: 8
    .kernarg_segment_size: 128
    .language:       OpenCL C
    .language_version:
      - 2
      - 0
    .max_flat_workgroup_size: 384
    .name:           _ZN7rocprim17ROCPRIM_400000_NS6detail17trampoline_kernelINS0_14default_configENS1_25partition_config_selectorILNS1_17partition_subalgoE6EiNS0_10empty_typeEbEEZZNS1_14partition_implILS5_6ELb0ES3_mN6thrust23THRUST_200600_302600_NS10device_ptrIiEEPS6_SD_NS0_5tupleIJSC_S6_EEENSE_IJSD_SD_EEES6_PlJ7is_evenIiEEEE10hipError_tPvRmT3_T4_T5_T6_T7_T9_mT8_P12ihipStream_tbDpT10_ENKUlT_T0_E_clISt17integral_constantIbLb1EES13_EEDaSY_SZ_EUlSY_E_NS1_11comp_targetILNS1_3genE10ELNS1_11target_archE1200ELNS1_3gpuE4ELNS1_3repE0EEENS1_30default_config_static_selectorELNS0_4arch9wavefront6targetE0EEEvT1_
    .private_segment_fixed_size: 0
    .sgpr_count:     0
    .sgpr_spill_count: 0
    .symbol:         _ZN7rocprim17ROCPRIM_400000_NS6detail17trampoline_kernelINS0_14default_configENS1_25partition_config_selectorILNS1_17partition_subalgoE6EiNS0_10empty_typeEbEEZZNS1_14partition_implILS5_6ELb0ES3_mN6thrust23THRUST_200600_302600_NS10device_ptrIiEEPS6_SD_NS0_5tupleIJSC_S6_EEENSE_IJSD_SD_EEES6_PlJ7is_evenIiEEEE10hipError_tPvRmT3_T4_T5_T6_T7_T9_mT8_P12ihipStream_tbDpT10_ENKUlT_T0_E_clISt17integral_constantIbLb1EES13_EEDaSY_SZ_EUlSY_E_NS1_11comp_targetILNS1_3genE10ELNS1_11target_archE1200ELNS1_3gpuE4ELNS1_3repE0EEENS1_30default_config_static_selectorELNS0_4arch9wavefront6targetE0EEEvT1_.kd
    .uniform_work_group_size: 1
    .uses_dynamic_stack: false
    .vgpr_count:     0
    .vgpr_spill_count: 0
    .wavefront_size: 32
    .workgroup_processor_mode: 1
  - .args:
      - .offset:         0
        .size:           128
        .value_kind:     by_value
    .group_segment_fixed_size: 7184
    .kernarg_segment_align: 8
    .kernarg_segment_size: 128
    .language:       OpenCL C
    .language_version:
      - 2
      - 0
    .max_flat_workgroup_size: 128
    .name:           _ZN7rocprim17ROCPRIM_400000_NS6detail17trampoline_kernelINS0_14default_configENS1_25partition_config_selectorILNS1_17partition_subalgoE6EiNS0_10empty_typeEbEEZZNS1_14partition_implILS5_6ELb0ES3_mN6thrust23THRUST_200600_302600_NS10device_ptrIiEEPS6_SD_NS0_5tupleIJSC_S6_EEENSE_IJSD_SD_EEES6_PlJ7is_evenIiEEEE10hipError_tPvRmT3_T4_T5_T6_T7_T9_mT8_P12ihipStream_tbDpT10_ENKUlT_T0_E_clISt17integral_constantIbLb1EES13_EEDaSY_SZ_EUlSY_E_NS1_11comp_targetILNS1_3genE9ELNS1_11target_archE1100ELNS1_3gpuE3ELNS1_3repE0EEENS1_30default_config_static_selectorELNS0_4arch9wavefront6targetE0EEEvT1_
    .private_segment_fixed_size: 0
    .sgpr_count:     22
    .sgpr_spill_count: 0
    .symbol:         _ZN7rocprim17ROCPRIM_400000_NS6detail17trampoline_kernelINS0_14default_configENS1_25partition_config_selectorILNS1_17partition_subalgoE6EiNS0_10empty_typeEbEEZZNS1_14partition_implILS5_6ELb0ES3_mN6thrust23THRUST_200600_302600_NS10device_ptrIiEEPS6_SD_NS0_5tupleIJSC_S6_EEENSE_IJSD_SD_EEES6_PlJ7is_evenIiEEEE10hipError_tPvRmT3_T4_T5_T6_T7_T9_mT8_P12ihipStream_tbDpT10_ENKUlT_T0_E_clISt17integral_constantIbLb1EES13_EEDaSY_SZ_EUlSY_E_NS1_11comp_targetILNS1_3genE9ELNS1_11target_archE1100ELNS1_3gpuE3ELNS1_3repE0EEENS1_30default_config_static_selectorELNS0_4arch9wavefront6targetE0EEEvT1_.kd
    .uniform_work_group_size: 1
    .uses_dynamic_stack: false
    .vgpr_count:     76
    .vgpr_spill_count: 0
    .wavefront_size: 32
    .workgroup_processor_mode: 1
  - .args:
      - .offset:         0
        .size:           128
        .value_kind:     by_value
    .group_segment_fixed_size: 0
    .kernarg_segment_align: 8
    .kernarg_segment_size: 128
    .language:       OpenCL C
    .language_version:
      - 2
      - 0
    .max_flat_workgroup_size: 512
    .name:           _ZN7rocprim17ROCPRIM_400000_NS6detail17trampoline_kernelINS0_14default_configENS1_25partition_config_selectorILNS1_17partition_subalgoE6EiNS0_10empty_typeEbEEZZNS1_14partition_implILS5_6ELb0ES3_mN6thrust23THRUST_200600_302600_NS10device_ptrIiEEPS6_SD_NS0_5tupleIJSC_S6_EEENSE_IJSD_SD_EEES6_PlJ7is_evenIiEEEE10hipError_tPvRmT3_T4_T5_T6_T7_T9_mT8_P12ihipStream_tbDpT10_ENKUlT_T0_E_clISt17integral_constantIbLb1EES13_EEDaSY_SZ_EUlSY_E_NS1_11comp_targetILNS1_3genE8ELNS1_11target_archE1030ELNS1_3gpuE2ELNS1_3repE0EEENS1_30default_config_static_selectorELNS0_4arch9wavefront6targetE0EEEvT1_
    .private_segment_fixed_size: 0
    .sgpr_count:     0
    .sgpr_spill_count: 0
    .symbol:         _ZN7rocprim17ROCPRIM_400000_NS6detail17trampoline_kernelINS0_14default_configENS1_25partition_config_selectorILNS1_17partition_subalgoE6EiNS0_10empty_typeEbEEZZNS1_14partition_implILS5_6ELb0ES3_mN6thrust23THRUST_200600_302600_NS10device_ptrIiEEPS6_SD_NS0_5tupleIJSC_S6_EEENSE_IJSD_SD_EEES6_PlJ7is_evenIiEEEE10hipError_tPvRmT3_T4_T5_T6_T7_T9_mT8_P12ihipStream_tbDpT10_ENKUlT_T0_E_clISt17integral_constantIbLb1EES13_EEDaSY_SZ_EUlSY_E_NS1_11comp_targetILNS1_3genE8ELNS1_11target_archE1030ELNS1_3gpuE2ELNS1_3repE0EEENS1_30default_config_static_selectorELNS0_4arch9wavefront6targetE0EEEvT1_.kd
    .uniform_work_group_size: 1
    .uses_dynamic_stack: false
    .vgpr_count:     0
    .vgpr_spill_count: 0
    .wavefront_size: 32
    .workgroup_processor_mode: 1
  - .args:
      - .offset:         0
        .size:           112
        .value_kind:     by_value
    .group_segment_fixed_size: 0
    .kernarg_segment_align: 8
    .kernarg_segment_size: 112
    .language:       OpenCL C
    .language_version:
      - 2
      - 0
    .max_flat_workgroup_size: 256
    .name:           _ZN7rocprim17ROCPRIM_400000_NS6detail17trampoline_kernelINS0_14default_configENS1_25partition_config_selectorILNS1_17partition_subalgoE6EiNS0_10empty_typeEbEEZZNS1_14partition_implILS5_6ELb0ES3_mN6thrust23THRUST_200600_302600_NS10device_ptrIiEEPS6_SD_NS0_5tupleIJSC_S6_EEENSE_IJSD_SD_EEES6_PlJ7is_evenIiEEEE10hipError_tPvRmT3_T4_T5_T6_T7_T9_mT8_P12ihipStream_tbDpT10_ENKUlT_T0_E_clISt17integral_constantIbLb1EES12_IbLb0EEEEDaSY_SZ_EUlSY_E_NS1_11comp_targetILNS1_3genE0ELNS1_11target_archE4294967295ELNS1_3gpuE0ELNS1_3repE0EEENS1_30default_config_static_selectorELNS0_4arch9wavefront6targetE0EEEvT1_
    .private_segment_fixed_size: 0
    .sgpr_count:     0
    .sgpr_spill_count: 0
    .symbol:         _ZN7rocprim17ROCPRIM_400000_NS6detail17trampoline_kernelINS0_14default_configENS1_25partition_config_selectorILNS1_17partition_subalgoE6EiNS0_10empty_typeEbEEZZNS1_14partition_implILS5_6ELb0ES3_mN6thrust23THRUST_200600_302600_NS10device_ptrIiEEPS6_SD_NS0_5tupleIJSC_S6_EEENSE_IJSD_SD_EEES6_PlJ7is_evenIiEEEE10hipError_tPvRmT3_T4_T5_T6_T7_T9_mT8_P12ihipStream_tbDpT10_ENKUlT_T0_E_clISt17integral_constantIbLb1EES12_IbLb0EEEEDaSY_SZ_EUlSY_E_NS1_11comp_targetILNS1_3genE0ELNS1_11target_archE4294967295ELNS1_3gpuE0ELNS1_3repE0EEENS1_30default_config_static_selectorELNS0_4arch9wavefront6targetE0EEEvT1_.kd
    .uniform_work_group_size: 1
    .uses_dynamic_stack: false
    .vgpr_count:     0
    .vgpr_spill_count: 0
    .wavefront_size: 32
    .workgroup_processor_mode: 1
  - .args:
      - .offset:         0
        .size:           112
        .value_kind:     by_value
    .group_segment_fixed_size: 0
    .kernarg_segment_align: 8
    .kernarg_segment_size: 112
    .language:       OpenCL C
    .language_version:
      - 2
      - 0
    .max_flat_workgroup_size: 512
    .name:           _ZN7rocprim17ROCPRIM_400000_NS6detail17trampoline_kernelINS0_14default_configENS1_25partition_config_selectorILNS1_17partition_subalgoE6EiNS0_10empty_typeEbEEZZNS1_14partition_implILS5_6ELb0ES3_mN6thrust23THRUST_200600_302600_NS10device_ptrIiEEPS6_SD_NS0_5tupleIJSC_S6_EEENSE_IJSD_SD_EEES6_PlJ7is_evenIiEEEE10hipError_tPvRmT3_T4_T5_T6_T7_T9_mT8_P12ihipStream_tbDpT10_ENKUlT_T0_E_clISt17integral_constantIbLb1EES12_IbLb0EEEEDaSY_SZ_EUlSY_E_NS1_11comp_targetILNS1_3genE5ELNS1_11target_archE942ELNS1_3gpuE9ELNS1_3repE0EEENS1_30default_config_static_selectorELNS0_4arch9wavefront6targetE0EEEvT1_
    .private_segment_fixed_size: 0
    .sgpr_count:     0
    .sgpr_spill_count: 0
    .symbol:         _ZN7rocprim17ROCPRIM_400000_NS6detail17trampoline_kernelINS0_14default_configENS1_25partition_config_selectorILNS1_17partition_subalgoE6EiNS0_10empty_typeEbEEZZNS1_14partition_implILS5_6ELb0ES3_mN6thrust23THRUST_200600_302600_NS10device_ptrIiEEPS6_SD_NS0_5tupleIJSC_S6_EEENSE_IJSD_SD_EEES6_PlJ7is_evenIiEEEE10hipError_tPvRmT3_T4_T5_T6_T7_T9_mT8_P12ihipStream_tbDpT10_ENKUlT_T0_E_clISt17integral_constantIbLb1EES12_IbLb0EEEEDaSY_SZ_EUlSY_E_NS1_11comp_targetILNS1_3genE5ELNS1_11target_archE942ELNS1_3gpuE9ELNS1_3repE0EEENS1_30default_config_static_selectorELNS0_4arch9wavefront6targetE0EEEvT1_.kd
    .uniform_work_group_size: 1
    .uses_dynamic_stack: false
    .vgpr_count:     0
    .vgpr_spill_count: 0
    .wavefront_size: 32
    .workgroup_processor_mode: 1
  - .args:
      - .offset:         0
        .size:           112
        .value_kind:     by_value
    .group_segment_fixed_size: 0
    .kernarg_segment_align: 8
    .kernarg_segment_size: 112
    .language:       OpenCL C
    .language_version:
      - 2
      - 0
    .max_flat_workgroup_size: 512
    .name:           _ZN7rocprim17ROCPRIM_400000_NS6detail17trampoline_kernelINS0_14default_configENS1_25partition_config_selectorILNS1_17partition_subalgoE6EiNS0_10empty_typeEbEEZZNS1_14partition_implILS5_6ELb0ES3_mN6thrust23THRUST_200600_302600_NS10device_ptrIiEEPS6_SD_NS0_5tupleIJSC_S6_EEENSE_IJSD_SD_EEES6_PlJ7is_evenIiEEEE10hipError_tPvRmT3_T4_T5_T6_T7_T9_mT8_P12ihipStream_tbDpT10_ENKUlT_T0_E_clISt17integral_constantIbLb1EES12_IbLb0EEEEDaSY_SZ_EUlSY_E_NS1_11comp_targetILNS1_3genE4ELNS1_11target_archE910ELNS1_3gpuE8ELNS1_3repE0EEENS1_30default_config_static_selectorELNS0_4arch9wavefront6targetE0EEEvT1_
    .private_segment_fixed_size: 0
    .sgpr_count:     0
    .sgpr_spill_count: 0
    .symbol:         _ZN7rocprim17ROCPRIM_400000_NS6detail17trampoline_kernelINS0_14default_configENS1_25partition_config_selectorILNS1_17partition_subalgoE6EiNS0_10empty_typeEbEEZZNS1_14partition_implILS5_6ELb0ES3_mN6thrust23THRUST_200600_302600_NS10device_ptrIiEEPS6_SD_NS0_5tupleIJSC_S6_EEENSE_IJSD_SD_EEES6_PlJ7is_evenIiEEEE10hipError_tPvRmT3_T4_T5_T6_T7_T9_mT8_P12ihipStream_tbDpT10_ENKUlT_T0_E_clISt17integral_constantIbLb1EES12_IbLb0EEEEDaSY_SZ_EUlSY_E_NS1_11comp_targetILNS1_3genE4ELNS1_11target_archE910ELNS1_3gpuE8ELNS1_3repE0EEENS1_30default_config_static_selectorELNS0_4arch9wavefront6targetE0EEEvT1_.kd
    .uniform_work_group_size: 1
    .uses_dynamic_stack: false
    .vgpr_count:     0
    .vgpr_spill_count: 0
    .wavefront_size: 32
    .workgroup_processor_mode: 1
  - .args:
      - .offset:         0
        .size:           112
        .value_kind:     by_value
    .group_segment_fixed_size: 0
    .kernarg_segment_align: 8
    .kernarg_segment_size: 112
    .language:       OpenCL C
    .language_version:
      - 2
      - 0
    .max_flat_workgroup_size: 256
    .name:           _ZN7rocprim17ROCPRIM_400000_NS6detail17trampoline_kernelINS0_14default_configENS1_25partition_config_selectorILNS1_17partition_subalgoE6EiNS0_10empty_typeEbEEZZNS1_14partition_implILS5_6ELb0ES3_mN6thrust23THRUST_200600_302600_NS10device_ptrIiEEPS6_SD_NS0_5tupleIJSC_S6_EEENSE_IJSD_SD_EEES6_PlJ7is_evenIiEEEE10hipError_tPvRmT3_T4_T5_T6_T7_T9_mT8_P12ihipStream_tbDpT10_ENKUlT_T0_E_clISt17integral_constantIbLb1EES12_IbLb0EEEEDaSY_SZ_EUlSY_E_NS1_11comp_targetILNS1_3genE3ELNS1_11target_archE908ELNS1_3gpuE7ELNS1_3repE0EEENS1_30default_config_static_selectorELNS0_4arch9wavefront6targetE0EEEvT1_
    .private_segment_fixed_size: 0
    .sgpr_count:     0
    .sgpr_spill_count: 0
    .symbol:         _ZN7rocprim17ROCPRIM_400000_NS6detail17trampoline_kernelINS0_14default_configENS1_25partition_config_selectorILNS1_17partition_subalgoE6EiNS0_10empty_typeEbEEZZNS1_14partition_implILS5_6ELb0ES3_mN6thrust23THRUST_200600_302600_NS10device_ptrIiEEPS6_SD_NS0_5tupleIJSC_S6_EEENSE_IJSD_SD_EEES6_PlJ7is_evenIiEEEE10hipError_tPvRmT3_T4_T5_T6_T7_T9_mT8_P12ihipStream_tbDpT10_ENKUlT_T0_E_clISt17integral_constantIbLb1EES12_IbLb0EEEEDaSY_SZ_EUlSY_E_NS1_11comp_targetILNS1_3genE3ELNS1_11target_archE908ELNS1_3gpuE7ELNS1_3repE0EEENS1_30default_config_static_selectorELNS0_4arch9wavefront6targetE0EEEvT1_.kd
    .uniform_work_group_size: 1
    .uses_dynamic_stack: false
    .vgpr_count:     0
    .vgpr_spill_count: 0
    .wavefront_size: 32
    .workgroup_processor_mode: 1
  - .args:
      - .offset:         0
        .size:           112
        .value_kind:     by_value
    .group_segment_fixed_size: 0
    .kernarg_segment_align: 8
    .kernarg_segment_size: 112
    .language:       OpenCL C
    .language_version:
      - 2
      - 0
    .max_flat_workgroup_size: 192
    .name:           _ZN7rocprim17ROCPRIM_400000_NS6detail17trampoline_kernelINS0_14default_configENS1_25partition_config_selectorILNS1_17partition_subalgoE6EiNS0_10empty_typeEbEEZZNS1_14partition_implILS5_6ELb0ES3_mN6thrust23THRUST_200600_302600_NS10device_ptrIiEEPS6_SD_NS0_5tupleIJSC_S6_EEENSE_IJSD_SD_EEES6_PlJ7is_evenIiEEEE10hipError_tPvRmT3_T4_T5_T6_T7_T9_mT8_P12ihipStream_tbDpT10_ENKUlT_T0_E_clISt17integral_constantIbLb1EES12_IbLb0EEEEDaSY_SZ_EUlSY_E_NS1_11comp_targetILNS1_3genE2ELNS1_11target_archE906ELNS1_3gpuE6ELNS1_3repE0EEENS1_30default_config_static_selectorELNS0_4arch9wavefront6targetE0EEEvT1_
    .private_segment_fixed_size: 0
    .sgpr_count:     0
    .sgpr_spill_count: 0
    .symbol:         _ZN7rocprim17ROCPRIM_400000_NS6detail17trampoline_kernelINS0_14default_configENS1_25partition_config_selectorILNS1_17partition_subalgoE6EiNS0_10empty_typeEbEEZZNS1_14partition_implILS5_6ELb0ES3_mN6thrust23THRUST_200600_302600_NS10device_ptrIiEEPS6_SD_NS0_5tupleIJSC_S6_EEENSE_IJSD_SD_EEES6_PlJ7is_evenIiEEEE10hipError_tPvRmT3_T4_T5_T6_T7_T9_mT8_P12ihipStream_tbDpT10_ENKUlT_T0_E_clISt17integral_constantIbLb1EES12_IbLb0EEEEDaSY_SZ_EUlSY_E_NS1_11comp_targetILNS1_3genE2ELNS1_11target_archE906ELNS1_3gpuE6ELNS1_3repE0EEENS1_30default_config_static_selectorELNS0_4arch9wavefront6targetE0EEEvT1_.kd
    .uniform_work_group_size: 1
    .uses_dynamic_stack: false
    .vgpr_count:     0
    .vgpr_spill_count: 0
    .wavefront_size: 32
    .workgroup_processor_mode: 1
  - .args:
      - .offset:         0
        .size:           112
        .value_kind:     by_value
    .group_segment_fixed_size: 0
    .kernarg_segment_align: 8
    .kernarg_segment_size: 112
    .language:       OpenCL C
    .language_version:
      - 2
      - 0
    .max_flat_workgroup_size: 384
    .name:           _ZN7rocprim17ROCPRIM_400000_NS6detail17trampoline_kernelINS0_14default_configENS1_25partition_config_selectorILNS1_17partition_subalgoE6EiNS0_10empty_typeEbEEZZNS1_14partition_implILS5_6ELb0ES3_mN6thrust23THRUST_200600_302600_NS10device_ptrIiEEPS6_SD_NS0_5tupleIJSC_S6_EEENSE_IJSD_SD_EEES6_PlJ7is_evenIiEEEE10hipError_tPvRmT3_T4_T5_T6_T7_T9_mT8_P12ihipStream_tbDpT10_ENKUlT_T0_E_clISt17integral_constantIbLb1EES12_IbLb0EEEEDaSY_SZ_EUlSY_E_NS1_11comp_targetILNS1_3genE10ELNS1_11target_archE1200ELNS1_3gpuE4ELNS1_3repE0EEENS1_30default_config_static_selectorELNS0_4arch9wavefront6targetE0EEEvT1_
    .private_segment_fixed_size: 0
    .sgpr_count:     0
    .sgpr_spill_count: 0
    .symbol:         _ZN7rocprim17ROCPRIM_400000_NS6detail17trampoline_kernelINS0_14default_configENS1_25partition_config_selectorILNS1_17partition_subalgoE6EiNS0_10empty_typeEbEEZZNS1_14partition_implILS5_6ELb0ES3_mN6thrust23THRUST_200600_302600_NS10device_ptrIiEEPS6_SD_NS0_5tupleIJSC_S6_EEENSE_IJSD_SD_EEES6_PlJ7is_evenIiEEEE10hipError_tPvRmT3_T4_T5_T6_T7_T9_mT8_P12ihipStream_tbDpT10_ENKUlT_T0_E_clISt17integral_constantIbLb1EES12_IbLb0EEEEDaSY_SZ_EUlSY_E_NS1_11comp_targetILNS1_3genE10ELNS1_11target_archE1200ELNS1_3gpuE4ELNS1_3repE0EEENS1_30default_config_static_selectorELNS0_4arch9wavefront6targetE0EEEvT1_.kd
    .uniform_work_group_size: 1
    .uses_dynamic_stack: false
    .vgpr_count:     0
    .vgpr_spill_count: 0
    .wavefront_size: 32
    .workgroup_processor_mode: 1
  - .args:
      - .offset:         0
        .size:           112
        .value_kind:     by_value
    .group_segment_fixed_size: 7184
    .kernarg_segment_align: 8
    .kernarg_segment_size: 112
    .language:       OpenCL C
    .language_version:
      - 2
      - 0
    .max_flat_workgroup_size: 128
    .name:           _ZN7rocprim17ROCPRIM_400000_NS6detail17trampoline_kernelINS0_14default_configENS1_25partition_config_selectorILNS1_17partition_subalgoE6EiNS0_10empty_typeEbEEZZNS1_14partition_implILS5_6ELb0ES3_mN6thrust23THRUST_200600_302600_NS10device_ptrIiEEPS6_SD_NS0_5tupleIJSC_S6_EEENSE_IJSD_SD_EEES6_PlJ7is_evenIiEEEE10hipError_tPvRmT3_T4_T5_T6_T7_T9_mT8_P12ihipStream_tbDpT10_ENKUlT_T0_E_clISt17integral_constantIbLb1EES12_IbLb0EEEEDaSY_SZ_EUlSY_E_NS1_11comp_targetILNS1_3genE9ELNS1_11target_archE1100ELNS1_3gpuE3ELNS1_3repE0EEENS1_30default_config_static_selectorELNS0_4arch9wavefront6targetE0EEEvT1_
    .private_segment_fixed_size: 0
    .sgpr_count:     20
    .sgpr_spill_count: 0
    .symbol:         _ZN7rocprim17ROCPRIM_400000_NS6detail17trampoline_kernelINS0_14default_configENS1_25partition_config_selectorILNS1_17partition_subalgoE6EiNS0_10empty_typeEbEEZZNS1_14partition_implILS5_6ELb0ES3_mN6thrust23THRUST_200600_302600_NS10device_ptrIiEEPS6_SD_NS0_5tupleIJSC_S6_EEENSE_IJSD_SD_EEES6_PlJ7is_evenIiEEEE10hipError_tPvRmT3_T4_T5_T6_T7_T9_mT8_P12ihipStream_tbDpT10_ENKUlT_T0_E_clISt17integral_constantIbLb1EES12_IbLb0EEEEDaSY_SZ_EUlSY_E_NS1_11comp_targetILNS1_3genE9ELNS1_11target_archE1100ELNS1_3gpuE3ELNS1_3repE0EEENS1_30default_config_static_selectorELNS0_4arch9wavefront6targetE0EEEvT1_.kd
    .uniform_work_group_size: 1
    .uses_dynamic_stack: false
    .vgpr_count:     74
    .vgpr_spill_count: 0
    .wavefront_size: 32
    .workgroup_processor_mode: 1
  - .args:
      - .offset:         0
        .size:           112
        .value_kind:     by_value
    .group_segment_fixed_size: 0
    .kernarg_segment_align: 8
    .kernarg_segment_size: 112
    .language:       OpenCL C
    .language_version:
      - 2
      - 0
    .max_flat_workgroup_size: 512
    .name:           _ZN7rocprim17ROCPRIM_400000_NS6detail17trampoline_kernelINS0_14default_configENS1_25partition_config_selectorILNS1_17partition_subalgoE6EiNS0_10empty_typeEbEEZZNS1_14partition_implILS5_6ELb0ES3_mN6thrust23THRUST_200600_302600_NS10device_ptrIiEEPS6_SD_NS0_5tupleIJSC_S6_EEENSE_IJSD_SD_EEES6_PlJ7is_evenIiEEEE10hipError_tPvRmT3_T4_T5_T6_T7_T9_mT8_P12ihipStream_tbDpT10_ENKUlT_T0_E_clISt17integral_constantIbLb1EES12_IbLb0EEEEDaSY_SZ_EUlSY_E_NS1_11comp_targetILNS1_3genE8ELNS1_11target_archE1030ELNS1_3gpuE2ELNS1_3repE0EEENS1_30default_config_static_selectorELNS0_4arch9wavefront6targetE0EEEvT1_
    .private_segment_fixed_size: 0
    .sgpr_count:     0
    .sgpr_spill_count: 0
    .symbol:         _ZN7rocprim17ROCPRIM_400000_NS6detail17trampoline_kernelINS0_14default_configENS1_25partition_config_selectorILNS1_17partition_subalgoE6EiNS0_10empty_typeEbEEZZNS1_14partition_implILS5_6ELb0ES3_mN6thrust23THRUST_200600_302600_NS10device_ptrIiEEPS6_SD_NS0_5tupleIJSC_S6_EEENSE_IJSD_SD_EEES6_PlJ7is_evenIiEEEE10hipError_tPvRmT3_T4_T5_T6_T7_T9_mT8_P12ihipStream_tbDpT10_ENKUlT_T0_E_clISt17integral_constantIbLb1EES12_IbLb0EEEEDaSY_SZ_EUlSY_E_NS1_11comp_targetILNS1_3genE8ELNS1_11target_archE1030ELNS1_3gpuE2ELNS1_3repE0EEENS1_30default_config_static_selectorELNS0_4arch9wavefront6targetE0EEEvT1_.kd
    .uniform_work_group_size: 1
    .uses_dynamic_stack: false
    .vgpr_count:     0
    .vgpr_spill_count: 0
    .wavefront_size: 32
    .workgroup_processor_mode: 1
  - .args:
      - .offset:         0
        .size:           128
        .value_kind:     by_value
    .group_segment_fixed_size: 0
    .kernarg_segment_align: 8
    .kernarg_segment_size: 128
    .language:       OpenCL C
    .language_version:
      - 2
      - 0
    .max_flat_workgroup_size: 256
    .name:           _ZN7rocprim17ROCPRIM_400000_NS6detail17trampoline_kernelINS0_14default_configENS1_25partition_config_selectorILNS1_17partition_subalgoE6EiNS0_10empty_typeEbEEZZNS1_14partition_implILS5_6ELb0ES3_mN6thrust23THRUST_200600_302600_NS10device_ptrIiEEPS6_SD_NS0_5tupleIJSC_S6_EEENSE_IJSD_SD_EEES6_PlJ7is_evenIiEEEE10hipError_tPvRmT3_T4_T5_T6_T7_T9_mT8_P12ihipStream_tbDpT10_ENKUlT_T0_E_clISt17integral_constantIbLb0EES12_IbLb1EEEEDaSY_SZ_EUlSY_E_NS1_11comp_targetILNS1_3genE0ELNS1_11target_archE4294967295ELNS1_3gpuE0ELNS1_3repE0EEENS1_30default_config_static_selectorELNS0_4arch9wavefront6targetE0EEEvT1_
    .private_segment_fixed_size: 0
    .sgpr_count:     0
    .sgpr_spill_count: 0
    .symbol:         _ZN7rocprim17ROCPRIM_400000_NS6detail17trampoline_kernelINS0_14default_configENS1_25partition_config_selectorILNS1_17partition_subalgoE6EiNS0_10empty_typeEbEEZZNS1_14partition_implILS5_6ELb0ES3_mN6thrust23THRUST_200600_302600_NS10device_ptrIiEEPS6_SD_NS0_5tupleIJSC_S6_EEENSE_IJSD_SD_EEES6_PlJ7is_evenIiEEEE10hipError_tPvRmT3_T4_T5_T6_T7_T9_mT8_P12ihipStream_tbDpT10_ENKUlT_T0_E_clISt17integral_constantIbLb0EES12_IbLb1EEEEDaSY_SZ_EUlSY_E_NS1_11comp_targetILNS1_3genE0ELNS1_11target_archE4294967295ELNS1_3gpuE0ELNS1_3repE0EEENS1_30default_config_static_selectorELNS0_4arch9wavefront6targetE0EEEvT1_.kd
    .uniform_work_group_size: 1
    .uses_dynamic_stack: false
    .vgpr_count:     0
    .vgpr_spill_count: 0
    .wavefront_size: 32
    .workgroup_processor_mode: 1
  - .args:
      - .offset:         0
        .size:           128
        .value_kind:     by_value
    .group_segment_fixed_size: 0
    .kernarg_segment_align: 8
    .kernarg_segment_size: 128
    .language:       OpenCL C
    .language_version:
      - 2
      - 0
    .max_flat_workgroup_size: 512
    .name:           _ZN7rocprim17ROCPRIM_400000_NS6detail17trampoline_kernelINS0_14default_configENS1_25partition_config_selectorILNS1_17partition_subalgoE6EiNS0_10empty_typeEbEEZZNS1_14partition_implILS5_6ELb0ES3_mN6thrust23THRUST_200600_302600_NS10device_ptrIiEEPS6_SD_NS0_5tupleIJSC_S6_EEENSE_IJSD_SD_EEES6_PlJ7is_evenIiEEEE10hipError_tPvRmT3_T4_T5_T6_T7_T9_mT8_P12ihipStream_tbDpT10_ENKUlT_T0_E_clISt17integral_constantIbLb0EES12_IbLb1EEEEDaSY_SZ_EUlSY_E_NS1_11comp_targetILNS1_3genE5ELNS1_11target_archE942ELNS1_3gpuE9ELNS1_3repE0EEENS1_30default_config_static_selectorELNS0_4arch9wavefront6targetE0EEEvT1_
    .private_segment_fixed_size: 0
    .sgpr_count:     0
    .sgpr_spill_count: 0
    .symbol:         _ZN7rocprim17ROCPRIM_400000_NS6detail17trampoline_kernelINS0_14default_configENS1_25partition_config_selectorILNS1_17partition_subalgoE6EiNS0_10empty_typeEbEEZZNS1_14partition_implILS5_6ELb0ES3_mN6thrust23THRUST_200600_302600_NS10device_ptrIiEEPS6_SD_NS0_5tupleIJSC_S6_EEENSE_IJSD_SD_EEES6_PlJ7is_evenIiEEEE10hipError_tPvRmT3_T4_T5_T6_T7_T9_mT8_P12ihipStream_tbDpT10_ENKUlT_T0_E_clISt17integral_constantIbLb0EES12_IbLb1EEEEDaSY_SZ_EUlSY_E_NS1_11comp_targetILNS1_3genE5ELNS1_11target_archE942ELNS1_3gpuE9ELNS1_3repE0EEENS1_30default_config_static_selectorELNS0_4arch9wavefront6targetE0EEEvT1_.kd
    .uniform_work_group_size: 1
    .uses_dynamic_stack: false
    .vgpr_count:     0
    .vgpr_spill_count: 0
    .wavefront_size: 32
    .workgroup_processor_mode: 1
  - .args:
      - .offset:         0
        .size:           128
        .value_kind:     by_value
    .group_segment_fixed_size: 0
    .kernarg_segment_align: 8
    .kernarg_segment_size: 128
    .language:       OpenCL C
    .language_version:
      - 2
      - 0
    .max_flat_workgroup_size: 512
    .name:           _ZN7rocprim17ROCPRIM_400000_NS6detail17trampoline_kernelINS0_14default_configENS1_25partition_config_selectorILNS1_17partition_subalgoE6EiNS0_10empty_typeEbEEZZNS1_14partition_implILS5_6ELb0ES3_mN6thrust23THRUST_200600_302600_NS10device_ptrIiEEPS6_SD_NS0_5tupleIJSC_S6_EEENSE_IJSD_SD_EEES6_PlJ7is_evenIiEEEE10hipError_tPvRmT3_T4_T5_T6_T7_T9_mT8_P12ihipStream_tbDpT10_ENKUlT_T0_E_clISt17integral_constantIbLb0EES12_IbLb1EEEEDaSY_SZ_EUlSY_E_NS1_11comp_targetILNS1_3genE4ELNS1_11target_archE910ELNS1_3gpuE8ELNS1_3repE0EEENS1_30default_config_static_selectorELNS0_4arch9wavefront6targetE0EEEvT1_
    .private_segment_fixed_size: 0
    .sgpr_count:     0
    .sgpr_spill_count: 0
    .symbol:         _ZN7rocprim17ROCPRIM_400000_NS6detail17trampoline_kernelINS0_14default_configENS1_25partition_config_selectorILNS1_17partition_subalgoE6EiNS0_10empty_typeEbEEZZNS1_14partition_implILS5_6ELb0ES3_mN6thrust23THRUST_200600_302600_NS10device_ptrIiEEPS6_SD_NS0_5tupleIJSC_S6_EEENSE_IJSD_SD_EEES6_PlJ7is_evenIiEEEE10hipError_tPvRmT3_T4_T5_T6_T7_T9_mT8_P12ihipStream_tbDpT10_ENKUlT_T0_E_clISt17integral_constantIbLb0EES12_IbLb1EEEEDaSY_SZ_EUlSY_E_NS1_11comp_targetILNS1_3genE4ELNS1_11target_archE910ELNS1_3gpuE8ELNS1_3repE0EEENS1_30default_config_static_selectorELNS0_4arch9wavefront6targetE0EEEvT1_.kd
    .uniform_work_group_size: 1
    .uses_dynamic_stack: false
    .vgpr_count:     0
    .vgpr_spill_count: 0
    .wavefront_size: 32
    .workgroup_processor_mode: 1
  - .args:
      - .offset:         0
        .size:           128
        .value_kind:     by_value
    .group_segment_fixed_size: 0
    .kernarg_segment_align: 8
    .kernarg_segment_size: 128
    .language:       OpenCL C
    .language_version:
      - 2
      - 0
    .max_flat_workgroup_size: 256
    .name:           _ZN7rocprim17ROCPRIM_400000_NS6detail17trampoline_kernelINS0_14default_configENS1_25partition_config_selectorILNS1_17partition_subalgoE6EiNS0_10empty_typeEbEEZZNS1_14partition_implILS5_6ELb0ES3_mN6thrust23THRUST_200600_302600_NS10device_ptrIiEEPS6_SD_NS0_5tupleIJSC_S6_EEENSE_IJSD_SD_EEES6_PlJ7is_evenIiEEEE10hipError_tPvRmT3_T4_T5_T6_T7_T9_mT8_P12ihipStream_tbDpT10_ENKUlT_T0_E_clISt17integral_constantIbLb0EES12_IbLb1EEEEDaSY_SZ_EUlSY_E_NS1_11comp_targetILNS1_3genE3ELNS1_11target_archE908ELNS1_3gpuE7ELNS1_3repE0EEENS1_30default_config_static_selectorELNS0_4arch9wavefront6targetE0EEEvT1_
    .private_segment_fixed_size: 0
    .sgpr_count:     0
    .sgpr_spill_count: 0
    .symbol:         _ZN7rocprim17ROCPRIM_400000_NS6detail17trampoline_kernelINS0_14default_configENS1_25partition_config_selectorILNS1_17partition_subalgoE6EiNS0_10empty_typeEbEEZZNS1_14partition_implILS5_6ELb0ES3_mN6thrust23THRUST_200600_302600_NS10device_ptrIiEEPS6_SD_NS0_5tupleIJSC_S6_EEENSE_IJSD_SD_EEES6_PlJ7is_evenIiEEEE10hipError_tPvRmT3_T4_T5_T6_T7_T9_mT8_P12ihipStream_tbDpT10_ENKUlT_T0_E_clISt17integral_constantIbLb0EES12_IbLb1EEEEDaSY_SZ_EUlSY_E_NS1_11comp_targetILNS1_3genE3ELNS1_11target_archE908ELNS1_3gpuE7ELNS1_3repE0EEENS1_30default_config_static_selectorELNS0_4arch9wavefront6targetE0EEEvT1_.kd
    .uniform_work_group_size: 1
    .uses_dynamic_stack: false
    .vgpr_count:     0
    .vgpr_spill_count: 0
    .wavefront_size: 32
    .workgroup_processor_mode: 1
  - .args:
      - .offset:         0
        .size:           128
        .value_kind:     by_value
    .group_segment_fixed_size: 0
    .kernarg_segment_align: 8
    .kernarg_segment_size: 128
    .language:       OpenCL C
    .language_version:
      - 2
      - 0
    .max_flat_workgroup_size: 192
    .name:           _ZN7rocprim17ROCPRIM_400000_NS6detail17trampoline_kernelINS0_14default_configENS1_25partition_config_selectorILNS1_17partition_subalgoE6EiNS0_10empty_typeEbEEZZNS1_14partition_implILS5_6ELb0ES3_mN6thrust23THRUST_200600_302600_NS10device_ptrIiEEPS6_SD_NS0_5tupleIJSC_S6_EEENSE_IJSD_SD_EEES6_PlJ7is_evenIiEEEE10hipError_tPvRmT3_T4_T5_T6_T7_T9_mT8_P12ihipStream_tbDpT10_ENKUlT_T0_E_clISt17integral_constantIbLb0EES12_IbLb1EEEEDaSY_SZ_EUlSY_E_NS1_11comp_targetILNS1_3genE2ELNS1_11target_archE906ELNS1_3gpuE6ELNS1_3repE0EEENS1_30default_config_static_selectorELNS0_4arch9wavefront6targetE0EEEvT1_
    .private_segment_fixed_size: 0
    .sgpr_count:     0
    .sgpr_spill_count: 0
    .symbol:         _ZN7rocprim17ROCPRIM_400000_NS6detail17trampoline_kernelINS0_14default_configENS1_25partition_config_selectorILNS1_17partition_subalgoE6EiNS0_10empty_typeEbEEZZNS1_14partition_implILS5_6ELb0ES3_mN6thrust23THRUST_200600_302600_NS10device_ptrIiEEPS6_SD_NS0_5tupleIJSC_S6_EEENSE_IJSD_SD_EEES6_PlJ7is_evenIiEEEE10hipError_tPvRmT3_T4_T5_T6_T7_T9_mT8_P12ihipStream_tbDpT10_ENKUlT_T0_E_clISt17integral_constantIbLb0EES12_IbLb1EEEEDaSY_SZ_EUlSY_E_NS1_11comp_targetILNS1_3genE2ELNS1_11target_archE906ELNS1_3gpuE6ELNS1_3repE0EEENS1_30default_config_static_selectorELNS0_4arch9wavefront6targetE0EEEvT1_.kd
    .uniform_work_group_size: 1
    .uses_dynamic_stack: false
    .vgpr_count:     0
    .vgpr_spill_count: 0
    .wavefront_size: 32
    .workgroup_processor_mode: 1
  - .args:
      - .offset:         0
        .size:           128
        .value_kind:     by_value
    .group_segment_fixed_size: 0
    .kernarg_segment_align: 8
    .kernarg_segment_size: 128
    .language:       OpenCL C
    .language_version:
      - 2
      - 0
    .max_flat_workgroup_size: 384
    .name:           _ZN7rocprim17ROCPRIM_400000_NS6detail17trampoline_kernelINS0_14default_configENS1_25partition_config_selectorILNS1_17partition_subalgoE6EiNS0_10empty_typeEbEEZZNS1_14partition_implILS5_6ELb0ES3_mN6thrust23THRUST_200600_302600_NS10device_ptrIiEEPS6_SD_NS0_5tupleIJSC_S6_EEENSE_IJSD_SD_EEES6_PlJ7is_evenIiEEEE10hipError_tPvRmT3_T4_T5_T6_T7_T9_mT8_P12ihipStream_tbDpT10_ENKUlT_T0_E_clISt17integral_constantIbLb0EES12_IbLb1EEEEDaSY_SZ_EUlSY_E_NS1_11comp_targetILNS1_3genE10ELNS1_11target_archE1200ELNS1_3gpuE4ELNS1_3repE0EEENS1_30default_config_static_selectorELNS0_4arch9wavefront6targetE0EEEvT1_
    .private_segment_fixed_size: 0
    .sgpr_count:     0
    .sgpr_spill_count: 0
    .symbol:         _ZN7rocprim17ROCPRIM_400000_NS6detail17trampoline_kernelINS0_14default_configENS1_25partition_config_selectorILNS1_17partition_subalgoE6EiNS0_10empty_typeEbEEZZNS1_14partition_implILS5_6ELb0ES3_mN6thrust23THRUST_200600_302600_NS10device_ptrIiEEPS6_SD_NS0_5tupleIJSC_S6_EEENSE_IJSD_SD_EEES6_PlJ7is_evenIiEEEE10hipError_tPvRmT3_T4_T5_T6_T7_T9_mT8_P12ihipStream_tbDpT10_ENKUlT_T0_E_clISt17integral_constantIbLb0EES12_IbLb1EEEEDaSY_SZ_EUlSY_E_NS1_11comp_targetILNS1_3genE10ELNS1_11target_archE1200ELNS1_3gpuE4ELNS1_3repE0EEENS1_30default_config_static_selectorELNS0_4arch9wavefront6targetE0EEEvT1_.kd
    .uniform_work_group_size: 1
    .uses_dynamic_stack: false
    .vgpr_count:     0
    .vgpr_spill_count: 0
    .wavefront_size: 32
    .workgroup_processor_mode: 1
  - .args:
      - .offset:         0
        .size:           128
        .value_kind:     by_value
    .group_segment_fixed_size: 7184
    .kernarg_segment_align: 8
    .kernarg_segment_size: 128
    .language:       OpenCL C
    .language_version:
      - 2
      - 0
    .max_flat_workgroup_size: 128
    .name:           _ZN7rocprim17ROCPRIM_400000_NS6detail17trampoline_kernelINS0_14default_configENS1_25partition_config_selectorILNS1_17partition_subalgoE6EiNS0_10empty_typeEbEEZZNS1_14partition_implILS5_6ELb0ES3_mN6thrust23THRUST_200600_302600_NS10device_ptrIiEEPS6_SD_NS0_5tupleIJSC_S6_EEENSE_IJSD_SD_EEES6_PlJ7is_evenIiEEEE10hipError_tPvRmT3_T4_T5_T6_T7_T9_mT8_P12ihipStream_tbDpT10_ENKUlT_T0_E_clISt17integral_constantIbLb0EES12_IbLb1EEEEDaSY_SZ_EUlSY_E_NS1_11comp_targetILNS1_3genE9ELNS1_11target_archE1100ELNS1_3gpuE3ELNS1_3repE0EEENS1_30default_config_static_selectorELNS0_4arch9wavefront6targetE0EEEvT1_
    .private_segment_fixed_size: 0
    .sgpr_count:     22
    .sgpr_spill_count: 0
    .symbol:         _ZN7rocprim17ROCPRIM_400000_NS6detail17trampoline_kernelINS0_14default_configENS1_25partition_config_selectorILNS1_17partition_subalgoE6EiNS0_10empty_typeEbEEZZNS1_14partition_implILS5_6ELb0ES3_mN6thrust23THRUST_200600_302600_NS10device_ptrIiEEPS6_SD_NS0_5tupleIJSC_S6_EEENSE_IJSD_SD_EEES6_PlJ7is_evenIiEEEE10hipError_tPvRmT3_T4_T5_T6_T7_T9_mT8_P12ihipStream_tbDpT10_ENKUlT_T0_E_clISt17integral_constantIbLb0EES12_IbLb1EEEEDaSY_SZ_EUlSY_E_NS1_11comp_targetILNS1_3genE9ELNS1_11target_archE1100ELNS1_3gpuE3ELNS1_3repE0EEENS1_30default_config_static_selectorELNS0_4arch9wavefront6targetE0EEEvT1_.kd
    .uniform_work_group_size: 1
    .uses_dynamic_stack: false
    .vgpr_count:     76
    .vgpr_spill_count: 0
    .wavefront_size: 32
    .workgroup_processor_mode: 1
  - .args:
      - .offset:         0
        .size:           128
        .value_kind:     by_value
    .group_segment_fixed_size: 0
    .kernarg_segment_align: 8
    .kernarg_segment_size: 128
    .language:       OpenCL C
    .language_version:
      - 2
      - 0
    .max_flat_workgroup_size: 512
    .name:           _ZN7rocprim17ROCPRIM_400000_NS6detail17trampoline_kernelINS0_14default_configENS1_25partition_config_selectorILNS1_17partition_subalgoE6EiNS0_10empty_typeEbEEZZNS1_14partition_implILS5_6ELb0ES3_mN6thrust23THRUST_200600_302600_NS10device_ptrIiEEPS6_SD_NS0_5tupleIJSC_S6_EEENSE_IJSD_SD_EEES6_PlJ7is_evenIiEEEE10hipError_tPvRmT3_T4_T5_T6_T7_T9_mT8_P12ihipStream_tbDpT10_ENKUlT_T0_E_clISt17integral_constantIbLb0EES12_IbLb1EEEEDaSY_SZ_EUlSY_E_NS1_11comp_targetILNS1_3genE8ELNS1_11target_archE1030ELNS1_3gpuE2ELNS1_3repE0EEENS1_30default_config_static_selectorELNS0_4arch9wavefront6targetE0EEEvT1_
    .private_segment_fixed_size: 0
    .sgpr_count:     0
    .sgpr_spill_count: 0
    .symbol:         _ZN7rocprim17ROCPRIM_400000_NS6detail17trampoline_kernelINS0_14default_configENS1_25partition_config_selectorILNS1_17partition_subalgoE6EiNS0_10empty_typeEbEEZZNS1_14partition_implILS5_6ELb0ES3_mN6thrust23THRUST_200600_302600_NS10device_ptrIiEEPS6_SD_NS0_5tupleIJSC_S6_EEENSE_IJSD_SD_EEES6_PlJ7is_evenIiEEEE10hipError_tPvRmT3_T4_T5_T6_T7_T9_mT8_P12ihipStream_tbDpT10_ENKUlT_T0_E_clISt17integral_constantIbLb0EES12_IbLb1EEEEDaSY_SZ_EUlSY_E_NS1_11comp_targetILNS1_3genE8ELNS1_11target_archE1030ELNS1_3gpuE2ELNS1_3repE0EEENS1_30default_config_static_selectorELNS0_4arch9wavefront6targetE0EEEvT1_.kd
    .uniform_work_group_size: 1
    .uses_dynamic_stack: false
    .vgpr_count:     0
    .vgpr_spill_count: 0
    .wavefront_size: 32
    .workgroup_processor_mode: 1
amdhsa.target:   amdgcn-amd-amdhsa--gfx1100
amdhsa.version:
  - 1
  - 2
...

	.end_amdgpu_metadata
